;; amdgpu-corpus repo=pytorch/pytorch kind=compiled arch=gfx1201 opt=O3
	.amdgcn_target "amdgcn-amd-amdhsa--gfx1201"
	.amdhsa_code_object_version 6
	.section	.text._ZN2at6native12_GLOBAL__N_116write_fill_valueEPlS2_ll,"axG",@progbits,_ZN2at6native12_GLOBAL__N_116write_fill_valueEPlS2_ll,comdat
	.globl	_ZN2at6native12_GLOBAL__N_116write_fill_valueEPlS2_ll ; -- Begin function _ZN2at6native12_GLOBAL__N_116write_fill_valueEPlS2_ll
	.p2align	8
	.type	_ZN2at6native12_GLOBAL__N_116write_fill_valueEPlS2_ll,@function
_ZN2at6native12_GLOBAL__N_116write_fill_valueEPlS2_ll: ; @_ZN2at6native12_GLOBAL__N_116write_fill_valueEPlS2_ll
; %bb.0:
	s_load_b256 s[4:11], s[0:1], 0x0
	s_wait_kmcnt 0x0
	s_load_b64 s[2:3], s[6:7], 0x0
	s_load_b32 s6, s[0:1], 0x2c
	s_wait_kmcnt 0x0
	v_add_co_u32 v0, s2, s2, v0
	s_wait_alu 0xf1ff
	v_add_co_ci_u32_e64 v1, null, s3, 0, s2
	s_and_b32 s2, s6, 0xffff
	s_mov_b32 s3, exec_lo
	s_wait_alu 0xfffe
	v_mad_co_u64_u32 v[0:1], null, s2, ttmp9, v[0:1]
	s_delay_alu instid0(VALU_DEP_1)
	v_cmpx_gt_i64_e64 s[10:11], v[0:1]
	s_cbranch_execz .LBB0_3
; %bb.1:
	s_add_nc_u64 s[0:1], s[0:1], 32
	v_lshlrev_b64_e32 v[4:5], 3, v[0:1]
	s_load_b32 s0, s[0:1], 0x0
	v_dual_mov_b32 v2, s8 :: v_dual_mov_b32 v3, s9
	s_mov_b32 s3, 0
	s_delay_alu instid0(VALU_DEP_2) | instskip(NEXT) | instid1(VALU_DEP_1)
	v_add_co_u32 v4, vcc_lo, s4, v4
	v_add_co_ci_u32_e64 v5, null, s5, v5, vcc_lo
	s_wait_kmcnt 0x0
	s_mul_i32 s2, s0, s2
	s_wait_alu 0xfffe
	s_lshl_b64 s[4:5], s[2:3], 3
.LBB0_2:                                ; =>This Inner Loop Header: Depth=1
	v_add_co_u32 v0, vcc_lo, v0, s2
	s_wait_alu 0xfffd
	v_add_co_ci_u32_e64 v1, null, 0, v1, vcc_lo
	global_store_b64 v[4:5], v[2:3], off
	s_wait_alu 0xfffe
	v_add_co_u32 v4, s0, v4, s4
	v_cmp_le_i64_e32 vcc_lo, s[10:11], v[0:1]
	s_wait_alu 0xf1ff
	v_add_co_ci_u32_e64 v5, null, s5, v5, s0
	s_or_b32 s3, vcc_lo, s3
	s_wait_alu 0xfffe
	s_and_not1_b32 exec_lo, exec_lo, s3
	s_cbranch_execnz .LBB0_2
.LBB0_3:
	s_endpgm
	.section	.rodata,"a",@progbits
	.p2align	6, 0x0
	.amdhsa_kernel _ZN2at6native12_GLOBAL__N_116write_fill_valueEPlS2_ll
		.amdhsa_group_segment_fixed_size 0
		.amdhsa_private_segment_fixed_size 0
		.amdhsa_kernarg_size 288
		.amdhsa_user_sgpr_count 2
		.amdhsa_user_sgpr_dispatch_ptr 0
		.amdhsa_user_sgpr_queue_ptr 0
		.amdhsa_user_sgpr_kernarg_segment_ptr 1
		.amdhsa_user_sgpr_dispatch_id 0
		.amdhsa_user_sgpr_private_segment_size 0
		.amdhsa_wavefront_size32 1
		.amdhsa_uses_dynamic_stack 0
		.amdhsa_enable_private_segment 0
		.amdhsa_system_sgpr_workgroup_id_x 1
		.amdhsa_system_sgpr_workgroup_id_y 0
		.amdhsa_system_sgpr_workgroup_id_z 0
		.amdhsa_system_sgpr_workgroup_info 0
		.amdhsa_system_vgpr_workitem_id 0
		.amdhsa_next_free_vgpr 6
		.amdhsa_next_free_sgpr 12
		.amdhsa_reserve_vcc 1
		.amdhsa_float_round_mode_32 0
		.amdhsa_float_round_mode_16_64 0
		.amdhsa_float_denorm_mode_32 3
		.amdhsa_float_denorm_mode_16_64 3
		.amdhsa_fp16_overflow 0
		.amdhsa_workgroup_processor_mode 1
		.amdhsa_memory_ordered 1
		.amdhsa_forward_progress 1
		.amdhsa_inst_pref_size 2
		.amdhsa_round_robin_scheduling 0
		.amdhsa_exception_fp_ieee_invalid_op 0
		.amdhsa_exception_fp_denorm_src 0
		.amdhsa_exception_fp_ieee_div_zero 0
		.amdhsa_exception_fp_ieee_overflow 0
		.amdhsa_exception_fp_ieee_underflow 0
		.amdhsa_exception_fp_ieee_inexact 0
		.amdhsa_exception_int_div_zero 0
	.end_amdhsa_kernel
	.section	.text._ZN2at6native12_GLOBAL__N_116write_fill_valueEPlS2_ll,"axG",@progbits,_ZN2at6native12_GLOBAL__N_116write_fill_valueEPlS2_ll,comdat
.Lfunc_end0:
	.size	_ZN2at6native12_GLOBAL__N_116write_fill_valueEPlS2_ll, .Lfunc_end0-_ZN2at6native12_GLOBAL__N_116write_fill_valueEPlS2_ll
                                        ; -- End function
	.set _ZN2at6native12_GLOBAL__N_116write_fill_valueEPlS2_ll.num_vgpr, 6
	.set _ZN2at6native12_GLOBAL__N_116write_fill_valueEPlS2_ll.num_agpr, 0
	.set _ZN2at6native12_GLOBAL__N_116write_fill_valueEPlS2_ll.numbered_sgpr, 12
	.set _ZN2at6native12_GLOBAL__N_116write_fill_valueEPlS2_ll.num_named_barrier, 0
	.set _ZN2at6native12_GLOBAL__N_116write_fill_valueEPlS2_ll.private_seg_size, 0
	.set _ZN2at6native12_GLOBAL__N_116write_fill_valueEPlS2_ll.uses_vcc, 1
	.set _ZN2at6native12_GLOBAL__N_116write_fill_valueEPlS2_ll.uses_flat_scratch, 0
	.set _ZN2at6native12_GLOBAL__N_116write_fill_valueEPlS2_ll.has_dyn_sized_stack, 0
	.set _ZN2at6native12_GLOBAL__N_116write_fill_valueEPlS2_ll.has_recursion, 0
	.set _ZN2at6native12_GLOBAL__N_116write_fill_valueEPlS2_ll.has_indirect_call, 0
	.section	.AMDGPU.csdata,"",@progbits
; Kernel info:
; codeLenInByte = 236
; TotalNumSgprs: 14
; NumVgprs: 6
; ScratchSize: 0
; MemoryBound: 0
; FloatMode: 240
; IeeeMode: 1
; LDSByteSize: 0 bytes/workgroup (compile time only)
; SGPRBlocks: 0
; VGPRBlocks: 0
; NumSGPRsForWavesPerEU: 14
; NumVGPRsForWavesPerEU: 6
; Occupancy: 16
; WaveLimiterHint : 0
; COMPUTE_PGM_RSRC2:SCRATCH_EN: 0
; COMPUTE_PGM_RSRC2:USER_SGPR: 2
; COMPUTE_PGM_RSRC2:TRAP_HANDLER: 0
; COMPUTE_PGM_RSRC2:TGID_X_EN: 1
; COMPUTE_PGM_RSRC2:TGID_Y_EN: 0
; COMPUTE_PGM_RSRC2:TGID_Z_EN: 0
; COMPUTE_PGM_RSRC2:TIDIG_COMP_CNT: 0
	.section	.text._ZN7rocprim17ROCPRIM_400000_NS6detail17trampoline_kernelINS0_14default_configENS1_22reduce_config_selectorIiEEZNS1_11reduce_implILb1ES3_PiS7_iN6hipcub16HIPCUB_304000_NS6detail34convert_binary_result_type_wrapperINS9_3SumENS9_22TransformInputIteratorIbN2at6native12_GLOBAL__N_19NonZeroOpIhEEPKhlEEiEEEE10hipError_tPvRmT1_T2_T3_mT4_P12ihipStream_tbEUlT_E0_NS1_11comp_targetILNS1_3genE0ELNS1_11target_archE4294967295ELNS1_3gpuE0ELNS1_3repE0EEENS1_30default_config_static_selectorELNS0_4arch9wavefront6targetE0EEEvSQ_,"axG",@progbits,_ZN7rocprim17ROCPRIM_400000_NS6detail17trampoline_kernelINS0_14default_configENS1_22reduce_config_selectorIiEEZNS1_11reduce_implILb1ES3_PiS7_iN6hipcub16HIPCUB_304000_NS6detail34convert_binary_result_type_wrapperINS9_3SumENS9_22TransformInputIteratorIbN2at6native12_GLOBAL__N_19NonZeroOpIhEEPKhlEEiEEEE10hipError_tPvRmT1_T2_T3_mT4_P12ihipStream_tbEUlT_E0_NS1_11comp_targetILNS1_3genE0ELNS1_11target_archE4294967295ELNS1_3gpuE0ELNS1_3repE0EEENS1_30default_config_static_selectorELNS0_4arch9wavefront6targetE0EEEvSQ_,comdat
	.globl	_ZN7rocprim17ROCPRIM_400000_NS6detail17trampoline_kernelINS0_14default_configENS1_22reduce_config_selectorIiEEZNS1_11reduce_implILb1ES3_PiS7_iN6hipcub16HIPCUB_304000_NS6detail34convert_binary_result_type_wrapperINS9_3SumENS9_22TransformInputIteratorIbN2at6native12_GLOBAL__N_19NonZeroOpIhEEPKhlEEiEEEE10hipError_tPvRmT1_T2_T3_mT4_P12ihipStream_tbEUlT_E0_NS1_11comp_targetILNS1_3genE0ELNS1_11target_archE4294967295ELNS1_3gpuE0ELNS1_3repE0EEENS1_30default_config_static_selectorELNS0_4arch9wavefront6targetE0EEEvSQ_ ; -- Begin function _ZN7rocprim17ROCPRIM_400000_NS6detail17trampoline_kernelINS0_14default_configENS1_22reduce_config_selectorIiEEZNS1_11reduce_implILb1ES3_PiS7_iN6hipcub16HIPCUB_304000_NS6detail34convert_binary_result_type_wrapperINS9_3SumENS9_22TransformInputIteratorIbN2at6native12_GLOBAL__N_19NonZeroOpIhEEPKhlEEiEEEE10hipError_tPvRmT1_T2_T3_mT4_P12ihipStream_tbEUlT_E0_NS1_11comp_targetILNS1_3genE0ELNS1_11target_archE4294967295ELNS1_3gpuE0ELNS1_3repE0EEENS1_30default_config_static_selectorELNS0_4arch9wavefront6targetE0EEEvSQ_
	.p2align	8
	.type	_ZN7rocprim17ROCPRIM_400000_NS6detail17trampoline_kernelINS0_14default_configENS1_22reduce_config_selectorIiEEZNS1_11reduce_implILb1ES3_PiS7_iN6hipcub16HIPCUB_304000_NS6detail34convert_binary_result_type_wrapperINS9_3SumENS9_22TransformInputIteratorIbN2at6native12_GLOBAL__N_19NonZeroOpIhEEPKhlEEiEEEE10hipError_tPvRmT1_T2_T3_mT4_P12ihipStream_tbEUlT_E0_NS1_11comp_targetILNS1_3genE0ELNS1_11target_archE4294967295ELNS1_3gpuE0ELNS1_3repE0EEENS1_30default_config_static_selectorELNS0_4arch9wavefront6targetE0EEEvSQ_,@function
_ZN7rocprim17ROCPRIM_400000_NS6detail17trampoline_kernelINS0_14default_configENS1_22reduce_config_selectorIiEEZNS1_11reduce_implILb1ES3_PiS7_iN6hipcub16HIPCUB_304000_NS6detail34convert_binary_result_type_wrapperINS9_3SumENS9_22TransformInputIteratorIbN2at6native12_GLOBAL__N_19NonZeroOpIhEEPKhlEEiEEEE10hipError_tPvRmT1_T2_T3_mT4_P12ihipStream_tbEUlT_E0_NS1_11comp_targetILNS1_3genE0ELNS1_11target_archE4294967295ELNS1_3gpuE0ELNS1_3repE0EEENS1_30default_config_static_selectorELNS0_4arch9wavefront6targetE0EEEvSQ_: ; @_ZN7rocprim17ROCPRIM_400000_NS6detail17trampoline_kernelINS0_14default_configENS1_22reduce_config_selectorIiEEZNS1_11reduce_implILb1ES3_PiS7_iN6hipcub16HIPCUB_304000_NS6detail34convert_binary_result_type_wrapperINS9_3SumENS9_22TransformInputIteratorIbN2at6native12_GLOBAL__N_19NonZeroOpIhEEPKhlEEiEEEE10hipError_tPvRmT1_T2_T3_mT4_P12ihipStream_tbEUlT_E0_NS1_11comp_targetILNS1_3genE0ELNS1_11target_archE4294967295ELNS1_3gpuE0ELNS1_3repE0EEENS1_30default_config_static_selectorELNS0_4arch9wavefront6targetE0EEEvSQ_
; %bb.0:
	.section	.rodata,"a",@progbits
	.p2align	6, 0x0
	.amdhsa_kernel _ZN7rocprim17ROCPRIM_400000_NS6detail17trampoline_kernelINS0_14default_configENS1_22reduce_config_selectorIiEEZNS1_11reduce_implILb1ES3_PiS7_iN6hipcub16HIPCUB_304000_NS6detail34convert_binary_result_type_wrapperINS9_3SumENS9_22TransformInputIteratorIbN2at6native12_GLOBAL__N_19NonZeroOpIhEEPKhlEEiEEEE10hipError_tPvRmT1_T2_T3_mT4_P12ihipStream_tbEUlT_E0_NS1_11comp_targetILNS1_3genE0ELNS1_11target_archE4294967295ELNS1_3gpuE0ELNS1_3repE0EEENS1_30default_config_static_selectorELNS0_4arch9wavefront6targetE0EEEvSQ_
		.amdhsa_group_segment_fixed_size 0
		.amdhsa_private_segment_fixed_size 0
		.amdhsa_kernarg_size 56
		.amdhsa_user_sgpr_count 2
		.amdhsa_user_sgpr_dispatch_ptr 0
		.amdhsa_user_sgpr_queue_ptr 0
		.amdhsa_user_sgpr_kernarg_segment_ptr 1
		.amdhsa_user_sgpr_dispatch_id 0
		.amdhsa_user_sgpr_private_segment_size 0
		.amdhsa_wavefront_size32 1
		.amdhsa_uses_dynamic_stack 0
		.amdhsa_enable_private_segment 0
		.amdhsa_system_sgpr_workgroup_id_x 1
		.amdhsa_system_sgpr_workgroup_id_y 0
		.amdhsa_system_sgpr_workgroup_id_z 0
		.amdhsa_system_sgpr_workgroup_info 0
		.amdhsa_system_vgpr_workitem_id 0
		.amdhsa_next_free_vgpr 1
		.amdhsa_next_free_sgpr 1
		.amdhsa_reserve_vcc 0
		.amdhsa_float_round_mode_32 0
		.amdhsa_float_round_mode_16_64 0
		.amdhsa_float_denorm_mode_32 3
		.amdhsa_float_denorm_mode_16_64 3
		.amdhsa_fp16_overflow 0
		.amdhsa_workgroup_processor_mode 1
		.amdhsa_memory_ordered 1
		.amdhsa_forward_progress 1
		.amdhsa_inst_pref_size 0
		.amdhsa_round_robin_scheduling 0
		.amdhsa_exception_fp_ieee_invalid_op 0
		.amdhsa_exception_fp_denorm_src 0
		.amdhsa_exception_fp_ieee_div_zero 0
		.amdhsa_exception_fp_ieee_overflow 0
		.amdhsa_exception_fp_ieee_underflow 0
		.amdhsa_exception_fp_ieee_inexact 0
		.amdhsa_exception_int_div_zero 0
	.end_amdhsa_kernel
	.section	.text._ZN7rocprim17ROCPRIM_400000_NS6detail17trampoline_kernelINS0_14default_configENS1_22reduce_config_selectorIiEEZNS1_11reduce_implILb1ES3_PiS7_iN6hipcub16HIPCUB_304000_NS6detail34convert_binary_result_type_wrapperINS9_3SumENS9_22TransformInputIteratorIbN2at6native12_GLOBAL__N_19NonZeroOpIhEEPKhlEEiEEEE10hipError_tPvRmT1_T2_T3_mT4_P12ihipStream_tbEUlT_E0_NS1_11comp_targetILNS1_3genE0ELNS1_11target_archE4294967295ELNS1_3gpuE0ELNS1_3repE0EEENS1_30default_config_static_selectorELNS0_4arch9wavefront6targetE0EEEvSQ_,"axG",@progbits,_ZN7rocprim17ROCPRIM_400000_NS6detail17trampoline_kernelINS0_14default_configENS1_22reduce_config_selectorIiEEZNS1_11reduce_implILb1ES3_PiS7_iN6hipcub16HIPCUB_304000_NS6detail34convert_binary_result_type_wrapperINS9_3SumENS9_22TransformInputIteratorIbN2at6native12_GLOBAL__N_19NonZeroOpIhEEPKhlEEiEEEE10hipError_tPvRmT1_T2_T3_mT4_P12ihipStream_tbEUlT_E0_NS1_11comp_targetILNS1_3genE0ELNS1_11target_archE4294967295ELNS1_3gpuE0ELNS1_3repE0EEENS1_30default_config_static_selectorELNS0_4arch9wavefront6targetE0EEEvSQ_,comdat
.Lfunc_end1:
	.size	_ZN7rocprim17ROCPRIM_400000_NS6detail17trampoline_kernelINS0_14default_configENS1_22reduce_config_selectorIiEEZNS1_11reduce_implILb1ES3_PiS7_iN6hipcub16HIPCUB_304000_NS6detail34convert_binary_result_type_wrapperINS9_3SumENS9_22TransformInputIteratorIbN2at6native12_GLOBAL__N_19NonZeroOpIhEEPKhlEEiEEEE10hipError_tPvRmT1_T2_T3_mT4_P12ihipStream_tbEUlT_E0_NS1_11comp_targetILNS1_3genE0ELNS1_11target_archE4294967295ELNS1_3gpuE0ELNS1_3repE0EEENS1_30default_config_static_selectorELNS0_4arch9wavefront6targetE0EEEvSQ_, .Lfunc_end1-_ZN7rocprim17ROCPRIM_400000_NS6detail17trampoline_kernelINS0_14default_configENS1_22reduce_config_selectorIiEEZNS1_11reduce_implILb1ES3_PiS7_iN6hipcub16HIPCUB_304000_NS6detail34convert_binary_result_type_wrapperINS9_3SumENS9_22TransformInputIteratorIbN2at6native12_GLOBAL__N_19NonZeroOpIhEEPKhlEEiEEEE10hipError_tPvRmT1_T2_T3_mT4_P12ihipStream_tbEUlT_E0_NS1_11comp_targetILNS1_3genE0ELNS1_11target_archE4294967295ELNS1_3gpuE0ELNS1_3repE0EEENS1_30default_config_static_selectorELNS0_4arch9wavefront6targetE0EEEvSQ_
                                        ; -- End function
	.set _ZN7rocprim17ROCPRIM_400000_NS6detail17trampoline_kernelINS0_14default_configENS1_22reduce_config_selectorIiEEZNS1_11reduce_implILb1ES3_PiS7_iN6hipcub16HIPCUB_304000_NS6detail34convert_binary_result_type_wrapperINS9_3SumENS9_22TransformInputIteratorIbN2at6native12_GLOBAL__N_19NonZeroOpIhEEPKhlEEiEEEE10hipError_tPvRmT1_T2_T3_mT4_P12ihipStream_tbEUlT_E0_NS1_11comp_targetILNS1_3genE0ELNS1_11target_archE4294967295ELNS1_3gpuE0ELNS1_3repE0EEENS1_30default_config_static_selectorELNS0_4arch9wavefront6targetE0EEEvSQ_.num_vgpr, 0
	.set _ZN7rocprim17ROCPRIM_400000_NS6detail17trampoline_kernelINS0_14default_configENS1_22reduce_config_selectorIiEEZNS1_11reduce_implILb1ES3_PiS7_iN6hipcub16HIPCUB_304000_NS6detail34convert_binary_result_type_wrapperINS9_3SumENS9_22TransformInputIteratorIbN2at6native12_GLOBAL__N_19NonZeroOpIhEEPKhlEEiEEEE10hipError_tPvRmT1_T2_T3_mT4_P12ihipStream_tbEUlT_E0_NS1_11comp_targetILNS1_3genE0ELNS1_11target_archE4294967295ELNS1_3gpuE0ELNS1_3repE0EEENS1_30default_config_static_selectorELNS0_4arch9wavefront6targetE0EEEvSQ_.num_agpr, 0
	.set _ZN7rocprim17ROCPRIM_400000_NS6detail17trampoline_kernelINS0_14default_configENS1_22reduce_config_selectorIiEEZNS1_11reduce_implILb1ES3_PiS7_iN6hipcub16HIPCUB_304000_NS6detail34convert_binary_result_type_wrapperINS9_3SumENS9_22TransformInputIteratorIbN2at6native12_GLOBAL__N_19NonZeroOpIhEEPKhlEEiEEEE10hipError_tPvRmT1_T2_T3_mT4_P12ihipStream_tbEUlT_E0_NS1_11comp_targetILNS1_3genE0ELNS1_11target_archE4294967295ELNS1_3gpuE0ELNS1_3repE0EEENS1_30default_config_static_selectorELNS0_4arch9wavefront6targetE0EEEvSQ_.numbered_sgpr, 0
	.set _ZN7rocprim17ROCPRIM_400000_NS6detail17trampoline_kernelINS0_14default_configENS1_22reduce_config_selectorIiEEZNS1_11reduce_implILb1ES3_PiS7_iN6hipcub16HIPCUB_304000_NS6detail34convert_binary_result_type_wrapperINS9_3SumENS9_22TransformInputIteratorIbN2at6native12_GLOBAL__N_19NonZeroOpIhEEPKhlEEiEEEE10hipError_tPvRmT1_T2_T3_mT4_P12ihipStream_tbEUlT_E0_NS1_11comp_targetILNS1_3genE0ELNS1_11target_archE4294967295ELNS1_3gpuE0ELNS1_3repE0EEENS1_30default_config_static_selectorELNS0_4arch9wavefront6targetE0EEEvSQ_.num_named_barrier, 0
	.set _ZN7rocprim17ROCPRIM_400000_NS6detail17trampoline_kernelINS0_14default_configENS1_22reduce_config_selectorIiEEZNS1_11reduce_implILb1ES3_PiS7_iN6hipcub16HIPCUB_304000_NS6detail34convert_binary_result_type_wrapperINS9_3SumENS9_22TransformInputIteratorIbN2at6native12_GLOBAL__N_19NonZeroOpIhEEPKhlEEiEEEE10hipError_tPvRmT1_T2_T3_mT4_P12ihipStream_tbEUlT_E0_NS1_11comp_targetILNS1_3genE0ELNS1_11target_archE4294967295ELNS1_3gpuE0ELNS1_3repE0EEENS1_30default_config_static_selectorELNS0_4arch9wavefront6targetE0EEEvSQ_.private_seg_size, 0
	.set _ZN7rocprim17ROCPRIM_400000_NS6detail17trampoline_kernelINS0_14default_configENS1_22reduce_config_selectorIiEEZNS1_11reduce_implILb1ES3_PiS7_iN6hipcub16HIPCUB_304000_NS6detail34convert_binary_result_type_wrapperINS9_3SumENS9_22TransformInputIteratorIbN2at6native12_GLOBAL__N_19NonZeroOpIhEEPKhlEEiEEEE10hipError_tPvRmT1_T2_T3_mT4_P12ihipStream_tbEUlT_E0_NS1_11comp_targetILNS1_3genE0ELNS1_11target_archE4294967295ELNS1_3gpuE0ELNS1_3repE0EEENS1_30default_config_static_selectorELNS0_4arch9wavefront6targetE0EEEvSQ_.uses_vcc, 0
	.set _ZN7rocprim17ROCPRIM_400000_NS6detail17trampoline_kernelINS0_14default_configENS1_22reduce_config_selectorIiEEZNS1_11reduce_implILb1ES3_PiS7_iN6hipcub16HIPCUB_304000_NS6detail34convert_binary_result_type_wrapperINS9_3SumENS9_22TransformInputIteratorIbN2at6native12_GLOBAL__N_19NonZeroOpIhEEPKhlEEiEEEE10hipError_tPvRmT1_T2_T3_mT4_P12ihipStream_tbEUlT_E0_NS1_11comp_targetILNS1_3genE0ELNS1_11target_archE4294967295ELNS1_3gpuE0ELNS1_3repE0EEENS1_30default_config_static_selectorELNS0_4arch9wavefront6targetE0EEEvSQ_.uses_flat_scratch, 0
	.set _ZN7rocprim17ROCPRIM_400000_NS6detail17trampoline_kernelINS0_14default_configENS1_22reduce_config_selectorIiEEZNS1_11reduce_implILb1ES3_PiS7_iN6hipcub16HIPCUB_304000_NS6detail34convert_binary_result_type_wrapperINS9_3SumENS9_22TransformInputIteratorIbN2at6native12_GLOBAL__N_19NonZeroOpIhEEPKhlEEiEEEE10hipError_tPvRmT1_T2_T3_mT4_P12ihipStream_tbEUlT_E0_NS1_11comp_targetILNS1_3genE0ELNS1_11target_archE4294967295ELNS1_3gpuE0ELNS1_3repE0EEENS1_30default_config_static_selectorELNS0_4arch9wavefront6targetE0EEEvSQ_.has_dyn_sized_stack, 0
	.set _ZN7rocprim17ROCPRIM_400000_NS6detail17trampoline_kernelINS0_14default_configENS1_22reduce_config_selectorIiEEZNS1_11reduce_implILb1ES3_PiS7_iN6hipcub16HIPCUB_304000_NS6detail34convert_binary_result_type_wrapperINS9_3SumENS9_22TransformInputIteratorIbN2at6native12_GLOBAL__N_19NonZeroOpIhEEPKhlEEiEEEE10hipError_tPvRmT1_T2_T3_mT4_P12ihipStream_tbEUlT_E0_NS1_11comp_targetILNS1_3genE0ELNS1_11target_archE4294967295ELNS1_3gpuE0ELNS1_3repE0EEENS1_30default_config_static_selectorELNS0_4arch9wavefront6targetE0EEEvSQ_.has_recursion, 0
	.set _ZN7rocprim17ROCPRIM_400000_NS6detail17trampoline_kernelINS0_14default_configENS1_22reduce_config_selectorIiEEZNS1_11reduce_implILb1ES3_PiS7_iN6hipcub16HIPCUB_304000_NS6detail34convert_binary_result_type_wrapperINS9_3SumENS9_22TransformInputIteratorIbN2at6native12_GLOBAL__N_19NonZeroOpIhEEPKhlEEiEEEE10hipError_tPvRmT1_T2_T3_mT4_P12ihipStream_tbEUlT_E0_NS1_11comp_targetILNS1_3genE0ELNS1_11target_archE4294967295ELNS1_3gpuE0ELNS1_3repE0EEENS1_30default_config_static_selectorELNS0_4arch9wavefront6targetE0EEEvSQ_.has_indirect_call, 0
	.section	.AMDGPU.csdata,"",@progbits
; Kernel info:
; codeLenInByte = 0
; TotalNumSgprs: 0
; NumVgprs: 0
; ScratchSize: 0
; MemoryBound: 0
; FloatMode: 240
; IeeeMode: 1
; LDSByteSize: 0 bytes/workgroup (compile time only)
; SGPRBlocks: 0
; VGPRBlocks: 0
; NumSGPRsForWavesPerEU: 1
; NumVGPRsForWavesPerEU: 1
; Occupancy: 16
; WaveLimiterHint : 0
; COMPUTE_PGM_RSRC2:SCRATCH_EN: 0
; COMPUTE_PGM_RSRC2:USER_SGPR: 2
; COMPUTE_PGM_RSRC2:TRAP_HANDLER: 0
; COMPUTE_PGM_RSRC2:TGID_X_EN: 1
; COMPUTE_PGM_RSRC2:TGID_Y_EN: 0
; COMPUTE_PGM_RSRC2:TGID_Z_EN: 0
; COMPUTE_PGM_RSRC2:TIDIG_COMP_CNT: 0
	.section	.text._ZN7rocprim17ROCPRIM_400000_NS6detail17trampoline_kernelINS0_14default_configENS1_22reduce_config_selectorIiEEZNS1_11reduce_implILb1ES3_PiS7_iN6hipcub16HIPCUB_304000_NS6detail34convert_binary_result_type_wrapperINS9_3SumENS9_22TransformInputIteratorIbN2at6native12_GLOBAL__N_19NonZeroOpIhEEPKhlEEiEEEE10hipError_tPvRmT1_T2_T3_mT4_P12ihipStream_tbEUlT_E0_NS1_11comp_targetILNS1_3genE5ELNS1_11target_archE942ELNS1_3gpuE9ELNS1_3repE0EEENS1_30default_config_static_selectorELNS0_4arch9wavefront6targetE0EEEvSQ_,"axG",@progbits,_ZN7rocprim17ROCPRIM_400000_NS6detail17trampoline_kernelINS0_14default_configENS1_22reduce_config_selectorIiEEZNS1_11reduce_implILb1ES3_PiS7_iN6hipcub16HIPCUB_304000_NS6detail34convert_binary_result_type_wrapperINS9_3SumENS9_22TransformInputIteratorIbN2at6native12_GLOBAL__N_19NonZeroOpIhEEPKhlEEiEEEE10hipError_tPvRmT1_T2_T3_mT4_P12ihipStream_tbEUlT_E0_NS1_11comp_targetILNS1_3genE5ELNS1_11target_archE942ELNS1_3gpuE9ELNS1_3repE0EEENS1_30default_config_static_selectorELNS0_4arch9wavefront6targetE0EEEvSQ_,comdat
	.globl	_ZN7rocprim17ROCPRIM_400000_NS6detail17trampoline_kernelINS0_14default_configENS1_22reduce_config_selectorIiEEZNS1_11reduce_implILb1ES3_PiS7_iN6hipcub16HIPCUB_304000_NS6detail34convert_binary_result_type_wrapperINS9_3SumENS9_22TransformInputIteratorIbN2at6native12_GLOBAL__N_19NonZeroOpIhEEPKhlEEiEEEE10hipError_tPvRmT1_T2_T3_mT4_P12ihipStream_tbEUlT_E0_NS1_11comp_targetILNS1_3genE5ELNS1_11target_archE942ELNS1_3gpuE9ELNS1_3repE0EEENS1_30default_config_static_selectorELNS0_4arch9wavefront6targetE0EEEvSQ_ ; -- Begin function _ZN7rocprim17ROCPRIM_400000_NS6detail17trampoline_kernelINS0_14default_configENS1_22reduce_config_selectorIiEEZNS1_11reduce_implILb1ES3_PiS7_iN6hipcub16HIPCUB_304000_NS6detail34convert_binary_result_type_wrapperINS9_3SumENS9_22TransformInputIteratorIbN2at6native12_GLOBAL__N_19NonZeroOpIhEEPKhlEEiEEEE10hipError_tPvRmT1_T2_T3_mT4_P12ihipStream_tbEUlT_E0_NS1_11comp_targetILNS1_3genE5ELNS1_11target_archE942ELNS1_3gpuE9ELNS1_3repE0EEENS1_30default_config_static_selectorELNS0_4arch9wavefront6targetE0EEEvSQ_
	.p2align	8
	.type	_ZN7rocprim17ROCPRIM_400000_NS6detail17trampoline_kernelINS0_14default_configENS1_22reduce_config_selectorIiEEZNS1_11reduce_implILb1ES3_PiS7_iN6hipcub16HIPCUB_304000_NS6detail34convert_binary_result_type_wrapperINS9_3SumENS9_22TransformInputIteratorIbN2at6native12_GLOBAL__N_19NonZeroOpIhEEPKhlEEiEEEE10hipError_tPvRmT1_T2_T3_mT4_P12ihipStream_tbEUlT_E0_NS1_11comp_targetILNS1_3genE5ELNS1_11target_archE942ELNS1_3gpuE9ELNS1_3repE0EEENS1_30default_config_static_selectorELNS0_4arch9wavefront6targetE0EEEvSQ_,@function
_ZN7rocprim17ROCPRIM_400000_NS6detail17trampoline_kernelINS0_14default_configENS1_22reduce_config_selectorIiEEZNS1_11reduce_implILb1ES3_PiS7_iN6hipcub16HIPCUB_304000_NS6detail34convert_binary_result_type_wrapperINS9_3SumENS9_22TransformInputIteratorIbN2at6native12_GLOBAL__N_19NonZeroOpIhEEPKhlEEiEEEE10hipError_tPvRmT1_T2_T3_mT4_P12ihipStream_tbEUlT_E0_NS1_11comp_targetILNS1_3genE5ELNS1_11target_archE942ELNS1_3gpuE9ELNS1_3repE0EEENS1_30default_config_static_selectorELNS0_4arch9wavefront6targetE0EEEvSQ_: ; @_ZN7rocprim17ROCPRIM_400000_NS6detail17trampoline_kernelINS0_14default_configENS1_22reduce_config_selectorIiEEZNS1_11reduce_implILb1ES3_PiS7_iN6hipcub16HIPCUB_304000_NS6detail34convert_binary_result_type_wrapperINS9_3SumENS9_22TransformInputIteratorIbN2at6native12_GLOBAL__N_19NonZeroOpIhEEPKhlEEiEEEE10hipError_tPvRmT1_T2_T3_mT4_P12ihipStream_tbEUlT_E0_NS1_11comp_targetILNS1_3genE5ELNS1_11target_archE942ELNS1_3gpuE9ELNS1_3repE0EEENS1_30default_config_static_selectorELNS0_4arch9wavefront6targetE0EEEvSQ_
; %bb.0:
	.section	.rodata,"a",@progbits
	.p2align	6, 0x0
	.amdhsa_kernel _ZN7rocprim17ROCPRIM_400000_NS6detail17trampoline_kernelINS0_14default_configENS1_22reduce_config_selectorIiEEZNS1_11reduce_implILb1ES3_PiS7_iN6hipcub16HIPCUB_304000_NS6detail34convert_binary_result_type_wrapperINS9_3SumENS9_22TransformInputIteratorIbN2at6native12_GLOBAL__N_19NonZeroOpIhEEPKhlEEiEEEE10hipError_tPvRmT1_T2_T3_mT4_P12ihipStream_tbEUlT_E0_NS1_11comp_targetILNS1_3genE5ELNS1_11target_archE942ELNS1_3gpuE9ELNS1_3repE0EEENS1_30default_config_static_selectorELNS0_4arch9wavefront6targetE0EEEvSQ_
		.amdhsa_group_segment_fixed_size 0
		.amdhsa_private_segment_fixed_size 0
		.amdhsa_kernarg_size 56
		.amdhsa_user_sgpr_count 2
		.amdhsa_user_sgpr_dispatch_ptr 0
		.amdhsa_user_sgpr_queue_ptr 0
		.amdhsa_user_sgpr_kernarg_segment_ptr 1
		.amdhsa_user_sgpr_dispatch_id 0
		.amdhsa_user_sgpr_private_segment_size 0
		.amdhsa_wavefront_size32 1
		.amdhsa_uses_dynamic_stack 0
		.amdhsa_enable_private_segment 0
		.amdhsa_system_sgpr_workgroup_id_x 1
		.amdhsa_system_sgpr_workgroup_id_y 0
		.amdhsa_system_sgpr_workgroup_id_z 0
		.amdhsa_system_sgpr_workgroup_info 0
		.amdhsa_system_vgpr_workitem_id 0
		.amdhsa_next_free_vgpr 1
		.amdhsa_next_free_sgpr 1
		.amdhsa_reserve_vcc 0
		.amdhsa_float_round_mode_32 0
		.amdhsa_float_round_mode_16_64 0
		.amdhsa_float_denorm_mode_32 3
		.amdhsa_float_denorm_mode_16_64 3
		.amdhsa_fp16_overflow 0
		.amdhsa_workgroup_processor_mode 1
		.amdhsa_memory_ordered 1
		.amdhsa_forward_progress 1
		.amdhsa_inst_pref_size 0
		.amdhsa_round_robin_scheduling 0
		.amdhsa_exception_fp_ieee_invalid_op 0
		.amdhsa_exception_fp_denorm_src 0
		.amdhsa_exception_fp_ieee_div_zero 0
		.amdhsa_exception_fp_ieee_overflow 0
		.amdhsa_exception_fp_ieee_underflow 0
		.amdhsa_exception_fp_ieee_inexact 0
		.amdhsa_exception_int_div_zero 0
	.end_amdhsa_kernel
	.section	.text._ZN7rocprim17ROCPRIM_400000_NS6detail17trampoline_kernelINS0_14default_configENS1_22reduce_config_selectorIiEEZNS1_11reduce_implILb1ES3_PiS7_iN6hipcub16HIPCUB_304000_NS6detail34convert_binary_result_type_wrapperINS9_3SumENS9_22TransformInputIteratorIbN2at6native12_GLOBAL__N_19NonZeroOpIhEEPKhlEEiEEEE10hipError_tPvRmT1_T2_T3_mT4_P12ihipStream_tbEUlT_E0_NS1_11comp_targetILNS1_3genE5ELNS1_11target_archE942ELNS1_3gpuE9ELNS1_3repE0EEENS1_30default_config_static_selectorELNS0_4arch9wavefront6targetE0EEEvSQ_,"axG",@progbits,_ZN7rocprim17ROCPRIM_400000_NS6detail17trampoline_kernelINS0_14default_configENS1_22reduce_config_selectorIiEEZNS1_11reduce_implILb1ES3_PiS7_iN6hipcub16HIPCUB_304000_NS6detail34convert_binary_result_type_wrapperINS9_3SumENS9_22TransformInputIteratorIbN2at6native12_GLOBAL__N_19NonZeroOpIhEEPKhlEEiEEEE10hipError_tPvRmT1_T2_T3_mT4_P12ihipStream_tbEUlT_E0_NS1_11comp_targetILNS1_3genE5ELNS1_11target_archE942ELNS1_3gpuE9ELNS1_3repE0EEENS1_30default_config_static_selectorELNS0_4arch9wavefront6targetE0EEEvSQ_,comdat
.Lfunc_end2:
	.size	_ZN7rocprim17ROCPRIM_400000_NS6detail17trampoline_kernelINS0_14default_configENS1_22reduce_config_selectorIiEEZNS1_11reduce_implILb1ES3_PiS7_iN6hipcub16HIPCUB_304000_NS6detail34convert_binary_result_type_wrapperINS9_3SumENS9_22TransformInputIteratorIbN2at6native12_GLOBAL__N_19NonZeroOpIhEEPKhlEEiEEEE10hipError_tPvRmT1_T2_T3_mT4_P12ihipStream_tbEUlT_E0_NS1_11comp_targetILNS1_3genE5ELNS1_11target_archE942ELNS1_3gpuE9ELNS1_3repE0EEENS1_30default_config_static_selectorELNS0_4arch9wavefront6targetE0EEEvSQ_, .Lfunc_end2-_ZN7rocprim17ROCPRIM_400000_NS6detail17trampoline_kernelINS0_14default_configENS1_22reduce_config_selectorIiEEZNS1_11reduce_implILb1ES3_PiS7_iN6hipcub16HIPCUB_304000_NS6detail34convert_binary_result_type_wrapperINS9_3SumENS9_22TransformInputIteratorIbN2at6native12_GLOBAL__N_19NonZeroOpIhEEPKhlEEiEEEE10hipError_tPvRmT1_T2_T3_mT4_P12ihipStream_tbEUlT_E0_NS1_11comp_targetILNS1_3genE5ELNS1_11target_archE942ELNS1_3gpuE9ELNS1_3repE0EEENS1_30default_config_static_selectorELNS0_4arch9wavefront6targetE0EEEvSQ_
                                        ; -- End function
	.set _ZN7rocprim17ROCPRIM_400000_NS6detail17trampoline_kernelINS0_14default_configENS1_22reduce_config_selectorIiEEZNS1_11reduce_implILb1ES3_PiS7_iN6hipcub16HIPCUB_304000_NS6detail34convert_binary_result_type_wrapperINS9_3SumENS9_22TransformInputIteratorIbN2at6native12_GLOBAL__N_19NonZeroOpIhEEPKhlEEiEEEE10hipError_tPvRmT1_T2_T3_mT4_P12ihipStream_tbEUlT_E0_NS1_11comp_targetILNS1_3genE5ELNS1_11target_archE942ELNS1_3gpuE9ELNS1_3repE0EEENS1_30default_config_static_selectorELNS0_4arch9wavefront6targetE0EEEvSQ_.num_vgpr, 0
	.set _ZN7rocprim17ROCPRIM_400000_NS6detail17trampoline_kernelINS0_14default_configENS1_22reduce_config_selectorIiEEZNS1_11reduce_implILb1ES3_PiS7_iN6hipcub16HIPCUB_304000_NS6detail34convert_binary_result_type_wrapperINS9_3SumENS9_22TransformInputIteratorIbN2at6native12_GLOBAL__N_19NonZeroOpIhEEPKhlEEiEEEE10hipError_tPvRmT1_T2_T3_mT4_P12ihipStream_tbEUlT_E0_NS1_11comp_targetILNS1_3genE5ELNS1_11target_archE942ELNS1_3gpuE9ELNS1_3repE0EEENS1_30default_config_static_selectorELNS0_4arch9wavefront6targetE0EEEvSQ_.num_agpr, 0
	.set _ZN7rocprim17ROCPRIM_400000_NS6detail17trampoline_kernelINS0_14default_configENS1_22reduce_config_selectorIiEEZNS1_11reduce_implILb1ES3_PiS7_iN6hipcub16HIPCUB_304000_NS6detail34convert_binary_result_type_wrapperINS9_3SumENS9_22TransformInputIteratorIbN2at6native12_GLOBAL__N_19NonZeroOpIhEEPKhlEEiEEEE10hipError_tPvRmT1_T2_T3_mT4_P12ihipStream_tbEUlT_E0_NS1_11comp_targetILNS1_3genE5ELNS1_11target_archE942ELNS1_3gpuE9ELNS1_3repE0EEENS1_30default_config_static_selectorELNS0_4arch9wavefront6targetE0EEEvSQ_.numbered_sgpr, 0
	.set _ZN7rocprim17ROCPRIM_400000_NS6detail17trampoline_kernelINS0_14default_configENS1_22reduce_config_selectorIiEEZNS1_11reduce_implILb1ES3_PiS7_iN6hipcub16HIPCUB_304000_NS6detail34convert_binary_result_type_wrapperINS9_3SumENS9_22TransformInputIteratorIbN2at6native12_GLOBAL__N_19NonZeroOpIhEEPKhlEEiEEEE10hipError_tPvRmT1_T2_T3_mT4_P12ihipStream_tbEUlT_E0_NS1_11comp_targetILNS1_3genE5ELNS1_11target_archE942ELNS1_3gpuE9ELNS1_3repE0EEENS1_30default_config_static_selectorELNS0_4arch9wavefront6targetE0EEEvSQ_.num_named_barrier, 0
	.set _ZN7rocprim17ROCPRIM_400000_NS6detail17trampoline_kernelINS0_14default_configENS1_22reduce_config_selectorIiEEZNS1_11reduce_implILb1ES3_PiS7_iN6hipcub16HIPCUB_304000_NS6detail34convert_binary_result_type_wrapperINS9_3SumENS9_22TransformInputIteratorIbN2at6native12_GLOBAL__N_19NonZeroOpIhEEPKhlEEiEEEE10hipError_tPvRmT1_T2_T3_mT4_P12ihipStream_tbEUlT_E0_NS1_11comp_targetILNS1_3genE5ELNS1_11target_archE942ELNS1_3gpuE9ELNS1_3repE0EEENS1_30default_config_static_selectorELNS0_4arch9wavefront6targetE0EEEvSQ_.private_seg_size, 0
	.set _ZN7rocprim17ROCPRIM_400000_NS6detail17trampoline_kernelINS0_14default_configENS1_22reduce_config_selectorIiEEZNS1_11reduce_implILb1ES3_PiS7_iN6hipcub16HIPCUB_304000_NS6detail34convert_binary_result_type_wrapperINS9_3SumENS9_22TransformInputIteratorIbN2at6native12_GLOBAL__N_19NonZeroOpIhEEPKhlEEiEEEE10hipError_tPvRmT1_T2_T3_mT4_P12ihipStream_tbEUlT_E0_NS1_11comp_targetILNS1_3genE5ELNS1_11target_archE942ELNS1_3gpuE9ELNS1_3repE0EEENS1_30default_config_static_selectorELNS0_4arch9wavefront6targetE0EEEvSQ_.uses_vcc, 0
	.set _ZN7rocprim17ROCPRIM_400000_NS6detail17trampoline_kernelINS0_14default_configENS1_22reduce_config_selectorIiEEZNS1_11reduce_implILb1ES3_PiS7_iN6hipcub16HIPCUB_304000_NS6detail34convert_binary_result_type_wrapperINS9_3SumENS9_22TransformInputIteratorIbN2at6native12_GLOBAL__N_19NonZeroOpIhEEPKhlEEiEEEE10hipError_tPvRmT1_T2_T3_mT4_P12ihipStream_tbEUlT_E0_NS1_11comp_targetILNS1_3genE5ELNS1_11target_archE942ELNS1_3gpuE9ELNS1_3repE0EEENS1_30default_config_static_selectorELNS0_4arch9wavefront6targetE0EEEvSQ_.uses_flat_scratch, 0
	.set _ZN7rocprim17ROCPRIM_400000_NS6detail17trampoline_kernelINS0_14default_configENS1_22reduce_config_selectorIiEEZNS1_11reduce_implILb1ES3_PiS7_iN6hipcub16HIPCUB_304000_NS6detail34convert_binary_result_type_wrapperINS9_3SumENS9_22TransformInputIteratorIbN2at6native12_GLOBAL__N_19NonZeroOpIhEEPKhlEEiEEEE10hipError_tPvRmT1_T2_T3_mT4_P12ihipStream_tbEUlT_E0_NS1_11comp_targetILNS1_3genE5ELNS1_11target_archE942ELNS1_3gpuE9ELNS1_3repE0EEENS1_30default_config_static_selectorELNS0_4arch9wavefront6targetE0EEEvSQ_.has_dyn_sized_stack, 0
	.set _ZN7rocprim17ROCPRIM_400000_NS6detail17trampoline_kernelINS0_14default_configENS1_22reduce_config_selectorIiEEZNS1_11reduce_implILb1ES3_PiS7_iN6hipcub16HIPCUB_304000_NS6detail34convert_binary_result_type_wrapperINS9_3SumENS9_22TransformInputIteratorIbN2at6native12_GLOBAL__N_19NonZeroOpIhEEPKhlEEiEEEE10hipError_tPvRmT1_T2_T3_mT4_P12ihipStream_tbEUlT_E0_NS1_11comp_targetILNS1_3genE5ELNS1_11target_archE942ELNS1_3gpuE9ELNS1_3repE0EEENS1_30default_config_static_selectorELNS0_4arch9wavefront6targetE0EEEvSQ_.has_recursion, 0
	.set _ZN7rocprim17ROCPRIM_400000_NS6detail17trampoline_kernelINS0_14default_configENS1_22reduce_config_selectorIiEEZNS1_11reduce_implILb1ES3_PiS7_iN6hipcub16HIPCUB_304000_NS6detail34convert_binary_result_type_wrapperINS9_3SumENS9_22TransformInputIteratorIbN2at6native12_GLOBAL__N_19NonZeroOpIhEEPKhlEEiEEEE10hipError_tPvRmT1_T2_T3_mT4_P12ihipStream_tbEUlT_E0_NS1_11comp_targetILNS1_3genE5ELNS1_11target_archE942ELNS1_3gpuE9ELNS1_3repE0EEENS1_30default_config_static_selectorELNS0_4arch9wavefront6targetE0EEEvSQ_.has_indirect_call, 0
	.section	.AMDGPU.csdata,"",@progbits
; Kernel info:
; codeLenInByte = 0
; TotalNumSgprs: 0
; NumVgprs: 0
; ScratchSize: 0
; MemoryBound: 0
; FloatMode: 240
; IeeeMode: 1
; LDSByteSize: 0 bytes/workgroup (compile time only)
; SGPRBlocks: 0
; VGPRBlocks: 0
; NumSGPRsForWavesPerEU: 1
; NumVGPRsForWavesPerEU: 1
; Occupancy: 16
; WaveLimiterHint : 0
; COMPUTE_PGM_RSRC2:SCRATCH_EN: 0
; COMPUTE_PGM_RSRC2:USER_SGPR: 2
; COMPUTE_PGM_RSRC2:TRAP_HANDLER: 0
; COMPUTE_PGM_RSRC2:TGID_X_EN: 1
; COMPUTE_PGM_RSRC2:TGID_Y_EN: 0
; COMPUTE_PGM_RSRC2:TGID_Z_EN: 0
; COMPUTE_PGM_RSRC2:TIDIG_COMP_CNT: 0
	.section	.text._ZN7rocprim17ROCPRIM_400000_NS6detail17trampoline_kernelINS0_14default_configENS1_22reduce_config_selectorIiEEZNS1_11reduce_implILb1ES3_PiS7_iN6hipcub16HIPCUB_304000_NS6detail34convert_binary_result_type_wrapperINS9_3SumENS9_22TransformInputIteratorIbN2at6native12_GLOBAL__N_19NonZeroOpIhEEPKhlEEiEEEE10hipError_tPvRmT1_T2_T3_mT4_P12ihipStream_tbEUlT_E0_NS1_11comp_targetILNS1_3genE4ELNS1_11target_archE910ELNS1_3gpuE8ELNS1_3repE0EEENS1_30default_config_static_selectorELNS0_4arch9wavefront6targetE0EEEvSQ_,"axG",@progbits,_ZN7rocprim17ROCPRIM_400000_NS6detail17trampoline_kernelINS0_14default_configENS1_22reduce_config_selectorIiEEZNS1_11reduce_implILb1ES3_PiS7_iN6hipcub16HIPCUB_304000_NS6detail34convert_binary_result_type_wrapperINS9_3SumENS9_22TransformInputIteratorIbN2at6native12_GLOBAL__N_19NonZeroOpIhEEPKhlEEiEEEE10hipError_tPvRmT1_T2_T3_mT4_P12ihipStream_tbEUlT_E0_NS1_11comp_targetILNS1_3genE4ELNS1_11target_archE910ELNS1_3gpuE8ELNS1_3repE0EEENS1_30default_config_static_selectorELNS0_4arch9wavefront6targetE0EEEvSQ_,comdat
	.globl	_ZN7rocprim17ROCPRIM_400000_NS6detail17trampoline_kernelINS0_14default_configENS1_22reduce_config_selectorIiEEZNS1_11reduce_implILb1ES3_PiS7_iN6hipcub16HIPCUB_304000_NS6detail34convert_binary_result_type_wrapperINS9_3SumENS9_22TransformInputIteratorIbN2at6native12_GLOBAL__N_19NonZeroOpIhEEPKhlEEiEEEE10hipError_tPvRmT1_T2_T3_mT4_P12ihipStream_tbEUlT_E0_NS1_11comp_targetILNS1_3genE4ELNS1_11target_archE910ELNS1_3gpuE8ELNS1_3repE0EEENS1_30default_config_static_selectorELNS0_4arch9wavefront6targetE0EEEvSQ_ ; -- Begin function _ZN7rocprim17ROCPRIM_400000_NS6detail17trampoline_kernelINS0_14default_configENS1_22reduce_config_selectorIiEEZNS1_11reduce_implILb1ES3_PiS7_iN6hipcub16HIPCUB_304000_NS6detail34convert_binary_result_type_wrapperINS9_3SumENS9_22TransformInputIteratorIbN2at6native12_GLOBAL__N_19NonZeroOpIhEEPKhlEEiEEEE10hipError_tPvRmT1_T2_T3_mT4_P12ihipStream_tbEUlT_E0_NS1_11comp_targetILNS1_3genE4ELNS1_11target_archE910ELNS1_3gpuE8ELNS1_3repE0EEENS1_30default_config_static_selectorELNS0_4arch9wavefront6targetE0EEEvSQ_
	.p2align	8
	.type	_ZN7rocprim17ROCPRIM_400000_NS6detail17trampoline_kernelINS0_14default_configENS1_22reduce_config_selectorIiEEZNS1_11reduce_implILb1ES3_PiS7_iN6hipcub16HIPCUB_304000_NS6detail34convert_binary_result_type_wrapperINS9_3SumENS9_22TransformInputIteratorIbN2at6native12_GLOBAL__N_19NonZeroOpIhEEPKhlEEiEEEE10hipError_tPvRmT1_T2_T3_mT4_P12ihipStream_tbEUlT_E0_NS1_11comp_targetILNS1_3genE4ELNS1_11target_archE910ELNS1_3gpuE8ELNS1_3repE0EEENS1_30default_config_static_selectorELNS0_4arch9wavefront6targetE0EEEvSQ_,@function
_ZN7rocprim17ROCPRIM_400000_NS6detail17trampoline_kernelINS0_14default_configENS1_22reduce_config_selectorIiEEZNS1_11reduce_implILb1ES3_PiS7_iN6hipcub16HIPCUB_304000_NS6detail34convert_binary_result_type_wrapperINS9_3SumENS9_22TransformInputIteratorIbN2at6native12_GLOBAL__N_19NonZeroOpIhEEPKhlEEiEEEE10hipError_tPvRmT1_T2_T3_mT4_P12ihipStream_tbEUlT_E0_NS1_11comp_targetILNS1_3genE4ELNS1_11target_archE910ELNS1_3gpuE8ELNS1_3repE0EEENS1_30default_config_static_selectorELNS0_4arch9wavefront6targetE0EEEvSQ_: ; @_ZN7rocprim17ROCPRIM_400000_NS6detail17trampoline_kernelINS0_14default_configENS1_22reduce_config_selectorIiEEZNS1_11reduce_implILb1ES3_PiS7_iN6hipcub16HIPCUB_304000_NS6detail34convert_binary_result_type_wrapperINS9_3SumENS9_22TransformInputIteratorIbN2at6native12_GLOBAL__N_19NonZeroOpIhEEPKhlEEiEEEE10hipError_tPvRmT1_T2_T3_mT4_P12ihipStream_tbEUlT_E0_NS1_11comp_targetILNS1_3genE4ELNS1_11target_archE910ELNS1_3gpuE8ELNS1_3repE0EEENS1_30default_config_static_selectorELNS0_4arch9wavefront6targetE0EEEvSQ_
; %bb.0:
	.section	.rodata,"a",@progbits
	.p2align	6, 0x0
	.amdhsa_kernel _ZN7rocprim17ROCPRIM_400000_NS6detail17trampoline_kernelINS0_14default_configENS1_22reduce_config_selectorIiEEZNS1_11reduce_implILb1ES3_PiS7_iN6hipcub16HIPCUB_304000_NS6detail34convert_binary_result_type_wrapperINS9_3SumENS9_22TransformInputIteratorIbN2at6native12_GLOBAL__N_19NonZeroOpIhEEPKhlEEiEEEE10hipError_tPvRmT1_T2_T3_mT4_P12ihipStream_tbEUlT_E0_NS1_11comp_targetILNS1_3genE4ELNS1_11target_archE910ELNS1_3gpuE8ELNS1_3repE0EEENS1_30default_config_static_selectorELNS0_4arch9wavefront6targetE0EEEvSQ_
		.amdhsa_group_segment_fixed_size 0
		.amdhsa_private_segment_fixed_size 0
		.amdhsa_kernarg_size 56
		.amdhsa_user_sgpr_count 2
		.amdhsa_user_sgpr_dispatch_ptr 0
		.amdhsa_user_sgpr_queue_ptr 0
		.amdhsa_user_sgpr_kernarg_segment_ptr 1
		.amdhsa_user_sgpr_dispatch_id 0
		.amdhsa_user_sgpr_private_segment_size 0
		.amdhsa_wavefront_size32 1
		.amdhsa_uses_dynamic_stack 0
		.amdhsa_enable_private_segment 0
		.amdhsa_system_sgpr_workgroup_id_x 1
		.amdhsa_system_sgpr_workgroup_id_y 0
		.amdhsa_system_sgpr_workgroup_id_z 0
		.amdhsa_system_sgpr_workgroup_info 0
		.amdhsa_system_vgpr_workitem_id 0
		.amdhsa_next_free_vgpr 1
		.amdhsa_next_free_sgpr 1
		.amdhsa_reserve_vcc 0
		.amdhsa_float_round_mode_32 0
		.amdhsa_float_round_mode_16_64 0
		.amdhsa_float_denorm_mode_32 3
		.amdhsa_float_denorm_mode_16_64 3
		.amdhsa_fp16_overflow 0
		.amdhsa_workgroup_processor_mode 1
		.amdhsa_memory_ordered 1
		.amdhsa_forward_progress 1
		.amdhsa_inst_pref_size 0
		.amdhsa_round_robin_scheduling 0
		.amdhsa_exception_fp_ieee_invalid_op 0
		.amdhsa_exception_fp_denorm_src 0
		.amdhsa_exception_fp_ieee_div_zero 0
		.amdhsa_exception_fp_ieee_overflow 0
		.amdhsa_exception_fp_ieee_underflow 0
		.amdhsa_exception_fp_ieee_inexact 0
		.amdhsa_exception_int_div_zero 0
	.end_amdhsa_kernel
	.section	.text._ZN7rocprim17ROCPRIM_400000_NS6detail17trampoline_kernelINS0_14default_configENS1_22reduce_config_selectorIiEEZNS1_11reduce_implILb1ES3_PiS7_iN6hipcub16HIPCUB_304000_NS6detail34convert_binary_result_type_wrapperINS9_3SumENS9_22TransformInputIteratorIbN2at6native12_GLOBAL__N_19NonZeroOpIhEEPKhlEEiEEEE10hipError_tPvRmT1_T2_T3_mT4_P12ihipStream_tbEUlT_E0_NS1_11comp_targetILNS1_3genE4ELNS1_11target_archE910ELNS1_3gpuE8ELNS1_3repE0EEENS1_30default_config_static_selectorELNS0_4arch9wavefront6targetE0EEEvSQ_,"axG",@progbits,_ZN7rocprim17ROCPRIM_400000_NS6detail17trampoline_kernelINS0_14default_configENS1_22reduce_config_selectorIiEEZNS1_11reduce_implILb1ES3_PiS7_iN6hipcub16HIPCUB_304000_NS6detail34convert_binary_result_type_wrapperINS9_3SumENS9_22TransformInputIteratorIbN2at6native12_GLOBAL__N_19NonZeroOpIhEEPKhlEEiEEEE10hipError_tPvRmT1_T2_T3_mT4_P12ihipStream_tbEUlT_E0_NS1_11comp_targetILNS1_3genE4ELNS1_11target_archE910ELNS1_3gpuE8ELNS1_3repE0EEENS1_30default_config_static_selectorELNS0_4arch9wavefront6targetE0EEEvSQ_,comdat
.Lfunc_end3:
	.size	_ZN7rocprim17ROCPRIM_400000_NS6detail17trampoline_kernelINS0_14default_configENS1_22reduce_config_selectorIiEEZNS1_11reduce_implILb1ES3_PiS7_iN6hipcub16HIPCUB_304000_NS6detail34convert_binary_result_type_wrapperINS9_3SumENS9_22TransformInputIteratorIbN2at6native12_GLOBAL__N_19NonZeroOpIhEEPKhlEEiEEEE10hipError_tPvRmT1_T2_T3_mT4_P12ihipStream_tbEUlT_E0_NS1_11comp_targetILNS1_3genE4ELNS1_11target_archE910ELNS1_3gpuE8ELNS1_3repE0EEENS1_30default_config_static_selectorELNS0_4arch9wavefront6targetE0EEEvSQ_, .Lfunc_end3-_ZN7rocprim17ROCPRIM_400000_NS6detail17trampoline_kernelINS0_14default_configENS1_22reduce_config_selectorIiEEZNS1_11reduce_implILb1ES3_PiS7_iN6hipcub16HIPCUB_304000_NS6detail34convert_binary_result_type_wrapperINS9_3SumENS9_22TransformInputIteratorIbN2at6native12_GLOBAL__N_19NonZeroOpIhEEPKhlEEiEEEE10hipError_tPvRmT1_T2_T3_mT4_P12ihipStream_tbEUlT_E0_NS1_11comp_targetILNS1_3genE4ELNS1_11target_archE910ELNS1_3gpuE8ELNS1_3repE0EEENS1_30default_config_static_selectorELNS0_4arch9wavefront6targetE0EEEvSQ_
                                        ; -- End function
	.set _ZN7rocprim17ROCPRIM_400000_NS6detail17trampoline_kernelINS0_14default_configENS1_22reduce_config_selectorIiEEZNS1_11reduce_implILb1ES3_PiS7_iN6hipcub16HIPCUB_304000_NS6detail34convert_binary_result_type_wrapperINS9_3SumENS9_22TransformInputIteratorIbN2at6native12_GLOBAL__N_19NonZeroOpIhEEPKhlEEiEEEE10hipError_tPvRmT1_T2_T3_mT4_P12ihipStream_tbEUlT_E0_NS1_11comp_targetILNS1_3genE4ELNS1_11target_archE910ELNS1_3gpuE8ELNS1_3repE0EEENS1_30default_config_static_selectorELNS0_4arch9wavefront6targetE0EEEvSQ_.num_vgpr, 0
	.set _ZN7rocprim17ROCPRIM_400000_NS6detail17trampoline_kernelINS0_14default_configENS1_22reduce_config_selectorIiEEZNS1_11reduce_implILb1ES3_PiS7_iN6hipcub16HIPCUB_304000_NS6detail34convert_binary_result_type_wrapperINS9_3SumENS9_22TransformInputIteratorIbN2at6native12_GLOBAL__N_19NonZeroOpIhEEPKhlEEiEEEE10hipError_tPvRmT1_T2_T3_mT4_P12ihipStream_tbEUlT_E0_NS1_11comp_targetILNS1_3genE4ELNS1_11target_archE910ELNS1_3gpuE8ELNS1_3repE0EEENS1_30default_config_static_selectorELNS0_4arch9wavefront6targetE0EEEvSQ_.num_agpr, 0
	.set _ZN7rocprim17ROCPRIM_400000_NS6detail17trampoline_kernelINS0_14default_configENS1_22reduce_config_selectorIiEEZNS1_11reduce_implILb1ES3_PiS7_iN6hipcub16HIPCUB_304000_NS6detail34convert_binary_result_type_wrapperINS9_3SumENS9_22TransformInputIteratorIbN2at6native12_GLOBAL__N_19NonZeroOpIhEEPKhlEEiEEEE10hipError_tPvRmT1_T2_T3_mT4_P12ihipStream_tbEUlT_E0_NS1_11comp_targetILNS1_3genE4ELNS1_11target_archE910ELNS1_3gpuE8ELNS1_3repE0EEENS1_30default_config_static_selectorELNS0_4arch9wavefront6targetE0EEEvSQ_.numbered_sgpr, 0
	.set _ZN7rocprim17ROCPRIM_400000_NS6detail17trampoline_kernelINS0_14default_configENS1_22reduce_config_selectorIiEEZNS1_11reduce_implILb1ES3_PiS7_iN6hipcub16HIPCUB_304000_NS6detail34convert_binary_result_type_wrapperINS9_3SumENS9_22TransformInputIteratorIbN2at6native12_GLOBAL__N_19NonZeroOpIhEEPKhlEEiEEEE10hipError_tPvRmT1_T2_T3_mT4_P12ihipStream_tbEUlT_E0_NS1_11comp_targetILNS1_3genE4ELNS1_11target_archE910ELNS1_3gpuE8ELNS1_3repE0EEENS1_30default_config_static_selectorELNS0_4arch9wavefront6targetE0EEEvSQ_.num_named_barrier, 0
	.set _ZN7rocprim17ROCPRIM_400000_NS6detail17trampoline_kernelINS0_14default_configENS1_22reduce_config_selectorIiEEZNS1_11reduce_implILb1ES3_PiS7_iN6hipcub16HIPCUB_304000_NS6detail34convert_binary_result_type_wrapperINS9_3SumENS9_22TransformInputIteratorIbN2at6native12_GLOBAL__N_19NonZeroOpIhEEPKhlEEiEEEE10hipError_tPvRmT1_T2_T3_mT4_P12ihipStream_tbEUlT_E0_NS1_11comp_targetILNS1_3genE4ELNS1_11target_archE910ELNS1_3gpuE8ELNS1_3repE0EEENS1_30default_config_static_selectorELNS0_4arch9wavefront6targetE0EEEvSQ_.private_seg_size, 0
	.set _ZN7rocprim17ROCPRIM_400000_NS6detail17trampoline_kernelINS0_14default_configENS1_22reduce_config_selectorIiEEZNS1_11reduce_implILb1ES3_PiS7_iN6hipcub16HIPCUB_304000_NS6detail34convert_binary_result_type_wrapperINS9_3SumENS9_22TransformInputIteratorIbN2at6native12_GLOBAL__N_19NonZeroOpIhEEPKhlEEiEEEE10hipError_tPvRmT1_T2_T3_mT4_P12ihipStream_tbEUlT_E0_NS1_11comp_targetILNS1_3genE4ELNS1_11target_archE910ELNS1_3gpuE8ELNS1_3repE0EEENS1_30default_config_static_selectorELNS0_4arch9wavefront6targetE0EEEvSQ_.uses_vcc, 0
	.set _ZN7rocprim17ROCPRIM_400000_NS6detail17trampoline_kernelINS0_14default_configENS1_22reduce_config_selectorIiEEZNS1_11reduce_implILb1ES3_PiS7_iN6hipcub16HIPCUB_304000_NS6detail34convert_binary_result_type_wrapperINS9_3SumENS9_22TransformInputIteratorIbN2at6native12_GLOBAL__N_19NonZeroOpIhEEPKhlEEiEEEE10hipError_tPvRmT1_T2_T3_mT4_P12ihipStream_tbEUlT_E0_NS1_11comp_targetILNS1_3genE4ELNS1_11target_archE910ELNS1_3gpuE8ELNS1_3repE0EEENS1_30default_config_static_selectorELNS0_4arch9wavefront6targetE0EEEvSQ_.uses_flat_scratch, 0
	.set _ZN7rocprim17ROCPRIM_400000_NS6detail17trampoline_kernelINS0_14default_configENS1_22reduce_config_selectorIiEEZNS1_11reduce_implILb1ES3_PiS7_iN6hipcub16HIPCUB_304000_NS6detail34convert_binary_result_type_wrapperINS9_3SumENS9_22TransformInputIteratorIbN2at6native12_GLOBAL__N_19NonZeroOpIhEEPKhlEEiEEEE10hipError_tPvRmT1_T2_T3_mT4_P12ihipStream_tbEUlT_E0_NS1_11comp_targetILNS1_3genE4ELNS1_11target_archE910ELNS1_3gpuE8ELNS1_3repE0EEENS1_30default_config_static_selectorELNS0_4arch9wavefront6targetE0EEEvSQ_.has_dyn_sized_stack, 0
	.set _ZN7rocprim17ROCPRIM_400000_NS6detail17trampoline_kernelINS0_14default_configENS1_22reduce_config_selectorIiEEZNS1_11reduce_implILb1ES3_PiS7_iN6hipcub16HIPCUB_304000_NS6detail34convert_binary_result_type_wrapperINS9_3SumENS9_22TransformInputIteratorIbN2at6native12_GLOBAL__N_19NonZeroOpIhEEPKhlEEiEEEE10hipError_tPvRmT1_T2_T3_mT4_P12ihipStream_tbEUlT_E0_NS1_11comp_targetILNS1_3genE4ELNS1_11target_archE910ELNS1_3gpuE8ELNS1_3repE0EEENS1_30default_config_static_selectorELNS0_4arch9wavefront6targetE0EEEvSQ_.has_recursion, 0
	.set _ZN7rocprim17ROCPRIM_400000_NS6detail17trampoline_kernelINS0_14default_configENS1_22reduce_config_selectorIiEEZNS1_11reduce_implILb1ES3_PiS7_iN6hipcub16HIPCUB_304000_NS6detail34convert_binary_result_type_wrapperINS9_3SumENS9_22TransformInputIteratorIbN2at6native12_GLOBAL__N_19NonZeroOpIhEEPKhlEEiEEEE10hipError_tPvRmT1_T2_T3_mT4_P12ihipStream_tbEUlT_E0_NS1_11comp_targetILNS1_3genE4ELNS1_11target_archE910ELNS1_3gpuE8ELNS1_3repE0EEENS1_30default_config_static_selectorELNS0_4arch9wavefront6targetE0EEEvSQ_.has_indirect_call, 0
	.section	.AMDGPU.csdata,"",@progbits
; Kernel info:
; codeLenInByte = 0
; TotalNumSgprs: 0
; NumVgprs: 0
; ScratchSize: 0
; MemoryBound: 0
; FloatMode: 240
; IeeeMode: 1
; LDSByteSize: 0 bytes/workgroup (compile time only)
; SGPRBlocks: 0
; VGPRBlocks: 0
; NumSGPRsForWavesPerEU: 1
; NumVGPRsForWavesPerEU: 1
; Occupancy: 16
; WaveLimiterHint : 0
; COMPUTE_PGM_RSRC2:SCRATCH_EN: 0
; COMPUTE_PGM_RSRC2:USER_SGPR: 2
; COMPUTE_PGM_RSRC2:TRAP_HANDLER: 0
; COMPUTE_PGM_RSRC2:TGID_X_EN: 1
; COMPUTE_PGM_RSRC2:TGID_Y_EN: 0
; COMPUTE_PGM_RSRC2:TGID_Z_EN: 0
; COMPUTE_PGM_RSRC2:TIDIG_COMP_CNT: 0
	.section	.text._ZN7rocprim17ROCPRIM_400000_NS6detail17trampoline_kernelINS0_14default_configENS1_22reduce_config_selectorIiEEZNS1_11reduce_implILb1ES3_PiS7_iN6hipcub16HIPCUB_304000_NS6detail34convert_binary_result_type_wrapperINS9_3SumENS9_22TransformInputIteratorIbN2at6native12_GLOBAL__N_19NonZeroOpIhEEPKhlEEiEEEE10hipError_tPvRmT1_T2_T3_mT4_P12ihipStream_tbEUlT_E0_NS1_11comp_targetILNS1_3genE3ELNS1_11target_archE908ELNS1_3gpuE7ELNS1_3repE0EEENS1_30default_config_static_selectorELNS0_4arch9wavefront6targetE0EEEvSQ_,"axG",@progbits,_ZN7rocprim17ROCPRIM_400000_NS6detail17trampoline_kernelINS0_14default_configENS1_22reduce_config_selectorIiEEZNS1_11reduce_implILb1ES3_PiS7_iN6hipcub16HIPCUB_304000_NS6detail34convert_binary_result_type_wrapperINS9_3SumENS9_22TransformInputIteratorIbN2at6native12_GLOBAL__N_19NonZeroOpIhEEPKhlEEiEEEE10hipError_tPvRmT1_T2_T3_mT4_P12ihipStream_tbEUlT_E0_NS1_11comp_targetILNS1_3genE3ELNS1_11target_archE908ELNS1_3gpuE7ELNS1_3repE0EEENS1_30default_config_static_selectorELNS0_4arch9wavefront6targetE0EEEvSQ_,comdat
	.globl	_ZN7rocprim17ROCPRIM_400000_NS6detail17trampoline_kernelINS0_14default_configENS1_22reduce_config_selectorIiEEZNS1_11reduce_implILb1ES3_PiS7_iN6hipcub16HIPCUB_304000_NS6detail34convert_binary_result_type_wrapperINS9_3SumENS9_22TransformInputIteratorIbN2at6native12_GLOBAL__N_19NonZeroOpIhEEPKhlEEiEEEE10hipError_tPvRmT1_T2_T3_mT4_P12ihipStream_tbEUlT_E0_NS1_11comp_targetILNS1_3genE3ELNS1_11target_archE908ELNS1_3gpuE7ELNS1_3repE0EEENS1_30default_config_static_selectorELNS0_4arch9wavefront6targetE0EEEvSQ_ ; -- Begin function _ZN7rocprim17ROCPRIM_400000_NS6detail17trampoline_kernelINS0_14default_configENS1_22reduce_config_selectorIiEEZNS1_11reduce_implILb1ES3_PiS7_iN6hipcub16HIPCUB_304000_NS6detail34convert_binary_result_type_wrapperINS9_3SumENS9_22TransformInputIteratorIbN2at6native12_GLOBAL__N_19NonZeroOpIhEEPKhlEEiEEEE10hipError_tPvRmT1_T2_T3_mT4_P12ihipStream_tbEUlT_E0_NS1_11comp_targetILNS1_3genE3ELNS1_11target_archE908ELNS1_3gpuE7ELNS1_3repE0EEENS1_30default_config_static_selectorELNS0_4arch9wavefront6targetE0EEEvSQ_
	.p2align	8
	.type	_ZN7rocprim17ROCPRIM_400000_NS6detail17trampoline_kernelINS0_14default_configENS1_22reduce_config_selectorIiEEZNS1_11reduce_implILb1ES3_PiS7_iN6hipcub16HIPCUB_304000_NS6detail34convert_binary_result_type_wrapperINS9_3SumENS9_22TransformInputIteratorIbN2at6native12_GLOBAL__N_19NonZeroOpIhEEPKhlEEiEEEE10hipError_tPvRmT1_T2_T3_mT4_P12ihipStream_tbEUlT_E0_NS1_11comp_targetILNS1_3genE3ELNS1_11target_archE908ELNS1_3gpuE7ELNS1_3repE0EEENS1_30default_config_static_selectorELNS0_4arch9wavefront6targetE0EEEvSQ_,@function
_ZN7rocprim17ROCPRIM_400000_NS6detail17trampoline_kernelINS0_14default_configENS1_22reduce_config_selectorIiEEZNS1_11reduce_implILb1ES3_PiS7_iN6hipcub16HIPCUB_304000_NS6detail34convert_binary_result_type_wrapperINS9_3SumENS9_22TransformInputIteratorIbN2at6native12_GLOBAL__N_19NonZeroOpIhEEPKhlEEiEEEE10hipError_tPvRmT1_T2_T3_mT4_P12ihipStream_tbEUlT_E0_NS1_11comp_targetILNS1_3genE3ELNS1_11target_archE908ELNS1_3gpuE7ELNS1_3repE0EEENS1_30default_config_static_selectorELNS0_4arch9wavefront6targetE0EEEvSQ_: ; @_ZN7rocprim17ROCPRIM_400000_NS6detail17trampoline_kernelINS0_14default_configENS1_22reduce_config_selectorIiEEZNS1_11reduce_implILb1ES3_PiS7_iN6hipcub16HIPCUB_304000_NS6detail34convert_binary_result_type_wrapperINS9_3SumENS9_22TransformInputIteratorIbN2at6native12_GLOBAL__N_19NonZeroOpIhEEPKhlEEiEEEE10hipError_tPvRmT1_T2_T3_mT4_P12ihipStream_tbEUlT_E0_NS1_11comp_targetILNS1_3genE3ELNS1_11target_archE908ELNS1_3gpuE7ELNS1_3repE0EEENS1_30default_config_static_selectorELNS0_4arch9wavefront6targetE0EEEvSQ_
; %bb.0:
	.section	.rodata,"a",@progbits
	.p2align	6, 0x0
	.amdhsa_kernel _ZN7rocprim17ROCPRIM_400000_NS6detail17trampoline_kernelINS0_14default_configENS1_22reduce_config_selectorIiEEZNS1_11reduce_implILb1ES3_PiS7_iN6hipcub16HIPCUB_304000_NS6detail34convert_binary_result_type_wrapperINS9_3SumENS9_22TransformInputIteratorIbN2at6native12_GLOBAL__N_19NonZeroOpIhEEPKhlEEiEEEE10hipError_tPvRmT1_T2_T3_mT4_P12ihipStream_tbEUlT_E0_NS1_11comp_targetILNS1_3genE3ELNS1_11target_archE908ELNS1_3gpuE7ELNS1_3repE0EEENS1_30default_config_static_selectorELNS0_4arch9wavefront6targetE0EEEvSQ_
		.amdhsa_group_segment_fixed_size 0
		.amdhsa_private_segment_fixed_size 0
		.amdhsa_kernarg_size 56
		.amdhsa_user_sgpr_count 2
		.amdhsa_user_sgpr_dispatch_ptr 0
		.amdhsa_user_sgpr_queue_ptr 0
		.amdhsa_user_sgpr_kernarg_segment_ptr 1
		.amdhsa_user_sgpr_dispatch_id 0
		.amdhsa_user_sgpr_private_segment_size 0
		.amdhsa_wavefront_size32 1
		.amdhsa_uses_dynamic_stack 0
		.amdhsa_enable_private_segment 0
		.amdhsa_system_sgpr_workgroup_id_x 1
		.amdhsa_system_sgpr_workgroup_id_y 0
		.amdhsa_system_sgpr_workgroup_id_z 0
		.amdhsa_system_sgpr_workgroup_info 0
		.amdhsa_system_vgpr_workitem_id 0
		.amdhsa_next_free_vgpr 1
		.amdhsa_next_free_sgpr 1
		.amdhsa_reserve_vcc 0
		.amdhsa_float_round_mode_32 0
		.amdhsa_float_round_mode_16_64 0
		.amdhsa_float_denorm_mode_32 3
		.amdhsa_float_denorm_mode_16_64 3
		.amdhsa_fp16_overflow 0
		.amdhsa_workgroup_processor_mode 1
		.amdhsa_memory_ordered 1
		.amdhsa_forward_progress 1
		.amdhsa_inst_pref_size 0
		.amdhsa_round_robin_scheduling 0
		.amdhsa_exception_fp_ieee_invalid_op 0
		.amdhsa_exception_fp_denorm_src 0
		.amdhsa_exception_fp_ieee_div_zero 0
		.amdhsa_exception_fp_ieee_overflow 0
		.amdhsa_exception_fp_ieee_underflow 0
		.amdhsa_exception_fp_ieee_inexact 0
		.amdhsa_exception_int_div_zero 0
	.end_amdhsa_kernel
	.section	.text._ZN7rocprim17ROCPRIM_400000_NS6detail17trampoline_kernelINS0_14default_configENS1_22reduce_config_selectorIiEEZNS1_11reduce_implILb1ES3_PiS7_iN6hipcub16HIPCUB_304000_NS6detail34convert_binary_result_type_wrapperINS9_3SumENS9_22TransformInputIteratorIbN2at6native12_GLOBAL__N_19NonZeroOpIhEEPKhlEEiEEEE10hipError_tPvRmT1_T2_T3_mT4_P12ihipStream_tbEUlT_E0_NS1_11comp_targetILNS1_3genE3ELNS1_11target_archE908ELNS1_3gpuE7ELNS1_3repE0EEENS1_30default_config_static_selectorELNS0_4arch9wavefront6targetE0EEEvSQ_,"axG",@progbits,_ZN7rocprim17ROCPRIM_400000_NS6detail17trampoline_kernelINS0_14default_configENS1_22reduce_config_selectorIiEEZNS1_11reduce_implILb1ES3_PiS7_iN6hipcub16HIPCUB_304000_NS6detail34convert_binary_result_type_wrapperINS9_3SumENS9_22TransformInputIteratorIbN2at6native12_GLOBAL__N_19NonZeroOpIhEEPKhlEEiEEEE10hipError_tPvRmT1_T2_T3_mT4_P12ihipStream_tbEUlT_E0_NS1_11comp_targetILNS1_3genE3ELNS1_11target_archE908ELNS1_3gpuE7ELNS1_3repE0EEENS1_30default_config_static_selectorELNS0_4arch9wavefront6targetE0EEEvSQ_,comdat
.Lfunc_end4:
	.size	_ZN7rocprim17ROCPRIM_400000_NS6detail17trampoline_kernelINS0_14default_configENS1_22reduce_config_selectorIiEEZNS1_11reduce_implILb1ES3_PiS7_iN6hipcub16HIPCUB_304000_NS6detail34convert_binary_result_type_wrapperINS9_3SumENS9_22TransformInputIteratorIbN2at6native12_GLOBAL__N_19NonZeroOpIhEEPKhlEEiEEEE10hipError_tPvRmT1_T2_T3_mT4_P12ihipStream_tbEUlT_E0_NS1_11comp_targetILNS1_3genE3ELNS1_11target_archE908ELNS1_3gpuE7ELNS1_3repE0EEENS1_30default_config_static_selectorELNS0_4arch9wavefront6targetE0EEEvSQ_, .Lfunc_end4-_ZN7rocprim17ROCPRIM_400000_NS6detail17trampoline_kernelINS0_14default_configENS1_22reduce_config_selectorIiEEZNS1_11reduce_implILb1ES3_PiS7_iN6hipcub16HIPCUB_304000_NS6detail34convert_binary_result_type_wrapperINS9_3SumENS9_22TransformInputIteratorIbN2at6native12_GLOBAL__N_19NonZeroOpIhEEPKhlEEiEEEE10hipError_tPvRmT1_T2_T3_mT4_P12ihipStream_tbEUlT_E0_NS1_11comp_targetILNS1_3genE3ELNS1_11target_archE908ELNS1_3gpuE7ELNS1_3repE0EEENS1_30default_config_static_selectorELNS0_4arch9wavefront6targetE0EEEvSQ_
                                        ; -- End function
	.set _ZN7rocprim17ROCPRIM_400000_NS6detail17trampoline_kernelINS0_14default_configENS1_22reduce_config_selectorIiEEZNS1_11reduce_implILb1ES3_PiS7_iN6hipcub16HIPCUB_304000_NS6detail34convert_binary_result_type_wrapperINS9_3SumENS9_22TransformInputIteratorIbN2at6native12_GLOBAL__N_19NonZeroOpIhEEPKhlEEiEEEE10hipError_tPvRmT1_T2_T3_mT4_P12ihipStream_tbEUlT_E0_NS1_11comp_targetILNS1_3genE3ELNS1_11target_archE908ELNS1_3gpuE7ELNS1_3repE0EEENS1_30default_config_static_selectorELNS0_4arch9wavefront6targetE0EEEvSQ_.num_vgpr, 0
	.set _ZN7rocprim17ROCPRIM_400000_NS6detail17trampoline_kernelINS0_14default_configENS1_22reduce_config_selectorIiEEZNS1_11reduce_implILb1ES3_PiS7_iN6hipcub16HIPCUB_304000_NS6detail34convert_binary_result_type_wrapperINS9_3SumENS9_22TransformInputIteratorIbN2at6native12_GLOBAL__N_19NonZeroOpIhEEPKhlEEiEEEE10hipError_tPvRmT1_T2_T3_mT4_P12ihipStream_tbEUlT_E0_NS1_11comp_targetILNS1_3genE3ELNS1_11target_archE908ELNS1_3gpuE7ELNS1_3repE0EEENS1_30default_config_static_selectorELNS0_4arch9wavefront6targetE0EEEvSQ_.num_agpr, 0
	.set _ZN7rocprim17ROCPRIM_400000_NS6detail17trampoline_kernelINS0_14default_configENS1_22reduce_config_selectorIiEEZNS1_11reduce_implILb1ES3_PiS7_iN6hipcub16HIPCUB_304000_NS6detail34convert_binary_result_type_wrapperINS9_3SumENS9_22TransformInputIteratorIbN2at6native12_GLOBAL__N_19NonZeroOpIhEEPKhlEEiEEEE10hipError_tPvRmT1_T2_T3_mT4_P12ihipStream_tbEUlT_E0_NS1_11comp_targetILNS1_3genE3ELNS1_11target_archE908ELNS1_3gpuE7ELNS1_3repE0EEENS1_30default_config_static_selectorELNS0_4arch9wavefront6targetE0EEEvSQ_.numbered_sgpr, 0
	.set _ZN7rocprim17ROCPRIM_400000_NS6detail17trampoline_kernelINS0_14default_configENS1_22reduce_config_selectorIiEEZNS1_11reduce_implILb1ES3_PiS7_iN6hipcub16HIPCUB_304000_NS6detail34convert_binary_result_type_wrapperINS9_3SumENS9_22TransformInputIteratorIbN2at6native12_GLOBAL__N_19NonZeroOpIhEEPKhlEEiEEEE10hipError_tPvRmT1_T2_T3_mT4_P12ihipStream_tbEUlT_E0_NS1_11comp_targetILNS1_3genE3ELNS1_11target_archE908ELNS1_3gpuE7ELNS1_3repE0EEENS1_30default_config_static_selectorELNS0_4arch9wavefront6targetE0EEEvSQ_.num_named_barrier, 0
	.set _ZN7rocprim17ROCPRIM_400000_NS6detail17trampoline_kernelINS0_14default_configENS1_22reduce_config_selectorIiEEZNS1_11reduce_implILb1ES3_PiS7_iN6hipcub16HIPCUB_304000_NS6detail34convert_binary_result_type_wrapperINS9_3SumENS9_22TransformInputIteratorIbN2at6native12_GLOBAL__N_19NonZeroOpIhEEPKhlEEiEEEE10hipError_tPvRmT1_T2_T3_mT4_P12ihipStream_tbEUlT_E0_NS1_11comp_targetILNS1_3genE3ELNS1_11target_archE908ELNS1_3gpuE7ELNS1_3repE0EEENS1_30default_config_static_selectorELNS0_4arch9wavefront6targetE0EEEvSQ_.private_seg_size, 0
	.set _ZN7rocprim17ROCPRIM_400000_NS6detail17trampoline_kernelINS0_14default_configENS1_22reduce_config_selectorIiEEZNS1_11reduce_implILb1ES3_PiS7_iN6hipcub16HIPCUB_304000_NS6detail34convert_binary_result_type_wrapperINS9_3SumENS9_22TransformInputIteratorIbN2at6native12_GLOBAL__N_19NonZeroOpIhEEPKhlEEiEEEE10hipError_tPvRmT1_T2_T3_mT4_P12ihipStream_tbEUlT_E0_NS1_11comp_targetILNS1_3genE3ELNS1_11target_archE908ELNS1_3gpuE7ELNS1_3repE0EEENS1_30default_config_static_selectorELNS0_4arch9wavefront6targetE0EEEvSQ_.uses_vcc, 0
	.set _ZN7rocprim17ROCPRIM_400000_NS6detail17trampoline_kernelINS0_14default_configENS1_22reduce_config_selectorIiEEZNS1_11reduce_implILb1ES3_PiS7_iN6hipcub16HIPCUB_304000_NS6detail34convert_binary_result_type_wrapperINS9_3SumENS9_22TransformInputIteratorIbN2at6native12_GLOBAL__N_19NonZeroOpIhEEPKhlEEiEEEE10hipError_tPvRmT1_T2_T3_mT4_P12ihipStream_tbEUlT_E0_NS1_11comp_targetILNS1_3genE3ELNS1_11target_archE908ELNS1_3gpuE7ELNS1_3repE0EEENS1_30default_config_static_selectorELNS0_4arch9wavefront6targetE0EEEvSQ_.uses_flat_scratch, 0
	.set _ZN7rocprim17ROCPRIM_400000_NS6detail17trampoline_kernelINS0_14default_configENS1_22reduce_config_selectorIiEEZNS1_11reduce_implILb1ES3_PiS7_iN6hipcub16HIPCUB_304000_NS6detail34convert_binary_result_type_wrapperINS9_3SumENS9_22TransformInputIteratorIbN2at6native12_GLOBAL__N_19NonZeroOpIhEEPKhlEEiEEEE10hipError_tPvRmT1_T2_T3_mT4_P12ihipStream_tbEUlT_E0_NS1_11comp_targetILNS1_3genE3ELNS1_11target_archE908ELNS1_3gpuE7ELNS1_3repE0EEENS1_30default_config_static_selectorELNS0_4arch9wavefront6targetE0EEEvSQ_.has_dyn_sized_stack, 0
	.set _ZN7rocprim17ROCPRIM_400000_NS6detail17trampoline_kernelINS0_14default_configENS1_22reduce_config_selectorIiEEZNS1_11reduce_implILb1ES3_PiS7_iN6hipcub16HIPCUB_304000_NS6detail34convert_binary_result_type_wrapperINS9_3SumENS9_22TransformInputIteratorIbN2at6native12_GLOBAL__N_19NonZeroOpIhEEPKhlEEiEEEE10hipError_tPvRmT1_T2_T3_mT4_P12ihipStream_tbEUlT_E0_NS1_11comp_targetILNS1_3genE3ELNS1_11target_archE908ELNS1_3gpuE7ELNS1_3repE0EEENS1_30default_config_static_selectorELNS0_4arch9wavefront6targetE0EEEvSQ_.has_recursion, 0
	.set _ZN7rocprim17ROCPRIM_400000_NS6detail17trampoline_kernelINS0_14default_configENS1_22reduce_config_selectorIiEEZNS1_11reduce_implILb1ES3_PiS7_iN6hipcub16HIPCUB_304000_NS6detail34convert_binary_result_type_wrapperINS9_3SumENS9_22TransformInputIteratorIbN2at6native12_GLOBAL__N_19NonZeroOpIhEEPKhlEEiEEEE10hipError_tPvRmT1_T2_T3_mT4_P12ihipStream_tbEUlT_E0_NS1_11comp_targetILNS1_3genE3ELNS1_11target_archE908ELNS1_3gpuE7ELNS1_3repE0EEENS1_30default_config_static_selectorELNS0_4arch9wavefront6targetE0EEEvSQ_.has_indirect_call, 0
	.section	.AMDGPU.csdata,"",@progbits
; Kernel info:
; codeLenInByte = 0
; TotalNumSgprs: 0
; NumVgprs: 0
; ScratchSize: 0
; MemoryBound: 0
; FloatMode: 240
; IeeeMode: 1
; LDSByteSize: 0 bytes/workgroup (compile time only)
; SGPRBlocks: 0
; VGPRBlocks: 0
; NumSGPRsForWavesPerEU: 1
; NumVGPRsForWavesPerEU: 1
; Occupancy: 16
; WaveLimiterHint : 0
; COMPUTE_PGM_RSRC2:SCRATCH_EN: 0
; COMPUTE_PGM_RSRC2:USER_SGPR: 2
; COMPUTE_PGM_RSRC2:TRAP_HANDLER: 0
; COMPUTE_PGM_RSRC2:TGID_X_EN: 1
; COMPUTE_PGM_RSRC2:TGID_Y_EN: 0
; COMPUTE_PGM_RSRC2:TGID_Z_EN: 0
; COMPUTE_PGM_RSRC2:TIDIG_COMP_CNT: 0
	.section	.text._ZN7rocprim17ROCPRIM_400000_NS6detail17trampoline_kernelINS0_14default_configENS1_22reduce_config_selectorIiEEZNS1_11reduce_implILb1ES3_PiS7_iN6hipcub16HIPCUB_304000_NS6detail34convert_binary_result_type_wrapperINS9_3SumENS9_22TransformInputIteratorIbN2at6native12_GLOBAL__N_19NonZeroOpIhEEPKhlEEiEEEE10hipError_tPvRmT1_T2_T3_mT4_P12ihipStream_tbEUlT_E0_NS1_11comp_targetILNS1_3genE2ELNS1_11target_archE906ELNS1_3gpuE6ELNS1_3repE0EEENS1_30default_config_static_selectorELNS0_4arch9wavefront6targetE0EEEvSQ_,"axG",@progbits,_ZN7rocprim17ROCPRIM_400000_NS6detail17trampoline_kernelINS0_14default_configENS1_22reduce_config_selectorIiEEZNS1_11reduce_implILb1ES3_PiS7_iN6hipcub16HIPCUB_304000_NS6detail34convert_binary_result_type_wrapperINS9_3SumENS9_22TransformInputIteratorIbN2at6native12_GLOBAL__N_19NonZeroOpIhEEPKhlEEiEEEE10hipError_tPvRmT1_T2_T3_mT4_P12ihipStream_tbEUlT_E0_NS1_11comp_targetILNS1_3genE2ELNS1_11target_archE906ELNS1_3gpuE6ELNS1_3repE0EEENS1_30default_config_static_selectorELNS0_4arch9wavefront6targetE0EEEvSQ_,comdat
	.globl	_ZN7rocprim17ROCPRIM_400000_NS6detail17trampoline_kernelINS0_14default_configENS1_22reduce_config_selectorIiEEZNS1_11reduce_implILb1ES3_PiS7_iN6hipcub16HIPCUB_304000_NS6detail34convert_binary_result_type_wrapperINS9_3SumENS9_22TransformInputIteratorIbN2at6native12_GLOBAL__N_19NonZeroOpIhEEPKhlEEiEEEE10hipError_tPvRmT1_T2_T3_mT4_P12ihipStream_tbEUlT_E0_NS1_11comp_targetILNS1_3genE2ELNS1_11target_archE906ELNS1_3gpuE6ELNS1_3repE0EEENS1_30default_config_static_selectorELNS0_4arch9wavefront6targetE0EEEvSQ_ ; -- Begin function _ZN7rocprim17ROCPRIM_400000_NS6detail17trampoline_kernelINS0_14default_configENS1_22reduce_config_selectorIiEEZNS1_11reduce_implILb1ES3_PiS7_iN6hipcub16HIPCUB_304000_NS6detail34convert_binary_result_type_wrapperINS9_3SumENS9_22TransformInputIteratorIbN2at6native12_GLOBAL__N_19NonZeroOpIhEEPKhlEEiEEEE10hipError_tPvRmT1_T2_T3_mT4_P12ihipStream_tbEUlT_E0_NS1_11comp_targetILNS1_3genE2ELNS1_11target_archE906ELNS1_3gpuE6ELNS1_3repE0EEENS1_30default_config_static_selectorELNS0_4arch9wavefront6targetE0EEEvSQ_
	.p2align	8
	.type	_ZN7rocprim17ROCPRIM_400000_NS6detail17trampoline_kernelINS0_14default_configENS1_22reduce_config_selectorIiEEZNS1_11reduce_implILb1ES3_PiS7_iN6hipcub16HIPCUB_304000_NS6detail34convert_binary_result_type_wrapperINS9_3SumENS9_22TransformInputIteratorIbN2at6native12_GLOBAL__N_19NonZeroOpIhEEPKhlEEiEEEE10hipError_tPvRmT1_T2_T3_mT4_P12ihipStream_tbEUlT_E0_NS1_11comp_targetILNS1_3genE2ELNS1_11target_archE906ELNS1_3gpuE6ELNS1_3repE0EEENS1_30default_config_static_selectorELNS0_4arch9wavefront6targetE0EEEvSQ_,@function
_ZN7rocprim17ROCPRIM_400000_NS6detail17trampoline_kernelINS0_14default_configENS1_22reduce_config_selectorIiEEZNS1_11reduce_implILb1ES3_PiS7_iN6hipcub16HIPCUB_304000_NS6detail34convert_binary_result_type_wrapperINS9_3SumENS9_22TransformInputIteratorIbN2at6native12_GLOBAL__N_19NonZeroOpIhEEPKhlEEiEEEE10hipError_tPvRmT1_T2_T3_mT4_P12ihipStream_tbEUlT_E0_NS1_11comp_targetILNS1_3genE2ELNS1_11target_archE906ELNS1_3gpuE6ELNS1_3repE0EEENS1_30default_config_static_selectorELNS0_4arch9wavefront6targetE0EEEvSQ_: ; @_ZN7rocprim17ROCPRIM_400000_NS6detail17trampoline_kernelINS0_14default_configENS1_22reduce_config_selectorIiEEZNS1_11reduce_implILb1ES3_PiS7_iN6hipcub16HIPCUB_304000_NS6detail34convert_binary_result_type_wrapperINS9_3SumENS9_22TransformInputIteratorIbN2at6native12_GLOBAL__N_19NonZeroOpIhEEPKhlEEiEEEE10hipError_tPvRmT1_T2_T3_mT4_P12ihipStream_tbEUlT_E0_NS1_11comp_targetILNS1_3genE2ELNS1_11target_archE906ELNS1_3gpuE6ELNS1_3repE0EEENS1_30default_config_static_selectorELNS0_4arch9wavefront6targetE0EEEvSQ_
; %bb.0:
	.section	.rodata,"a",@progbits
	.p2align	6, 0x0
	.amdhsa_kernel _ZN7rocprim17ROCPRIM_400000_NS6detail17trampoline_kernelINS0_14default_configENS1_22reduce_config_selectorIiEEZNS1_11reduce_implILb1ES3_PiS7_iN6hipcub16HIPCUB_304000_NS6detail34convert_binary_result_type_wrapperINS9_3SumENS9_22TransformInputIteratorIbN2at6native12_GLOBAL__N_19NonZeroOpIhEEPKhlEEiEEEE10hipError_tPvRmT1_T2_T3_mT4_P12ihipStream_tbEUlT_E0_NS1_11comp_targetILNS1_3genE2ELNS1_11target_archE906ELNS1_3gpuE6ELNS1_3repE0EEENS1_30default_config_static_selectorELNS0_4arch9wavefront6targetE0EEEvSQ_
		.amdhsa_group_segment_fixed_size 0
		.amdhsa_private_segment_fixed_size 0
		.amdhsa_kernarg_size 56
		.amdhsa_user_sgpr_count 2
		.amdhsa_user_sgpr_dispatch_ptr 0
		.amdhsa_user_sgpr_queue_ptr 0
		.amdhsa_user_sgpr_kernarg_segment_ptr 1
		.amdhsa_user_sgpr_dispatch_id 0
		.amdhsa_user_sgpr_private_segment_size 0
		.amdhsa_wavefront_size32 1
		.amdhsa_uses_dynamic_stack 0
		.amdhsa_enable_private_segment 0
		.amdhsa_system_sgpr_workgroup_id_x 1
		.amdhsa_system_sgpr_workgroup_id_y 0
		.amdhsa_system_sgpr_workgroup_id_z 0
		.amdhsa_system_sgpr_workgroup_info 0
		.amdhsa_system_vgpr_workitem_id 0
		.amdhsa_next_free_vgpr 1
		.amdhsa_next_free_sgpr 1
		.amdhsa_reserve_vcc 0
		.amdhsa_float_round_mode_32 0
		.amdhsa_float_round_mode_16_64 0
		.amdhsa_float_denorm_mode_32 3
		.amdhsa_float_denorm_mode_16_64 3
		.amdhsa_fp16_overflow 0
		.amdhsa_workgroup_processor_mode 1
		.amdhsa_memory_ordered 1
		.amdhsa_forward_progress 1
		.amdhsa_inst_pref_size 0
		.amdhsa_round_robin_scheduling 0
		.amdhsa_exception_fp_ieee_invalid_op 0
		.amdhsa_exception_fp_denorm_src 0
		.amdhsa_exception_fp_ieee_div_zero 0
		.amdhsa_exception_fp_ieee_overflow 0
		.amdhsa_exception_fp_ieee_underflow 0
		.amdhsa_exception_fp_ieee_inexact 0
		.amdhsa_exception_int_div_zero 0
	.end_amdhsa_kernel
	.section	.text._ZN7rocprim17ROCPRIM_400000_NS6detail17trampoline_kernelINS0_14default_configENS1_22reduce_config_selectorIiEEZNS1_11reduce_implILb1ES3_PiS7_iN6hipcub16HIPCUB_304000_NS6detail34convert_binary_result_type_wrapperINS9_3SumENS9_22TransformInputIteratorIbN2at6native12_GLOBAL__N_19NonZeroOpIhEEPKhlEEiEEEE10hipError_tPvRmT1_T2_T3_mT4_P12ihipStream_tbEUlT_E0_NS1_11comp_targetILNS1_3genE2ELNS1_11target_archE906ELNS1_3gpuE6ELNS1_3repE0EEENS1_30default_config_static_selectorELNS0_4arch9wavefront6targetE0EEEvSQ_,"axG",@progbits,_ZN7rocprim17ROCPRIM_400000_NS6detail17trampoline_kernelINS0_14default_configENS1_22reduce_config_selectorIiEEZNS1_11reduce_implILb1ES3_PiS7_iN6hipcub16HIPCUB_304000_NS6detail34convert_binary_result_type_wrapperINS9_3SumENS9_22TransformInputIteratorIbN2at6native12_GLOBAL__N_19NonZeroOpIhEEPKhlEEiEEEE10hipError_tPvRmT1_T2_T3_mT4_P12ihipStream_tbEUlT_E0_NS1_11comp_targetILNS1_3genE2ELNS1_11target_archE906ELNS1_3gpuE6ELNS1_3repE0EEENS1_30default_config_static_selectorELNS0_4arch9wavefront6targetE0EEEvSQ_,comdat
.Lfunc_end5:
	.size	_ZN7rocprim17ROCPRIM_400000_NS6detail17trampoline_kernelINS0_14default_configENS1_22reduce_config_selectorIiEEZNS1_11reduce_implILb1ES3_PiS7_iN6hipcub16HIPCUB_304000_NS6detail34convert_binary_result_type_wrapperINS9_3SumENS9_22TransformInputIteratorIbN2at6native12_GLOBAL__N_19NonZeroOpIhEEPKhlEEiEEEE10hipError_tPvRmT1_T2_T3_mT4_P12ihipStream_tbEUlT_E0_NS1_11comp_targetILNS1_3genE2ELNS1_11target_archE906ELNS1_3gpuE6ELNS1_3repE0EEENS1_30default_config_static_selectorELNS0_4arch9wavefront6targetE0EEEvSQ_, .Lfunc_end5-_ZN7rocprim17ROCPRIM_400000_NS6detail17trampoline_kernelINS0_14default_configENS1_22reduce_config_selectorIiEEZNS1_11reduce_implILb1ES3_PiS7_iN6hipcub16HIPCUB_304000_NS6detail34convert_binary_result_type_wrapperINS9_3SumENS9_22TransformInputIteratorIbN2at6native12_GLOBAL__N_19NonZeroOpIhEEPKhlEEiEEEE10hipError_tPvRmT1_T2_T3_mT4_P12ihipStream_tbEUlT_E0_NS1_11comp_targetILNS1_3genE2ELNS1_11target_archE906ELNS1_3gpuE6ELNS1_3repE0EEENS1_30default_config_static_selectorELNS0_4arch9wavefront6targetE0EEEvSQ_
                                        ; -- End function
	.set _ZN7rocprim17ROCPRIM_400000_NS6detail17trampoline_kernelINS0_14default_configENS1_22reduce_config_selectorIiEEZNS1_11reduce_implILb1ES3_PiS7_iN6hipcub16HIPCUB_304000_NS6detail34convert_binary_result_type_wrapperINS9_3SumENS9_22TransformInputIteratorIbN2at6native12_GLOBAL__N_19NonZeroOpIhEEPKhlEEiEEEE10hipError_tPvRmT1_T2_T3_mT4_P12ihipStream_tbEUlT_E0_NS1_11comp_targetILNS1_3genE2ELNS1_11target_archE906ELNS1_3gpuE6ELNS1_3repE0EEENS1_30default_config_static_selectorELNS0_4arch9wavefront6targetE0EEEvSQ_.num_vgpr, 0
	.set _ZN7rocprim17ROCPRIM_400000_NS6detail17trampoline_kernelINS0_14default_configENS1_22reduce_config_selectorIiEEZNS1_11reduce_implILb1ES3_PiS7_iN6hipcub16HIPCUB_304000_NS6detail34convert_binary_result_type_wrapperINS9_3SumENS9_22TransformInputIteratorIbN2at6native12_GLOBAL__N_19NonZeroOpIhEEPKhlEEiEEEE10hipError_tPvRmT1_T2_T3_mT4_P12ihipStream_tbEUlT_E0_NS1_11comp_targetILNS1_3genE2ELNS1_11target_archE906ELNS1_3gpuE6ELNS1_3repE0EEENS1_30default_config_static_selectorELNS0_4arch9wavefront6targetE0EEEvSQ_.num_agpr, 0
	.set _ZN7rocprim17ROCPRIM_400000_NS6detail17trampoline_kernelINS0_14default_configENS1_22reduce_config_selectorIiEEZNS1_11reduce_implILb1ES3_PiS7_iN6hipcub16HIPCUB_304000_NS6detail34convert_binary_result_type_wrapperINS9_3SumENS9_22TransformInputIteratorIbN2at6native12_GLOBAL__N_19NonZeroOpIhEEPKhlEEiEEEE10hipError_tPvRmT1_T2_T3_mT4_P12ihipStream_tbEUlT_E0_NS1_11comp_targetILNS1_3genE2ELNS1_11target_archE906ELNS1_3gpuE6ELNS1_3repE0EEENS1_30default_config_static_selectorELNS0_4arch9wavefront6targetE0EEEvSQ_.numbered_sgpr, 0
	.set _ZN7rocprim17ROCPRIM_400000_NS6detail17trampoline_kernelINS0_14default_configENS1_22reduce_config_selectorIiEEZNS1_11reduce_implILb1ES3_PiS7_iN6hipcub16HIPCUB_304000_NS6detail34convert_binary_result_type_wrapperINS9_3SumENS9_22TransformInputIteratorIbN2at6native12_GLOBAL__N_19NonZeroOpIhEEPKhlEEiEEEE10hipError_tPvRmT1_T2_T3_mT4_P12ihipStream_tbEUlT_E0_NS1_11comp_targetILNS1_3genE2ELNS1_11target_archE906ELNS1_3gpuE6ELNS1_3repE0EEENS1_30default_config_static_selectorELNS0_4arch9wavefront6targetE0EEEvSQ_.num_named_barrier, 0
	.set _ZN7rocprim17ROCPRIM_400000_NS6detail17trampoline_kernelINS0_14default_configENS1_22reduce_config_selectorIiEEZNS1_11reduce_implILb1ES3_PiS7_iN6hipcub16HIPCUB_304000_NS6detail34convert_binary_result_type_wrapperINS9_3SumENS9_22TransformInputIteratorIbN2at6native12_GLOBAL__N_19NonZeroOpIhEEPKhlEEiEEEE10hipError_tPvRmT1_T2_T3_mT4_P12ihipStream_tbEUlT_E0_NS1_11comp_targetILNS1_3genE2ELNS1_11target_archE906ELNS1_3gpuE6ELNS1_3repE0EEENS1_30default_config_static_selectorELNS0_4arch9wavefront6targetE0EEEvSQ_.private_seg_size, 0
	.set _ZN7rocprim17ROCPRIM_400000_NS6detail17trampoline_kernelINS0_14default_configENS1_22reduce_config_selectorIiEEZNS1_11reduce_implILb1ES3_PiS7_iN6hipcub16HIPCUB_304000_NS6detail34convert_binary_result_type_wrapperINS9_3SumENS9_22TransformInputIteratorIbN2at6native12_GLOBAL__N_19NonZeroOpIhEEPKhlEEiEEEE10hipError_tPvRmT1_T2_T3_mT4_P12ihipStream_tbEUlT_E0_NS1_11comp_targetILNS1_3genE2ELNS1_11target_archE906ELNS1_3gpuE6ELNS1_3repE0EEENS1_30default_config_static_selectorELNS0_4arch9wavefront6targetE0EEEvSQ_.uses_vcc, 0
	.set _ZN7rocprim17ROCPRIM_400000_NS6detail17trampoline_kernelINS0_14default_configENS1_22reduce_config_selectorIiEEZNS1_11reduce_implILb1ES3_PiS7_iN6hipcub16HIPCUB_304000_NS6detail34convert_binary_result_type_wrapperINS9_3SumENS9_22TransformInputIteratorIbN2at6native12_GLOBAL__N_19NonZeroOpIhEEPKhlEEiEEEE10hipError_tPvRmT1_T2_T3_mT4_P12ihipStream_tbEUlT_E0_NS1_11comp_targetILNS1_3genE2ELNS1_11target_archE906ELNS1_3gpuE6ELNS1_3repE0EEENS1_30default_config_static_selectorELNS0_4arch9wavefront6targetE0EEEvSQ_.uses_flat_scratch, 0
	.set _ZN7rocprim17ROCPRIM_400000_NS6detail17trampoline_kernelINS0_14default_configENS1_22reduce_config_selectorIiEEZNS1_11reduce_implILb1ES3_PiS7_iN6hipcub16HIPCUB_304000_NS6detail34convert_binary_result_type_wrapperINS9_3SumENS9_22TransformInputIteratorIbN2at6native12_GLOBAL__N_19NonZeroOpIhEEPKhlEEiEEEE10hipError_tPvRmT1_T2_T3_mT4_P12ihipStream_tbEUlT_E0_NS1_11comp_targetILNS1_3genE2ELNS1_11target_archE906ELNS1_3gpuE6ELNS1_3repE0EEENS1_30default_config_static_selectorELNS0_4arch9wavefront6targetE0EEEvSQ_.has_dyn_sized_stack, 0
	.set _ZN7rocprim17ROCPRIM_400000_NS6detail17trampoline_kernelINS0_14default_configENS1_22reduce_config_selectorIiEEZNS1_11reduce_implILb1ES3_PiS7_iN6hipcub16HIPCUB_304000_NS6detail34convert_binary_result_type_wrapperINS9_3SumENS9_22TransformInputIteratorIbN2at6native12_GLOBAL__N_19NonZeroOpIhEEPKhlEEiEEEE10hipError_tPvRmT1_T2_T3_mT4_P12ihipStream_tbEUlT_E0_NS1_11comp_targetILNS1_3genE2ELNS1_11target_archE906ELNS1_3gpuE6ELNS1_3repE0EEENS1_30default_config_static_selectorELNS0_4arch9wavefront6targetE0EEEvSQ_.has_recursion, 0
	.set _ZN7rocprim17ROCPRIM_400000_NS6detail17trampoline_kernelINS0_14default_configENS1_22reduce_config_selectorIiEEZNS1_11reduce_implILb1ES3_PiS7_iN6hipcub16HIPCUB_304000_NS6detail34convert_binary_result_type_wrapperINS9_3SumENS9_22TransformInputIteratorIbN2at6native12_GLOBAL__N_19NonZeroOpIhEEPKhlEEiEEEE10hipError_tPvRmT1_T2_T3_mT4_P12ihipStream_tbEUlT_E0_NS1_11comp_targetILNS1_3genE2ELNS1_11target_archE906ELNS1_3gpuE6ELNS1_3repE0EEENS1_30default_config_static_selectorELNS0_4arch9wavefront6targetE0EEEvSQ_.has_indirect_call, 0
	.section	.AMDGPU.csdata,"",@progbits
; Kernel info:
; codeLenInByte = 0
; TotalNumSgprs: 0
; NumVgprs: 0
; ScratchSize: 0
; MemoryBound: 0
; FloatMode: 240
; IeeeMode: 1
; LDSByteSize: 0 bytes/workgroup (compile time only)
; SGPRBlocks: 0
; VGPRBlocks: 0
; NumSGPRsForWavesPerEU: 1
; NumVGPRsForWavesPerEU: 1
; Occupancy: 16
; WaveLimiterHint : 0
; COMPUTE_PGM_RSRC2:SCRATCH_EN: 0
; COMPUTE_PGM_RSRC2:USER_SGPR: 2
; COMPUTE_PGM_RSRC2:TRAP_HANDLER: 0
; COMPUTE_PGM_RSRC2:TGID_X_EN: 1
; COMPUTE_PGM_RSRC2:TGID_Y_EN: 0
; COMPUTE_PGM_RSRC2:TGID_Z_EN: 0
; COMPUTE_PGM_RSRC2:TIDIG_COMP_CNT: 0
	.section	.text._ZN7rocprim17ROCPRIM_400000_NS6detail17trampoline_kernelINS0_14default_configENS1_22reduce_config_selectorIiEEZNS1_11reduce_implILb1ES3_PiS7_iN6hipcub16HIPCUB_304000_NS6detail34convert_binary_result_type_wrapperINS9_3SumENS9_22TransformInputIteratorIbN2at6native12_GLOBAL__N_19NonZeroOpIhEEPKhlEEiEEEE10hipError_tPvRmT1_T2_T3_mT4_P12ihipStream_tbEUlT_E0_NS1_11comp_targetILNS1_3genE10ELNS1_11target_archE1201ELNS1_3gpuE5ELNS1_3repE0EEENS1_30default_config_static_selectorELNS0_4arch9wavefront6targetE0EEEvSQ_,"axG",@progbits,_ZN7rocprim17ROCPRIM_400000_NS6detail17trampoline_kernelINS0_14default_configENS1_22reduce_config_selectorIiEEZNS1_11reduce_implILb1ES3_PiS7_iN6hipcub16HIPCUB_304000_NS6detail34convert_binary_result_type_wrapperINS9_3SumENS9_22TransformInputIteratorIbN2at6native12_GLOBAL__N_19NonZeroOpIhEEPKhlEEiEEEE10hipError_tPvRmT1_T2_T3_mT4_P12ihipStream_tbEUlT_E0_NS1_11comp_targetILNS1_3genE10ELNS1_11target_archE1201ELNS1_3gpuE5ELNS1_3repE0EEENS1_30default_config_static_selectorELNS0_4arch9wavefront6targetE0EEEvSQ_,comdat
	.globl	_ZN7rocprim17ROCPRIM_400000_NS6detail17trampoline_kernelINS0_14default_configENS1_22reduce_config_selectorIiEEZNS1_11reduce_implILb1ES3_PiS7_iN6hipcub16HIPCUB_304000_NS6detail34convert_binary_result_type_wrapperINS9_3SumENS9_22TransformInputIteratorIbN2at6native12_GLOBAL__N_19NonZeroOpIhEEPKhlEEiEEEE10hipError_tPvRmT1_T2_T3_mT4_P12ihipStream_tbEUlT_E0_NS1_11comp_targetILNS1_3genE10ELNS1_11target_archE1201ELNS1_3gpuE5ELNS1_3repE0EEENS1_30default_config_static_selectorELNS0_4arch9wavefront6targetE0EEEvSQ_ ; -- Begin function _ZN7rocprim17ROCPRIM_400000_NS6detail17trampoline_kernelINS0_14default_configENS1_22reduce_config_selectorIiEEZNS1_11reduce_implILb1ES3_PiS7_iN6hipcub16HIPCUB_304000_NS6detail34convert_binary_result_type_wrapperINS9_3SumENS9_22TransformInputIteratorIbN2at6native12_GLOBAL__N_19NonZeroOpIhEEPKhlEEiEEEE10hipError_tPvRmT1_T2_T3_mT4_P12ihipStream_tbEUlT_E0_NS1_11comp_targetILNS1_3genE10ELNS1_11target_archE1201ELNS1_3gpuE5ELNS1_3repE0EEENS1_30default_config_static_selectorELNS0_4arch9wavefront6targetE0EEEvSQ_
	.p2align	8
	.type	_ZN7rocprim17ROCPRIM_400000_NS6detail17trampoline_kernelINS0_14default_configENS1_22reduce_config_selectorIiEEZNS1_11reduce_implILb1ES3_PiS7_iN6hipcub16HIPCUB_304000_NS6detail34convert_binary_result_type_wrapperINS9_3SumENS9_22TransformInputIteratorIbN2at6native12_GLOBAL__N_19NonZeroOpIhEEPKhlEEiEEEE10hipError_tPvRmT1_T2_T3_mT4_P12ihipStream_tbEUlT_E0_NS1_11comp_targetILNS1_3genE10ELNS1_11target_archE1201ELNS1_3gpuE5ELNS1_3repE0EEENS1_30default_config_static_selectorELNS0_4arch9wavefront6targetE0EEEvSQ_,@function
_ZN7rocprim17ROCPRIM_400000_NS6detail17trampoline_kernelINS0_14default_configENS1_22reduce_config_selectorIiEEZNS1_11reduce_implILb1ES3_PiS7_iN6hipcub16HIPCUB_304000_NS6detail34convert_binary_result_type_wrapperINS9_3SumENS9_22TransformInputIteratorIbN2at6native12_GLOBAL__N_19NonZeroOpIhEEPKhlEEiEEEE10hipError_tPvRmT1_T2_T3_mT4_P12ihipStream_tbEUlT_E0_NS1_11comp_targetILNS1_3genE10ELNS1_11target_archE1201ELNS1_3gpuE5ELNS1_3repE0EEENS1_30default_config_static_selectorELNS0_4arch9wavefront6targetE0EEEvSQ_: ; @_ZN7rocprim17ROCPRIM_400000_NS6detail17trampoline_kernelINS0_14default_configENS1_22reduce_config_selectorIiEEZNS1_11reduce_implILb1ES3_PiS7_iN6hipcub16HIPCUB_304000_NS6detail34convert_binary_result_type_wrapperINS9_3SumENS9_22TransformInputIteratorIbN2at6native12_GLOBAL__N_19NonZeroOpIhEEPKhlEEiEEEE10hipError_tPvRmT1_T2_T3_mT4_P12ihipStream_tbEUlT_E0_NS1_11comp_targetILNS1_3genE10ELNS1_11target_archE1201ELNS1_3gpuE5ELNS1_3repE0EEENS1_30default_config_static_selectorELNS0_4arch9wavefront6targetE0EEEvSQ_
; %bb.0:
	s_clause 0x1
	s_load_b256 s[12:19], s[0:1], 0x0
	s_load_b128 s[20:23], s[0:1], 0x20
	s_lshl_b32 s2, ttmp9, 12
	s_mov_b32 s3, 0
	v_mbcnt_lo_u32_b32 v18, -1, 0
	v_lshlrev_b32_e32 v19, 2, v0
	s_mov_b32 s24, ttmp9
	s_mov_b32 s25, s3
	s_lshl_b64 s[8:9], s[2:3], 2
	s_wait_kmcnt 0x0
	s_lshl_b64 s[4:5], s[14:15], 2
	s_lshr_b64 s[6:7], s[16:17], 12
	s_add_nc_u64 s[4:5], s[12:13], s[4:5]
	s_cmp_lg_u64 s[6:7], s[24:25]
	s_add_nc_u64 s[26:27], s[4:5], s[8:9]
	s_cbranch_scc0 .LBB6_6
; %bb.1:
	s_clause 0xf
	global_load_b32 v1, v19, s[26:27]
	global_load_b32 v2, v19, s[26:27] offset:1024
	global_load_b32 v3, v19, s[26:27] offset:2048
	;; [unrolled: 1-line block ×15, first 2 shown]
	s_mov_b32 s3, exec_lo
	s_wait_loadcnt 0xe
	v_add_nc_u32_e32 v1, v2, v1
	s_wait_loadcnt 0xc
	s_delay_alu instid0(VALU_DEP_1) | instskip(SKIP_1) | instid1(VALU_DEP_1)
	v_add3_u32 v1, v1, v3, v4
	s_wait_loadcnt 0xa
	v_add3_u32 v1, v1, v5, v6
	s_wait_loadcnt 0x8
	s_delay_alu instid0(VALU_DEP_1) | instskip(SKIP_1) | instid1(VALU_DEP_1)
	v_add3_u32 v1, v1, v7, v8
	s_wait_loadcnt 0x6
	v_add3_u32 v1, v1, v9, v10
	;; [unrolled: 5-line block ×3, first 2 shown]
	s_wait_loadcnt 0x0
	s_delay_alu instid0(VALU_DEP_1) | instskip(NEXT) | instid1(VALU_DEP_1)
	v_add3_u32 v1, v1, v15, v16
	v_mov_b32_dpp v2, v1 quad_perm:[1,0,3,2] row_mask:0xf bank_mask:0xf
	s_delay_alu instid0(VALU_DEP_1) | instskip(NEXT) | instid1(VALU_DEP_1)
	v_add_nc_u32_e32 v1, v2, v1
	v_mov_b32_dpp v2, v1 quad_perm:[2,3,0,1] row_mask:0xf bank_mask:0xf
	s_delay_alu instid0(VALU_DEP_1) | instskip(NEXT) | instid1(VALU_DEP_1)
	v_add_nc_u32_e32 v1, v1, v2
	v_mov_b32_dpp v2, v1 row_ror:4 row_mask:0xf bank_mask:0xf
	s_delay_alu instid0(VALU_DEP_1) | instskip(NEXT) | instid1(VALU_DEP_1)
	v_add_nc_u32_e32 v1, v1, v2
	v_mov_b32_dpp v2, v1 row_ror:8 row_mask:0xf bank_mask:0xf
	s_delay_alu instid0(VALU_DEP_1)
	v_add_nc_u32_e32 v1, v1, v2
	ds_swizzle_b32 v2, v1 offset:swizzle(BROADCAST,32,15)
	s_wait_dscnt 0x0
	v_dual_mov_b32 v2, 0 :: v_dual_add_nc_u32 v1, v1, v2
	ds_bpermute_b32 v1, v2, v1 offset:124
	v_cmpx_eq_u32_e32 0, v18
	s_cbranch_execz .LBB6_3
; %bb.2:
	v_lshrrev_b32_e32 v2, 3, v0
	s_delay_alu instid0(VALU_DEP_1)
	v_and_b32_e32 v2, 28, v2
	s_wait_dscnt 0x0
	ds_store_b32 v2, v1
.LBB6_3:
	s_or_b32 exec_lo, exec_lo, s3
	s_delay_alu instid0(SALU_CYCLE_1)
	s_mov_b32 s3, exec_lo
	s_wait_dscnt 0x0
	s_barrier_signal -1
	s_barrier_wait -1
	global_inv scope:SCOPE_SE
	v_cmpx_gt_u32_e32 32, v0
	s_cbranch_execz .LBB6_5
; %bb.4:
	v_and_b32_e32 v1, 7, v18
	s_delay_alu instid0(VALU_DEP_1) | instskip(SKIP_4) | instid1(VALU_DEP_2)
	v_lshlrev_b32_e32 v2, 2, v1
	v_cmp_ne_u32_e32 vcc_lo, 7, v1
	ds_load_b32 v2, v2
	v_add_co_ci_u32_e64 v3, null, 0, v18, vcc_lo
	v_cmp_gt_u32_e32 vcc_lo, 6, v1
	v_lshlrev_b32_e32 v3, 2, v3
	s_wait_alu 0xfffd
	v_cndmask_b32_e64 v1, 0, 2, vcc_lo
	s_delay_alu instid0(VALU_DEP_1)
	v_add_lshl_u32 v1, v1, v18, 2
	s_wait_dscnt 0x0
	ds_bpermute_b32 v3, v3, v2
	s_wait_dscnt 0x0
	v_add_nc_u32_e32 v2, v3, v2
	v_lshlrev_b32_e32 v3, 2, v18
	ds_bpermute_b32 v1, v1, v2
	s_wait_dscnt 0x0
	v_add_nc_u32_e32 v1, v1, v2
	v_or_b32_e32 v2, 16, v3
	ds_bpermute_b32 v2, v2, v1
	s_wait_dscnt 0x0
	v_add_nc_u32_e32 v1, v2, v1
.LBB6_5:
	s_or_b32 exec_lo, exec_lo, s3
	s_branch .LBB6_44
.LBB6_6:
                                        ; implicit-def: $vgpr1
	s_cbranch_execz .LBB6_44
; %bb.7:
	v_mov_b32_e32 v1, 0
	s_sub_co_i32 s28, s16, s2
	s_mov_b32 s2, exec_lo
	s_delay_alu instid0(VALU_DEP_1)
	v_dual_mov_b32 v2, v1 :: v_dual_mov_b32 v3, v1
	v_dual_mov_b32 v4, v1 :: v_dual_mov_b32 v5, v1
	v_dual_mov_b32 v6, v1 :: v_dual_mov_b32 v7, v1
	v_dual_mov_b32 v8, v1 :: v_dual_mov_b32 v9, v1
	v_dual_mov_b32 v10, v1 :: v_dual_mov_b32 v11, v1
	v_dual_mov_b32 v12, v1 :: v_dual_mov_b32 v13, v1
	v_dual_mov_b32 v14, v1 :: v_dual_mov_b32 v15, v1
	v_mov_b32_e32 v16, v1
	v_cmpx_gt_u32_e64 s28, v0
	s_cbranch_execz .LBB6_9
; %bb.8:
	global_load_b32 v2, v19, s[26:27]
	v_mov_b32_e32 v17, v1
	v_dual_mov_b32 v3, v1 :: v_dual_mov_b32 v4, v1
	v_dual_mov_b32 v5, v1 :: v_dual_mov_b32 v6, v1
	;; [unrolled: 1-line block ×7, first 2 shown]
	s_wait_loadcnt 0x0
	v_mov_b32_e32 v1, v2
	v_mov_b32_e32 v2, v3
	;; [unrolled: 1-line block ×16, first 2 shown]
.LBB6_9:
	s_or_b32 exec_lo, exec_lo, s2
	v_or_b32_e32 v17, 0x100, v0
	s_delay_alu instid0(VALU_DEP_1)
	v_cmp_gt_u32_e32 vcc_lo, s28, v17
	s_and_saveexec_b32 s2, vcc_lo
	s_cbranch_execz .LBB6_11
; %bb.10:
	global_load_b32 v2, v19, s[26:27] offset:1024
.LBB6_11:
	s_or_b32 exec_lo, exec_lo, s2
	v_or_b32_e32 v17, 0x200, v0
	s_delay_alu instid0(VALU_DEP_1)
	v_cmp_gt_u32_e64 s2, s28, v17
	s_and_saveexec_b32 s3, s2
	s_cbranch_execz .LBB6_13
; %bb.12:
	global_load_b32 v3, v19, s[26:27] offset:2048
.LBB6_13:
	s_or_b32 exec_lo, exec_lo, s3
	v_or_b32_e32 v17, 0x300, v0
	s_delay_alu instid0(VALU_DEP_1)
	v_cmp_gt_u32_e64 s3, s28, v17
	s_and_saveexec_b32 s4, s3
	;; [unrolled: 9-line block ×14, first 2 shown]
	s_cbranch_execz .LBB6_39
; %bb.38:
	global_load_b32 v16, v19, s[26:27] offset:15360
.LBB6_39:
	s_wait_alu 0xfffe
	s_or_b32 exec_lo, exec_lo, s29
	s_wait_loadcnt 0x0
	v_cndmask_b32_e32 v2, 0, v2, vcc_lo
	v_cndmask_b32_e64 v3, 0, v3, s2
	v_cndmask_b32_e64 v4, 0, v4, s3
	v_cmp_ne_u32_e32 vcc_lo, 31, v18
	s_min_u32 s2, s28, 0x100
	v_add_nc_u32_e32 v1, v2, v1
	v_cndmask_b32_e64 v2, 0, v5, s4
	v_cndmask_b32_e64 v5, 0, v6, s5
	;; [unrolled: 1-line block ×3, first 2 shown]
	s_mov_b32 s3, exec_lo
	v_add3_u32 v1, v1, v3, v4
	v_cndmask_b32_e64 v3, 0, v7, s6
	v_cndmask_b32_e64 v4, 0, v8, s7
	s_delay_alu instid0(VALU_DEP_3) | instskip(SKIP_2) | instid1(VALU_DEP_3)
	v_add3_u32 v1, v1, v2, v5
	v_cndmask_b32_e64 v2, 0, v9, s8
	v_cndmask_b32_e64 v5, 0, v10, s9
	v_add3_u32 v1, v1, v3, v4
	v_cndmask_b32_e64 v3, 0, v11, s10
	v_cndmask_b32_e64 v4, 0, v12, s11
	s_delay_alu instid0(VALU_DEP_3) | instskip(SKIP_2) | instid1(VALU_DEP_3)
	v_add3_u32 v1, v1, v2, v5
	v_cndmask_b32_e64 v2, 0, v13, s12
	v_cndmask_b32_e64 v5, 0, v14, s13
	v_add3_u32 v1, v1, v3, v4
	v_cndmask_b32_e64 v3, 0, v16, s15
	s_wait_alu 0xfffd
	v_add_co_ci_u32_e64 v4, null, 0, v18, vcc_lo
	v_cmp_gt_u32_e32 vcc_lo, 30, v18
	v_add3_u32 v1, v1, v2, v5
	s_delay_alu instid0(VALU_DEP_3)
	v_lshlrev_b32_e32 v2, 2, v4
	v_add_nc_u32_e32 v4, 1, v18
	s_wait_alu 0xfffd
	v_cndmask_b32_e64 v5, 0, 2, vcc_lo
	v_add3_u32 v1, v1, v6, v3
	v_and_b32_e32 v3, 0xe0, v0
	ds_bpermute_b32 v2, v2, v1
	s_wait_alu 0xfffe
	v_sub_nc_u32_e64 v3, s2, v3 clamp
	s_delay_alu instid0(VALU_DEP_1)
	v_cmp_lt_u32_e32 vcc_lo, v4, v3
	v_add_lshl_u32 v4, v5, v18, 2
	s_wait_dscnt 0x0
	s_wait_alu 0xfffd
	v_cndmask_b32_e32 v2, 0, v2, vcc_lo
	v_cmp_gt_u32_e32 vcc_lo, 28, v18
	s_delay_alu instid0(VALU_DEP_2) | instskip(SKIP_4) | instid1(VALU_DEP_1)
	v_add_nc_u32_e32 v1, v1, v2
	s_wait_alu 0xfffd
	v_cndmask_b32_e64 v5, 0, 4, vcc_lo
	ds_bpermute_b32 v2, v4, v1
	v_add_nc_u32_e32 v4, 2, v18
	v_cmp_lt_u32_e32 vcc_lo, v4, v3
	v_add_lshl_u32 v4, v5, v18, 2
	s_wait_dscnt 0x0
	s_wait_alu 0xfffd
	v_cndmask_b32_e32 v2, 0, v2, vcc_lo
	v_cmp_gt_u32_e32 vcc_lo, 24, v18
	s_delay_alu instid0(VALU_DEP_2) | instskip(SKIP_4) | instid1(VALU_DEP_1)
	v_add_nc_u32_e32 v1, v1, v2
	s_wait_alu 0xfffd
	v_cndmask_b32_e64 v5, 0, 8, vcc_lo
	ds_bpermute_b32 v2, v4, v1
	v_add_nc_u32_e32 v4, 4, v18
	v_cmp_lt_u32_e32 vcc_lo, v4, v3
	v_add_lshl_u32 v4, v5, v18, 2
	v_add_nc_u32_e32 v5, 8, v18
	s_wait_dscnt 0x0
	s_wait_alu 0xfffd
	v_cndmask_b32_e32 v2, 0, v2, vcc_lo
	s_delay_alu instid0(VALU_DEP_2) | instskip(NEXT) | instid1(VALU_DEP_2)
	v_cmp_lt_u32_e32 vcc_lo, v5, v3
	v_add_nc_u32_e32 v1, v1, v2
	v_lshlrev_b32_e32 v2, 2, v18
	ds_bpermute_b32 v4, v4, v1
	v_or_b32_e32 v5, 64, v2
	s_wait_dscnt 0x0
	s_wait_alu 0xfffd
	v_cndmask_b32_e32 v4, 0, v4, vcc_lo
	s_delay_alu instid0(VALU_DEP_1) | instskip(SKIP_2) | instid1(VALU_DEP_1)
	v_add_nc_u32_e32 v1, v1, v4
	ds_bpermute_b32 v4, v5, v1
	v_add_nc_u32_e32 v5, 16, v18
	v_cmp_lt_u32_e32 vcc_lo, v5, v3
	s_wait_dscnt 0x0
	s_wait_alu 0xfffd
	v_cndmask_b32_e32 v3, 0, v4, vcc_lo
	s_delay_alu instid0(VALU_DEP_1)
	v_add_nc_u32_e32 v1, v1, v3
	v_cmpx_eq_u32_e32 0, v18
; %bb.40:
	v_lshrrev_b32_e32 v3, 3, v0
	s_delay_alu instid0(VALU_DEP_1)
	v_and_b32_e32 v3, 28, v3
	ds_store_b32 v3, v1 offset:32
; %bb.41:
	s_or_b32 exec_lo, exec_lo, s3
	s_delay_alu instid0(SALU_CYCLE_1)
	s_mov_b32 s3, exec_lo
	s_wait_dscnt 0x0
	s_barrier_signal -1
	s_barrier_wait -1
	global_inv scope:SCOPE_SE
	v_cmpx_gt_u32_e32 8, v0
	s_cbranch_execz .LBB6_43
; %bb.42:
	ds_load_b32 v1, v2 offset:32
	v_and_b32_e32 v3, 7, v18
	s_add_co_i32 s2, s2, 31
	v_or_b32_e32 v2, 16, v2
	s_wait_alu 0xfffe
	s_lshr_b32 s2, s2, 5
	v_cmp_ne_u32_e32 vcc_lo, 7, v3
	v_add_nc_u32_e32 v5, 1, v3
	s_wait_alu 0xfffd
	v_add_co_ci_u32_e64 v4, null, 0, v18, vcc_lo
	v_cmp_gt_u32_e32 vcc_lo, 6, v3
	s_delay_alu instid0(VALU_DEP_2)
	v_lshlrev_b32_e32 v4, 2, v4
	s_wait_alu 0xfffd
	v_cndmask_b32_e64 v6, 0, 2, vcc_lo
	s_wait_alu 0xfffe
	v_cmp_gt_u32_e32 vcc_lo, s2, v5
	s_wait_dscnt 0x0
	ds_bpermute_b32 v4, v4, v1
	v_add_lshl_u32 v5, v6, v18, 2
	s_wait_dscnt 0x0
	s_wait_alu 0xfffd
	v_cndmask_b32_e32 v4, 0, v4, vcc_lo
	s_delay_alu instid0(VALU_DEP_1) | instskip(SKIP_3) | instid1(VALU_DEP_2)
	v_add_nc_u32_e32 v1, v4, v1
	ds_bpermute_b32 v4, v5, v1
	v_add_nc_u32_e32 v5, 2, v3
	v_add_nc_u32_e32 v3, 4, v3
	v_cmp_gt_u32_e32 vcc_lo, s2, v5
	s_wait_dscnt 0x0
	s_wait_alu 0xfffd
	v_cndmask_b32_e32 v4, 0, v4, vcc_lo
	v_cmp_gt_u32_e32 vcc_lo, s2, v3
	s_delay_alu instid0(VALU_DEP_2) | instskip(SKIP_4) | instid1(VALU_DEP_1)
	v_add_nc_u32_e32 v1, v1, v4
	ds_bpermute_b32 v2, v2, v1
	s_wait_dscnt 0x0
	s_wait_alu 0xfffd
	v_cndmask_b32_e32 v2, 0, v2, vcc_lo
	v_add_nc_u32_e32 v1, v1, v2
.LBB6_43:
	s_wait_alu 0xfffe
	s_or_b32 exec_lo, exec_lo, s3
.LBB6_44:
	s_load_b32 s0, s[0:1], 0x30
	s_mov_b32 s1, exec_lo
	v_cmpx_eq_u32_e32 0, v0
	s_cbranch_execz .LBB6_46
; %bb.45:
	s_mul_u64 s[2:3], s[22:23], s[20:21]
	s_wait_alu 0xfffe
	s_lshl_b64 s[2:3], s[2:3], 2
	s_cmp_eq_u64 s[16:17], 0
	s_wait_alu 0xfffe
	s_add_nc_u64 s[2:3], s[18:19], s[2:3]
	s_cselect_b32 s1, -1, 0
	s_wait_kmcnt 0x0
	v_cndmask_b32_e64 v0, v1, s0, s1
	v_mov_b32_e32 v1, 0
	s_lshl_b64 s[0:1], s[24:25], 2
	s_wait_alu 0xfffe
	s_add_nc_u64 s[0:1], s[2:3], s[0:1]
	global_store_b32 v1, v0, s[0:1]
.LBB6_46:
	s_endpgm
	.section	.rodata,"a",@progbits
	.p2align	6, 0x0
	.amdhsa_kernel _ZN7rocprim17ROCPRIM_400000_NS6detail17trampoline_kernelINS0_14default_configENS1_22reduce_config_selectorIiEEZNS1_11reduce_implILb1ES3_PiS7_iN6hipcub16HIPCUB_304000_NS6detail34convert_binary_result_type_wrapperINS9_3SumENS9_22TransformInputIteratorIbN2at6native12_GLOBAL__N_19NonZeroOpIhEEPKhlEEiEEEE10hipError_tPvRmT1_T2_T3_mT4_P12ihipStream_tbEUlT_E0_NS1_11comp_targetILNS1_3genE10ELNS1_11target_archE1201ELNS1_3gpuE5ELNS1_3repE0EEENS1_30default_config_static_selectorELNS0_4arch9wavefront6targetE0EEEvSQ_
		.amdhsa_group_segment_fixed_size 64
		.amdhsa_private_segment_fixed_size 0
		.amdhsa_kernarg_size 56
		.amdhsa_user_sgpr_count 2
		.amdhsa_user_sgpr_dispatch_ptr 0
		.amdhsa_user_sgpr_queue_ptr 0
		.amdhsa_user_sgpr_kernarg_segment_ptr 1
		.amdhsa_user_sgpr_dispatch_id 0
		.amdhsa_user_sgpr_private_segment_size 0
		.amdhsa_wavefront_size32 1
		.amdhsa_uses_dynamic_stack 0
		.amdhsa_enable_private_segment 0
		.amdhsa_system_sgpr_workgroup_id_x 1
		.amdhsa_system_sgpr_workgroup_id_y 0
		.amdhsa_system_sgpr_workgroup_id_z 0
		.amdhsa_system_sgpr_workgroup_info 0
		.amdhsa_system_vgpr_workitem_id 0
		.amdhsa_next_free_vgpr 20
		.amdhsa_next_free_sgpr 30
		.amdhsa_reserve_vcc 1
		.amdhsa_float_round_mode_32 0
		.amdhsa_float_round_mode_16_64 0
		.amdhsa_float_denorm_mode_32 3
		.amdhsa_float_denorm_mode_16_64 3
		.amdhsa_fp16_overflow 0
		.amdhsa_workgroup_processor_mode 1
		.amdhsa_memory_ordered 1
		.amdhsa_forward_progress 1
		.amdhsa_inst_pref_size 20
		.amdhsa_round_robin_scheduling 0
		.amdhsa_exception_fp_ieee_invalid_op 0
		.amdhsa_exception_fp_denorm_src 0
		.amdhsa_exception_fp_ieee_div_zero 0
		.amdhsa_exception_fp_ieee_overflow 0
		.amdhsa_exception_fp_ieee_underflow 0
		.amdhsa_exception_fp_ieee_inexact 0
		.amdhsa_exception_int_div_zero 0
	.end_amdhsa_kernel
	.section	.text._ZN7rocprim17ROCPRIM_400000_NS6detail17trampoline_kernelINS0_14default_configENS1_22reduce_config_selectorIiEEZNS1_11reduce_implILb1ES3_PiS7_iN6hipcub16HIPCUB_304000_NS6detail34convert_binary_result_type_wrapperINS9_3SumENS9_22TransformInputIteratorIbN2at6native12_GLOBAL__N_19NonZeroOpIhEEPKhlEEiEEEE10hipError_tPvRmT1_T2_T3_mT4_P12ihipStream_tbEUlT_E0_NS1_11comp_targetILNS1_3genE10ELNS1_11target_archE1201ELNS1_3gpuE5ELNS1_3repE0EEENS1_30default_config_static_selectorELNS0_4arch9wavefront6targetE0EEEvSQ_,"axG",@progbits,_ZN7rocprim17ROCPRIM_400000_NS6detail17trampoline_kernelINS0_14default_configENS1_22reduce_config_selectorIiEEZNS1_11reduce_implILb1ES3_PiS7_iN6hipcub16HIPCUB_304000_NS6detail34convert_binary_result_type_wrapperINS9_3SumENS9_22TransformInputIteratorIbN2at6native12_GLOBAL__N_19NonZeroOpIhEEPKhlEEiEEEE10hipError_tPvRmT1_T2_T3_mT4_P12ihipStream_tbEUlT_E0_NS1_11comp_targetILNS1_3genE10ELNS1_11target_archE1201ELNS1_3gpuE5ELNS1_3repE0EEENS1_30default_config_static_selectorELNS0_4arch9wavefront6targetE0EEEvSQ_,comdat
.Lfunc_end6:
	.size	_ZN7rocprim17ROCPRIM_400000_NS6detail17trampoline_kernelINS0_14default_configENS1_22reduce_config_selectorIiEEZNS1_11reduce_implILb1ES3_PiS7_iN6hipcub16HIPCUB_304000_NS6detail34convert_binary_result_type_wrapperINS9_3SumENS9_22TransformInputIteratorIbN2at6native12_GLOBAL__N_19NonZeroOpIhEEPKhlEEiEEEE10hipError_tPvRmT1_T2_T3_mT4_P12ihipStream_tbEUlT_E0_NS1_11comp_targetILNS1_3genE10ELNS1_11target_archE1201ELNS1_3gpuE5ELNS1_3repE0EEENS1_30default_config_static_selectorELNS0_4arch9wavefront6targetE0EEEvSQ_, .Lfunc_end6-_ZN7rocprim17ROCPRIM_400000_NS6detail17trampoline_kernelINS0_14default_configENS1_22reduce_config_selectorIiEEZNS1_11reduce_implILb1ES3_PiS7_iN6hipcub16HIPCUB_304000_NS6detail34convert_binary_result_type_wrapperINS9_3SumENS9_22TransformInputIteratorIbN2at6native12_GLOBAL__N_19NonZeroOpIhEEPKhlEEiEEEE10hipError_tPvRmT1_T2_T3_mT4_P12ihipStream_tbEUlT_E0_NS1_11comp_targetILNS1_3genE10ELNS1_11target_archE1201ELNS1_3gpuE5ELNS1_3repE0EEENS1_30default_config_static_selectorELNS0_4arch9wavefront6targetE0EEEvSQ_
                                        ; -- End function
	.set _ZN7rocprim17ROCPRIM_400000_NS6detail17trampoline_kernelINS0_14default_configENS1_22reduce_config_selectorIiEEZNS1_11reduce_implILb1ES3_PiS7_iN6hipcub16HIPCUB_304000_NS6detail34convert_binary_result_type_wrapperINS9_3SumENS9_22TransformInputIteratorIbN2at6native12_GLOBAL__N_19NonZeroOpIhEEPKhlEEiEEEE10hipError_tPvRmT1_T2_T3_mT4_P12ihipStream_tbEUlT_E0_NS1_11comp_targetILNS1_3genE10ELNS1_11target_archE1201ELNS1_3gpuE5ELNS1_3repE0EEENS1_30default_config_static_selectorELNS0_4arch9wavefront6targetE0EEEvSQ_.num_vgpr, 20
	.set _ZN7rocprim17ROCPRIM_400000_NS6detail17trampoline_kernelINS0_14default_configENS1_22reduce_config_selectorIiEEZNS1_11reduce_implILb1ES3_PiS7_iN6hipcub16HIPCUB_304000_NS6detail34convert_binary_result_type_wrapperINS9_3SumENS9_22TransformInputIteratorIbN2at6native12_GLOBAL__N_19NonZeroOpIhEEPKhlEEiEEEE10hipError_tPvRmT1_T2_T3_mT4_P12ihipStream_tbEUlT_E0_NS1_11comp_targetILNS1_3genE10ELNS1_11target_archE1201ELNS1_3gpuE5ELNS1_3repE0EEENS1_30default_config_static_selectorELNS0_4arch9wavefront6targetE0EEEvSQ_.num_agpr, 0
	.set _ZN7rocprim17ROCPRIM_400000_NS6detail17trampoline_kernelINS0_14default_configENS1_22reduce_config_selectorIiEEZNS1_11reduce_implILb1ES3_PiS7_iN6hipcub16HIPCUB_304000_NS6detail34convert_binary_result_type_wrapperINS9_3SumENS9_22TransformInputIteratorIbN2at6native12_GLOBAL__N_19NonZeroOpIhEEPKhlEEiEEEE10hipError_tPvRmT1_T2_T3_mT4_P12ihipStream_tbEUlT_E0_NS1_11comp_targetILNS1_3genE10ELNS1_11target_archE1201ELNS1_3gpuE5ELNS1_3repE0EEENS1_30default_config_static_selectorELNS0_4arch9wavefront6targetE0EEEvSQ_.numbered_sgpr, 30
	.set _ZN7rocprim17ROCPRIM_400000_NS6detail17trampoline_kernelINS0_14default_configENS1_22reduce_config_selectorIiEEZNS1_11reduce_implILb1ES3_PiS7_iN6hipcub16HIPCUB_304000_NS6detail34convert_binary_result_type_wrapperINS9_3SumENS9_22TransformInputIteratorIbN2at6native12_GLOBAL__N_19NonZeroOpIhEEPKhlEEiEEEE10hipError_tPvRmT1_T2_T3_mT4_P12ihipStream_tbEUlT_E0_NS1_11comp_targetILNS1_3genE10ELNS1_11target_archE1201ELNS1_3gpuE5ELNS1_3repE0EEENS1_30default_config_static_selectorELNS0_4arch9wavefront6targetE0EEEvSQ_.num_named_barrier, 0
	.set _ZN7rocprim17ROCPRIM_400000_NS6detail17trampoline_kernelINS0_14default_configENS1_22reduce_config_selectorIiEEZNS1_11reduce_implILb1ES3_PiS7_iN6hipcub16HIPCUB_304000_NS6detail34convert_binary_result_type_wrapperINS9_3SumENS9_22TransformInputIteratorIbN2at6native12_GLOBAL__N_19NonZeroOpIhEEPKhlEEiEEEE10hipError_tPvRmT1_T2_T3_mT4_P12ihipStream_tbEUlT_E0_NS1_11comp_targetILNS1_3genE10ELNS1_11target_archE1201ELNS1_3gpuE5ELNS1_3repE0EEENS1_30default_config_static_selectorELNS0_4arch9wavefront6targetE0EEEvSQ_.private_seg_size, 0
	.set _ZN7rocprim17ROCPRIM_400000_NS6detail17trampoline_kernelINS0_14default_configENS1_22reduce_config_selectorIiEEZNS1_11reduce_implILb1ES3_PiS7_iN6hipcub16HIPCUB_304000_NS6detail34convert_binary_result_type_wrapperINS9_3SumENS9_22TransformInputIteratorIbN2at6native12_GLOBAL__N_19NonZeroOpIhEEPKhlEEiEEEE10hipError_tPvRmT1_T2_T3_mT4_P12ihipStream_tbEUlT_E0_NS1_11comp_targetILNS1_3genE10ELNS1_11target_archE1201ELNS1_3gpuE5ELNS1_3repE0EEENS1_30default_config_static_selectorELNS0_4arch9wavefront6targetE0EEEvSQ_.uses_vcc, 1
	.set _ZN7rocprim17ROCPRIM_400000_NS6detail17trampoline_kernelINS0_14default_configENS1_22reduce_config_selectorIiEEZNS1_11reduce_implILb1ES3_PiS7_iN6hipcub16HIPCUB_304000_NS6detail34convert_binary_result_type_wrapperINS9_3SumENS9_22TransformInputIteratorIbN2at6native12_GLOBAL__N_19NonZeroOpIhEEPKhlEEiEEEE10hipError_tPvRmT1_T2_T3_mT4_P12ihipStream_tbEUlT_E0_NS1_11comp_targetILNS1_3genE10ELNS1_11target_archE1201ELNS1_3gpuE5ELNS1_3repE0EEENS1_30default_config_static_selectorELNS0_4arch9wavefront6targetE0EEEvSQ_.uses_flat_scratch, 0
	.set _ZN7rocprim17ROCPRIM_400000_NS6detail17trampoline_kernelINS0_14default_configENS1_22reduce_config_selectorIiEEZNS1_11reduce_implILb1ES3_PiS7_iN6hipcub16HIPCUB_304000_NS6detail34convert_binary_result_type_wrapperINS9_3SumENS9_22TransformInputIteratorIbN2at6native12_GLOBAL__N_19NonZeroOpIhEEPKhlEEiEEEE10hipError_tPvRmT1_T2_T3_mT4_P12ihipStream_tbEUlT_E0_NS1_11comp_targetILNS1_3genE10ELNS1_11target_archE1201ELNS1_3gpuE5ELNS1_3repE0EEENS1_30default_config_static_selectorELNS0_4arch9wavefront6targetE0EEEvSQ_.has_dyn_sized_stack, 0
	.set _ZN7rocprim17ROCPRIM_400000_NS6detail17trampoline_kernelINS0_14default_configENS1_22reduce_config_selectorIiEEZNS1_11reduce_implILb1ES3_PiS7_iN6hipcub16HIPCUB_304000_NS6detail34convert_binary_result_type_wrapperINS9_3SumENS9_22TransformInputIteratorIbN2at6native12_GLOBAL__N_19NonZeroOpIhEEPKhlEEiEEEE10hipError_tPvRmT1_T2_T3_mT4_P12ihipStream_tbEUlT_E0_NS1_11comp_targetILNS1_3genE10ELNS1_11target_archE1201ELNS1_3gpuE5ELNS1_3repE0EEENS1_30default_config_static_selectorELNS0_4arch9wavefront6targetE0EEEvSQ_.has_recursion, 0
	.set _ZN7rocprim17ROCPRIM_400000_NS6detail17trampoline_kernelINS0_14default_configENS1_22reduce_config_selectorIiEEZNS1_11reduce_implILb1ES3_PiS7_iN6hipcub16HIPCUB_304000_NS6detail34convert_binary_result_type_wrapperINS9_3SumENS9_22TransformInputIteratorIbN2at6native12_GLOBAL__N_19NonZeroOpIhEEPKhlEEiEEEE10hipError_tPvRmT1_T2_T3_mT4_P12ihipStream_tbEUlT_E0_NS1_11comp_targetILNS1_3genE10ELNS1_11target_archE1201ELNS1_3gpuE5ELNS1_3repE0EEENS1_30default_config_static_selectorELNS0_4arch9wavefront6targetE0EEEvSQ_.has_indirect_call, 0
	.section	.AMDGPU.csdata,"",@progbits
; Kernel info:
; codeLenInByte = 2448
; TotalNumSgprs: 32
; NumVgprs: 20
; ScratchSize: 0
; MemoryBound: 0
; FloatMode: 240
; IeeeMode: 1
; LDSByteSize: 64 bytes/workgroup (compile time only)
; SGPRBlocks: 0
; VGPRBlocks: 2
; NumSGPRsForWavesPerEU: 32
; NumVGPRsForWavesPerEU: 20
; Occupancy: 16
; WaveLimiterHint : 1
; COMPUTE_PGM_RSRC2:SCRATCH_EN: 0
; COMPUTE_PGM_RSRC2:USER_SGPR: 2
; COMPUTE_PGM_RSRC2:TRAP_HANDLER: 0
; COMPUTE_PGM_RSRC2:TGID_X_EN: 1
; COMPUTE_PGM_RSRC2:TGID_Y_EN: 0
; COMPUTE_PGM_RSRC2:TGID_Z_EN: 0
; COMPUTE_PGM_RSRC2:TIDIG_COMP_CNT: 0
	.section	.text._ZN7rocprim17ROCPRIM_400000_NS6detail17trampoline_kernelINS0_14default_configENS1_22reduce_config_selectorIiEEZNS1_11reduce_implILb1ES3_PiS7_iN6hipcub16HIPCUB_304000_NS6detail34convert_binary_result_type_wrapperINS9_3SumENS9_22TransformInputIteratorIbN2at6native12_GLOBAL__N_19NonZeroOpIhEEPKhlEEiEEEE10hipError_tPvRmT1_T2_T3_mT4_P12ihipStream_tbEUlT_E0_NS1_11comp_targetILNS1_3genE10ELNS1_11target_archE1200ELNS1_3gpuE4ELNS1_3repE0EEENS1_30default_config_static_selectorELNS0_4arch9wavefront6targetE0EEEvSQ_,"axG",@progbits,_ZN7rocprim17ROCPRIM_400000_NS6detail17trampoline_kernelINS0_14default_configENS1_22reduce_config_selectorIiEEZNS1_11reduce_implILb1ES3_PiS7_iN6hipcub16HIPCUB_304000_NS6detail34convert_binary_result_type_wrapperINS9_3SumENS9_22TransformInputIteratorIbN2at6native12_GLOBAL__N_19NonZeroOpIhEEPKhlEEiEEEE10hipError_tPvRmT1_T2_T3_mT4_P12ihipStream_tbEUlT_E0_NS1_11comp_targetILNS1_3genE10ELNS1_11target_archE1200ELNS1_3gpuE4ELNS1_3repE0EEENS1_30default_config_static_selectorELNS0_4arch9wavefront6targetE0EEEvSQ_,comdat
	.globl	_ZN7rocprim17ROCPRIM_400000_NS6detail17trampoline_kernelINS0_14default_configENS1_22reduce_config_selectorIiEEZNS1_11reduce_implILb1ES3_PiS7_iN6hipcub16HIPCUB_304000_NS6detail34convert_binary_result_type_wrapperINS9_3SumENS9_22TransformInputIteratorIbN2at6native12_GLOBAL__N_19NonZeroOpIhEEPKhlEEiEEEE10hipError_tPvRmT1_T2_T3_mT4_P12ihipStream_tbEUlT_E0_NS1_11comp_targetILNS1_3genE10ELNS1_11target_archE1200ELNS1_3gpuE4ELNS1_3repE0EEENS1_30default_config_static_selectorELNS0_4arch9wavefront6targetE0EEEvSQ_ ; -- Begin function _ZN7rocprim17ROCPRIM_400000_NS6detail17trampoline_kernelINS0_14default_configENS1_22reduce_config_selectorIiEEZNS1_11reduce_implILb1ES3_PiS7_iN6hipcub16HIPCUB_304000_NS6detail34convert_binary_result_type_wrapperINS9_3SumENS9_22TransformInputIteratorIbN2at6native12_GLOBAL__N_19NonZeroOpIhEEPKhlEEiEEEE10hipError_tPvRmT1_T2_T3_mT4_P12ihipStream_tbEUlT_E0_NS1_11comp_targetILNS1_3genE10ELNS1_11target_archE1200ELNS1_3gpuE4ELNS1_3repE0EEENS1_30default_config_static_selectorELNS0_4arch9wavefront6targetE0EEEvSQ_
	.p2align	8
	.type	_ZN7rocprim17ROCPRIM_400000_NS6detail17trampoline_kernelINS0_14default_configENS1_22reduce_config_selectorIiEEZNS1_11reduce_implILb1ES3_PiS7_iN6hipcub16HIPCUB_304000_NS6detail34convert_binary_result_type_wrapperINS9_3SumENS9_22TransformInputIteratorIbN2at6native12_GLOBAL__N_19NonZeroOpIhEEPKhlEEiEEEE10hipError_tPvRmT1_T2_T3_mT4_P12ihipStream_tbEUlT_E0_NS1_11comp_targetILNS1_3genE10ELNS1_11target_archE1200ELNS1_3gpuE4ELNS1_3repE0EEENS1_30default_config_static_selectorELNS0_4arch9wavefront6targetE0EEEvSQ_,@function
_ZN7rocprim17ROCPRIM_400000_NS6detail17trampoline_kernelINS0_14default_configENS1_22reduce_config_selectorIiEEZNS1_11reduce_implILb1ES3_PiS7_iN6hipcub16HIPCUB_304000_NS6detail34convert_binary_result_type_wrapperINS9_3SumENS9_22TransformInputIteratorIbN2at6native12_GLOBAL__N_19NonZeroOpIhEEPKhlEEiEEEE10hipError_tPvRmT1_T2_T3_mT4_P12ihipStream_tbEUlT_E0_NS1_11comp_targetILNS1_3genE10ELNS1_11target_archE1200ELNS1_3gpuE4ELNS1_3repE0EEENS1_30default_config_static_selectorELNS0_4arch9wavefront6targetE0EEEvSQ_: ; @_ZN7rocprim17ROCPRIM_400000_NS6detail17trampoline_kernelINS0_14default_configENS1_22reduce_config_selectorIiEEZNS1_11reduce_implILb1ES3_PiS7_iN6hipcub16HIPCUB_304000_NS6detail34convert_binary_result_type_wrapperINS9_3SumENS9_22TransformInputIteratorIbN2at6native12_GLOBAL__N_19NonZeroOpIhEEPKhlEEiEEEE10hipError_tPvRmT1_T2_T3_mT4_P12ihipStream_tbEUlT_E0_NS1_11comp_targetILNS1_3genE10ELNS1_11target_archE1200ELNS1_3gpuE4ELNS1_3repE0EEENS1_30default_config_static_selectorELNS0_4arch9wavefront6targetE0EEEvSQ_
; %bb.0:
	.section	.rodata,"a",@progbits
	.p2align	6, 0x0
	.amdhsa_kernel _ZN7rocprim17ROCPRIM_400000_NS6detail17trampoline_kernelINS0_14default_configENS1_22reduce_config_selectorIiEEZNS1_11reduce_implILb1ES3_PiS7_iN6hipcub16HIPCUB_304000_NS6detail34convert_binary_result_type_wrapperINS9_3SumENS9_22TransformInputIteratorIbN2at6native12_GLOBAL__N_19NonZeroOpIhEEPKhlEEiEEEE10hipError_tPvRmT1_T2_T3_mT4_P12ihipStream_tbEUlT_E0_NS1_11comp_targetILNS1_3genE10ELNS1_11target_archE1200ELNS1_3gpuE4ELNS1_3repE0EEENS1_30default_config_static_selectorELNS0_4arch9wavefront6targetE0EEEvSQ_
		.amdhsa_group_segment_fixed_size 0
		.amdhsa_private_segment_fixed_size 0
		.amdhsa_kernarg_size 56
		.amdhsa_user_sgpr_count 2
		.amdhsa_user_sgpr_dispatch_ptr 0
		.amdhsa_user_sgpr_queue_ptr 0
		.amdhsa_user_sgpr_kernarg_segment_ptr 1
		.amdhsa_user_sgpr_dispatch_id 0
		.amdhsa_user_sgpr_private_segment_size 0
		.amdhsa_wavefront_size32 1
		.amdhsa_uses_dynamic_stack 0
		.amdhsa_enable_private_segment 0
		.amdhsa_system_sgpr_workgroup_id_x 1
		.amdhsa_system_sgpr_workgroup_id_y 0
		.amdhsa_system_sgpr_workgroup_id_z 0
		.amdhsa_system_sgpr_workgroup_info 0
		.amdhsa_system_vgpr_workitem_id 0
		.amdhsa_next_free_vgpr 1
		.amdhsa_next_free_sgpr 1
		.amdhsa_reserve_vcc 0
		.amdhsa_float_round_mode_32 0
		.amdhsa_float_round_mode_16_64 0
		.amdhsa_float_denorm_mode_32 3
		.amdhsa_float_denorm_mode_16_64 3
		.amdhsa_fp16_overflow 0
		.amdhsa_workgroup_processor_mode 1
		.amdhsa_memory_ordered 1
		.amdhsa_forward_progress 1
		.amdhsa_inst_pref_size 0
		.amdhsa_round_robin_scheduling 0
		.amdhsa_exception_fp_ieee_invalid_op 0
		.amdhsa_exception_fp_denorm_src 0
		.amdhsa_exception_fp_ieee_div_zero 0
		.amdhsa_exception_fp_ieee_overflow 0
		.amdhsa_exception_fp_ieee_underflow 0
		.amdhsa_exception_fp_ieee_inexact 0
		.amdhsa_exception_int_div_zero 0
	.end_amdhsa_kernel
	.section	.text._ZN7rocprim17ROCPRIM_400000_NS6detail17trampoline_kernelINS0_14default_configENS1_22reduce_config_selectorIiEEZNS1_11reduce_implILb1ES3_PiS7_iN6hipcub16HIPCUB_304000_NS6detail34convert_binary_result_type_wrapperINS9_3SumENS9_22TransformInputIteratorIbN2at6native12_GLOBAL__N_19NonZeroOpIhEEPKhlEEiEEEE10hipError_tPvRmT1_T2_T3_mT4_P12ihipStream_tbEUlT_E0_NS1_11comp_targetILNS1_3genE10ELNS1_11target_archE1200ELNS1_3gpuE4ELNS1_3repE0EEENS1_30default_config_static_selectorELNS0_4arch9wavefront6targetE0EEEvSQ_,"axG",@progbits,_ZN7rocprim17ROCPRIM_400000_NS6detail17trampoline_kernelINS0_14default_configENS1_22reduce_config_selectorIiEEZNS1_11reduce_implILb1ES3_PiS7_iN6hipcub16HIPCUB_304000_NS6detail34convert_binary_result_type_wrapperINS9_3SumENS9_22TransformInputIteratorIbN2at6native12_GLOBAL__N_19NonZeroOpIhEEPKhlEEiEEEE10hipError_tPvRmT1_T2_T3_mT4_P12ihipStream_tbEUlT_E0_NS1_11comp_targetILNS1_3genE10ELNS1_11target_archE1200ELNS1_3gpuE4ELNS1_3repE0EEENS1_30default_config_static_selectorELNS0_4arch9wavefront6targetE0EEEvSQ_,comdat
.Lfunc_end7:
	.size	_ZN7rocprim17ROCPRIM_400000_NS6detail17trampoline_kernelINS0_14default_configENS1_22reduce_config_selectorIiEEZNS1_11reduce_implILb1ES3_PiS7_iN6hipcub16HIPCUB_304000_NS6detail34convert_binary_result_type_wrapperINS9_3SumENS9_22TransformInputIteratorIbN2at6native12_GLOBAL__N_19NonZeroOpIhEEPKhlEEiEEEE10hipError_tPvRmT1_T2_T3_mT4_P12ihipStream_tbEUlT_E0_NS1_11comp_targetILNS1_3genE10ELNS1_11target_archE1200ELNS1_3gpuE4ELNS1_3repE0EEENS1_30default_config_static_selectorELNS0_4arch9wavefront6targetE0EEEvSQ_, .Lfunc_end7-_ZN7rocprim17ROCPRIM_400000_NS6detail17trampoline_kernelINS0_14default_configENS1_22reduce_config_selectorIiEEZNS1_11reduce_implILb1ES3_PiS7_iN6hipcub16HIPCUB_304000_NS6detail34convert_binary_result_type_wrapperINS9_3SumENS9_22TransformInputIteratorIbN2at6native12_GLOBAL__N_19NonZeroOpIhEEPKhlEEiEEEE10hipError_tPvRmT1_T2_T3_mT4_P12ihipStream_tbEUlT_E0_NS1_11comp_targetILNS1_3genE10ELNS1_11target_archE1200ELNS1_3gpuE4ELNS1_3repE0EEENS1_30default_config_static_selectorELNS0_4arch9wavefront6targetE0EEEvSQ_
                                        ; -- End function
	.set _ZN7rocprim17ROCPRIM_400000_NS6detail17trampoline_kernelINS0_14default_configENS1_22reduce_config_selectorIiEEZNS1_11reduce_implILb1ES3_PiS7_iN6hipcub16HIPCUB_304000_NS6detail34convert_binary_result_type_wrapperINS9_3SumENS9_22TransformInputIteratorIbN2at6native12_GLOBAL__N_19NonZeroOpIhEEPKhlEEiEEEE10hipError_tPvRmT1_T2_T3_mT4_P12ihipStream_tbEUlT_E0_NS1_11comp_targetILNS1_3genE10ELNS1_11target_archE1200ELNS1_3gpuE4ELNS1_3repE0EEENS1_30default_config_static_selectorELNS0_4arch9wavefront6targetE0EEEvSQ_.num_vgpr, 0
	.set _ZN7rocprim17ROCPRIM_400000_NS6detail17trampoline_kernelINS0_14default_configENS1_22reduce_config_selectorIiEEZNS1_11reduce_implILb1ES3_PiS7_iN6hipcub16HIPCUB_304000_NS6detail34convert_binary_result_type_wrapperINS9_3SumENS9_22TransformInputIteratorIbN2at6native12_GLOBAL__N_19NonZeroOpIhEEPKhlEEiEEEE10hipError_tPvRmT1_T2_T3_mT4_P12ihipStream_tbEUlT_E0_NS1_11comp_targetILNS1_3genE10ELNS1_11target_archE1200ELNS1_3gpuE4ELNS1_3repE0EEENS1_30default_config_static_selectorELNS0_4arch9wavefront6targetE0EEEvSQ_.num_agpr, 0
	.set _ZN7rocprim17ROCPRIM_400000_NS6detail17trampoline_kernelINS0_14default_configENS1_22reduce_config_selectorIiEEZNS1_11reduce_implILb1ES3_PiS7_iN6hipcub16HIPCUB_304000_NS6detail34convert_binary_result_type_wrapperINS9_3SumENS9_22TransformInputIteratorIbN2at6native12_GLOBAL__N_19NonZeroOpIhEEPKhlEEiEEEE10hipError_tPvRmT1_T2_T3_mT4_P12ihipStream_tbEUlT_E0_NS1_11comp_targetILNS1_3genE10ELNS1_11target_archE1200ELNS1_3gpuE4ELNS1_3repE0EEENS1_30default_config_static_selectorELNS0_4arch9wavefront6targetE0EEEvSQ_.numbered_sgpr, 0
	.set _ZN7rocprim17ROCPRIM_400000_NS6detail17trampoline_kernelINS0_14default_configENS1_22reduce_config_selectorIiEEZNS1_11reduce_implILb1ES3_PiS7_iN6hipcub16HIPCUB_304000_NS6detail34convert_binary_result_type_wrapperINS9_3SumENS9_22TransformInputIteratorIbN2at6native12_GLOBAL__N_19NonZeroOpIhEEPKhlEEiEEEE10hipError_tPvRmT1_T2_T3_mT4_P12ihipStream_tbEUlT_E0_NS1_11comp_targetILNS1_3genE10ELNS1_11target_archE1200ELNS1_3gpuE4ELNS1_3repE0EEENS1_30default_config_static_selectorELNS0_4arch9wavefront6targetE0EEEvSQ_.num_named_barrier, 0
	.set _ZN7rocprim17ROCPRIM_400000_NS6detail17trampoline_kernelINS0_14default_configENS1_22reduce_config_selectorIiEEZNS1_11reduce_implILb1ES3_PiS7_iN6hipcub16HIPCUB_304000_NS6detail34convert_binary_result_type_wrapperINS9_3SumENS9_22TransformInputIteratorIbN2at6native12_GLOBAL__N_19NonZeroOpIhEEPKhlEEiEEEE10hipError_tPvRmT1_T2_T3_mT4_P12ihipStream_tbEUlT_E0_NS1_11comp_targetILNS1_3genE10ELNS1_11target_archE1200ELNS1_3gpuE4ELNS1_3repE0EEENS1_30default_config_static_selectorELNS0_4arch9wavefront6targetE0EEEvSQ_.private_seg_size, 0
	.set _ZN7rocprim17ROCPRIM_400000_NS6detail17trampoline_kernelINS0_14default_configENS1_22reduce_config_selectorIiEEZNS1_11reduce_implILb1ES3_PiS7_iN6hipcub16HIPCUB_304000_NS6detail34convert_binary_result_type_wrapperINS9_3SumENS9_22TransformInputIteratorIbN2at6native12_GLOBAL__N_19NonZeroOpIhEEPKhlEEiEEEE10hipError_tPvRmT1_T2_T3_mT4_P12ihipStream_tbEUlT_E0_NS1_11comp_targetILNS1_3genE10ELNS1_11target_archE1200ELNS1_3gpuE4ELNS1_3repE0EEENS1_30default_config_static_selectorELNS0_4arch9wavefront6targetE0EEEvSQ_.uses_vcc, 0
	.set _ZN7rocprim17ROCPRIM_400000_NS6detail17trampoline_kernelINS0_14default_configENS1_22reduce_config_selectorIiEEZNS1_11reduce_implILb1ES3_PiS7_iN6hipcub16HIPCUB_304000_NS6detail34convert_binary_result_type_wrapperINS9_3SumENS9_22TransformInputIteratorIbN2at6native12_GLOBAL__N_19NonZeroOpIhEEPKhlEEiEEEE10hipError_tPvRmT1_T2_T3_mT4_P12ihipStream_tbEUlT_E0_NS1_11comp_targetILNS1_3genE10ELNS1_11target_archE1200ELNS1_3gpuE4ELNS1_3repE0EEENS1_30default_config_static_selectorELNS0_4arch9wavefront6targetE0EEEvSQ_.uses_flat_scratch, 0
	.set _ZN7rocprim17ROCPRIM_400000_NS6detail17trampoline_kernelINS0_14default_configENS1_22reduce_config_selectorIiEEZNS1_11reduce_implILb1ES3_PiS7_iN6hipcub16HIPCUB_304000_NS6detail34convert_binary_result_type_wrapperINS9_3SumENS9_22TransformInputIteratorIbN2at6native12_GLOBAL__N_19NonZeroOpIhEEPKhlEEiEEEE10hipError_tPvRmT1_T2_T3_mT4_P12ihipStream_tbEUlT_E0_NS1_11comp_targetILNS1_3genE10ELNS1_11target_archE1200ELNS1_3gpuE4ELNS1_3repE0EEENS1_30default_config_static_selectorELNS0_4arch9wavefront6targetE0EEEvSQ_.has_dyn_sized_stack, 0
	.set _ZN7rocprim17ROCPRIM_400000_NS6detail17trampoline_kernelINS0_14default_configENS1_22reduce_config_selectorIiEEZNS1_11reduce_implILb1ES3_PiS7_iN6hipcub16HIPCUB_304000_NS6detail34convert_binary_result_type_wrapperINS9_3SumENS9_22TransformInputIteratorIbN2at6native12_GLOBAL__N_19NonZeroOpIhEEPKhlEEiEEEE10hipError_tPvRmT1_T2_T3_mT4_P12ihipStream_tbEUlT_E0_NS1_11comp_targetILNS1_3genE10ELNS1_11target_archE1200ELNS1_3gpuE4ELNS1_3repE0EEENS1_30default_config_static_selectorELNS0_4arch9wavefront6targetE0EEEvSQ_.has_recursion, 0
	.set _ZN7rocprim17ROCPRIM_400000_NS6detail17trampoline_kernelINS0_14default_configENS1_22reduce_config_selectorIiEEZNS1_11reduce_implILb1ES3_PiS7_iN6hipcub16HIPCUB_304000_NS6detail34convert_binary_result_type_wrapperINS9_3SumENS9_22TransformInputIteratorIbN2at6native12_GLOBAL__N_19NonZeroOpIhEEPKhlEEiEEEE10hipError_tPvRmT1_T2_T3_mT4_P12ihipStream_tbEUlT_E0_NS1_11comp_targetILNS1_3genE10ELNS1_11target_archE1200ELNS1_3gpuE4ELNS1_3repE0EEENS1_30default_config_static_selectorELNS0_4arch9wavefront6targetE0EEEvSQ_.has_indirect_call, 0
	.section	.AMDGPU.csdata,"",@progbits
; Kernel info:
; codeLenInByte = 0
; TotalNumSgprs: 0
; NumVgprs: 0
; ScratchSize: 0
; MemoryBound: 0
; FloatMode: 240
; IeeeMode: 1
; LDSByteSize: 0 bytes/workgroup (compile time only)
; SGPRBlocks: 0
; VGPRBlocks: 0
; NumSGPRsForWavesPerEU: 1
; NumVGPRsForWavesPerEU: 1
; Occupancy: 16
; WaveLimiterHint : 0
; COMPUTE_PGM_RSRC2:SCRATCH_EN: 0
; COMPUTE_PGM_RSRC2:USER_SGPR: 2
; COMPUTE_PGM_RSRC2:TRAP_HANDLER: 0
; COMPUTE_PGM_RSRC2:TGID_X_EN: 1
; COMPUTE_PGM_RSRC2:TGID_Y_EN: 0
; COMPUTE_PGM_RSRC2:TGID_Z_EN: 0
; COMPUTE_PGM_RSRC2:TIDIG_COMP_CNT: 0
	.section	.text._ZN7rocprim17ROCPRIM_400000_NS6detail17trampoline_kernelINS0_14default_configENS1_22reduce_config_selectorIiEEZNS1_11reduce_implILb1ES3_PiS7_iN6hipcub16HIPCUB_304000_NS6detail34convert_binary_result_type_wrapperINS9_3SumENS9_22TransformInputIteratorIbN2at6native12_GLOBAL__N_19NonZeroOpIhEEPKhlEEiEEEE10hipError_tPvRmT1_T2_T3_mT4_P12ihipStream_tbEUlT_E0_NS1_11comp_targetILNS1_3genE9ELNS1_11target_archE1100ELNS1_3gpuE3ELNS1_3repE0EEENS1_30default_config_static_selectorELNS0_4arch9wavefront6targetE0EEEvSQ_,"axG",@progbits,_ZN7rocprim17ROCPRIM_400000_NS6detail17trampoline_kernelINS0_14default_configENS1_22reduce_config_selectorIiEEZNS1_11reduce_implILb1ES3_PiS7_iN6hipcub16HIPCUB_304000_NS6detail34convert_binary_result_type_wrapperINS9_3SumENS9_22TransformInputIteratorIbN2at6native12_GLOBAL__N_19NonZeroOpIhEEPKhlEEiEEEE10hipError_tPvRmT1_T2_T3_mT4_P12ihipStream_tbEUlT_E0_NS1_11comp_targetILNS1_3genE9ELNS1_11target_archE1100ELNS1_3gpuE3ELNS1_3repE0EEENS1_30default_config_static_selectorELNS0_4arch9wavefront6targetE0EEEvSQ_,comdat
	.globl	_ZN7rocprim17ROCPRIM_400000_NS6detail17trampoline_kernelINS0_14default_configENS1_22reduce_config_selectorIiEEZNS1_11reduce_implILb1ES3_PiS7_iN6hipcub16HIPCUB_304000_NS6detail34convert_binary_result_type_wrapperINS9_3SumENS9_22TransformInputIteratorIbN2at6native12_GLOBAL__N_19NonZeroOpIhEEPKhlEEiEEEE10hipError_tPvRmT1_T2_T3_mT4_P12ihipStream_tbEUlT_E0_NS1_11comp_targetILNS1_3genE9ELNS1_11target_archE1100ELNS1_3gpuE3ELNS1_3repE0EEENS1_30default_config_static_selectorELNS0_4arch9wavefront6targetE0EEEvSQ_ ; -- Begin function _ZN7rocprim17ROCPRIM_400000_NS6detail17trampoline_kernelINS0_14default_configENS1_22reduce_config_selectorIiEEZNS1_11reduce_implILb1ES3_PiS7_iN6hipcub16HIPCUB_304000_NS6detail34convert_binary_result_type_wrapperINS9_3SumENS9_22TransformInputIteratorIbN2at6native12_GLOBAL__N_19NonZeroOpIhEEPKhlEEiEEEE10hipError_tPvRmT1_T2_T3_mT4_P12ihipStream_tbEUlT_E0_NS1_11comp_targetILNS1_3genE9ELNS1_11target_archE1100ELNS1_3gpuE3ELNS1_3repE0EEENS1_30default_config_static_selectorELNS0_4arch9wavefront6targetE0EEEvSQ_
	.p2align	8
	.type	_ZN7rocprim17ROCPRIM_400000_NS6detail17trampoline_kernelINS0_14default_configENS1_22reduce_config_selectorIiEEZNS1_11reduce_implILb1ES3_PiS7_iN6hipcub16HIPCUB_304000_NS6detail34convert_binary_result_type_wrapperINS9_3SumENS9_22TransformInputIteratorIbN2at6native12_GLOBAL__N_19NonZeroOpIhEEPKhlEEiEEEE10hipError_tPvRmT1_T2_T3_mT4_P12ihipStream_tbEUlT_E0_NS1_11comp_targetILNS1_3genE9ELNS1_11target_archE1100ELNS1_3gpuE3ELNS1_3repE0EEENS1_30default_config_static_selectorELNS0_4arch9wavefront6targetE0EEEvSQ_,@function
_ZN7rocprim17ROCPRIM_400000_NS6detail17trampoline_kernelINS0_14default_configENS1_22reduce_config_selectorIiEEZNS1_11reduce_implILb1ES3_PiS7_iN6hipcub16HIPCUB_304000_NS6detail34convert_binary_result_type_wrapperINS9_3SumENS9_22TransformInputIteratorIbN2at6native12_GLOBAL__N_19NonZeroOpIhEEPKhlEEiEEEE10hipError_tPvRmT1_T2_T3_mT4_P12ihipStream_tbEUlT_E0_NS1_11comp_targetILNS1_3genE9ELNS1_11target_archE1100ELNS1_3gpuE3ELNS1_3repE0EEENS1_30default_config_static_selectorELNS0_4arch9wavefront6targetE0EEEvSQ_: ; @_ZN7rocprim17ROCPRIM_400000_NS6detail17trampoline_kernelINS0_14default_configENS1_22reduce_config_selectorIiEEZNS1_11reduce_implILb1ES3_PiS7_iN6hipcub16HIPCUB_304000_NS6detail34convert_binary_result_type_wrapperINS9_3SumENS9_22TransformInputIteratorIbN2at6native12_GLOBAL__N_19NonZeroOpIhEEPKhlEEiEEEE10hipError_tPvRmT1_T2_T3_mT4_P12ihipStream_tbEUlT_E0_NS1_11comp_targetILNS1_3genE9ELNS1_11target_archE1100ELNS1_3gpuE3ELNS1_3repE0EEENS1_30default_config_static_selectorELNS0_4arch9wavefront6targetE0EEEvSQ_
; %bb.0:
	.section	.rodata,"a",@progbits
	.p2align	6, 0x0
	.amdhsa_kernel _ZN7rocprim17ROCPRIM_400000_NS6detail17trampoline_kernelINS0_14default_configENS1_22reduce_config_selectorIiEEZNS1_11reduce_implILb1ES3_PiS7_iN6hipcub16HIPCUB_304000_NS6detail34convert_binary_result_type_wrapperINS9_3SumENS9_22TransformInputIteratorIbN2at6native12_GLOBAL__N_19NonZeroOpIhEEPKhlEEiEEEE10hipError_tPvRmT1_T2_T3_mT4_P12ihipStream_tbEUlT_E0_NS1_11comp_targetILNS1_3genE9ELNS1_11target_archE1100ELNS1_3gpuE3ELNS1_3repE0EEENS1_30default_config_static_selectorELNS0_4arch9wavefront6targetE0EEEvSQ_
		.amdhsa_group_segment_fixed_size 0
		.amdhsa_private_segment_fixed_size 0
		.amdhsa_kernarg_size 56
		.amdhsa_user_sgpr_count 2
		.amdhsa_user_sgpr_dispatch_ptr 0
		.amdhsa_user_sgpr_queue_ptr 0
		.amdhsa_user_sgpr_kernarg_segment_ptr 1
		.amdhsa_user_sgpr_dispatch_id 0
		.amdhsa_user_sgpr_private_segment_size 0
		.amdhsa_wavefront_size32 1
		.amdhsa_uses_dynamic_stack 0
		.amdhsa_enable_private_segment 0
		.amdhsa_system_sgpr_workgroup_id_x 1
		.amdhsa_system_sgpr_workgroup_id_y 0
		.amdhsa_system_sgpr_workgroup_id_z 0
		.amdhsa_system_sgpr_workgroup_info 0
		.amdhsa_system_vgpr_workitem_id 0
		.amdhsa_next_free_vgpr 1
		.amdhsa_next_free_sgpr 1
		.amdhsa_reserve_vcc 0
		.amdhsa_float_round_mode_32 0
		.amdhsa_float_round_mode_16_64 0
		.amdhsa_float_denorm_mode_32 3
		.amdhsa_float_denorm_mode_16_64 3
		.amdhsa_fp16_overflow 0
		.amdhsa_workgroup_processor_mode 1
		.amdhsa_memory_ordered 1
		.amdhsa_forward_progress 1
		.amdhsa_inst_pref_size 0
		.amdhsa_round_robin_scheduling 0
		.amdhsa_exception_fp_ieee_invalid_op 0
		.amdhsa_exception_fp_denorm_src 0
		.amdhsa_exception_fp_ieee_div_zero 0
		.amdhsa_exception_fp_ieee_overflow 0
		.amdhsa_exception_fp_ieee_underflow 0
		.amdhsa_exception_fp_ieee_inexact 0
		.amdhsa_exception_int_div_zero 0
	.end_amdhsa_kernel
	.section	.text._ZN7rocprim17ROCPRIM_400000_NS6detail17trampoline_kernelINS0_14default_configENS1_22reduce_config_selectorIiEEZNS1_11reduce_implILb1ES3_PiS7_iN6hipcub16HIPCUB_304000_NS6detail34convert_binary_result_type_wrapperINS9_3SumENS9_22TransformInputIteratorIbN2at6native12_GLOBAL__N_19NonZeroOpIhEEPKhlEEiEEEE10hipError_tPvRmT1_T2_T3_mT4_P12ihipStream_tbEUlT_E0_NS1_11comp_targetILNS1_3genE9ELNS1_11target_archE1100ELNS1_3gpuE3ELNS1_3repE0EEENS1_30default_config_static_selectorELNS0_4arch9wavefront6targetE0EEEvSQ_,"axG",@progbits,_ZN7rocprim17ROCPRIM_400000_NS6detail17trampoline_kernelINS0_14default_configENS1_22reduce_config_selectorIiEEZNS1_11reduce_implILb1ES3_PiS7_iN6hipcub16HIPCUB_304000_NS6detail34convert_binary_result_type_wrapperINS9_3SumENS9_22TransformInputIteratorIbN2at6native12_GLOBAL__N_19NonZeroOpIhEEPKhlEEiEEEE10hipError_tPvRmT1_T2_T3_mT4_P12ihipStream_tbEUlT_E0_NS1_11comp_targetILNS1_3genE9ELNS1_11target_archE1100ELNS1_3gpuE3ELNS1_3repE0EEENS1_30default_config_static_selectorELNS0_4arch9wavefront6targetE0EEEvSQ_,comdat
.Lfunc_end8:
	.size	_ZN7rocprim17ROCPRIM_400000_NS6detail17trampoline_kernelINS0_14default_configENS1_22reduce_config_selectorIiEEZNS1_11reduce_implILb1ES3_PiS7_iN6hipcub16HIPCUB_304000_NS6detail34convert_binary_result_type_wrapperINS9_3SumENS9_22TransformInputIteratorIbN2at6native12_GLOBAL__N_19NonZeroOpIhEEPKhlEEiEEEE10hipError_tPvRmT1_T2_T3_mT4_P12ihipStream_tbEUlT_E0_NS1_11comp_targetILNS1_3genE9ELNS1_11target_archE1100ELNS1_3gpuE3ELNS1_3repE0EEENS1_30default_config_static_selectorELNS0_4arch9wavefront6targetE0EEEvSQ_, .Lfunc_end8-_ZN7rocprim17ROCPRIM_400000_NS6detail17trampoline_kernelINS0_14default_configENS1_22reduce_config_selectorIiEEZNS1_11reduce_implILb1ES3_PiS7_iN6hipcub16HIPCUB_304000_NS6detail34convert_binary_result_type_wrapperINS9_3SumENS9_22TransformInputIteratorIbN2at6native12_GLOBAL__N_19NonZeroOpIhEEPKhlEEiEEEE10hipError_tPvRmT1_T2_T3_mT4_P12ihipStream_tbEUlT_E0_NS1_11comp_targetILNS1_3genE9ELNS1_11target_archE1100ELNS1_3gpuE3ELNS1_3repE0EEENS1_30default_config_static_selectorELNS0_4arch9wavefront6targetE0EEEvSQ_
                                        ; -- End function
	.set _ZN7rocprim17ROCPRIM_400000_NS6detail17trampoline_kernelINS0_14default_configENS1_22reduce_config_selectorIiEEZNS1_11reduce_implILb1ES3_PiS7_iN6hipcub16HIPCUB_304000_NS6detail34convert_binary_result_type_wrapperINS9_3SumENS9_22TransformInputIteratorIbN2at6native12_GLOBAL__N_19NonZeroOpIhEEPKhlEEiEEEE10hipError_tPvRmT1_T2_T3_mT4_P12ihipStream_tbEUlT_E0_NS1_11comp_targetILNS1_3genE9ELNS1_11target_archE1100ELNS1_3gpuE3ELNS1_3repE0EEENS1_30default_config_static_selectorELNS0_4arch9wavefront6targetE0EEEvSQ_.num_vgpr, 0
	.set _ZN7rocprim17ROCPRIM_400000_NS6detail17trampoline_kernelINS0_14default_configENS1_22reduce_config_selectorIiEEZNS1_11reduce_implILb1ES3_PiS7_iN6hipcub16HIPCUB_304000_NS6detail34convert_binary_result_type_wrapperINS9_3SumENS9_22TransformInputIteratorIbN2at6native12_GLOBAL__N_19NonZeroOpIhEEPKhlEEiEEEE10hipError_tPvRmT1_T2_T3_mT4_P12ihipStream_tbEUlT_E0_NS1_11comp_targetILNS1_3genE9ELNS1_11target_archE1100ELNS1_3gpuE3ELNS1_3repE0EEENS1_30default_config_static_selectorELNS0_4arch9wavefront6targetE0EEEvSQ_.num_agpr, 0
	.set _ZN7rocprim17ROCPRIM_400000_NS6detail17trampoline_kernelINS0_14default_configENS1_22reduce_config_selectorIiEEZNS1_11reduce_implILb1ES3_PiS7_iN6hipcub16HIPCUB_304000_NS6detail34convert_binary_result_type_wrapperINS9_3SumENS9_22TransformInputIteratorIbN2at6native12_GLOBAL__N_19NonZeroOpIhEEPKhlEEiEEEE10hipError_tPvRmT1_T2_T3_mT4_P12ihipStream_tbEUlT_E0_NS1_11comp_targetILNS1_3genE9ELNS1_11target_archE1100ELNS1_3gpuE3ELNS1_3repE0EEENS1_30default_config_static_selectorELNS0_4arch9wavefront6targetE0EEEvSQ_.numbered_sgpr, 0
	.set _ZN7rocprim17ROCPRIM_400000_NS6detail17trampoline_kernelINS0_14default_configENS1_22reduce_config_selectorIiEEZNS1_11reduce_implILb1ES3_PiS7_iN6hipcub16HIPCUB_304000_NS6detail34convert_binary_result_type_wrapperINS9_3SumENS9_22TransformInputIteratorIbN2at6native12_GLOBAL__N_19NonZeroOpIhEEPKhlEEiEEEE10hipError_tPvRmT1_T2_T3_mT4_P12ihipStream_tbEUlT_E0_NS1_11comp_targetILNS1_3genE9ELNS1_11target_archE1100ELNS1_3gpuE3ELNS1_3repE0EEENS1_30default_config_static_selectorELNS0_4arch9wavefront6targetE0EEEvSQ_.num_named_barrier, 0
	.set _ZN7rocprim17ROCPRIM_400000_NS6detail17trampoline_kernelINS0_14default_configENS1_22reduce_config_selectorIiEEZNS1_11reduce_implILb1ES3_PiS7_iN6hipcub16HIPCUB_304000_NS6detail34convert_binary_result_type_wrapperINS9_3SumENS9_22TransformInputIteratorIbN2at6native12_GLOBAL__N_19NonZeroOpIhEEPKhlEEiEEEE10hipError_tPvRmT1_T2_T3_mT4_P12ihipStream_tbEUlT_E0_NS1_11comp_targetILNS1_3genE9ELNS1_11target_archE1100ELNS1_3gpuE3ELNS1_3repE0EEENS1_30default_config_static_selectorELNS0_4arch9wavefront6targetE0EEEvSQ_.private_seg_size, 0
	.set _ZN7rocprim17ROCPRIM_400000_NS6detail17trampoline_kernelINS0_14default_configENS1_22reduce_config_selectorIiEEZNS1_11reduce_implILb1ES3_PiS7_iN6hipcub16HIPCUB_304000_NS6detail34convert_binary_result_type_wrapperINS9_3SumENS9_22TransformInputIteratorIbN2at6native12_GLOBAL__N_19NonZeroOpIhEEPKhlEEiEEEE10hipError_tPvRmT1_T2_T3_mT4_P12ihipStream_tbEUlT_E0_NS1_11comp_targetILNS1_3genE9ELNS1_11target_archE1100ELNS1_3gpuE3ELNS1_3repE0EEENS1_30default_config_static_selectorELNS0_4arch9wavefront6targetE0EEEvSQ_.uses_vcc, 0
	.set _ZN7rocprim17ROCPRIM_400000_NS6detail17trampoline_kernelINS0_14default_configENS1_22reduce_config_selectorIiEEZNS1_11reduce_implILb1ES3_PiS7_iN6hipcub16HIPCUB_304000_NS6detail34convert_binary_result_type_wrapperINS9_3SumENS9_22TransformInputIteratorIbN2at6native12_GLOBAL__N_19NonZeroOpIhEEPKhlEEiEEEE10hipError_tPvRmT1_T2_T3_mT4_P12ihipStream_tbEUlT_E0_NS1_11comp_targetILNS1_3genE9ELNS1_11target_archE1100ELNS1_3gpuE3ELNS1_3repE0EEENS1_30default_config_static_selectorELNS0_4arch9wavefront6targetE0EEEvSQ_.uses_flat_scratch, 0
	.set _ZN7rocprim17ROCPRIM_400000_NS6detail17trampoline_kernelINS0_14default_configENS1_22reduce_config_selectorIiEEZNS1_11reduce_implILb1ES3_PiS7_iN6hipcub16HIPCUB_304000_NS6detail34convert_binary_result_type_wrapperINS9_3SumENS9_22TransformInputIteratorIbN2at6native12_GLOBAL__N_19NonZeroOpIhEEPKhlEEiEEEE10hipError_tPvRmT1_T2_T3_mT4_P12ihipStream_tbEUlT_E0_NS1_11comp_targetILNS1_3genE9ELNS1_11target_archE1100ELNS1_3gpuE3ELNS1_3repE0EEENS1_30default_config_static_selectorELNS0_4arch9wavefront6targetE0EEEvSQ_.has_dyn_sized_stack, 0
	.set _ZN7rocprim17ROCPRIM_400000_NS6detail17trampoline_kernelINS0_14default_configENS1_22reduce_config_selectorIiEEZNS1_11reduce_implILb1ES3_PiS7_iN6hipcub16HIPCUB_304000_NS6detail34convert_binary_result_type_wrapperINS9_3SumENS9_22TransformInputIteratorIbN2at6native12_GLOBAL__N_19NonZeroOpIhEEPKhlEEiEEEE10hipError_tPvRmT1_T2_T3_mT4_P12ihipStream_tbEUlT_E0_NS1_11comp_targetILNS1_3genE9ELNS1_11target_archE1100ELNS1_3gpuE3ELNS1_3repE0EEENS1_30default_config_static_selectorELNS0_4arch9wavefront6targetE0EEEvSQ_.has_recursion, 0
	.set _ZN7rocprim17ROCPRIM_400000_NS6detail17trampoline_kernelINS0_14default_configENS1_22reduce_config_selectorIiEEZNS1_11reduce_implILb1ES3_PiS7_iN6hipcub16HIPCUB_304000_NS6detail34convert_binary_result_type_wrapperINS9_3SumENS9_22TransformInputIteratorIbN2at6native12_GLOBAL__N_19NonZeroOpIhEEPKhlEEiEEEE10hipError_tPvRmT1_T2_T3_mT4_P12ihipStream_tbEUlT_E0_NS1_11comp_targetILNS1_3genE9ELNS1_11target_archE1100ELNS1_3gpuE3ELNS1_3repE0EEENS1_30default_config_static_selectorELNS0_4arch9wavefront6targetE0EEEvSQ_.has_indirect_call, 0
	.section	.AMDGPU.csdata,"",@progbits
; Kernel info:
; codeLenInByte = 0
; TotalNumSgprs: 0
; NumVgprs: 0
; ScratchSize: 0
; MemoryBound: 0
; FloatMode: 240
; IeeeMode: 1
; LDSByteSize: 0 bytes/workgroup (compile time only)
; SGPRBlocks: 0
; VGPRBlocks: 0
; NumSGPRsForWavesPerEU: 1
; NumVGPRsForWavesPerEU: 1
; Occupancy: 16
; WaveLimiterHint : 0
; COMPUTE_PGM_RSRC2:SCRATCH_EN: 0
; COMPUTE_PGM_RSRC2:USER_SGPR: 2
; COMPUTE_PGM_RSRC2:TRAP_HANDLER: 0
; COMPUTE_PGM_RSRC2:TGID_X_EN: 1
; COMPUTE_PGM_RSRC2:TGID_Y_EN: 0
; COMPUTE_PGM_RSRC2:TGID_Z_EN: 0
; COMPUTE_PGM_RSRC2:TIDIG_COMP_CNT: 0
	.section	.text._ZN7rocprim17ROCPRIM_400000_NS6detail17trampoline_kernelINS0_14default_configENS1_22reduce_config_selectorIiEEZNS1_11reduce_implILb1ES3_PiS7_iN6hipcub16HIPCUB_304000_NS6detail34convert_binary_result_type_wrapperINS9_3SumENS9_22TransformInputIteratorIbN2at6native12_GLOBAL__N_19NonZeroOpIhEEPKhlEEiEEEE10hipError_tPvRmT1_T2_T3_mT4_P12ihipStream_tbEUlT_E0_NS1_11comp_targetILNS1_3genE8ELNS1_11target_archE1030ELNS1_3gpuE2ELNS1_3repE0EEENS1_30default_config_static_selectorELNS0_4arch9wavefront6targetE0EEEvSQ_,"axG",@progbits,_ZN7rocprim17ROCPRIM_400000_NS6detail17trampoline_kernelINS0_14default_configENS1_22reduce_config_selectorIiEEZNS1_11reduce_implILb1ES3_PiS7_iN6hipcub16HIPCUB_304000_NS6detail34convert_binary_result_type_wrapperINS9_3SumENS9_22TransformInputIteratorIbN2at6native12_GLOBAL__N_19NonZeroOpIhEEPKhlEEiEEEE10hipError_tPvRmT1_T2_T3_mT4_P12ihipStream_tbEUlT_E0_NS1_11comp_targetILNS1_3genE8ELNS1_11target_archE1030ELNS1_3gpuE2ELNS1_3repE0EEENS1_30default_config_static_selectorELNS0_4arch9wavefront6targetE0EEEvSQ_,comdat
	.globl	_ZN7rocprim17ROCPRIM_400000_NS6detail17trampoline_kernelINS0_14default_configENS1_22reduce_config_selectorIiEEZNS1_11reduce_implILb1ES3_PiS7_iN6hipcub16HIPCUB_304000_NS6detail34convert_binary_result_type_wrapperINS9_3SumENS9_22TransformInputIteratorIbN2at6native12_GLOBAL__N_19NonZeroOpIhEEPKhlEEiEEEE10hipError_tPvRmT1_T2_T3_mT4_P12ihipStream_tbEUlT_E0_NS1_11comp_targetILNS1_3genE8ELNS1_11target_archE1030ELNS1_3gpuE2ELNS1_3repE0EEENS1_30default_config_static_selectorELNS0_4arch9wavefront6targetE0EEEvSQ_ ; -- Begin function _ZN7rocprim17ROCPRIM_400000_NS6detail17trampoline_kernelINS0_14default_configENS1_22reduce_config_selectorIiEEZNS1_11reduce_implILb1ES3_PiS7_iN6hipcub16HIPCUB_304000_NS6detail34convert_binary_result_type_wrapperINS9_3SumENS9_22TransformInputIteratorIbN2at6native12_GLOBAL__N_19NonZeroOpIhEEPKhlEEiEEEE10hipError_tPvRmT1_T2_T3_mT4_P12ihipStream_tbEUlT_E0_NS1_11comp_targetILNS1_3genE8ELNS1_11target_archE1030ELNS1_3gpuE2ELNS1_3repE0EEENS1_30default_config_static_selectorELNS0_4arch9wavefront6targetE0EEEvSQ_
	.p2align	8
	.type	_ZN7rocprim17ROCPRIM_400000_NS6detail17trampoline_kernelINS0_14default_configENS1_22reduce_config_selectorIiEEZNS1_11reduce_implILb1ES3_PiS7_iN6hipcub16HIPCUB_304000_NS6detail34convert_binary_result_type_wrapperINS9_3SumENS9_22TransformInputIteratorIbN2at6native12_GLOBAL__N_19NonZeroOpIhEEPKhlEEiEEEE10hipError_tPvRmT1_T2_T3_mT4_P12ihipStream_tbEUlT_E0_NS1_11comp_targetILNS1_3genE8ELNS1_11target_archE1030ELNS1_3gpuE2ELNS1_3repE0EEENS1_30default_config_static_selectorELNS0_4arch9wavefront6targetE0EEEvSQ_,@function
_ZN7rocprim17ROCPRIM_400000_NS6detail17trampoline_kernelINS0_14default_configENS1_22reduce_config_selectorIiEEZNS1_11reduce_implILb1ES3_PiS7_iN6hipcub16HIPCUB_304000_NS6detail34convert_binary_result_type_wrapperINS9_3SumENS9_22TransformInputIteratorIbN2at6native12_GLOBAL__N_19NonZeroOpIhEEPKhlEEiEEEE10hipError_tPvRmT1_T2_T3_mT4_P12ihipStream_tbEUlT_E0_NS1_11comp_targetILNS1_3genE8ELNS1_11target_archE1030ELNS1_3gpuE2ELNS1_3repE0EEENS1_30default_config_static_selectorELNS0_4arch9wavefront6targetE0EEEvSQ_: ; @_ZN7rocprim17ROCPRIM_400000_NS6detail17trampoline_kernelINS0_14default_configENS1_22reduce_config_selectorIiEEZNS1_11reduce_implILb1ES3_PiS7_iN6hipcub16HIPCUB_304000_NS6detail34convert_binary_result_type_wrapperINS9_3SumENS9_22TransformInputIteratorIbN2at6native12_GLOBAL__N_19NonZeroOpIhEEPKhlEEiEEEE10hipError_tPvRmT1_T2_T3_mT4_P12ihipStream_tbEUlT_E0_NS1_11comp_targetILNS1_3genE8ELNS1_11target_archE1030ELNS1_3gpuE2ELNS1_3repE0EEENS1_30default_config_static_selectorELNS0_4arch9wavefront6targetE0EEEvSQ_
; %bb.0:
	.section	.rodata,"a",@progbits
	.p2align	6, 0x0
	.amdhsa_kernel _ZN7rocprim17ROCPRIM_400000_NS6detail17trampoline_kernelINS0_14default_configENS1_22reduce_config_selectorIiEEZNS1_11reduce_implILb1ES3_PiS7_iN6hipcub16HIPCUB_304000_NS6detail34convert_binary_result_type_wrapperINS9_3SumENS9_22TransformInputIteratorIbN2at6native12_GLOBAL__N_19NonZeroOpIhEEPKhlEEiEEEE10hipError_tPvRmT1_T2_T3_mT4_P12ihipStream_tbEUlT_E0_NS1_11comp_targetILNS1_3genE8ELNS1_11target_archE1030ELNS1_3gpuE2ELNS1_3repE0EEENS1_30default_config_static_selectorELNS0_4arch9wavefront6targetE0EEEvSQ_
		.amdhsa_group_segment_fixed_size 0
		.amdhsa_private_segment_fixed_size 0
		.amdhsa_kernarg_size 56
		.amdhsa_user_sgpr_count 2
		.amdhsa_user_sgpr_dispatch_ptr 0
		.amdhsa_user_sgpr_queue_ptr 0
		.amdhsa_user_sgpr_kernarg_segment_ptr 1
		.amdhsa_user_sgpr_dispatch_id 0
		.amdhsa_user_sgpr_private_segment_size 0
		.amdhsa_wavefront_size32 1
		.amdhsa_uses_dynamic_stack 0
		.amdhsa_enable_private_segment 0
		.amdhsa_system_sgpr_workgroup_id_x 1
		.amdhsa_system_sgpr_workgroup_id_y 0
		.amdhsa_system_sgpr_workgroup_id_z 0
		.amdhsa_system_sgpr_workgroup_info 0
		.amdhsa_system_vgpr_workitem_id 0
		.amdhsa_next_free_vgpr 1
		.amdhsa_next_free_sgpr 1
		.amdhsa_reserve_vcc 0
		.amdhsa_float_round_mode_32 0
		.amdhsa_float_round_mode_16_64 0
		.amdhsa_float_denorm_mode_32 3
		.amdhsa_float_denorm_mode_16_64 3
		.amdhsa_fp16_overflow 0
		.amdhsa_workgroup_processor_mode 1
		.amdhsa_memory_ordered 1
		.amdhsa_forward_progress 1
		.amdhsa_inst_pref_size 0
		.amdhsa_round_robin_scheduling 0
		.amdhsa_exception_fp_ieee_invalid_op 0
		.amdhsa_exception_fp_denorm_src 0
		.amdhsa_exception_fp_ieee_div_zero 0
		.amdhsa_exception_fp_ieee_overflow 0
		.amdhsa_exception_fp_ieee_underflow 0
		.amdhsa_exception_fp_ieee_inexact 0
		.amdhsa_exception_int_div_zero 0
	.end_amdhsa_kernel
	.section	.text._ZN7rocprim17ROCPRIM_400000_NS6detail17trampoline_kernelINS0_14default_configENS1_22reduce_config_selectorIiEEZNS1_11reduce_implILb1ES3_PiS7_iN6hipcub16HIPCUB_304000_NS6detail34convert_binary_result_type_wrapperINS9_3SumENS9_22TransformInputIteratorIbN2at6native12_GLOBAL__N_19NonZeroOpIhEEPKhlEEiEEEE10hipError_tPvRmT1_T2_T3_mT4_P12ihipStream_tbEUlT_E0_NS1_11comp_targetILNS1_3genE8ELNS1_11target_archE1030ELNS1_3gpuE2ELNS1_3repE0EEENS1_30default_config_static_selectorELNS0_4arch9wavefront6targetE0EEEvSQ_,"axG",@progbits,_ZN7rocprim17ROCPRIM_400000_NS6detail17trampoline_kernelINS0_14default_configENS1_22reduce_config_selectorIiEEZNS1_11reduce_implILb1ES3_PiS7_iN6hipcub16HIPCUB_304000_NS6detail34convert_binary_result_type_wrapperINS9_3SumENS9_22TransformInputIteratorIbN2at6native12_GLOBAL__N_19NonZeroOpIhEEPKhlEEiEEEE10hipError_tPvRmT1_T2_T3_mT4_P12ihipStream_tbEUlT_E0_NS1_11comp_targetILNS1_3genE8ELNS1_11target_archE1030ELNS1_3gpuE2ELNS1_3repE0EEENS1_30default_config_static_selectorELNS0_4arch9wavefront6targetE0EEEvSQ_,comdat
.Lfunc_end9:
	.size	_ZN7rocprim17ROCPRIM_400000_NS6detail17trampoline_kernelINS0_14default_configENS1_22reduce_config_selectorIiEEZNS1_11reduce_implILb1ES3_PiS7_iN6hipcub16HIPCUB_304000_NS6detail34convert_binary_result_type_wrapperINS9_3SumENS9_22TransformInputIteratorIbN2at6native12_GLOBAL__N_19NonZeroOpIhEEPKhlEEiEEEE10hipError_tPvRmT1_T2_T3_mT4_P12ihipStream_tbEUlT_E0_NS1_11comp_targetILNS1_3genE8ELNS1_11target_archE1030ELNS1_3gpuE2ELNS1_3repE0EEENS1_30default_config_static_selectorELNS0_4arch9wavefront6targetE0EEEvSQ_, .Lfunc_end9-_ZN7rocprim17ROCPRIM_400000_NS6detail17trampoline_kernelINS0_14default_configENS1_22reduce_config_selectorIiEEZNS1_11reduce_implILb1ES3_PiS7_iN6hipcub16HIPCUB_304000_NS6detail34convert_binary_result_type_wrapperINS9_3SumENS9_22TransformInputIteratorIbN2at6native12_GLOBAL__N_19NonZeroOpIhEEPKhlEEiEEEE10hipError_tPvRmT1_T2_T3_mT4_P12ihipStream_tbEUlT_E0_NS1_11comp_targetILNS1_3genE8ELNS1_11target_archE1030ELNS1_3gpuE2ELNS1_3repE0EEENS1_30default_config_static_selectorELNS0_4arch9wavefront6targetE0EEEvSQ_
                                        ; -- End function
	.set _ZN7rocprim17ROCPRIM_400000_NS6detail17trampoline_kernelINS0_14default_configENS1_22reduce_config_selectorIiEEZNS1_11reduce_implILb1ES3_PiS7_iN6hipcub16HIPCUB_304000_NS6detail34convert_binary_result_type_wrapperINS9_3SumENS9_22TransformInputIteratorIbN2at6native12_GLOBAL__N_19NonZeroOpIhEEPKhlEEiEEEE10hipError_tPvRmT1_T2_T3_mT4_P12ihipStream_tbEUlT_E0_NS1_11comp_targetILNS1_3genE8ELNS1_11target_archE1030ELNS1_3gpuE2ELNS1_3repE0EEENS1_30default_config_static_selectorELNS0_4arch9wavefront6targetE0EEEvSQ_.num_vgpr, 0
	.set _ZN7rocprim17ROCPRIM_400000_NS6detail17trampoline_kernelINS0_14default_configENS1_22reduce_config_selectorIiEEZNS1_11reduce_implILb1ES3_PiS7_iN6hipcub16HIPCUB_304000_NS6detail34convert_binary_result_type_wrapperINS9_3SumENS9_22TransformInputIteratorIbN2at6native12_GLOBAL__N_19NonZeroOpIhEEPKhlEEiEEEE10hipError_tPvRmT1_T2_T3_mT4_P12ihipStream_tbEUlT_E0_NS1_11comp_targetILNS1_3genE8ELNS1_11target_archE1030ELNS1_3gpuE2ELNS1_3repE0EEENS1_30default_config_static_selectorELNS0_4arch9wavefront6targetE0EEEvSQ_.num_agpr, 0
	.set _ZN7rocprim17ROCPRIM_400000_NS6detail17trampoline_kernelINS0_14default_configENS1_22reduce_config_selectorIiEEZNS1_11reduce_implILb1ES3_PiS7_iN6hipcub16HIPCUB_304000_NS6detail34convert_binary_result_type_wrapperINS9_3SumENS9_22TransformInputIteratorIbN2at6native12_GLOBAL__N_19NonZeroOpIhEEPKhlEEiEEEE10hipError_tPvRmT1_T2_T3_mT4_P12ihipStream_tbEUlT_E0_NS1_11comp_targetILNS1_3genE8ELNS1_11target_archE1030ELNS1_3gpuE2ELNS1_3repE0EEENS1_30default_config_static_selectorELNS0_4arch9wavefront6targetE0EEEvSQ_.numbered_sgpr, 0
	.set _ZN7rocprim17ROCPRIM_400000_NS6detail17trampoline_kernelINS0_14default_configENS1_22reduce_config_selectorIiEEZNS1_11reduce_implILb1ES3_PiS7_iN6hipcub16HIPCUB_304000_NS6detail34convert_binary_result_type_wrapperINS9_3SumENS9_22TransformInputIteratorIbN2at6native12_GLOBAL__N_19NonZeroOpIhEEPKhlEEiEEEE10hipError_tPvRmT1_T2_T3_mT4_P12ihipStream_tbEUlT_E0_NS1_11comp_targetILNS1_3genE8ELNS1_11target_archE1030ELNS1_3gpuE2ELNS1_3repE0EEENS1_30default_config_static_selectorELNS0_4arch9wavefront6targetE0EEEvSQ_.num_named_barrier, 0
	.set _ZN7rocprim17ROCPRIM_400000_NS6detail17trampoline_kernelINS0_14default_configENS1_22reduce_config_selectorIiEEZNS1_11reduce_implILb1ES3_PiS7_iN6hipcub16HIPCUB_304000_NS6detail34convert_binary_result_type_wrapperINS9_3SumENS9_22TransformInputIteratorIbN2at6native12_GLOBAL__N_19NonZeroOpIhEEPKhlEEiEEEE10hipError_tPvRmT1_T2_T3_mT4_P12ihipStream_tbEUlT_E0_NS1_11comp_targetILNS1_3genE8ELNS1_11target_archE1030ELNS1_3gpuE2ELNS1_3repE0EEENS1_30default_config_static_selectorELNS0_4arch9wavefront6targetE0EEEvSQ_.private_seg_size, 0
	.set _ZN7rocprim17ROCPRIM_400000_NS6detail17trampoline_kernelINS0_14default_configENS1_22reduce_config_selectorIiEEZNS1_11reduce_implILb1ES3_PiS7_iN6hipcub16HIPCUB_304000_NS6detail34convert_binary_result_type_wrapperINS9_3SumENS9_22TransformInputIteratorIbN2at6native12_GLOBAL__N_19NonZeroOpIhEEPKhlEEiEEEE10hipError_tPvRmT1_T2_T3_mT4_P12ihipStream_tbEUlT_E0_NS1_11comp_targetILNS1_3genE8ELNS1_11target_archE1030ELNS1_3gpuE2ELNS1_3repE0EEENS1_30default_config_static_selectorELNS0_4arch9wavefront6targetE0EEEvSQ_.uses_vcc, 0
	.set _ZN7rocprim17ROCPRIM_400000_NS6detail17trampoline_kernelINS0_14default_configENS1_22reduce_config_selectorIiEEZNS1_11reduce_implILb1ES3_PiS7_iN6hipcub16HIPCUB_304000_NS6detail34convert_binary_result_type_wrapperINS9_3SumENS9_22TransformInputIteratorIbN2at6native12_GLOBAL__N_19NonZeroOpIhEEPKhlEEiEEEE10hipError_tPvRmT1_T2_T3_mT4_P12ihipStream_tbEUlT_E0_NS1_11comp_targetILNS1_3genE8ELNS1_11target_archE1030ELNS1_3gpuE2ELNS1_3repE0EEENS1_30default_config_static_selectorELNS0_4arch9wavefront6targetE0EEEvSQ_.uses_flat_scratch, 0
	.set _ZN7rocprim17ROCPRIM_400000_NS6detail17trampoline_kernelINS0_14default_configENS1_22reduce_config_selectorIiEEZNS1_11reduce_implILb1ES3_PiS7_iN6hipcub16HIPCUB_304000_NS6detail34convert_binary_result_type_wrapperINS9_3SumENS9_22TransformInputIteratorIbN2at6native12_GLOBAL__N_19NonZeroOpIhEEPKhlEEiEEEE10hipError_tPvRmT1_T2_T3_mT4_P12ihipStream_tbEUlT_E0_NS1_11comp_targetILNS1_3genE8ELNS1_11target_archE1030ELNS1_3gpuE2ELNS1_3repE0EEENS1_30default_config_static_selectorELNS0_4arch9wavefront6targetE0EEEvSQ_.has_dyn_sized_stack, 0
	.set _ZN7rocprim17ROCPRIM_400000_NS6detail17trampoline_kernelINS0_14default_configENS1_22reduce_config_selectorIiEEZNS1_11reduce_implILb1ES3_PiS7_iN6hipcub16HIPCUB_304000_NS6detail34convert_binary_result_type_wrapperINS9_3SumENS9_22TransformInputIteratorIbN2at6native12_GLOBAL__N_19NonZeroOpIhEEPKhlEEiEEEE10hipError_tPvRmT1_T2_T3_mT4_P12ihipStream_tbEUlT_E0_NS1_11comp_targetILNS1_3genE8ELNS1_11target_archE1030ELNS1_3gpuE2ELNS1_3repE0EEENS1_30default_config_static_selectorELNS0_4arch9wavefront6targetE0EEEvSQ_.has_recursion, 0
	.set _ZN7rocprim17ROCPRIM_400000_NS6detail17trampoline_kernelINS0_14default_configENS1_22reduce_config_selectorIiEEZNS1_11reduce_implILb1ES3_PiS7_iN6hipcub16HIPCUB_304000_NS6detail34convert_binary_result_type_wrapperINS9_3SumENS9_22TransformInputIteratorIbN2at6native12_GLOBAL__N_19NonZeroOpIhEEPKhlEEiEEEE10hipError_tPvRmT1_T2_T3_mT4_P12ihipStream_tbEUlT_E0_NS1_11comp_targetILNS1_3genE8ELNS1_11target_archE1030ELNS1_3gpuE2ELNS1_3repE0EEENS1_30default_config_static_selectorELNS0_4arch9wavefront6targetE0EEEvSQ_.has_indirect_call, 0
	.section	.AMDGPU.csdata,"",@progbits
; Kernel info:
; codeLenInByte = 0
; TotalNumSgprs: 0
; NumVgprs: 0
; ScratchSize: 0
; MemoryBound: 0
; FloatMode: 240
; IeeeMode: 1
; LDSByteSize: 0 bytes/workgroup (compile time only)
; SGPRBlocks: 0
; VGPRBlocks: 0
; NumSGPRsForWavesPerEU: 1
; NumVGPRsForWavesPerEU: 1
; Occupancy: 16
; WaveLimiterHint : 0
; COMPUTE_PGM_RSRC2:SCRATCH_EN: 0
; COMPUTE_PGM_RSRC2:USER_SGPR: 2
; COMPUTE_PGM_RSRC2:TRAP_HANDLER: 0
; COMPUTE_PGM_RSRC2:TGID_X_EN: 1
; COMPUTE_PGM_RSRC2:TGID_Y_EN: 0
; COMPUTE_PGM_RSRC2:TGID_Z_EN: 0
; COMPUTE_PGM_RSRC2:TIDIG_COMP_CNT: 0
	.section	.text._ZN7rocprim17ROCPRIM_400000_NS6detail17trampoline_kernelINS0_14default_configENS1_22reduce_config_selectorIiEEZNS1_11reduce_implILb1ES3_PiS7_iN6hipcub16HIPCUB_304000_NS6detail34convert_binary_result_type_wrapperINS9_3SumENS9_22TransformInputIteratorIbN2at6native12_GLOBAL__N_19NonZeroOpIhEEPKhlEEiEEEE10hipError_tPvRmT1_T2_T3_mT4_P12ihipStream_tbEUlT_E1_NS1_11comp_targetILNS1_3genE0ELNS1_11target_archE4294967295ELNS1_3gpuE0ELNS1_3repE0EEENS1_30default_config_static_selectorELNS0_4arch9wavefront6targetE0EEEvSQ_,"axG",@progbits,_ZN7rocprim17ROCPRIM_400000_NS6detail17trampoline_kernelINS0_14default_configENS1_22reduce_config_selectorIiEEZNS1_11reduce_implILb1ES3_PiS7_iN6hipcub16HIPCUB_304000_NS6detail34convert_binary_result_type_wrapperINS9_3SumENS9_22TransformInputIteratorIbN2at6native12_GLOBAL__N_19NonZeroOpIhEEPKhlEEiEEEE10hipError_tPvRmT1_T2_T3_mT4_P12ihipStream_tbEUlT_E1_NS1_11comp_targetILNS1_3genE0ELNS1_11target_archE4294967295ELNS1_3gpuE0ELNS1_3repE0EEENS1_30default_config_static_selectorELNS0_4arch9wavefront6targetE0EEEvSQ_,comdat
	.globl	_ZN7rocprim17ROCPRIM_400000_NS6detail17trampoline_kernelINS0_14default_configENS1_22reduce_config_selectorIiEEZNS1_11reduce_implILb1ES3_PiS7_iN6hipcub16HIPCUB_304000_NS6detail34convert_binary_result_type_wrapperINS9_3SumENS9_22TransformInputIteratorIbN2at6native12_GLOBAL__N_19NonZeroOpIhEEPKhlEEiEEEE10hipError_tPvRmT1_T2_T3_mT4_P12ihipStream_tbEUlT_E1_NS1_11comp_targetILNS1_3genE0ELNS1_11target_archE4294967295ELNS1_3gpuE0ELNS1_3repE0EEENS1_30default_config_static_selectorELNS0_4arch9wavefront6targetE0EEEvSQ_ ; -- Begin function _ZN7rocprim17ROCPRIM_400000_NS6detail17trampoline_kernelINS0_14default_configENS1_22reduce_config_selectorIiEEZNS1_11reduce_implILb1ES3_PiS7_iN6hipcub16HIPCUB_304000_NS6detail34convert_binary_result_type_wrapperINS9_3SumENS9_22TransformInputIteratorIbN2at6native12_GLOBAL__N_19NonZeroOpIhEEPKhlEEiEEEE10hipError_tPvRmT1_T2_T3_mT4_P12ihipStream_tbEUlT_E1_NS1_11comp_targetILNS1_3genE0ELNS1_11target_archE4294967295ELNS1_3gpuE0ELNS1_3repE0EEENS1_30default_config_static_selectorELNS0_4arch9wavefront6targetE0EEEvSQ_
	.p2align	8
	.type	_ZN7rocprim17ROCPRIM_400000_NS6detail17trampoline_kernelINS0_14default_configENS1_22reduce_config_selectorIiEEZNS1_11reduce_implILb1ES3_PiS7_iN6hipcub16HIPCUB_304000_NS6detail34convert_binary_result_type_wrapperINS9_3SumENS9_22TransformInputIteratorIbN2at6native12_GLOBAL__N_19NonZeroOpIhEEPKhlEEiEEEE10hipError_tPvRmT1_T2_T3_mT4_P12ihipStream_tbEUlT_E1_NS1_11comp_targetILNS1_3genE0ELNS1_11target_archE4294967295ELNS1_3gpuE0ELNS1_3repE0EEENS1_30default_config_static_selectorELNS0_4arch9wavefront6targetE0EEEvSQ_,@function
_ZN7rocprim17ROCPRIM_400000_NS6detail17trampoline_kernelINS0_14default_configENS1_22reduce_config_selectorIiEEZNS1_11reduce_implILb1ES3_PiS7_iN6hipcub16HIPCUB_304000_NS6detail34convert_binary_result_type_wrapperINS9_3SumENS9_22TransformInputIteratorIbN2at6native12_GLOBAL__N_19NonZeroOpIhEEPKhlEEiEEEE10hipError_tPvRmT1_T2_T3_mT4_P12ihipStream_tbEUlT_E1_NS1_11comp_targetILNS1_3genE0ELNS1_11target_archE4294967295ELNS1_3gpuE0ELNS1_3repE0EEENS1_30default_config_static_selectorELNS0_4arch9wavefront6targetE0EEEvSQ_: ; @_ZN7rocprim17ROCPRIM_400000_NS6detail17trampoline_kernelINS0_14default_configENS1_22reduce_config_selectorIiEEZNS1_11reduce_implILb1ES3_PiS7_iN6hipcub16HIPCUB_304000_NS6detail34convert_binary_result_type_wrapperINS9_3SumENS9_22TransformInputIteratorIbN2at6native12_GLOBAL__N_19NonZeroOpIhEEPKhlEEiEEEE10hipError_tPvRmT1_T2_T3_mT4_P12ihipStream_tbEUlT_E1_NS1_11comp_targetILNS1_3genE0ELNS1_11target_archE4294967295ELNS1_3gpuE0ELNS1_3repE0EEENS1_30default_config_static_selectorELNS0_4arch9wavefront6targetE0EEEvSQ_
; %bb.0:
	.section	.rodata,"a",@progbits
	.p2align	6, 0x0
	.amdhsa_kernel _ZN7rocprim17ROCPRIM_400000_NS6detail17trampoline_kernelINS0_14default_configENS1_22reduce_config_selectorIiEEZNS1_11reduce_implILb1ES3_PiS7_iN6hipcub16HIPCUB_304000_NS6detail34convert_binary_result_type_wrapperINS9_3SumENS9_22TransformInputIteratorIbN2at6native12_GLOBAL__N_19NonZeroOpIhEEPKhlEEiEEEE10hipError_tPvRmT1_T2_T3_mT4_P12ihipStream_tbEUlT_E1_NS1_11comp_targetILNS1_3genE0ELNS1_11target_archE4294967295ELNS1_3gpuE0ELNS1_3repE0EEENS1_30default_config_static_selectorELNS0_4arch9wavefront6targetE0EEEvSQ_
		.amdhsa_group_segment_fixed_size 0
		.amdhsa_private_segment_fixed_size 0
		.amdhsa_kernarg_size 40
		.amdhsa_user_sgpr_count 2
		.amdhsa_user_sgpr_dispatch_ptr 0
		.amdhsa_user_sgpr_queue_ptr 0
		.amdhsa_user_sgpr_kernarg_segment_ptr 1
		.amdhsa_user_sgpr_dispatch_id 0
		.amdhsa_user_sgpr_private_segment_size 0
		.amdhsa_wavefront_size32 1
		.amdhsa_uses_dynamic_stack 0
		.amdhsa_enable_private_segment 0
		.amdhsa_system_sgpr_workgroup_id_x 1
		.amdhsa_system_sgpr_workgroup_id_y 0
		.amdhsa_system_sgpr_workgroup_id_z 0
		.amdhsa_system_sgpr_workgroup_info 0
		.amdhsa_system_vgpr_workitem_id 0
		.amdhsa_next_free_vgpr 1
		.amdhsa_next_free_sgpr 1
		.amdhsa_reserve_vcc 0
		.amdhsa_float_round_mode_32 0
		.amdhsa_float_round_mode_16_64 0
		.amdhsa_float_denorm_mode_32 3
		.amdhsa_float_denorm_mode_16_64 3
		.amdhsa_fp16_overflow 0
		.amdhsa_workgroup_processor_mode 1
		.amdhsa_memory_ordered 1
		.amdhsa_forward_progress 1
		.amdhsa_inst_pref_size 0
		.amdhsa_round_robin_scheduling 0
		.amdhsa_exception_fp_ieee_invalid_op 0
		.amdhsa_exception_fp_denorm_src 0
		.amdhsa_exception_fp_ieee_div_zero 0
		.amdhsa_exception_fp_ieee_overflow 0
		.amdhsa_exception_fp_ieee_underflow 0
		.amdhsa_exception_fp_ieee_inexact 0
		.amdhsa_exception_int_div_zero 0
	.end_amdhsa_kernel
	.section	.text._ZN7rocprim17ROCPRIM_400000_NS6detail17trampoline_kernelINS0_14default_configENS1_22reduce_config_selectorIiEEZNS1_11reduce_implILb1ES3_PiS7_iN6hipcub16HIPCUB_304000_NS6detail34convert_binary_result_type_wrapperINS9_3SumENS9_22TransformInputIteratorIbN2at6native12_GLOBAL__N_19NonZeroOpIhEEPKhlEEiEEEE10hipError_tPvRmT1_T2_T3_mT4_P12ihipStream_tbEUlT_E1_NS1_11comp_targetILNS1_3genE0ELNS1_11target_archE4294967295ELNS1_3gpuE0ELNS1_3repE0EEENS1_30default_config_static_selectorELNS0_4arch9wavefront6targetE0EEEvSQ_,"axG",@progbits,_ZN7rocprim17ROCPRIM_400000_NS6detail17trampoline_kernelINS0_14default_configENS1_22reduce_config_selectorIiEEZNS1_11reduce_implILb1ES3_PiS7_iN6hipcub16HIPCUB_304000_NS6detail34convert_binary_result_type_wrapperINS9_3SumENS9_22TransformInputIteratorIbN2at6native12_GLOBAL__N_19NonZeroOpIhEEPKhlEEiEEEE10hipError_tPvRmT1_T2_T3_mT4_P12ihipStream_tbEUlT_E1_NS1_11comp_targetILNS1_3genE0ELNS1_11target_archE4294967295ELNS1_3gpuE0ELNS1_3repE0EEENS1_30default_config_static_selectorELNS0_4arch9wavefront6targetE0EEEvSQ_,comdat
.Lfunc_end10:
	.size	_ZN7rocprim17ROCPRIM_400000_NS6detail17trampoline_kernelINS0_14default_configENS1_22reduce_config_selectorIiEEZNS1_11reduce_implILb1ES3_PiS7_iN6hipcub16HIPCUB_304000_NS6detail34convert_binary_result_type_wrapperINS9_3SumENS9_22TransformInputIteratorIbN2at6native12_GLOBAL__N_19NonZeroOpIhEEPKhlEEiEEEE10hipError_tPvRmT1_T2_T3_mT4_P12ihipStream_tbEUlT_E1_NS1_11comp_targetILNS1_3genE0ELNS1_11target_archE4294967295ELNS1_3gpuE0ELNS1_3repE0EEENS1_30default_config_static_selectorELNS0_4arch9wavefront6targetE0EEEvSQ_, .Lfunc_end10-_ZN7rocprim17ROCPRIM_400000_NS6detail17trampoline_kernelINS0_14default_configENS1_22reduce_config_selectorIiEEZNS1_11reduce_implILb1ES3_PiS7_iN6hipcub16HIPCUB_304000_NS6detail34convert_binary_result_type_wrapperINS9_3SumENS9_22TransformInputIteratorIbN2at6native12_GLOBAL__N_19NonZeroOpIhEEPKhlEEiEEEE10hipError_tPvRmT1_T2_T3_mT4_P12ihipStream_tbEUlT_E1_NS1_11comp_targetILNS1_3genE0ELNS1_11target_archE4294967295ELNS1_3gpuE0ELNS1_3repE0EEENS1_30default_config_static_selectorELNS0_4arch9wavefront6targetE0EEEvSQ_
                                        ; -- End function
	.set _ZN7rocprim17ROCPRIM_400000_NS6detail17trampoline_kernelINS0_14default_configENS1_22reduce_config_selectorIiEEZNS1_11reduce_implILb1ES3_PiS7_iN6hipcub16HIPCUB_304000_NS6detail34convert_binary_result_type_wrapperINS9_3SumENS9_22TransformInputIteratorIbN2at6native12_GLOBAL__N_19NonZeroOpIhEEPKhlEEiEEEE10hipError_tPvRmT1_T2_T3_mT4_P12ihipStream_tbEUlT_E1_NS1_11comp_targetILNS1_3genE0ELNS1_11target_archE4294967295ELNS1_3gpuE0ELNS1_3repE0EEENS1_30default_config_static_selectorELNS0_4arch9wavefront6targetE0EEEvSQ_.num_vgpr, 0
	.set _ZN7rocprim17ROCPRIM_400000_NS6detail17trampoline_kernelINS0_14default_configENS1_22reduce_config_selectorIiEEZNS1_11reduce_implILb1ES3_PiS7_iN6hipcub16HIPCUB_304000_NS6detail34convert_binary_result_type_wrapperINS9_3SumENS9_22TransformInputIteratorIbN2at6native12_GLOBAL__N_19NonZeroOpIhEEPKhlEEiEEEE10hipError_tPvRmT1_T2_T3_mT4_P12ihipStream_tbEUlT_E1_NS1_11comp_targetILNS1_3genE0ELNS1_11target_archE4294967295ELNS1_3gpuE0ELNS1_3repE0EEENS1_30default_config_static_selectorELNS0_4arch9wavefront6targetE0EEEvSQ_.num_agpr, 0
	.set _ZN7rocprim17ROCPRIM_400000_NS6detail17trampoline_kernelINS0_14default_configENS1_22reduce_config_selectorIiEEZNS1_11reduce_implILb1ES3_PiS7_iN6hipcub16HIPCUB_304000_NS6detail34convert_binary_result_type_wrapperINS9_3SumENS9_22TransformInputIteratorIbN2at6native12_GLOBAL__N_19NonZeroOpIhEEPKhlEEiEEEE10hipError_tPvRmT1_T2_T3_mT4_P12ihipStream_tbEUlT_E1_NS1_11comp_targetILNS1_3genE0ELNS1_11target_archE4294967295ELNS1_3gpuE0ELNS1_3repE0EEENS1_30default_config_static_selectorELNS0_4arch9wavefront6targetE0EEEvSQ_.numbered_sgpr, 0
	.set _ZN7rocprim17ROCPRIM_400000_NS6detail17trampoline_kernelINS0_14default_configENS1_22reduce_config_selectorIiEEZNS1_11reduce_implILb1ES3_PiS7_iN6hipcub16HIPCUB_304000_NS6detail34convert_binary_result_type_wrapperINS9_3SumENS9_22TransformInputIteratorIbN2at6native12_GLOBAL__N_19NonZeroOpIhEEPKhlEEiEEEE10hipError_tPvRmT1_T2_T3_mT4_P12ihipStream_tbEUlT_E1_NS1_11comp_targetILNS1_3genE0ELNS1_11target_archE4294967295ELNS1_3gpuE0ELNS1_3repE0EEENS1_30default_config_static_selectorELNS0_4arch9wavefront6targetE0EEEvSQ_.num_named_barrier, 0
	.set _ZN7rocprim17ROCPRIM_400000_NS6detail17trampoline_kernelINS0_14default_configENS1_22reduce_config_selectorIiEEZNS1_11reduce_implILb1ES3_PiS7_iN6hipcub16HIPCUB_304000_NS6detail34convert_binary_result_type_wrapperINS9_3SumENS9_22TransformInputIteratorIbN2at6native12_GLOBAL__N_19NonZeroOpIhEEPKhlEEiEEEE10hipError_tPvRmT1_T2_T3_mT4_P12ihipStream_tbEUlT_E1_NS1_11comp_targetILNS1_3genE0ELNS1_11target_archE4294967295ELNS1_3gpuE0ELNS1_3repE0EEENS1_30default_config_static_selectorELNS0_4arch9wavefront6targetE0EEEvSQ_.private_seg_size, 0
	.set _ZN7rocprim17ROCPRIM_400000_NS6detail17trampoline_kernelINS0_14default_configENS1_22reduce_config_selectorIiEEZNS1_11reduce_implILb1ES3_PiS7_iN6hipcub16HIPCUB_304000_NS6detail34convert_binary_result_type_wrapperINS9_3SumENS9_22TransformInputIteratorIbN2at6native12_GLOBAL__N_19NonZeroOpIhEEPKhlEEiEEEE10hipError_tPvRmT1_T2_T3_mT4_P12ihipStream_tbEUlT_E1_NS1_11comp_targetILNS1_3genE0ELNS1_11target_archE4294967295ELNS1_3gpuE0ELNS1_3repE0EEENS1_30default_config_static_selectorELNS0_4arch9wavefront6targetE0EEEvSQ_.uses_vcc, 0
	.set _ZN7rocprim17ROCPRIM_400000_NS6detail17trampoline_kernelINS0_14default_configENS1_22reduce_config_selectorIiEEZNS1_11reduce_implILb1ES3_PiS7_iN6hipcub16HIPCUB_304000_NS6detail34convert_binary_result_type_wrapperINS9_3SumENS9_22TransformInputIteratorIbN2at6native12_GLOBAL__N_19NonZeroOpIhEEPKhlEEiEEEE10hipError_tPvRmT1_T2_T3_mT4_P12ihipStream_tbEUlT_E1_NS1_11comp_targetILNS1_3genE0ELNS1_11target_archE4294967295ELNS1_3gpuE0ELNS1_3repE0EEENS1_30default_config_static_selectorELNS0_4arch9wavefront6targetE0EEEvSQ_.uses_flat_scratch, 0
	.set _ZN7rocprim17ROCPRIM_400000_NS6detail17trampoline_kernelINS0_14default_configENS1_22reduce_config_selectorIiEEZNS1_11reduce_implILb1ES3_PiS7_iN6hipcub16HIPCUB_304000_NS6detail34convert_binary_result_type_wrapperINS9_3SumENS9_22TransformInputIteratorIbN2at6native12_GLOBAL__N_19NonZeroOpIhEEPKhlEEiEEEE10hipError_tPvRmT1_T2_T3_mT4_P12ihipStream_tbEUlT_E1_NS1_11comp_targetILNS1_3genE0ELNS1_11target_archE4294967295ELNS1_3gpuE0ELNS1_3repE0EEENS1_30default_config_static_selectorELNS0_4arch9wavefront6targetE0EEEvSQ_.has_dyn_sized_stack, 0
	.set _ZN7rocprim17ROCPRIM_400000_NS6detail17trampoline_kernelINS0_14default_configENS1_22reduce_config_selectorIiEEZNS1_11reduce_implILb1ES3_PiS7_iN6hipcub16HIPCUB_304000_NS6detail34convert_binary_result_type_wrapperINS9_3SumENS9_22TransformInputIteratorIbN2at6native12_GLOBAL__N_19NonZeroOpIhEEPKhlEEiEEEE10hipError_tPvRmT1_T2_T3_mT4_P12ihipStream_tbEUlT_E1_NS1_11comp_targetILNS1_3genE0ELNS1_11target_archE4294967295ELNS1_3gpuE0ELNS1_3repE0EEENS1_30default_config_static_selectorELNS0_4arch9wavefront6targetE0EEEvSQ_.has_recursion, 0
	.set _ZN7rocprim17ROCPRIM_400000_NS6detail17trampoline_kernelINS0_14default_configENS1_22reduce_config_selectorIiEEZNS1_11reduce_implILb1ES3_PiS7_iN6hipcub16HIPCUB_304000_NS6detail34convert_binary_result_type_wrapperINS9_3SumENS9_22TransformInputIteratorIbN2at6native12_GLOBAL__N_19NonZeroOpIhEEPKhlEEiEEEE10hipError_tPvRmT1_T2_T3_mT4_P12ihipStream_tbEUlT_E1_NS1_11comp_targetILNS1_3genE0ELNS1_11target_archE4294967295ELNS1_3gpuE0ELNS1_3repE0EEENS1_30default_config_static_selectorELNS0_4arch9wavefront6targetE0EEEvSQ_.has_indirect_call, 0
	.section	.AMDGPU.csdata,"",@progbits
; Kernel info:
; codeLenInByte = 0
; TotalNumSgprs: 0
; NumVgprs: 0
; ScratchSize: 0
; MemoryBound: 0
; FloatMode: 240
; IeeeMode: 1
; LDSByteSize: 0 bytes/workgroup (compile time only)
; SGPRBlocks: 0
; VGPRBlocks: 0
; NumSGPRsForWavesPerEU: 1
; NumVGPRsForWavesPerEU: 1
; Occupancy: 16
; WaveLimiterHint : 0
; COMPUTE_PGM_RSRC2:SCRATCH_EN: 0
; COMPUTE_PGM_RSRC2:USER_SGPR: 2
; COMPUTE_PGM_RSRC2:TRAP_HANDLER: 0
; COMPUTE_PGM_RSRC2:TGID_X_EN: 1
; COMPUTE_PGM_RSRC2:TGID_Y_EN: 0
; COMPUTE_PGM_RSRC2:TGID_Z_EN: 0
; COMPUTE_PGM_RSRC2:TIDIG_COMP_CNT: 0
	.section	.text._ZN7rocprim17ROCPRIM_400000_NS6detail17trampoline_kernelINS0_14default_configENS1_22reduce_config_selectorIiEEZNS1_11reduce_implILb1ES3_PiS7_iN6hipcub16HIPCUB_304000_NS6detail34convert_binary_result_type_wrapperINS9_3SumENS9_22TransformInputIteratorIbN2at6native12_GLOBAL__N_19NonZeroOpIhEEPKhlEEiEEEE10hipError_tPvRmT1_T2_T3_mT4_P12ihipStream_tbEUlT_E1_NS1_11comp_targetILNS1_3genE5ELNS1_11target_archE942ELNS1_3gpuE9ELNS1_3repE0EEENS1_30default_config_static_selectorELNS0_4arch9wavefront6targetE0EEEvSQ_,"axG",@progbits,_ZN7rocprim17ROCPRIM_400000_NS6detail17trampoline_kernelINS0_14default_configENS1_22reduce_config_selectorIiEEZNS1_11reduce_implILb1ES3_PiS7_iN6hipcub16HIPCUB_304000_NS6detail34convert_binary_result_type_wrapperINS9_3SumENS9_22TransformInputIteratorIbN2at6native12_GLOBAL__N_19NonZeroOpIhEEPKhlEEiEEEE10hipError_tPvRmT1_T2_T3_mT4_P12ihipStream_tbEUlT_E1_NS1_11comp_targetILNS1_3genE5ELNS1_11target_archE942ELNS1_3gpuE9ELNS1_3repE0EEENS1_30default_config_static_selectorELNS0_4arch9wavefront6targetE0EEEvSQ_,comdat
	.globl	_ZN7rocprim17ROCPRIM_400000_NS6detail17trampoline_kernelINS0_14default_configENS1_22reduce_config_selectorIiEEZNS1_11reduce_implILb1ES3_PiS7_iN6hipcub16HIPCUB_304000_NS6detail34convert_binary_result_type_wrapperINS9_3SumENS9_22TransformInputIteratorIbN2at6native12_GLOBAL__N_19NonZeroOpIhEEPKhlEEiEEEE10hipError_tPvRmT1_T2_T3_mT4_P12ihipStream_tbEUlT_E1_NS1_11comp_targetILNS1_3genE5ELNS1_11target_archE942ELNS1_3gpuE9ELNS1_3repE0EEENS1_30default_config_static_selectorELNS0_4arch9wavefront6targetE0EEEvSQ_ ; -- Begin function _ZN7rocprim17ROCPRIM_400000_NS6detail17trampoline_kernelINS0_14default_configENS1_22reduce_config_selectorIiEEZNS1_11reduce_implILb1ES3_PiS7_iN6hipcub16HIPCUB_304000_NS6detail34convert_binary_result_type_wrapperINS9_3SumENS9_22TransformInputIteratorIbN2at6native12_GLOBAL__N_19NonZeroOpIhEEPKhlEEiEEEE10hipError_tPvRmT1_T2_T3_mT4_P12ihipStream_tbEUlT_E1_NS1_11comp_targetILNS1_3genE5ELNS1_11target_archE942ELNS1_3gpuE9ELNS1_3repE0EEENS1_30default_config_static_selectorELNS0_4arch9wavefront6targetE0EEEvSQ_
	.p2align	8
	.type	_ZN7rocprim17ROCPRIM_400000_NS6detail17trampoline_kernelINS0_14default_configENS1_22reduce_config_selectorIiEEZNS1_11reduce_implILb1ES3_PiS7_iN6hipcub16HIPCUB_304000_NS6detail34convert_binary_result_type_wrapperINS9_3SumENS9_22TransformInputIteratorIbN2at6native12_GLOBAL__N_19NonZeroOpIhEEPKhlEEiEEEE10hipError_tPvRmT1_T2_T3_mT4_P12ihipStream_tbEUlT_E1_NS1_11comp_targetILNS1_3genE5ELNS1_11target_archE942ELNS1_3gpuE9ELNS1_3repE0EEENS1_30default_config_static_selectorELNS0_4arch9wavefront6targetE0EEEvSQ_,@function
_ZN7rocprim17ROCPRIM_400000_NS6detail17trampoline_kernelINS0_14default_configENS1_22reduce_config_selectorIiEEZNS1_11reduce_implILb1ES3_PiS7_iN6hipcub16HIPCUB_304000_NS6detail34convert_binary_result_type_wrapperINS9_3SumENS9_22TransformInputIteratorIbN2at6native12_GLOBAL__N_19NonZeroOpIhEEPKhlEEiEEEE10hipError_tPvRmT1_T2_T3_mT4_P12ihipStream_tbEUlT_E1_NS1_11comp_targetILNS1_3genE5ELNS1_11target_archE942ELNS1_3gpuE9ELNS1_3repE0EEENS1_30default_config_static_selectorELNS0_4arch9wavefront6targetE0EEEvSQ_: ; @_ZN7rocprim17ROCPRIM_400000_NS6detail17trampoline_kernelINS0_14default_configENS1_22reduce_config_selectorIiEEZNS1_11reduce_implILb1ES3_PiS7_iN6hipcub16HIPCUB_304000_NS6detail34convert_binary_result_type_wrapperINS9_3SumENS9_22TransformInputIteratorIbN2at6native12_GLOBAL__N_19NonZeroOpIhEEPKhlEEiEEEE10hipError_tPvRmT1_T2_T3_mT4_P12ihipStream_tbEUlT_E1_NS1_11comp_targetILNS1_3genE5ELNS1_11target_archE942ELNS1_3gpuE9ELNS1_3repE0EEENS1_30default_config_static_selectorELNS0_4arch9wavefront6targetE0EEEvSQ_
; %bb.0:
	.section	.rodata,"a",@progbits
	.p2align	6, 0x0
	.amdhsa_kernel _ZN7rocprim17ROCPRIM_400000_NS6detail17trampoline_kernelINS0_14default_configENS1_22reduce_config_selectorIiEEZNS1_11reduce_implILb1ES3_PiS7_iN6hipcub16HIPCUB_304000_NS6detail34convert_binary_result_type_wrapperINS9_3SumENS9_22TransformInputIteratorIbN2at6native12_GLOBAL__N_19NonZeroOpIhEEPKhlEEiEEEE10hipError_tPvRmT1_T2_T3_mT4_P12ihipStream_tbEUlT_E1_NS1_11comp_targetILNS1_3genE5ELNS1_11target_archE942ELNS1_3gpuE9ELNS1_3repE0EEENS1_30default_config_static_selectorELNS0_4arch9wavefront6targetE0EEEvSQ_
		.amdhsa_group_segment_fixed_size 0
		.amdhsa_private_segment_fixed_size 0
		.amdhsa_kernarg_size 40
		.amdhsa_user_sgpr_count 2
		.amdhsa_user_sgpr_dispatch_ptr 0
		.amdhsa_user_sgpr_queue_ptr 0
		.amdhsa_user_sgpr_kernarg_segment_ptr 1
		.amdhsa_user_sgpr_dispatch_id 0
		.amdhsa_user_sgpr_private_segment_size 0
		.amdhsa_wavefront_size32 1
		.amdhsa_uses_dynamic_stack 0
		.amdhsa_enable_private_segment 0
		.amdhsa_system_sgpr_workgroup_id_x 1
		.amdhsa_system_sgpr_workgroup_id_y 0
		.amdhsa_system_sgpr_workgroup_id_z 0
		.amdhsa_system_sgpr_workgroup_info 0
		.amdhsa_system_vgpr_workitem_id 0
		.amdhsa_next_free_vgpr 1
		.amdhsa_next_free_sgpr 1
		.amdhsa_reserve_vcc 0
		.amdhsa_float_round_mode_32 0
		.amdhsa_float_round_mode_16_64 0
		.amdhsa_float_denorm_mode_32 3
		.amdhsa_float_denorm_mode_16_64 3
		.amdhsa_fp16_overflow 0
		.amdhsa_workgroup_processor_mode 1
		.amdhsa_memory_ordered 1
		.amdhsa_forward_progress 1
		.amdhsa_inst_pref_size 0
		.amdhsa_round_robin_scheduling 0
		.amdhsa_exception_fp_ieee_invalid_op 0
		.amdhsa_exception_fp_denorm_src 0
		.amdhsa_exception_fp_ieee_div_zero 0
		.amdhsa_exception_fp_ieee_overflow 0
		.amdhsa_exception_fp_ieee_underflow 0
		.amdhsa_exception_fp_ieee_inexact 0
		.amdhsa_exception_int_div_zero 0
	.end_amdhsa_kernel
	.section	.text._ZN7rocprim17ROCPRIM_400000_NS6detail17trampoline_kernelINS0_14default_configENS1_22reduce_config_selectorIiEEZNS1_11reduce_implILb1ES3_PiS7_iN6hipcub16HIPCUB_304000_NS6detail34convert_binary_result_type_wrapperINS9_3SumENS9_22TransformInputIteratorIbN2at6native12_GLOBAL__N_19NonZeroOpIhEEPKhlEEiEEEE10hipError_tPvRmT1_T2_T3_mT4_P12ihipStream_tbEUlT_E1_NS1_11comp_targetILNS1_3genE5ELNS1_11target_archE942ELNS1_3gpuE9ELNS1_3repE0EEENS1_30default_config_static_selectorELNS0_4arch9wavefront6targetE0EEEvSQ_,"axG",@progbits,_ZN7rocprim17ROCPRIM_400000_NS6detail17trampoline_kernelINS0_14default_configENS1_22reduce_config_selectorIiEEZNS1_11reduce_implILb1ES3_PiS7_iN6hipcub16HIPCUB_304000_NS6detail34convert_binary_result_type_wrapperINS9_3SumENS9_22TransformInputIteratorIbN2at6native12_GLOBAL__N_19NonZeroOpIhEEPKhlEEiEEEE10hipError_tPvRmT1_T2_T3_mT4_P12ihipStream_tbEUlT_E1_NS1_11comp_targetILNS1_3genE5ELNS1_11target_archE942ELNS1_3gpuE9ELNS1_3repE0EEENS1_30default_config_static_selectorELNS0_4arch9wavefront6targetE0EEEvSQ_,comdat
.Lfunc_end11:
	.size	_ZN7rocprim17ROCPRIM_400000_NS6detail17trampoline_kernelINS0_14default_configENS1_22reduce_config_selectorIiEEZNS1_11reduce_implILb1ES3_PiS7_iN6hipcub16HIPCUB_304000_NS6detail34convert_binary_result_type_wrapperINS9_3SumENS9_22TransformInputIteratorIbN2at6native12_GLOBAL__N_19NonZeroOpIhEEPKhlEEiEEEE10hipError_tPvRmT1_T2_T3_mT4_P12ihipStream_tbEUlT_E1_NS1_11comp_targetILNS1_3genE5ELNS1_11target_archE942ELNS1_3gpuE9ELNS1_3repE0EEENS1_30default_config_static_selectorELNS0_4arch9wavefront6targetE0EEEvSQ_, .Lfunc_end11-_ZN7rocprim17ROCPRIM_400000_NS6detail17trampoline_kernelINS0_14default_configENS1_22reduce_config_selectorIiEEZNS1_11reduce_implILb1ES3_PiS7_iN6hipcub16HIPCUB_304000_NS6detail34convert_binary_result_type_wrapperINS9_3SumENS9_22TransformInputIteratorIbN2at6native12_GLOBAL__N_19NonZeroOpIhEEPKhlEEiEEEE10hipError_tPvRmT1_T2_T3_mT4_P12ihipStream_tbEUlT_E1_NS1_11comp_targetILNS1_3genE5ELNS1_11target_archE942ELNS1_3gpuE9ELNS1_3repE0EEENS1_30default_config_static_selectorELNS0_4arch9wavefront6targetE0EEEvSQ_
                                        ; -- End function
	.set _ZN7rocprim17ROCPRIM_400000_NS6detail17trampoline_kernelINS0_14default_configENS1_22reduce_config_selectorIiEEZNS1_11reduce_implILb1ES3_PiS7_iN6hipcub16HIPCUB_304000_NS6detail34convert_binary_result_type_wrapperINS9_3SumENS9_22TransformInputIteratorIbN2at6native12_GLOBAL__N_19NonZeroOpIhEEPKhlEEiEEEE10hipError_tPvRmT1_T2_T3_mT4_P12ihipStream_tbEUlT_E1_NS1_11comp_targetILNS1_3genE5ELNS1_11target_archE942ELNS1_3gpuE9ELNS1_3repE0EEENS1_30default_config_static_selectorELNS0_4arch9wavefront6targetE0EEEvSQ_.num_vgpr, 0
	.set _ZN7rocprim17ROCPRIM_400000_NS6detail17trampoline_kernelINS0_14default_configENS1_22reduce_config_selectorIiEEZNS1_11reduce_implILb1ES3_PiS7_iN6hipcub16HIPCUB_304000_NS6detail34convert_binary_result_type_wrapperINS9_3SumENS9_22TransformInputIteratorIbN2at6native12_GLOBAL__N_19NonZeroOpIhEEPKhlEEiEEEE10hipError_tPvRmT1_T2_T3_mT4_P12ihipStream_tbEUlT_E1_NS1_11comp_targetILNS1_3genE5ELNS1_11target_archE942ELNS1_3gpuE9ELNS1_3repE0EEENS1_30default_config_static_selectorELNS0_4arch9wavefront6targetE0EEEvSQ_.num_agpr, 0
	.set _ZN7rocprim17ROCPRIM_400000_NS6detail17trampoline_kernelINS0_14default_configENS1_22reduce_config_selectorIiEEZNS1_11reduce_implILb1ES3_PiS7_iN6hipcub16HIPCUB_304000_NS6detail34convert_binary_result_type_wrapperINS9_3SumENS9_22TransformInputIteratorIbN2at6native12_GLOBAL__N_19NonZeroOpIhEEPKhlEEiEEEE10hipError_tPvRmT1_T2_T3_mT4_P12ihipStream_tbEUlT_E1_NS1_11comp_targetILNS1_3genE5ELNS1_11target_archE942ELNS1_3gpuE9ELNS1_3repE0EEENS1_30default_config_static_selectorELNS0_4arch9wavefront6targetE0EEEvSQ_.numbered_sgpr, 0
	.set _ZN7rocprim17ROCPRIM_400000_NS6detail17trampoline_kernelINS0_14default_configENS1_22reduce_config_selectorIiEEZNS1_11reduce_implILb1ES3_PiS7_iN6hipcub16HIPCUB_304000_NS6detail34convert_binary_result_type_wrapperINS9_3SumENS9_22TransformInputIteratorIbN2at6native12_GLOBAL__N_19NonZeroOpIhEEPKhlEEiEEEE10hipError_tPvRmT1_T2_T3_mT4_P12ihipStream_tbEUlT_E1_NS1_11comp_targetILNS1_3genE5ELNS1_11target_archE942ELNS1_3gpuE9ELNS1_3repE0EEENS1_30default_config_static_selectorELNS0_4arch9wavefront6targetE0EEEvSQ_.num_named_barrier, 0
	.set _ZN7rocprim17ROCPRIM_400000_NS6detail17trampoline_kernelINS0_14default_configENS1_22reduce_config_selectorIiEEZNS1_11reduce_implILb1ES3_PiS7_iN6hipcub16HIPCUB_304000_NS6detail34convert_binary_result_type_wrapperINS9_3SumENS9_22TransformInputIteratorIbN2at6native12_GLOBAL__N_19NonZeroOpIhEEPKhlEEiEEEE10hipError_tPvRmT1_T2_T3_mT4_P12ihipStream_tbEUlT_E1_NS1_11comp_targetILNS1_3genE5ELNS1_11target_archE942ELNS1_3gpuE9ELNS1_3repE0EEENS1_30default_config_static_selectorELNS0_4arch9wavefront6targetE0EEEvSQ_.private_seg_size, 0
	.set _ZN7rocprim17ROCPRIM_400000_NS6detail17trampoline_kernelINS0_14default_configENS1_22reduce_config_selectorIiEEZNS1_11reduce_implILb1ES3_PiS7_iN6hipcub16HIPCUB_304000_NS6detail34convert_binary_result_type_wrapperINS9_3SumENS9_22TransformInputIteratorIbN2at6native12_GLOBAL__N_19NonZeroOpIhEEPKhlEEiEEEE10hipError_tPvRmT1_T2_T3_mT4_P12ihipStream_tbEUlT_E1_NS1_11comp_targetILNS1_3genE5ELNS1_11target_archE942ELNS1_3gpuE9ELNS1_3repE0EEENS1_30default_config_static_selectorELNS0_4arch9wavefront6targetE0EEEvSQ_.uses_vcc, 0
	.set _ZN7rocprim17ROCPRIM_400000_NS6detail17trampoline_kernelINS0_14default_configENS1_22reduce_config_selectorIiEEZNS1_11reduce_implILb1ES3_PiS7_iN6hipcub16HIPCUB_304000_NS6detail34convert_binary_result_type_wrapperINS9_3SumENS9_22TransformInputIteratorIbN2at6native12_GLOBAL__N_19NonZeroOpIhEEPKhlEEiEEEE10hipError_tPvRmT1_T2_T3_mT4_P12ihipStream_tbEUlT_E1_NS1_11comp_targetILNS1_3genE5ELNS1_11target_archE942ELNS1_3gpuE9ELNS1_3repE0EEENS1_30default_config_static_selectorELNS0_4arch9wavefront6targetE0EEEvSQ_.uses_flat_scratch, 0
	.set _ZN7rocprim17ROCPRIM_400000_NS6detail17trampoline_kernelINS0_14default_configENS1_22reduce_config_selectorIiEEZNS1_11reduce_implILb1ES3_PiS7_iN6hipcub16HIPCUB_304000_NS6detail34convert_binary_result_type_wrapperINS9_3SumENS9_22TransformInputIteratorIbN2at6native12_GLOBAL__N_19NonZeroOpIhEEPKhlEEiEEEE10hipError_tPvRmT1_T2_T3_mT4_P12ihipStream_tbEUlT_E1_NS1_11comp_targetILNS1_3genE5ELNS1_11target_archE942ELNS1_3gpuE9ELNS1_3repE0EEENS1_30default_config_static_selectorELNS0_4arch9wavefront6targetE0EEEvSQ_.has_dyn_sized_stack, 0
	.set _ZN7rocprim17ROCPRIM_400000_NS6detail17trampoline_kernelINS0_14default_configENS1_22reduce_config_selectorIiEEZNS1_11reduce_implILb1ES3_PiS7_iN6hipcub16HIPCUB_304000_NS6detail34convert_binary_result_type_wrapperINS9_3SumENS9_22TransformInputIteratorIbN2at6native12_GLOBAL__N_19NonZeroOpIhEEPKhlEEiEEEE10hipError_tPvRmT1_T2_T3_mT4_P12ihipStream_tbEUlT_E1_NS1_11comp_targetILNS1_3genE5ELNS1_11target_archE942ELNS1_3gpuE9ELNS1_3repE0EEENS1_30default_config_static_selectorELNS0_4arch9wavefront6targetE0EEEvSQ_.has_recursion, 0
	.set _ZN7rocprim17ROCPRIM_400000_NS6detail17trampoline_kernelINS0_14default_configENS1_22reduce_config_selectorIiEEZNS1_11reduce_implILb1ES3_PiS7_iN6hipcub16HIPCUB_304000_NS6detail34convert_binary_result_type_wrapperINS9_3SumENS9_22TransformInputIteratorIbN2at6native12_GLOBAL__N_19NonZeroOpIhEEPKhlEEiEEEE10hipError_tPvRmT1_T2_T3_mT4_P12ihipStream_tbEUlT_E1_NS1_11comp_targetILNS1_3genE5ELNS1_11target_archE942ELNS1_3gpuE9ELNS1_3repE0EEENS1_30default_config_static_selectorELNS0_4arch9wavefront6targetE0EEEvSQ_.has_indirect_call, 0
	.section	.AMDGPU.csdata,"",@progbits
; Kernel info:
; codeLenInByte = 0
; TotalNumSgprs: 0
; NumVgprs: 0
; ScratchSize: 0
; MemoryBound: 0
; FloatMode: 240
; IeeeMode: 1
; LDSByteSize: 0 bytes/workgroup (compile time only)
; SGPRBlocks: 0
; VGPRBlocks: 0
; NumSGPRsForWavesPerEU: 1
; NumVGPRsForWavesPerEU: 1
; Occupancy: 16
; WaveLimiterHint : 0
; COMPUTE_PGM_RSRC2:SCRATCH_EN: 0
; COMPUTE_PGM_RSRC2:USER_SGPR: 2
; COMPUTE_PGM_RSRC2:TRAP_HANDLER: 0
; COMPUTE_PGM_RSRC2:TGID_X_EN: 1
; COMPUTE_PGM_RSRC2:TGID_Y_EN: 0
; COMPUTE_PGM_RSRC2:TGID_Z_EN: 0
; COMPUTE_PGM_RSRC2:TIDIG_COMP_CNT: 0
	.section	.text._ZN7rocprim17ROCPRIM_400000_NS6detail17trampoline_kernelINS0_14default_configENS1_22reduce_config_selectorIiEEZNS1_11reduce_implILb1ES3_PiS7_iN6hipcub16HIPCUB_304000_NS6detail34convert_binary_result_type_wrapperINS9_3SumENS9_22TransformInputIteratorIbN2at6native12_GLOBAL__N_19NonZeroOpIhEEPKhlEEiEEEE10hipError_tPvRmT1_T2_T3_mT4_P12ihipStream_tbEUlT_E1_NS1_11comp_targetILNS1_3genE4ELNS1_11target_archE910ELNS1_3gpuE8ELNS1_3repE0EEENS1_30default_config_static_selectorELNS0_4arch9wavefront6targetE0EEEvSQ_,"axG",@progbits,_ZN7rocprim17ROCPRIM_400000_NS6detail17trampoline_kernelINS0_14default_configENS1_22reduce_config_selectorIiEEZNS1_11reduce_implILb1ES3_PiS7_iN6hipcub16HIPCUB_304000_NS6detail34convert_binary_result_type_wrapperINS9_3SumENS9_22TransformInputIteratorIbN2at6native12_GLOBAL__N_19NonZeroOpIhEEPKhlEEiEEEE10hipError_tPvRmT1_T2_T3_mT4_P12ihipStream_tbEUlT_E1_NS1_11comp_targetILNS1_3genE4ELNS1_11target_archE910ELNS1_3gpuE8ELNS1_3repE0EEENS1_30default_config_static_selectorELNS0_4arch9wavefront6targetE0EEEvSQ_,comdat
	.globl	_ZN7rocprim17ROCPRIM_400000_NS6detail17trampoline_kernelINS0_14default_configENS1_22reduce_config_selectorIiEEZNS1_11reduce_implILb1ES3_PiS7_iN6hipcub16HIPCUB_304000_NS6detail34convert_binary_result_type_wrapperINS9_3SumENS9_22TransformInputIteratorIbN2at6native12_GLOBAL__N_19NonZeroOpIhEEPKhlEEiEEEE10hipError_tPvRmT1_T2_T3_mT4_P12ihipStream_tbEUlT_E1_NS1_11comp_targetILNS1_3genE4ELNS1_11target_archE910ELNS1_3gpuE8ELNS1_3repE0EEENS1_30default_config_static_selectorELNS0_4arch9wavefront6targetE0EEEvSQ_ ; -- Begin function _ZN7rocprim17ROCPRIM_400000_NS6detail17trampoline_kernelINS0_14default_configENS1_22reduce_config_selectorIiEEZNS1_11reduce_implILb1ES3_PiS7_iN6hipcub16HIPCUB_304000_NS6detail34convert_binary_result_type_wrapperINS9_3SumENS9_22TransformInputIteratorIbN2at6native12_GLOBAL__N_19NonZeroOpIhEEPKhlEEiEEEE10hipError_tPvRmT1_T2_T3_mT4_P12ihipStream_tbEUlT_E1_NS1_11comp_targetILNS1_3genE4ELNS1_11target_archE910ELNS1_3gpuE8ELNS1_3repE0EEENS1_30default_config_static_selectorELNS0_4arch9wavefront6targetE0EEEvSQ_
	.p2align	8
	.type	_ZN7rocprim17ROCPRIM_400000_NS6detail17trampoline_kernelINS0_14default_configENS1_22reduce_config_selectorIiEEZNS1_11reduce_implILb1ES3_PiS7_iN6hipcub16HIPCUB_304000_NS6detail34convert_binary_result_type_wrapperINS9_3SumENS9_22TransformInputIteratorIbN2at6native12_GLOBAL__N_19NonZeroOpIhEEPKhlEEiEEEE10hipError_tPvRmT1_T2_T3_mT4_P12ihipStream_tbEUlT_E1_NS1_11comp_targetILNS1_3genE4ELNS1_11target_archE910ELNS1_3gpuE8ELNS1_3repE0EEENS1_30default_config_static_selectorELNS0_4arch9wavefront6targetE0EEEvSQ_,@function
_ZN7rocprim17ROCPRIM_400000_NS6detail17trampoline_kernelINS0_14default_configENS1_22reduce_config_selectorIiEEZNS1_11reduce_implILb1ES3_PiS7_iN6hipcub16HIPCUB_304000_NS6detail34convert_binary_result_type_wrapperINS9_3SumENS9_22TransformInputIteratorIbN2at6native12_GLOBAL__N_19NonZeroOpIhEEPKhlEEiEEEE10hipError_tPvRmT1_T2_T3_mT4_P12ihipStream_tbEUlT_E1_NS1_11comp_targetILNS1_3genE4ELNS1_11target_archE910ELNS1_3gpuE8ELNS1_3repE0EEENS1_30default_config_static_selectorELNS0_4arch9wavefront6targetE0EEEvSQ_: ; @_ZN7rocprim17ROCPRIM_400000_NS6detail17trampoline_kernelINS0_14default_configENS1_22reduce_config_selectorIiEEZNS1_11reduce_implILb1ES3_PiS7_iN6hipcub16HIPCUB_304000_NS6detail34convert_binary_result_type_wrapperINS9_3SumENS9_22TransformInputIteratorIbN2at6native12_GLOBAL__N_19NonZeroOpIhEEPKhlEEiEEEE10hipError_tPvRmT1_T2_T3_mT4_P12ihipStream_tbEUlT_E1_NS1_11comp_targetILNS1_3genE4ELNS1_11target_archE910ELNS1_3gpuE8ELNS1_3repE0EEENS1_30default_config_static_selectorELNS0_4arch9wavefront6targetE0EEEvSQ_
; %bb.0:
	.section	.rodata,"a",@progbits
	.p2align	6, 0x0
	.amdhsa_kernel _ZN7rocprim17ROCPRIM_400000_NS6detail17trampoline_kernelINS0_14default_configENS1_22reduce_config_selectorIiEEZNS1_11reduce_implILb1ES3_PiS7_iN6hipcub16HIPCUB_304000_NS6detail34convert_binary_result_type_wrapperINS9_3SumENS9_22TransformInputIteratorIbN2at6native12_GLOBAL__N_19NonZeroOpIhEEPKhlEEiEEEE10hipError_tPvRmT1_T2_T3_mT4_P12ihipStream_tbEUlT_E1_NS1_11comp_targetILNS1_3genE4ELNS1_11target_archE910ELNS1_3gpuE8ELNS1_3repE0EEENS1_30default_config_static_selectorELNS0_4arch9wavefront6targetE0EEEvSQ_
		.amdhsa_group_segment_fixed_size 0
		.amdhsa_private_segment_fixed_size 0
		.amdhsa_kernarg_size 40
		.amdhsa_user_sgpr_count 2
		.amdhsa_user_sgpr_dispatch_ptr 0
		.amdhsa_user_sgpr_queue_ptr 0
		.amdhsa_user_sgpr_kernarg_segment_ptr 1
		.amdhsa_user_sgpr_dispatch_id 0
		.amdhsa_user_sgpr_private_segment_size 0
		.amdhsa_wavefront_size32 1
		.amdhsa_uses_dynamic_stack 0
		.amdhsa_enable_private_segment 0
		.amdhsa_system_sgpr_workgroup_id_x 1
		.amdhsa_system_sgpr_workgroup_id_y 0
		.amdhsa_system_sgpr_workgroup_id_z 0
		.amdhsa_system_sgpr_workgroup_info 0
		.amdhsa_system_vgpr_workitem_id 0
		.amdhsa_next_free_vgpr 1
		.amdhsa_next_free_sgpr 1
		.amdhsa_reserve_vcc 0
		.amdhsa_float_round_mode_32 0
		.amdhsa_float_round_mode_16_64 0
		.amdhsa_float_denorm_mode_32 3
		.amdhsa_float_denorm_mode_16_64 3
		.amdhsa_fp16_overflow 0
		.amdhsa_workgroup_processor_mode 1
		.amdhsa_memory_ordered 1
		.amdhsa_forward_progress 1
		.amdhsa_inst_pref_size 0
		.amdhsa_round_robin_scheduling 0
		.amdhsa_exception_fp_ieee_invalid_op 0
		.amdhsa_exception_fp_denorm_src 0
		.amdhsa_exception_fp_ieee_div_zero 0
		.amdhsa_exception_fp_ieee_overflow 0
		.amdhsa_exception_fp_ieee_underflow 0
		.amdhsa_exception_fp_ieee_inexact 0
		.amdhsa_exception_int_div_zero 0
	.end_amdhsa_kernel
	.section	.text._ZN7rocprim17ROCPRIM_400000_NS6detail17trampoline_kernelINS0_14default_configENS1_22reduce_config_selectorIiEEZNS1_11reduce_implILb1ES3_PiS7_iN6hipcub16HIPCUB_304000_NS6detail34convert_binary_result_type_wrapperINS9_3SumENS9_22TransformInputIteratorIbN2at6native12_GLOBAL__N_19NonZeroOpIhEEPKhlEEiEEEE10hipError_tPvRmT1_T2_T3_mT4_P12ihipStream_tbEUlT_E1_NS1_11comp_targetILNS1_3genE4ELNS1_11target_archE910ELNS1_3gpuE8ELNS1_3repE0EEENS1_30default_config_static_selectorELNS0_4arch9wavefront6targetE0EEEvSQ_,"axG",@progbits,_ZN7rocprim17ROCPRIM_400000_NS6detail17trampoline_kernelINS0_14default_configENS1_22reduce_config_selectorIiEEZNS1_11reduce_implILb1ES3_PiS7_iN6hipcub16HIPCUB_304000_NS6detail34convert_binary_result_type_wrapperINS9_3SumENS9_22TransformInputIteratorIbN2at6native12_GLOBAL__N_19NonZeroOpIhEEPKhlEEiEEEE10hipError_tPvRmT1_T2_T3_mT4_P12ihipStream_tbEUlT_E1_NS1_11comp_targetILNS1_3genE4ELNS1_11target_archE910ELNS1_3gpuE8ELNS1_3repE0EEENS1_30default_config_static_selectorELNS0_4arch9wavefront6targetE0EEEvSQ_,comdat
.Lfunc_end12:
	.size	_ZN7rocprim17ROCPRIM_400000_NS6detail17trampoline_kernelINS0_14default_configENS1_22reduce_config_selectorIiEEZNS1_11reduce_implILb1ES3_PiS7_iN6hipcub16HIPCUB_304000_NS6detail34convert_binary_result_type_wrapperINS9_3SumENS9_22TransformInputIteratorIbN2at6native12_GLOBAL__N_19NonZeroOpIhEEPKhlEEiEEEE10hipError_tPvRmT1_T2_T3_mT4_P12ihipStream_tbEUlT_E1_NS1_11comp_targetILNS1_3genE4ELNS1_11target_archE910ELNS1_3gpuE8ELNS1_3repE0EEENS1_30default_config_static_selectorELNS0_4arch9wavefront6targetE0EEEvSQ_, .Lfunc_end12-_ZN7rocprim17ROCPRIM_400000_NS6detail17trampoline_kernelINS0_14default_configENS1_22reduce_config_selectorIiEEZNS1_11reduce_implILb1ES3_PiS7_iN6hipcub16HIPCUB_304000_NS6detail34convert_binary_result_type_wrapperINS9_3SumENS9_22TransformInputIteratorIbN2at6native12_GLOBAL__N_19NonZeroOpIhEEPKhlEEiEEEE10hipError_tPvRmT1_T2_T3_mT4_P12ihipStream_tbEUlT_E1_NS1_11comp_targetILNS1_3genE4ELNS1_11target_archE910ELNS1_3gpuE8ELNS1_3repE0EEENS1_30default_config_static_selectorELNS0_4arch9wavefront6targetE0EEEvSQ_
                                        ; -- End function
	.set _ZN7rocprim17ROCPRIM_400000_NS6detail17trampoline_kernelINS0_14default_configENS1_22reduce_config_selectorIiEEZNS1_11reduce_implILb1ES3_PiS7_iN6hipcub16HIPCUB_304000_NS6detail34convert_binary_result_type_wrapperINS9_3SumENS9_22TransformInputIteratorIbN2at6native12_GLOBAL__N_19NonZeroOpIhEEPKhlEEiEEEE10hipError_tPvRmT1_T2_T3_mT4_P12ihipStream_tbEUlT_E1_NS1_11comp_targetILNS1_3genE4ELNS1_11target_archE910ELNS1_3gpuE8ELNS1_3repE0EEENS1_30default_config_static_selectorELNS0_4arch9wavefront6targetE0EEEvSQ_.num_vgpr, 0
	.set _ZN7rocprim17ROCPRIM_400000_NS6detail17trampoline_kernelINS0_14default_configENS1_22reduce_config_selectorIiEEZNS1_11reduce_implILb1ES3_PiS7_iN6hipcub16HIPCUB_304000_NS6detail34convert_binary_result_type_wrapperINS9_3SumENS9_22TransformInputIteratorIbN2at6native12_GLOBAL__N_19NonZeroOpIhEEPKhlEEiEEEE10hipError_tPvRmT1_T2_T3_mT4_P12ihipStream_tbEUlT_E1_NS1_11comp_targetILNS1_3genE4ELNS1_11target_archE910ELNS1_3gpuE8ELNS1_3repE0EEENS1_30default_config_static_selectorELNS0_4arch9wavefront6targetE0EEEvSQ_.num_agpr, 0
	.set _ZN7rocprim17ROCPRIM_400000_NS6detail17trampoline_kernelINS0_14default_configENS1_22reduce_config_selectorIiEEZNS1_11reduce_implILb1ES3_PiS7_iN6hipcub16HIPCUB_304000_NS6detail34convert_binary_result_type_wrapperINS9_3SumENS9_22TransformInputIteratorIbN2at6native12_GLOBAL__N_19NonZeroOpIhEEPKhlEEiEEEE10hipError_tPvRmT1_T2_T3_mT4_P12ihipStream_tbEUlT_E1_NS1_11comp_targetILNS1_3genE4ELNS1_11target_archE910ELNS1_3gpuE8ELNS1_3repE0EEENS1_30default_config_static_selectorELNS0_4arch9wavefront6targetE0EEEvSQ_.numbered_sgpr, 0
	.set _ZN7rocprim17ROCPRIM_400000_NS6detail17trampoline_kernelINS0_14default_configENS1_22reduce_config_selectorIiEEZNS1_11reduce_implILb1ES3_PiS7_iN6hipcub16HIPCUB_304000_NS6detail34convert_binary_result_type_wrapperINS9_3SumENS9_22TransformInputIteratorIbN2at6native12_GLOBAL__N_19NonZeroOpIhEEPKhlEEiEEEE10hipError_tPvRmT1_T2_T3_mT4_P12ihipStream_tbEUlT_E1_NS1_11comp_targetILNS1_3genE4ELNS1_11target_archE910ELNS1_3gpuE8ELNS1_3repE0EEENS1_30default_config_static_selectorELNS0_4arch9wavefront6targetE0EEEvSQ_.num_named_barrier, 0
	.set _ZN7rocprim17ROCPRIM_400000_NS6detail17trampoline_kernelINS0_14default_configENS1_22reduce_config_selectorIiEEZNS1_11reduce_implILb1ES3_PiS7_iN6hipcub16HIPCUB_304000_NS6detail34convert_binary_result_type_wrapperINS9_3SumENS9_22TransformInputIteratorIbN2at6native12_GLOBAL__N_19NonZeroOpIhEEPKhlEEiEEEE10hipError_tPvRmT1_T2_T3_mT4_P12ihipStream_tbEUlT_E1_NS1_11comp_targetILNS1_3genE4ELNS1_11target_archE910ELNS1_3gpuE8ELNS1_3repE0EEENS1_30default_config_static_selectorELNS0_4arch9wavefront6targetE0EEEvSQ_.private_seg_size, 0
	.set _ZN7rocprim17ROCPRIM_400000_NS6detail17trampoline_kernelINS0_14default_configENS1_22reduce_config_selectorIiEEZNS1_11reduce_implILb1ES3_PiS7_iN6hipcub16HIPCUB_304000_NS6detail34convert_binary_result_type_wrapperINS9_3SumENS9_22TransformInputIteratorIbN2at6native12_GLOBAL__N_19NonZeroOpIhEEPKhlEEiEEEE10hipError_tPvRmT1_T2_T3_mT4_P12ihipStream_tbEUlT_E1_NS1_11comp_targetILNS1_3genE4ELNS1_11target_archE910ELNS1_3gpuE8ELNS1_3repE0EEENS1_30default_config_static_selectorELNS0_4arch9wavefront6targetE0EEEvSQ_.uses_vcc, 0
	.set _ZN7rocprim17ROCPRIM_400000_NS6detail17trampoline_kernelINS0_14default_configENS1_22reduce_config_selectorIiEEZNS1_11reduce_implILb1ES3_PiS7_iN6hipcub16HIPCUB_304000_NS6detail34convert_binary_result_type_wrapperINS9_3SumENS9_22TransformInputIteratorIbN2at6native12_GLOBAL__N_19NonZeroOpIhEEPKhlEEiEEEE10hipError_tPvRmT1_T2_T3_mT4_P12ihipStream_tbEUlT_E1_NS1_11comp_targetILNS1_3genE4ELNS1_11target_archE910ELNS1_3gpuE8ELNS1_3repE0EEENS1_30default_config_static_selectorELNS0_4arch9wavefront6targetE0EEEvSQ_.uses_flat_scratch, 0
	.set _ZN7rocprim17ROCPRIM_400000_NS6detail17trampoline_kernelINS0_14default_configENS1_22reduce_config_selectorIiEEZNS1_11reduce_implILb1ES3_PiS7_iN6hipcub16HIPCUB_304000_NS6detail34convert_binary_result_type_wrapperINS9_3SumENS9_22TransformInputIteratorIbN2at6native12_GLOBAL__N_19NonZeroOpIhEEPKhlEEiEEEE10hipError_tPvRmT1_T2_T3_mT4_P12ihipStream_tbEUlT_E1_NS1_11comp_targetILNS1_3genE4ELNS1_11target_archE910ELNS1_3gpuE8ELNS1_3repE0EEENS1_30default_config_static_selectorELNS0_4arch9wavefront6targetE0EEEvSQ_.has_dyn_sized_stack, 0
	.set _ZN7rocprim17ROCPRIM_400000_NS6detail17trampoline_kernelINS0_14default_configENS1_22reduce_config_selectorIiEEZNS1_11reduce_implILb1ES3_PiS7_iN6hipcub16HIPCUB_304000_NS6detail34convert_binary_result_type_wrapperINS9_3SumENS9_22TransformInputIteratorIbN2at6native12_GLOBAL__N_19NonZeroOpIhEEPKhlEEiEEEE10hipError_tPvRmT1_T2_T3_mT4_P12ihipStream_tbEUlT_E1_NS1_11comp_targetILNS1_3genE4ELNS1_11target_archE910ELNS1_3gpuE8ELNS1_3repE0EEENS1_30default_config_static_selectorELNS0_4arch9wavefront6targetE0EEEvSQ_.has_recursion, 0
	.set _ZN7rocprim17ROCPRIM_400000_NS6detail17trampoline_kernelINS0_14default_configENS1_22reduce_config_selectorIiEEZNS1_11reduce_implILb1ES3_PiS7_iN6hipcub16HIPCUB_304000_NS6detail34convert_binary_result_type_wrapperINS9_3SumENS9_22TransformInputIteratorIbN2at6native12_GLOBAL__N_19NonZeroOpIhEEPKhlEEiEEEE10hipError_tPvRmT1_T2_T3_mT4_P12ihipStream_tbEUlT_E1_NS1_11comp_targetILNS1_3genE4ELNS1_11target_archE910ELNS1_3gpuE8ELNS1_3repE0EEENS1_30default_config_static_selectorELNS0_4arch9wavefront6targetE0EEEvSQ_.has_indirect_call, 0
	.section	.AMDGPU.csdata,"",@progbits
; Kernel info:
; codeLenInByte = 0
; TotalNumSgprs: 0
; NumVgprs: 0
; ScratchSize: 0
; MemoryBound: 0
; FloatMode: 240
; IeeeMode: 1
; LDSByteSize: 0 bytes/workgroup (compile time only)
; SGPRBlocks: 0
; VGPRBlocks: 0
; NumSGPRsForWavesPerEU: 1
; NumVGPRsForWavesPerEU: 1
; Occupancy: 16
; WaveLimiterHint : 0
; COMPUTE_PGM_RSRC2:SCRATCH_EN: 0
; COMPUTE_PGM_RSRC2:USER_SGPR: 2
; COMPUTE_PGM_RSRC2:TRAP_HANDLER: 0
; COMPUTE_PGM_RSRC2:TGID_X_EN: 1
; COMPUTE_PGM_RSRC2:TGID_Y_EN: 0
; COMPUTE_PGM_RSRC2:TGID_Z_EN: 0
; COMPUTE_PGM_RSRC2:TIDIG_COMP_CNT: 0
	.section	.text._ZN7rocprim17ROCPRIM_400000_NS6detail17trampoline_kernelINS0_14default_configENS1_22reduce_config_selectorIiEEZNS1_11reduce_implILb1ES3_PiS7_iN6hipcub16HIPCUB_304000_NS6detail34convert_binary_result_type_wrapperINS9_3SumENS9_22TransformInputIteratorIbN2at6native12_GLOBAL__N_19NonZeroOpIhEEPKhlEEiEEEE10hipError_tPvRmT1_T2_T3_mT4_P12ihipStream_tbEUlT_E1_NS1_11comp_targetILNS1_3genE3ELNS1_11target_archE908ELNS1_3gpuE7ELNS1_3repE0EEENS1_30default_config_static_selectorELNS0_4arch9wavefront6targetE0EEEvSQ_,"axG",@progbits,_ZN7rocprim17ROCPRIM_400000_NS6detail17trampoline_kernelINS0_14default_configENS1_22reduce_config_selectorIiEEZNS1_11reduce_implILb1ES3_PiS7_iN6hipcub16HIPCUB_304000_NS6detail34convert_binary_result_type_wrapperINS9_3SumENS9_22TransformInputIteratorIbN2at6native12_GLOBAL__N_19NonZeroOpIhEEPKhlEEiEEEE10hipError_tPvRmT1_T2_T3_mT4_P12ihipStream_tbEUlT_E1_NS1_11comp_targetILNS1_3genE3ELNS1_11target_archE908ELNS1_3gpuE7ELNS1_3repE0EEENS1_30default_config_static_selectorELNS0_4arch9wavefront6targetE0EEEvSQ_,comdat
	.globl	_ZN7rocprim17ROCPRIM_400000_NS6detail17trampoline_kernelINS0_14default_configENS1_22reduce_config_selectorIiEEZNS1_11reduce_implILb1ES3_PiS7_iN6hipcub16HIPCUB_304000_NS6detail34convert_binary_result_type_wrapperINS9_3SumENS9_22TransformInputIteratorIbN2at6native12_GLOBAL__N_19NonZeroOpIhEEPKhlEEiEEEE10hipError_tPvRmT1_T2_T3_mT4_P12ihipStream_tbEUlT_E1_NS1_11comp_targetILNS1_3genE3ELNS1_11target_archE908ELNS1_3gpuE7ELNS1_3repE0EEENS1_30default_config_static_selectorELNS0_4arch9wavefront6targetE0EEEvSQ_ ; -- Begin function _ZN7rocprim17ROCPRIM_400000_NS6detail17trampoline_kernelINS0_14default_configENS1_22reduce_config_selectorIiEEZNS1_11reduce_implILb1ES3_PiS7_iN6hipcub16HIPCUB_304000_NS6detail34convert_binary_result_type_wrapperINS9_3SumENS9_22TransformInputIteratorIbN2at6native12_GLOBAL__N_19NonZeroOpIhEEPKhlEEiEEEE10hipError_tPvRmT1_T2_T3_mT4_P12ihipStream_tbEUlT_E1_NS1_11comp_targetILNS1_3genE3ELNS1_11target_archE908ELNS1_3gpuE7ELNS1_3repE0EEENS1_30default_config_static_selectorELNS0_4arch9wavefront6targetE0EEEvSQ_
	.p2align	8
	.type	_ZN7rocprim17ROCPRIM_400000_NS6detail17trampoline_kernelINS0_14default_configENS1_22reduce_config_selectorIiEEZNS1_11reduce_implILb1ES3_PiS7_iN6hipcub16HIPCUB_304000_NS6detail34convert_binary_result_type_wrapperINS9_3SumENS9_22TransformInputIteratorIbN2at6native12_GLOBAL__N_19NonZeroOpIhEEPKhlEEiEEEE10hipError_tPvRmT1_T2_T3_mT4_P12ihipStream_tbEUlT_E1_NS1_11comp_targetILNS1_3genE3ELNS1_11target_archE908ELNS1_3gpuE7ELNS1_3repE0EEENS1_30default_config_static_selectorELNS0_4arch9wavefront6targetE0EEEvSQ_,@function
_ZN7rocprim17ROCPRIM_400000_NS6detail17trampoline_kernelINS0_14default_configENS1_22reduce_config_selectorIiEEZNS1_11reduce_implILb1ES3_PiS7_iN6hipcub16HIPCUB_304000_NS6detail34convert_binary_result_type_wrapperINS9_3SumENS9_22TransformInputIteratorIbN2at6native12_GLOBAL__N_19NonZeroOpIhEEPKhlEEiEEEE10hipError_tPvRmT1_T2_T3_mT4_P12ihipStream_tbEUlT_E1_NS1_11comp_targetILNS1_3genE3ELNS1_11target_archE908ELNS1_3gpuE7ELNS1_3repE0EEENS1_30default_config_static_selectorELNS0_4arch9wavefront6targetE0EEEvSQ_: ; @_ZN7rocprim17ROCPRIM_400000_NS6detail17trampoline_kernelINS0_14default_configENS1_22reduce_config_selectorIiEEZNS1_11reduce_implILb1ES3_PiS7_iN6hipcub16HIPCUB_304000_NS6detail34convert_binary_result_type_wrapperINS9_3SumENS9_22TransformInputIteratorIbN2at6native12_GLOBAL__N_19NonZeroOpIhEEPKhlEEiEEEE10hipError_tPvRmT1_T2_T3_mT4_P12ihipStream_tbEUlT_E1_NS1_11comp_targetILNS1_3genE3ELNS1_11target_archE908ELNS1_3gpuE7ELNS1_3repE0EEENS1_30default_config_static_selectorELNS0_4arch9wavefront6targetE0EEEvSQ_
; %bb.0:
	.section	.rodata,"a",@progbits
	.p2align	6, 0x0
	.amdhsa_kernel _ZN7rocprim17ROCPRIM_400000_NS6detail17trampoline_kernelINS0_14default_configENS1_22reduce_config_selectorIiEEZNS1_11reduce_implILb1ES3_PiS7_iN6hipcub16HIPCUB_304000_NS6detail34convert_binary_result_type_wrapperINS9_3SumENS9_22TransformInputIteratorIbN2at6native12_GLOBAL__N_19NonZeroOpIhEEPKhlEEiEEEE10hipError_tPvRmT1_T2_T3_mT4_P12ihipStream_tbEUlT_E1_NS1_11comp_targetILNS1_3genE3ELNS1_11target_archE908ELNS1_3gpuE7ELNS1_3repE0EEENS1_30default_config_static_selectorELNS0_4arch9wavefront6targetE0EEEvSQ_
		.amdhsa_group_segment_fixed_size 0
		.amdhsa_private_segment_fixed_size 0
		.amdhsa_kernarg_size 40
		.amdhsa_user_sgpr_count 2
		.amdhsa_user_sgpr_dispatch_ptr 0
		.amdhsa_user_sgpr_queue_ptr 0
		.amdhsa_user_sgpr_kernarg_segment_ptr 1
		.amdhsa_user_sgpr_dispatch_id 0
		.amdhsa_user_sgpr_private_segment_size 0
		.amdhsa_wavefront_size32 1
		.amdhsa_uses_dynamic_stack 0
		.amdhsa_enable_private_segment 0
		.amdhsa_system_sgpr_workgroup_id_x 1
		.amdhsa_system_sgpr_workgroup_id_y 0
		.amdhsa_system_sgpr_workgroup_id_z 0
		.amdhsa_system_sgpr_workgroup_info 0
		.amdhsa_system_vgpr_workitem_id 0
		.amdhsa_next_free_vgpr 1
		.amdhsa_next_free_sgpr 1
		.amdhsa_reserve_vcc 0
		.amdhsa_float_round_mode_32 0
		.amdhsa_float_round_mode_16_64 0
		.amdhsa_float_denorm_mode_32 3
		.amdhsa_float_denorm_mode_16_64 3
		.amdhsa_fp16_overflow 0
		.amdhsa_workgroup_processor_mode 1
		.amdhsa_memory_ordered 1
		.amdhsa_forward_progress 1
		.amdhsa_inst_pref_size 0
		.amdhsa_round_robin_scheduling 0
		.amdhsa_exception_fp_ieee_invalid_op 0
		.amdhsa_exception_fp_denorm_src 0
		.amdhsa_exception_fp_ieee_div_zero 0
		.amdhsa_exception_fp_ieee_overflow 0
		.amdhsa_exception_fp_ieee_underflow 0
		.amdhsa_exception_fp_ieee_inexact 0
		.amdhsa_exception_int_div_zero 0
	.end_amdhsa_kernel
	.section	.text._ZN7rocprim17ROCPRIM_400000_NS6detail17trampoline_kernelINS0_14default_configENS1_22reduce_config_selectorIiEEZNS1_11reduce_implILb1ES3_PiS7_iN6hipcub16HIPCUB_304000_NS6detail34convert_binary_result_type_wrapperINS9_3SumENS9_22TransformInputIteratorIbN2at6native12_GLOBAL__N_19NonZeroOpIhEEPKhlEEiEEEE10hipError_tPvRmT1_T2_T3_mT4_P12ihipStream_tbEUlT_E1_NS1_11comp_targetILNS1_3genE3ELNS1_11target_archE908ELNS1_3gpuE7ELNS1_3repE0EEENS1_30default_config_static_selectorELNS0_4arch9wavefront6targetE0EEEvSQ_,"axG",@progbits,_ZN7rocprim17ROCPRIM_400000_NS6detail17trampoline_kernelINS0_14default_configENS1_22reduce_config_selectorIiEEZNS1_11reduce_implILb1ES3_PiS7_iN6hipcub16HIPCUB_304000_NS6detail34convert_binary_result_type_wrapperINS9_3SumENS9_22TransformInputIteratorIbN2at6native12_GLOBAL__N_19NonZeroOpIhEEPKhlEEiEEEE10hipError_tPvRmT1_T2_T3_mT4_P12ihipStream_tbEUlT_E1_NS1_11comp_targetILNS1_3genE3ELNS1_11target_archE908ELNS1_3gpuE7ELNS1_3repE0EEENS1_30default_config_static_selectorELNS0_4arch9wavefront6targetE0EEEvSQ_,comdat
.Lfunc_end13:
	.size	_ZN7rocprim17ROCPRIM_400000_NS6detail17trampoline_kernelINS0_14default_configENS1_22reduce_config_selectorIiEEZNS1_11reduce_implILb1ES3_PiS7_iN6hipcub16HIPCUB_304000_NS6detail34convert_binary_result_type_wrapperINS9_3SumENS9_22TransformInputIteratorIbN2at6native12_GLOBAL__N_19NonZeroOpIhEEPKhlEEiEEEE10hipError_tPvRmT1_T2_T3_mT4_P12ihipStream_tbEUlT_E1_NS1_11comp_targetILNS1_3genE3ELNS1_11target_archE908ELNS1_3gpuE7ELNS1_3repE0EEENS1_30default_config_static_selectorELNS0_4arch9wavefront6targetE0EEEvSQ_, .Lfunc_end13-_ZN7rocprim17ROCPRIM_400000_NS6detail17trampoline_kernelINS0_14default_configENS1_22reduce_config_selectorIiEEZNS1_11reduce_implILb1ES3_PiS7_iN6hipcub16HIPCUB_304000_NS6detail34convert_binary_result_type_wrapperINS9_3SumENS9_22TransformInputIteratorIbN2at6native12_GLOBAL__N_19NonZeroOpIhEEPKhlEEiEEEE10hipError_tPvRmT1_T2_T3_mT4_P12ihipStream_tbEUlT_E1_NS1_11comp_targetILNS1_3genE3ELNS1_11target_archE908ELNS1_3gpuE7ELNS1_3repE0EEENS1_30default_config_static_selectorELNS0_4arch9wavefront6targetE0EEEvSQ_
                                        ; -- End function
	.set _ZN7rocprim17ROCPRIM_400000_NS6detail17trampoline_kernelINS0_14default_configENS1_22reduce_config_selectorIiEEZNS1_11reduce_implILb1ES3_PiS7_iN6hipcub16HIPCUB_304000_NS6detail34convert_binary_result_type_wrapperINS9_3SumENS9_22TransformInputIteratorIbN2at6native12_GLOBAL__N_19NonZeroOpIhEEPKhlEEiEEEE10hipError_tPvRmT1_T2_T3_mT4_P12ihipStream_tbEUlT_E1_NS1_11comp_targetILNS1_3genE3ELNS1_11target_archE908ELNS1_3gpuE7ELNS1_3repE0EEENS1_30default_config_static_selectorELNS0_4arch9wavefront6targetE0EEEvSQ_.num_vgpr, 0
	.set _ZN7rocprim17ROCPRIM_400000_NS6detail17trampoline_kernelINS0_14default_configENS1_22reduce_config_selectorIiEEZNS1_11reduce_implILb1ES3_PiS7_iN6hipcub16HIPCUB_304000_NS6detail34convert_binary_result_type_wrapperINS9_3SumENS9_22TransformInputIteratorIbN2at6native12_GLOBAL__N_19NonZeroOpIhEEPKhlEEiEEEE10hipError_tPvRmT1_T2_T3_mT4_P12ihipStream_tbEUlT_E1_NS1_11comp_targetILNS1_3genE3ELNS1_11target_archE908ELNS1_3gpuE7ELNS1_3repE0EEENS1_30default_config_static_selectorELNS0_4arch9wavefront6targetE0EEEvSQ_.num_agpr, 0
	.set _ZN7rocprim17ROCPRIM_400000_NS6detail17trampoline_kernelINS0_14default_configENS1_22reduce_config_selectorIiEEZNS1_11reduce_implILb1ES3_PiS7_iN6hipcub16HIPCUB_304000_NS6detail34convert_binary_result_type_wrapperINS9_3SumENS9_22TransformInputIteratorIbN2at6native12_GLOBAL__N_19NonZeroOpIhEEPKhlEEiEEEE10hipError_tPvRmT1_T2_T3_mT4_P12ihipStream_tbEUlT_E1_NS1_11comp_targetILNS1_3genE3ELNS1_11target_archE908ELNS1_3gpuE7ELNS1_3repE0EEENS1_30default_config_static_selectorELNS0_4arch9wavefront6targetE0EEEvSQ_.numbered_sgpr, 0
	.set _ZN7rocprim17ROCPRIM_400000_NS6detail17trampoline_kernelINS0_14default_configENS1_22reduce_config_selectorIiEEZNS1_11reduce_implILb1ES3_PiS7_iN6hipcub16HIPCUB_304000_NS6detail34convert_binary_result_type_wrapperINS9_3SumENS9_22TransformInputIteratorIbN2at6native12_GLOBAL__N_19NonZeroOpIhEEPKhlEEiEEEE10hipError_tPvRmT1_T2_T3_mT4_P12ihipStream_tbEUlT_E1_NS1_11comp_targetILNS1_3genE3ELNS1_11target_archE908ELNS1_3gpuE7ELNS1_3repE0EEENS1_30default_config_static_selectorELNS0_4arch9wavefront6targetE0EEEvSQ_.num_named_barrier, 0
	.set _ZN7rocprim17ROCPRIM_400000_NS6detail17trampoline_kernelINS0_14default_configENS1_22reduce_config_selectorIiEEZNS1_11reduce_implILb1ES3_PiS7_iN6hipcub16HIPCUB_304000_NS6detail34convert_binary_result_type_wrapperINS9_3SumENS9_22TransformInputIteratorIbN2at6native12_GLOBAL__N_19NonZeroOpIhEEPKhlEEiEEEE10hipError_tPvRmT1_T2_T3_mT4_P12ihipStream_tbEUlT_E1_NS1_11comp_targetILNS1_3genE3ELNS1_11target_archE908ELNS1_3gpuE7ELNS1_3repE0EEENS1_30default_config_static_selectorELNS0_4arch9wavefront6targetE0EEEvSQ_.private_seg_size, 0
	.set _ZN7rocprim17ROCPRIM_400000_NS6detail17trampoline_kernelINS0_14default_configENS1_22reduce_config_selectorIiEEZNS1_11reduce_implILb1ES3_PiS7_iN6hipcub16HIPCUB_304000_NS6detail34convert_binary_result_type_wrapperINS9_3SumENS9_22TransformInputIteratorIbN2at6native12_GLOBAL__N_19NonZeroOpIhEEPKhlEEiEEEE10hipError_tPvRmT1_T2_T3_mT4_P12ihipStream_tbEUlT_E1_NS1_11comp_targetILNS1_3genE3ELNS1_11target_archE908ELNS1_3gpuE7ELNS1_3repE0EEENS1_30default_config_static_selectorELNS0_4arch9wavefront6targetE0EEEvSQ_.uses_vcc, 0
	.set _ZN7rocprim17ROCPRIM_400000_NS6detail17trampoline_kernelINS0_14default_configENS1_22reduce_config_selectorIiEEZNS1_11reduce_implILb1ES3_PiS7_iN6hipcub16HIPCUB_304000_NS6detail34convert_binary_result_type_wrapperINS9_3SumENS9_22TransformInputIteratorIbN2at6native12_GLOBAL__N_19NonZeroOpIhEEPKhlEEiEEEE10hipError_tPvRmT1_T2_T3_mT4_P12ihipStream_tbEUlT_E1_NS1_11comp_targetILNS1_3genE3ELNS1_11target_archE908ELNS1_3gpuE7ELNS1_3repE0EEENS1_30default_config_static_selectorELNS0_4arch9wavefront6targetE0EEEvSQ_.uses_flat_scratch, 0
	.set _ZN7rocprim17ROCPRIM_400000_NS6detail17trampoline_kernelINS0_14default_configENS1_22reduce_config_selectorIiEEZNS1_11reduce_implILb1ES3_PiS7_iN6hipcub16HIPCUB_304000_NS6detail34convert_binary_result_type_wrapperINS9_3SumENS9_22TransformInputIteratorIbN2at6native12_GLOBAL__N_19NonZeroOpIhEEPKhlEEiEEEE10hipError_tPvRmT1_T2_T3_mT4_P12ihipStream_tbEUlT_E1_NS1_11comp_targetILNS1_3genE3ELNS1_11target_archE908ELNS1_3gpuE7ELNS1_3repE0EEENS1_30default_config_static_selectorELNS0_4arch9wavefront6targetE0EEEvSQ_.has_dyn_sized_stack, 0
	.set _ZN7rocprim17ROCPRIM_400000_NS6detail17trampoline_kernelINS0_14default_configENS1_22reduce_config_selectorIiEEZNS1_11reduce_implILb1ES3_PiS7_iN6hipcub16HIPCUB_304000_NS6detail34convert_binary_result_type_wrapperINS9_3SumENS9_22TransformInputIteratorIbN2at6native12_GLOBAL__N_19NonZeroOpIhEEPKhlEEiEEEE10hipError_tPvRmT1_T2_T3_mT4_P12ihipStream_tbEUlT_E1_NS1_11comp_targetILNS1_3genE3ELNS1_11target_archE908ELNS1_3gpuE7ELNS1_3repE0EEENS1_30default_config_static_selectorELNS0_4arch9wavefront6targetE0EEEvSQ_.has_recursion, 0
	.set _ZN7rocprim17ROCPRIM_400000_NS6detail17trampoline_kernelINS0_14default_configENS1_22reduce_config_selectorIiEEZNS1_11reduce_implILb1ES3_PiS7_iN6hipcub16HIPCUB_304000_NS6detail34convert_binary_result_type_wrapperINS9_3SumENS9_22TransformInputIteratorIbN2at6native12_GLOBAL__N_19NonZeroOpIhEEPKhlEEiEEEE10hipError_tPvRmT1_T2_T3_mT4_P12ihipStream_tbEUlT_E1_NS1_11comp_targetILNS1_3genE3ELNS1_11target_archE908ELNS1_3gpuE7ELNS1_3repE0EEENS1_30default_config_static_selectorELNS0_4arch9wavefront6targetE0EEEvSQ_.has_indirect_call, 0
	.section	.AMDGPU.csdata,"",@progbits
; Kernel info:
; codeLenInByte = 0
; TotalNumSgprs: 0
; NumVgprs: 0
; ScratchSize: 0
; MemoryBound: 0
; FloatMode: 240
; IeeeMode: 1
; LDSByteSize: 0 bytes/workgroup (compile time only)
; SGPRBlocks: 0
; VGPRBlocks: 0
; NumSGPRsForWavesPerEU: 1
; NumVGPRsForWavesPerEU: 1
; Occupancy: 16
; WaveLimiterHint : 0
; COMPUTE_PGM_RSRC2:SCRATCH_EN: 0
; COMPUTE_PGM_RSRC2:USER_SGPR: 2
; COMPUTE_PGM_RSRC2:TRAP_HANDLER: 0
; COMPUTE_PGM_RSRC2:TGID_X_EN: 1
; COMPUTE_PGM_RSRC2:TGID_Y_EN: 0
; COMPUTE_PGM_RSRC2:TGID_Z_EN: 0
; COMPUTE_PGM_RSRC2:TIDIG_COMP_CNT: 0
	.section	.text._ZN7rocprim17ROCPRIM_400000_NS6detail17trampoline_kernelINS0_14default_configENS1_22reduce_config_selectorIiEEZNS1_11reduce_implILb1ES3_PiS7_iN6hipcub16HIPCUB_304000_NS6detail34convert_binary_result_type_wrapperINS9_3SumENS9_22TransformInputIteratorIbN2at6native12_GLOBAL__N_19NonZeroOpIhEEPKhlEEiEEEE10hipError_tPvRmT1_T2_T3_mT4_P12ihipStream_tbEUlT_E1_NS1_11comp_targetILNS1_3genE2ELNS1_11target_archE906ELNS1_3gpuE6ELNS1_3repE0EEENS1_30default_config_static_selectorELNS0_4arch9wavefront6targetE0EEEvSQ_,"axG",@progbits,_ZN7rocprim17ROCPRIM_400000_NS6detail17trampoline_kernelINS0_14default_configENS1_22reduce_config_selectorIiEEZNS1_11reduce_implILb1ES3_PiS7_iN6hipcub16HIPCUB_304000_NS6detail34convert_binary_result_type_wrapperINS9_3SumENS9_22TransformInputIteratorIbN2at6native12_GLOBAL__N_19NonZeroOpIhEEPKhlEEiEEEE10hipError_tPvRmT1_T2_T3_mT4_P12ihipStream_tbEUlT_E1_NS1_11comp_targetILNS1_3genE2ELNS1_11target_archE906ELNS1_3gpuE6ELNS1_3repE0EEENS1_30default_config_static_selectorELNS0_4arch9wavefront6targetE0EEEvSQ_,comdat
	.globl	_ZN7rocprim17ROCPRIM_400000_NS6detail17trampoline_kernelINS0_14default_configENS1_22reduce_config_selectorIiEEZNS1_11reduce_implILb1ES3_PiS7_iN6hipcub16HIPCUB_304000_NS6detail34convert_binary_result_type_wrapperINS9_3SumENS9_22TransformInputIteratorIbN2at6native12_GLOBAL__N_19NonZeroOpIhEEPKhlEEiEEEE10hipError_tPvRmT1_T2_T3_mT4_P12ihipStream_tbEUlT_E1_NS1_11comp_targetILNS1_3genE2ELNS1_11target_archE906ELNS1_3gpuE6ELNS1_3repE0EEENS1_30default_config_static_selectorELNS0_4arch9wavefront6targetE0EEEvSQ_ ; -- Begin function _ZN7rocprim17ROCPRIM_400000_NS6detail17trampoline_kernelINS0_14default_configENS1_22reduce_config_selectorIiEEZNS1_11reduce_implILb1ES3_PiS7_iN6hipcub16HIPCUB_304000_NS6detail34convert_binary_result_type_wrapperINS9_3SumENS9_22TransformInputIteratorIbN2at6native12_GLOBAL__N_19NonZeroOpIhEEPKhlEEiEEEE10hipError_tPvRmT1_T2_T3_mT4_P12ihipStream_tbEUlT_E1_NS1_11comp_targetILNS1_3genE2ELNS1_11target_archE906ELNS1_3gpuE6ELNS1_3repE0EEENS1_30default_config_static_selectorELNS0_4arch9wavefront6targetE0EEEvSQ_
	.p2align	8
	.type	_ZN7rocprim17ROCPRIM_400000_NS6detail17trampoline_kernelINS0_14default_configENS1_22reduce_config_selectorIiEEZNS1_11reduce_implILb1ES3_PiS7_iN6hipcub16HIPCUB_304000_NS6detail34convert_binary_result_type_wrapperINS9_3SumENS9_22TransformInputIteratorIbN2at6native12_GLOBAL__N_19NonZeroOpIhEEPKhlEEiEEEE10hipError_tPvRmT1_T2_T3_mT4_P12ihipStream_tbEUlT_E1_NS1_11comp_targetILNS1_3genE2ELNS1_11target_archE906ELNS1_3gpuE6ELNS1_3repE0EEENS1_30default_config_static_selectorELNS0_4arch9wavefront6targetE0EEEvSQ_,@function
_ZN7rocprim17ROCPRIM_400000_NS6detail17trampoline_kernelINS0_14default_configENS1_22reduce_config_selectorIiEEZNS1_11reduce_implILb1ES3_PiS7_iN6hipcub16HIPCUB_304000_NS6detail34convert_binary_result_type_wrapperINS9_3SumENS9_22TransformInputIteratorIbN2at6native12_GLOBAL__N_19NonZeroOpIhEEPKhlEEiEEEE10hipError_tPvRmT1_T2_T3_mT4_P12ihipStream_tbEUlT_E1_NS1_11comp_targetILNS1_3genE2ELNS1_11target_archE906ELNS1_3gpuE6ELNS1_3repE0EEENS1_30default_config_static_selectorELNS0_4arch9wavefront6targetE0EEEvSQ_: ; @_ZN7rocprim17ROCPRIM_400000_NS6detail17trampoline_kernelINS0_14default_configENS1_22reduce_config_selectorIiEEZNS1_11reduce_implILb1ES3_PiS7_iN6hipcub16HIPCUB_304000_NS6detail34convert_binary_result_type_wrapperINS9_3SumENS9_22TransformInputIteratorIbN2at6native12_GLOBAL__N_19NonZeroOpIhEEPKhlEEiEEEE10hipError_tPvRmT1_T2_T3_mT4_P12ihipStream_tbEUlT_E1_NS1_11comp_targetILNS1_3genE2ELNS1_11target_archE906ELNS1_3gpuE6ELNS1_3repE0EEENS1_30default_config_static_selectorELNS0_4arch9wavefront6targetE0EEEvSQ_
; %bb.0:
	.section	.rodata,"a",@progbits
	.p2align	6, 0x0
	.amdhsa_kernel _ZN7rocprim17ROCPRIM_400000_NS6detail17trampoline_kernelINS0_14default_configENS1_22reduce_config_selectorIiEEZNS1_11reduce_implILb1ES3_PiS7_iN6hipcub16HIPCUB_304000_NS6detail34convert_binary_result_type_wrapperINS9_3SumENS9_22TransformInputIteratorIbN2at6native12_GLOBAL__N_19NonZeroOpIhEEPKhlEEiEEEE10hipError_tPvRmT1_T2_T3_mT4_P12ihipStream_tbEUlT_E1_NS1_11comp_targetILNS1_3genE2ELNS1_11target_archE906ELNS1_3gpuE6ELNS1_3repE0EEENS1_30default_config_static_selectorELNS0_4arch9wavefront6targetE0EEEvSQ_
		.amdhsa_group_segment_fixed_size 0
		.amdhsa_private_segment_fixed_size 0
		.amdhsa_kernarg_size 40
		.amdhsa_user_sgpr_count 2
		.amdhsa_user_sgpr_dispatch_ptr 0
		.amdhsa_user_sgpr_queue_ptr 0
		.amdhsa_user_sgpr_kernarg_segment_ptr 1
		.amdhsa_user_sgpr_dispatch_id 0
		.amdhsa_user_sgpr_private_segment_size 0
		.amdhsa_wavefront_size32 1
		.amdhsa_uses_dynamic_stack 0
		.amdhsa_enable_private_segment 0
		.amdhsa_system_sgpr_workgroup_id_x 1
		.amdhsa_system_sgpr_workgroup_id_y 0
		.amdhsa_system_sgpr_workgroup_id_z 0
		.amdhsa_system_sgpr_workgroup_info 0
		.amdhsa_system_vgpr_workitem_id 0
		.amdhsa_next_free_vgpr 1
		.amdhsa_next_free_sgpr 1
		.amdhsa_reserve_vcc 0
		.amdhsa_float_round_mode_32 0
		.amdhsa_float_round_mode_16_64 0
		.amdhsa_float_denorm_mode_32 3
		.amdhsa_float_denorm_mode_16_64 3
		.amdhsa_fp16_overflow 0
		.amdhsa_workgroup_processor_mode 1
		.amdhsa_memory_ordered 1
		.amdhsa_forward_progress 1
		.amdhsa_inst_pref_size 0
		.amdhsa_round_robin_scheduling 0
		.amdhsa_exception_fp_ieee_invalid_op 0
		.amdhsa_exception_fp_denorm_src 0
		.amdhsa_exception_fp_ieee_div_zero 0
		.amdhsa_exception_fp_ieee_overflow 0
		.amdhsa_exception_fp_ieee_underflow 0
		.amdhsa_exception_fp_ieee_inexact 0
		.amdhsa_exception_int_div_zero 0
	.end_amdhsa_kernel
	.section	.text._ZN7rocprim17ROCPRIM_400000_NS6detail17trampoline_kernelINS0_14default_configENS1_22reduce_config_selectorIiEEZNS1_11reduce_implILb1ES3_PiS7_iN6hipcub16HIPCUB_304000_NS6detail34convert_binary_result_type_wrapperINS9_3SumENS9_22TransformInputIteratorIbN2at6native12_GLOBAL__N_19NonZeroOpIhEEPKhlEEiEEEE10hipError_tPvRmT1_T2_T3_mT4_P12ihipStream_tbEUlT_E1_NS1_11comp_targetILNS1_3genE2ELNS1_11target_archE906ELNS1_3gpuE6ELNS1_3repE0EEENS1_30default_config_static_selectorELNS0_4arch9wavefront6targetE0EEEvSQ_,"axG",@progbits,_ZN7rocprim17ROCPRIM_400000_NS6detail17trampoline_kernelINS0_14default_configENS1_22reduce_config_selectorIiEEZNS1_11reduce_implILb1ES3_PiS7_iN6hipcub16HIPCUB_304000_NS6detail34convert_binary_result_type_wrapperINS9_3SumENS9_22TransformInputIteratorIbN2at6native12_GLOBAL__N_19NonZeroOpIhEEPKhlEEiEEEE10hipError_tPvRmT1_T2_T3_mT4_P12ihipStream_tbEUlT_E1_NS1_11comp_targetILNS1_3genE2ELNS1_11target_archE906ELNS1_3gpuE6ELNS1_3repE0EEENS1_30default_config_static_selectorELNS0_4arch9wavefront6targetE0EEEvSQ_,comdat
.Lfunc_end14:
	.size	_ZN7rocprim17ROCPRIM_400000_NS6detail17trampoline_kernelINS0_14default_configENS1_22reduce_config_selectorIiEEZNS1_11reduce_implILb1ES3_PiS7_iN6hipcub16HIPCUB_304000_NS6detail34convert_binary_result_type_wrapperINS9_3SumENS9_22TransformInputIteratorIbN2at6native12_GLOBAL__N_19NonZeroOpIhEEPKhlEEiEEEE10hipError_tPvRmT1_T2_T3_mT4_P12ihipStream_tbEUlT_E1_NS1_11comp_targetILNS1_3genE2ELNS1_11target_archE906ELNS1_3gpuE6ELNS1_3repE0EEENS1_30default_config_static_selectorELNS0_4arch9wavefront6targetE0EEEvSQ_, .Lfunc_end14-_ZN7rocprim17ROCPRIM_400000_NS6detail17trampoline_kernelINS0_14default_configENS1_22reduce_config_selectorIiEEZNS1_11reduce_implILb1ES3_PiS7_iN6hipcub16HIPCUB_304000_NS6detail34convert_binary_result_type_wrapperINS9_3SumENS9_22TransformInputIteratorIbN2at6native12_GLOBAL__N_19NonZeroOpIhEEPKhlEEiEEEE10hipError_tPvRmT1_T2_T3_mT4_P12ihipStream_tbEUlT_E1_NS1_11comp_targetILNS1_3genE2ELNS1_11target_archE906ELNS1_3gpuE6ELNS1_3repE0EEENS1_30default_config_static_selectorELNS0_4arch9wavefront6targetE0EEEvSQ_
                                        ; -- End function
	.set _ZN7rocprim17ROCPRIM_400000_NS6detail17trampoline_kernelINS0_14default_configENS1_22reduce_config_selectorIiEEZNS1_11reduce_implILb1ES3_PiS7_iN6hipcub16HIPCUB_304000_NS6detail34convert_binary_result_type_wrapperINS9_3SumENS9_22TransformInputIteratorIbN2at6native12_GLOBAL__N_19NonZeroOpIhEEPKhlEEiEEEE10hipError_tPvRmT1_T2_T3_mT4_P12ihipStream_tbEUlT_E1_NS1_11comp_targetILNS1_3genE2ELNS1_11target_archE906ELNS1_3gpuE6ELNS1_3repE0EEENS1_30default_config_static_selectorELNS0_4arch9wavefront6targetE0EEEvSQ_.num_vgpr, 0
	.set _ZN7rocprim17ROCPRIM_400000_NS6detail17trampoline_kernelINS0_14default_configENS1_22reduce_config_selectorIiEEZNS1_11reduce_implILb1ES3_PiS7_iN6hipcub16HIPCUB_304000_NS6detail34convert_binary_result_type_wrapperINS9_3SumENS9_22TransformInputIteratorIbN2at6native12_GLOBAL__N_19NonZeroOpIhEEPKhlEEiEEEE10hipError_tPvRmT1_T2_T3_mT4_P12ihipStream_tbEUlT_E1_NS1_11comp_targetILNS1_3genE2ELNS1_11target_archE906ELNS1_3gpuE6ELNS1_3repE0EEENS1_30default_config_static_selectorELNS0_4arch9wavefront6targetE0EEEvSQ_.num_agpr, 0
	.set _ZN7rocprim17ROCPRIM_400000_NS6detail17trampoline_kernelINS0_14default_configENS1_22reduce_config_selectorIiEEZNS1_11reduce_implILb1ES3_PiS7_iN6hipcub16HIPCUB_304000_NS6detail34convert_binary_result_type_wrapperINS9_3SumENS9_22TransformInputIteratorIbN2at6native12_GLOBAL__N_19NonZeroOpIhEEPKhlEEiEEEE10hipError_tPvRmT1_T2_T3_mT4_P12ihipStream_tbEUlT_E1_NS1_11comp_targetILNS1_3genE2ELNS1_11target_archE906ELNS1_3gpuE6ELNS1_3repE0EEENS1_30default_config_static_selectorELNS0_4arch9wavefront6targetE0EEEvSQ_.numbered_sgpr, 0
	.set _ZN7rocprim17ROCPRIM_400000_NS6detail17trampoline_kernelINS0_14default_configENS1_22reduce_config_selectorIiEEZNS1_11reduce_implILb1ES3_PiS7_iN6hipcub16HIPCUB_304000_NS6detail34convert_binary_result_type_wrapperINS9_3SumENS9_22TransformInputIteratorIbN2at6native12_GLOBAL__N_19NonZeroOpIhEEPKhlEEiEEEE10hipError_tPvRmT1_T2_T3_mT4_P12ihipStream_tbEUlT_E1_NS1_11comp_targetILNS1_3genE2ELNS1_11target_archE906ELNS1_3gpuE6ELNS1_3repE0EEENS1_30default_config_static_selectorELNS0_4arch9wavefront6targetE0EEEvSQ_.num_named_barrier, 0
	.set _ZN7rocprim17ROCPRIM_400000_NS6detail17trampoline_kernelINS0_14default_configENS1_22reduce_config_selectorIiEEZNS1_11reduce_implILb1ES3_PiS7_iN6hipcub16HIPCUB_304000_NS6detail34convert_binary_result_type_wrapperINS9_3SumENS9_22TransformInputIteratorIbN2at6native12_GLOBAL__N_19NonZeroOpIhEEPKhlEEiEEEE10hipError_tPvRmT1_T2_T3_mT4_P12ihipStream_tbEUlT_E1_NS1_11comp_targetILNS1_3genE2ELNS1_11target_archE906ELNS1_3gpuE6ELNS1_3repE0EEENS1_30default_config_static_selectorELNS0_4arch9wavefront6targetE0EEEvSQ_.private_seg_size, 0
	.set _ZN7rocprim17ROCPRIM_400000_NS6detail17trampoline_kernelINS0_14default_configENS1_22reduce_config_selectorIiEEZNS1_11reduce_implILb1ES3_PiS7_iN6hipcub16HIPCUB_304000_NS6detail34convert_binary_result_type_wrapperINS9_3SumENS9_22TransformInputIteratorIbN2at6native12_GLOBAL__N_19NonZeroOpIhEEPKhlEEiEEEE10hipError_tPvRmT1_T2_T3_mT4_P12ihipStream_tbEUlT_E1_NS1_11comp_targetILNS1_3genE2ELNS1_11target_archE906ELNS1_3gpuE6ELNS1_3repE0EEENS1_30default_config_static_selectorELNS0_4arch9wavefront6targetE0EEEvSQ_.uses_vcc, 0
	.set _ZN7rocprim17ROCPRIM_400000_NS6detail17trampoline_kernelINS0_14default_configENS1_22reduce_config_selectorIiEEZNS1_11reduce_implILb1ES3_PiS7_iN6hipcub16HIPCUB_304000_NS6detail34convert_binary_result_type_wrapperINS9_3SumENS9_22TransformInputIteratorIbN2at6native12_GLOBAL__N_19NonZeroOpIhEEPKhlEEiEEEE10hipError_tPvRmT1_T2_T3_mT4_P12ihipStream_tbEUlT_E1_NS1_11comp_targetILNS1_3genE2ELNS1_11target_archE906ELNS1_3gpuE6ELNS1_3repE0EEENS1_30default_config_static_selectorELNS0_4arch9wavefront6targetE0EEEvSQ_.uses_flat_scratch, 0
	.set _ZN7rocprim17ROCPRIM_400000_NS6detail17trampoline_kernelINS0_14default_configENS1_22reduce_config_selectorIiEEZNS1_11reduce_implILb1ES3_PiS7_iN6hipcub16HIPCUB_304000_NS6detail34convert_binary_result_type_wrapperINS9_3SumENS9_22TransformInputIteratorIbN2at6native12_GLOBAL__N_19NonZeroOpIhEEPKhlEEiEEEE10hipError_tPvRmT1_T2_T3_mT4_P12ihipStream_tbEUlT_E1_NS1_11comp_targetILNS1_3genE2ELNS1_11target_archE906ELNS1_3gpuE6ELNS1_3repE0EEENS1_30default_config_static_selectorELNS0_4arch9wavefront6targetE0EEEvSQ_.has_dyn_sized_stack, 0
	.set _ZN7rocprim17ROCPRIM_400000_NS6detail17trampoline_kernelINS0_14default_configENS1_22reduce_config_selectorIiEEZNS1_11reduce_implILb1ES3_PiS7_iN6hipcub16HIPCUB_304000_NS6detail34convert_binary_result_type_wrapperINS9_3SumENS9_22TransformInputIteratorIbN2at6native12_GLOBAL__N_19NonZeroOpIhEEPKhlEEiEEEE10hipError_tPvRmT1_T2_T3_mT4_P12ihipStream_tbEUlT_E1_NS1_11comp_targetILNS1_3genE2ELNS1_11target_archE906ELNS1_3gpuE6ELNS1_3repE0EEENS1_30default_config_static_selectorELNS0_4arch9wavefront6targetE0EEEvSQ_.has_recursion, 0
	.set _ZN7rocprim17ROCPRIM_400000_NS6detail17trampoline_kernelINS0_14default_configENS1_22reduce_config_selectorIiEEZNS1_11reduce_implILb1ES3_PiS7_iN6hipcub16HIPCUB_304000_NS6detail34convert_binary_result_type_wrapperINS9_3SumENS9_22TransformInputIteratorIbN2at6native12_GLOBAL__N_19NonZeroOpIhEEPKhlEEiEEEE10hipError_tPvRmT1_T2_T3_mT4_P12ihipStream_tbEUlT_E1_NS1_11comp_targetILNS1_3genE2ELNS1_11target_archE906ELNS1_3gpuE6ELNS1_3repE0EEENS1_30default_config_static_selectorELNS0_4arch9wavefront6targetE0EEEvSQ_.has_indirect_call, 0
	.section	.AMDGPU.csdata,"",@progbits
; Kernel info:
; codeLenInByte = 0
; TotalNumSgprs: 0
; NumVgprs: 0
; ScratchSize: 0
; MemoryBound: 0
; FloatMode: 240
; IeeeMode: 1
; LDSByteSize: 0 bytes/workgroup (compile time only)
; SGPRBlocks: 0
; VGPRBlocks: 0
; NumSGPRsForWavesPerEU: 1
; NumVGPRsForWavesPerEU: 1
; Occupancy: 16
; WaveLimiterHint : 0
; COMPUTE_PGM_RSRC2:SCRATCH_EN: 0
; COMPUTE_PGM_RSRC2:USER_SGPR: 2
; COMPUTE_PGM_RSRC2:TRAP_HANDLER: 0
; COMPUTE_PGM_RSRC2:TGID_X_EN: 1
; COMPUTE_PGM_RSRC2:TGID_Y_EN: 0
; COMPUTE_PGM_RSRC2:TGID_Z_EN: 0
; COMPUTE_PGM_RSRC2:TIDIG_COMP_CNT: 0
	.section	.text._ZN7rocprim17ROCPRIM_400000_NS6detail17trampoline_kernelINS0_14default_configENS1_22reduce_config_selectorIiEEZNS1_11reduce_implILb1ES3_PiS7_iN6hipcub16HIPCUB_304000_NS6detail34convert_binary_result_type_wrapperINS9_3SumENS9_22TransformInputIteratorIbN2at6native12_GLOBAL__N_19NonZeroOpIhEEPKhlEEiEEEE10hipError_tPvRmT1_T2_T3_mT4_P12ihipStream_tbEUlT_E1_NS1_11comp_targetILNS1_3genE10ELNS1_11target_archE1201ELNS1_3gpuE5ELNS1_3repE0EEENS1_30default_config_static_selectorELNS0_4arch9wavefront6targetE0EEEvSQ_,"axG",@progbits,_ZN7rocprim17ROCPRIM_400000_NS6detail17trampoline_kernelINS0_14default_configENS1_22reduce_config_selectorIiEEZNS1_11reduce_implILb1ES3_PiS7_iN6hipcub16HIPCUB_304000_NS6detail34convert_binary_result_type_wrapperINS9_3SumENS9_22TransformInputIteratorIbN2at6native12_GLOBAL__N_19NonZeroOpIhEEPKhlEEiEEEE10hipError_tPvRmT1_T2_T3_mT4_P12ihipStream_tbEUlT_E1_NS1_11comp_targetILNS1_3genE10ELNS1_11target_archE1201ELNS1_3gpuE5ELNS1_3repE0EEENS1_30default_config_static_selectorELNS0_4arch9wavefront6targetE0EEEvSQ_,comdat
	.globl	_ZN7rocprim17ROCPRIM_400000_NS6detail17trampoline_kernelINS0_14default_configENS1_22reduce_config_selectorIiEEZNS1_11reduce_implILb1ES3_PiS7_iN6hipcub16HIPCUB_304000_NS6detail34convert_binary_result_type_wrapperINS9_3SumENS9_22TransformInputIteratorIbN2at6native12_GLOBAL__N_19NonZeroOpIhEEPKhlEEiEEEE10hipError_tPvRmT1_T2_T3_mT4_P12ihipStream_tbEUlT_E1_NS1_11comp_targetILNS1_3genE10ELNS1_11target_archE1201ELNS1_3gpuE5ELNS1_3repE0EEENS1_30default_config_static_selectorELNS0_4arch9wavefront6targetE0EEEvSQ_ ; -- Begin function _ZN7rocprim17ROCPRIM_400000_NS6detail17trampoline_kernelINS0_14default_configENS1_22reduce_config_selectorIiEEZNS1_11reduce_implILb1ES3_PiS7_iN6hipcub16HIPCUB_304000_NS6detail34convert_binary_result_type_wrapperINS9_3SumENS9_22TransformInputIteratorIbN2at6native12_GLOBAL__N_19NonZeroOpIhEEPKhlEEiEEEE10hipError_tPvRmT1_T2_T3_mT4_P12ihipStream_tbEUlT_E1_NS1_11comp_targetILNS1_3genE10ELNS1_11target_archE1201ELNS1_3gpuE5ELNS1_3repE0EEENS1_30default_config_static_selectorELNS0_4arch9wavefront6targetE0EEEvSQ_
	.p2align	8
	.type	_ZN7rocprim17ROCPRIM_400000_NS6detail17trampoline_kernelINS0_14default_configENS1_22reduce_config_selectorIiEEZNS1_11reduce_implILb1ES3_PiS7_iN6hipcub16HIPCUB_304000_NS6detail34convert_binary_result_type_wrapperINS9_3SumENS9_22TransformInputIteratorIbN2at6native12_GLOBAL__N_19NonZeroOpIhEEPKhlEEiEEEE10hipError_tPvRmT1_T2_T3_mT4_P12ihipStream_tbEUlT_E1_NS1_11comp_targetILNS1_3genE10ELNS1_11target_archE1201ELNS1_3gpuE5ELNS1_3repE0EEENS1_30default_config_static_selectorELNS0_4arch9wavefront6targetE0EEEvSQ_,@function
_ZN7rocprim17ROCPRIM_400000_NS6detail17trampoline_kernelINS0_14default_configENS1_22reduce_config_selectorIiEEZNS1_11reduce_implILb1ES3_PiS7_iN6hipcub16HIPCUB_304000_NS6detail34convert_binary_result_type_wrapperINS9_3SumENS9_22TransformInputIteratorIbN2at6native12_GLOBAL__N_19NonZeroOpIhEEPKhlEEiEEEE10hipError_tPvRmT1_T2_T3_mT4_P12ihipStream_tbEUlT_E1_NS1_11comp_targetILNS1_3genE10ELNS1_11target_archE1201ELNS1_3gpuE5ELNS1_3repE0EEENS1_30default_config_static_selectorELNS0_4arch9wavefront6targetE0EEEvSQ_: ; @_ZN7rocprim17ROCPRIM_400000_NS6detail17trampoline_kernelINS0_14default_configENS1_22reduce_config_selectorIiEEZNS1_11reduce_implILb1ES3_PiS7_iN6hipcub16HIPCUB_304000_NS6detail34convert_binary_result_type_wrapperINS9_3SumENS9_22TransformInputIteratorIbN2at6native12_GLOBAL__N_19NonZeroOpIhEEPKhlEEiEEEE10hipError_tPvRmT1_T2_T3_mT4_P12ihipStream_tbEUlT_E1_NS1_11comp_targetILNS1_3genE10ELNS1_11target_archE1201ELNS1_3gpuE5ELNS1_3repE0EEENS1_30default_config_static_selectorELNS0_4arch9wavefront6targetE0EEEvSQ_
; %bb.0:
	s_clause 0x1
	s_load_b32 s33, s[0:1], 0x4
	s_load_b128 s[36:39], s[0:1], 0x8
	s_mov_b32 s34, ttmp9
	s_wait_kmcnt 0x0
	s_cmp_lt_i32 s33, 8
	s_cbranch_scc1 .LBB15_11
; %bb.1:
	s_cmp_gt_i32 s33, 15
	s_cbranch_scc0 .LBB15_12
; %bb.2:
	s_cmp_gt_i32 s33, 31
	s_cbranch_scc0 .LBB15_13
; %bb.3:
	s_cmp_eq_u32 s33, 32
	s_mov_b32 s42, 0
	s_cbranch_scc0 .LBB15_14
; %bb.4:
	s_mov_b32 s35, 0
	s_lshl_b32 s2, s34, 13
	s_mov_b32 s3, s35
	s_lshr_b64 s[4:5], s[38:39], 13
	s_lshl_b64 s[6:7], s[2:3], 2
	s_cmp_lg_u64 s[4:5], s[34:35]
	s_add_nc_u64 s[40:41], s[36:37], s[6:7]
	s_cbranch_scc0 .LBB15_23
; %bb.5:
	v_lshlrev_b32_e32 v1, 2, v0
	s_mov_b32 s3, exec_lo
	s_clause 0x1f
	global_load_b32 v2, v1, s[40:41]
	global_load_b32 v3, v1, s[40:41] offset:1024
	global_load_b32 v4, v1, s[40:41] offset:2048
	;; [unrolled: 1-line block ×31, first 2 shown]
	s_wait_loadcnt 0x1e
	v_add_nc_u32_e32 v2, v3, v2
	s_wait_loadcnt 0x1c
	s_delay_alu instid0(VALU_DEP_1) | instskip(SKIP_1) | instid1(VALU_DEP_1)
	v_add3_u32 v2, v2, v4, v5
	s_wait_loadcnt 0x1a
	v_add3_u32 v2, v2, v6, v7
	s_wait_loadcnt 0x18
	s_delay_alu instid0(VALU_DEP_1) | instskip(SKIP_1) | instid1(VALU_DEP_1)
	v_add3_u32 v2, v2, v8, v9
	s_wait_loadcnt 0x16
	v_add3_u32 v2, v2, v10, v11
	;; [unrolled: 5-line block ×7, first 2 shown]
	s_wait_loadcnt 0x0
	s_delay_alu instid0(VALU_DEP_1) | instskip(NEXT) | instid1(VALU_DEP_1)
	v_add3_u32 v1, v2, v32, v1
	v_mov_b32_dpp v2, v1 quad_perm:[1,0,3,2] row_mask:0xf bank_mask:0xf
	s_delay_alu instid0(VALU_DEP_1) | instskip(NEXT) | instid1(VALU_DEP_1)
	v_add_nc_u32_e32 v1, v2, v1
	v_mov_b32_dpp v2, v1 quad_perm:[2,3,0,1] row_mask:0xf bank_mask:0xf
	s_delay_alu instid0(VALU_DEP_1) | instskip(NEXT) | instid1(VALU_DEP_1)
	v_add_nc_u32_e32 v1, v1, v2
	v_mov_b32_dpp v2, v1 row_ror:4 row_mask:0xf bank_mask:0xf
	s_delay_alu instid0(VALU_DEP_1) | instskip(NEXT) | instid1(VALU_DEP_1)
	v_add_nc_u32_e32 v1, v1, v2
	v_mov_b32_dpp v2, v1 row_ror:8 row_mask:0xf bank_mask:0xf
	s_delay_alu instid0(VALU_DEP_1)
	v_add_nc_u32_e32 v1, v1, v2
	ds_swizzle_b32 v2, v1 offset:swizzle(BROADCAST,32,15)
	s_wait_dscnt 0x0
	v_dual_mov_b32 v2, 0 :: v_dual_add_nc_u32 v1, v1, v2
	ds_bpermute_b32 v1, v2, v1 offset:124
	v_mbcnt_lo_u32_b32 v2, -1, 0
	s_delay_alu instid0(VALU_DEP_1)
	v_cmpx_eq_u32_e32 0, v2
	s_cbranch_execz .LBB15_7
; %bb.6:
	v_lshrrev_b32_e32 v3, 3, v0
	s_delay_alu instid0(VALU_DEP_1)
	v_and_b32_e32 v3, 28, v3
	s_wait_dscnt 0x0
	ds_store_b32 v3, v1 offset:96
.LBB15_7:
	s_or_b32 exec_lo, exec_lo, s3
	s_delay_alu instid0(SALU_CYCLE_1)
	s_mov_b32 s3, exec_lo
	s_wait_dscnt 0x0
	s_barrier_signal -1
	s_barrier_wait -1
	global_inv scope:SCOPE_SE
	v_cmpx_gt_u32_e32 32, v0
	s_cbranch_execz .LBB15_9
; %bb.8:
	v_lshl_or_b32 v1, v2, 2, 0x60
	v_and_b32_e32 v3, 7, v2
	ds_load_b32 v1, v1
	v_cmp_ne_u32_e32 vcc_lo, 7, v3
	v_add_co_ci_u32_e64 v4, null, 0, v2, vcc_lo
	v_cmp_gt_u32_e32 vcc_lo, 6, v3
	s_delay_alu instid0(VALU_DEP_2) | instskip(SKIP_2) | instid1(VALU_DEP_1)
	v_lshlrev_b32_e32 v4, 2, v4
	s_wait_alu 0xfffd
	v_cndmask_b32_e64 v3, 0, 2, vcc_lo
	v_add_lshl_u32 v3, v3, v2, 2
	v_lshlrev_b32_e32 v2, 2, v2
	s_wait_dscnt 0x0
	ds_bpermute_b32 v4, v4, v1
	v_or_b32_e32 v2, 16, v2
	s_wait_dscnt 0x0
	v_add_nc_u32_e32 v1, v4, v1
	ds_bpermute_b32 v3, v3, v1
	s_wait_dscnt 0x0
	v_add_nc_u32_e32 v1, v3, v1
	ds_bpermute_b32 v2, v2, v1
	s_wait_dscnt 0x0
	v_add_nc_u32_e32 v1, v2, v1
.LBB15_9:
	s_or_b32 exec_lo, exec_lo, s3
.LBB15_10:
	v_cmp_eq_u32_e64 s2, 0, v0
	s_and_b32 vcc_lo, exec_lo, s42
	s_wait_alu 0xfffe
	s_cbranch_vccnz .LBB15_15
	s_branch .LBB15_93
.LBB15_11:
	s_mov_b32 s2, 0
                                        ; implicit-def: $vgpr1
	s_cbranch_execnz .LBB15_166
	s_branch .LBB15_224
.LBB15_12:
	s_mov_b32 s2, 0
                                        ; implicit-def: $vgpr1
	s_cbranch_execnz .LBB15_134
	s_branch .LBB15_142
.LBB15_13:
	s_mov_b32 s42, -1
.LBB15_14:
	s_mov_b32 s2, 0
                                        ; implicit-def: $vgpr1
	s_and_b32 vcc_lo, exec_lo, s42
	s_cbranch_vccz .LBB15_93
.LBB15_15:
	s_cmp_eq_u32 s33, 16
	s_cbranch_scc0 .LBB15_22
; %bb.16:
	s_mov_b32 s35, 0
	s_lshl_b32 s2, s34, 12
	s_mov_b32 s3, s35
	s_lshr_b64 s[4:5], s[38:39], 12
	s_wait_alu 0xfffe
	s_lshl_b64 s[6:7], s[2:3], 2
	s_cmp_lg_u64 s[4:5], s[34:35]
	s_wait_alu 0xfffe
	s_add_nc_u64 s[16:17], s[36:37], s[6:7]
	s_cbranch_scc0 .LBB15_94
; %bb.17:
	v_lshlrev_b32_e32 v1, 2, v0
	s_mov_b32 s3, exec_lo
	s_clause 0xf
	global_load_b32 v2, v1, s[16:17]
	global_load_b32 v3, v1, s[16:17] offset:1024
	global_load_b32 v4, v1, s[16:17] offset:2048
	;; [unrolled: 1-line block ×15, first 2 shown]
	s_wait_loadcnt 0xe
	v_add_nc_u32_e32 v2, v3, v2
	s_wait_loadcnt 0xc
	s_delay_alu instid0(VALU_DEP_1) | instskip(SKIP_1) | instid1(VALU_DEP_1)
	v_add3_u32 v2, v2, v4, v5
	s_wait_loadcnt 0xa
	v_add3_u32 v2, v2, v6, v7
	s_wait_loadcnt 0x8
	s_delay_alu instid0(VALU_DEP_1) | instskip(SKIP_1) | instid1(VALU_DEP_1)
	v_add3_u32 v2, v2, v8, v9
	s_wait_loadcnt 0x6
	v_add3_u32 v2, v2, v10, v11
	;; [unrolled: 5-line block ×3, first 2 shown]
	s_wait_loadcnt 0x0
	s_delay_alu instid0(VALU_DEP_1) | instskip(NEXT) | instid1(VALU_DEP_1)
	v_add3_u32 v1, v2, v16, v1
	v_mov_b32_dpp v2, v1 quad_perm:[1,0,3,2] row_mask:0xf bank_mask:0xf
	s_delay_alu instid0(VALU_DEP_1) | instskip(NEXT) | instid1(VALU_DEP_1)
	v_add_nc_u32_e32 v1, v2, v1
	v_mov_b32_dpp v2, v1 quad_perm:[2,3,0,1] row_mask:0xf bank_mask:0xf
	s_delay_alu instid0(VALU_DEP_1) | instskip(NEXT) | instid1(VALU_DEP_1)
	v_add_nc_u32_e32 v1, v1, v2
	v_mov_b32_dpp v2, v1 row_ror:4 row_mask:0xf bank_mask:0xf
	s_delay_alu instid0(VALU_DEP_1) | instskip(NEXT) | instid1(VALU_DEP_1)
	v_add_nc_u32_e32 v1, v1, v2
	v_mov_b32_dpp v2, v1 row_ror:8 row_mask:0xf bank_mask:0xf
	s_delay_alu instid0(VALU_DEP_1)
	v_add_nc_u32_e32 v1, v1, v2
	ds_swizzle_b32 v2, v1 offset:swizzle(BROADCAST,32,15)
	s_wait_dscnt 0x0
	v_dual_mov_b32 v2, 0 :: v_dual_add_nc_u32 v1, v1, v2
	ds_bpermute_b32 v1, v2, v1 offset:124
	v_mbcnt_lo_u32_b32 v2, -1, 0
	s_delay_alu instid0(VALU_DEP_1)
	v_cmpx_eq_u32_e32 0, v2
	s_cbranch_execz .LBB15_19
; %bb.18:
	v_lshrrev_b32_e32 v3, 3, v0
	s_delay_alu instid0(VALU_DEP_1)
	v_and_b32_e32 v3, 28, v3
	s_wait_dscnt 0x0
	ds_store_b32 v3, v1
.LBB15_19:
	s_wait_alu 0xfffe
	s_or_b32 exec_lo, exec_lo, s3
	s_delay_alu instid0(SALU_CYCLE_1)
	s_mov_b32 s3, exec_lo
	s_wait_dscnt 0x0
	s_barrier_signal -1
	s_barrier_wait -1
	global_inv scope:SCOPE_SE
	v_cmpx_gt_u32_e32 32, v0
	s_cbranch_execz .LBB15_21
; %bb.20:
	v_and_b32_e32 v1, 7, v2
	s_delay_alu instid0(VALU_DEP_1)
	v_lshlrev_b32_e32 v3, 2, v1
	v_cmp_ne_u32_e32 vcc_lo, 7, v1
	ds_load_b32 v3, v3
	s_wait_alu 0xfffd
	v_add_co_ci_u32_e64 v4, null, 0, v2, vcc_lo
	v_cmp_gt_u32_e32 vcc_lo, 6, v1
	s_delay_alu instid0(VALU_DEP_2) | instskip(SKIP_2) | instid1(VALU_DEP_1)
	v_lshlrev_b32_e32 v4, 2, v4
	s_wait_alu 0xfffd
	v_cndmask_b32_e64 v1, 0, 2, vcc_lo
	v_add_lshl_u32 v1, v1, v2, 2
	v_lshlrev_b32_e32 v2, 2, v2
	s_delay_alu instid0(VALU_DEP_1)
	v_or_b32_e32 v2, 16, v2
	s_wait_dscnt 0x0
	ds_bpermute_b32 v4, v4, v3
	s_wait_dscnt 0x0
	v_add_nc_u32_e32 v3, v4, v3
	ds_bpermute_b32 v1, v1, v3
	s_wait_dscnt 0x0
	v_add_nc_u32_e32 v1, v1, v3
	;; [unrolled: 3-line block ×3, first 2 shown]
.LBB15_21:
	s_wait_alu 0xfffe
	s_or_b32 exec_lo, exec_lo, s3
	s_mov_b32 s3, 0
	s_branch .LBB15_95
.LBB15_22:
                                        ; implicit-def: $vgpr1
	s_branch .LBB15_142
.LBB15_23:
                                        ; implicit-def: $vgpr1
	s_cbranch_execz .LBB15_10
; %bb.24:
	v_mov_b32_e32 v1, 0
	s_sub_co_i32 s43, s38, s2
	s_delay_alu instid0(SALU_CYCLE_1) | instskip(NEXT) | instid1(VALU_DEP_2)
	v_cmp_gt_u32_e32 vcc_lo, s43, v0
	v_dual_mov_b32 v2, v1 :: v_dual_mov_b32 v3, v1
	v_dual_mov_b32 v4, v1 :: v_dual_mov_b32 v5, v1
	;; [unrolled: 1-line block ×15, first 2 shown]
	v_mov_b32_e32 v32, v1
	s_and_saveexec_b32 s2, vcc_lo
	s_cbranch_execz .LBB15_26
; %bb.25:
	v_dual_mov_b32 v3, v1 :: v_dual_lshlrev_b32 v2, 2, v0
	v_dual_mov_b32 v32, v1 :: v_dual_mov_b32 v33, v1
	v_dual_mov_b32 v4, v1 :: v_dual_mov_b32 v5, v1
	global_load_b32 v2, v2, s[40:41]
	v_dual_mov_b32 v6, v1 :: v_dual_mov_b32 v7, v1
	v_dual_mov_b32 v8, v1 :: v_dual_mov_b32 v9, v1
	;; [unrolled: 1-line block ×13, first 2 shown]
	s_wait_loadcnt 0x0
	v_mov_b32_e32 v1, v2
	v_mov_b32_e32 v2, v3
	;; [unrolled: 1-line block ×32, first 2 shown]
.LBB15_26:
	s_or_b32 exec_lo, exec_lo, s2
	v_or_b32_e32 v33, 0x100, v0
	s_delay_alu instid0(VALU_DEP_1)
	v_cmp_gt_u32_e32 vcc_lo, s43, v33
	s_and_saveexec_b32 s2, vcc_lo
	s_cbranch_execz .LBB15_28
; %bb.27:
	v_lshlrev_b32_e32 v2, 2, v0
	global_load_b32 v2, v2, s[40:41] offset:1024
.LBB15_28:
	s_or_b32 exec_lo, exec_lo, s2
	v_or_b32_e32 v33, 0x200, v0
	s_delay_alu instid0(VALU_DEP_1)
	v_cmp_gt_u32_e64 s2, s43, v33
	s_and_saveexec_b32 s3, s2
	s_cbranch_execz .LBB15_30
; %bb.29:
	v_lshlrev_b32_e32 v3, 2, v0
	global_load_b32 v3, v3, s[40:41] offset:2048
.LBB15_30:
	s_or_b32 exec_lo, exec_lo, s3
	v_or_b32_e32 v33, 0x300, v0
	s_delay_alu instid0(VALU_DEP_1)
	v_cmp_gt_u32_e64 s3, s43, v33
	s_and_saveexec_b32 s4, s3
	;; [unrolled: 10-line block ×30, first 2 shown]
	s_cbranch_execz .LBB15_88
; %bb.87:
	v_lshlrev_b32_e32 v32, 2, v0
	global_load_b32 v32, v32, s[40:41] offset:31744
.LBB15_88:
	s_or_b32 exec_lo, exec_lo, s44
	s_wait_loadcnt 0x0
	v_cndmask_b32_e32 v2, 0, v2, vcc_lo
	v_cndmask_b32_e64 v3, 0, v3, s2
	v_cndmask_b32_e64 v4, 0, v4, s3
	s_min_u32 s2, s43, 0x100
	s_mov_b32 s3, exec_lo
	v_add_nc_u32_e32 v1, v2, v1
	v_cndmask_b32_e64 v2, 0, v5, s4
	v_cndmask_b32_e64 v5, 0, v6, s5
	;; [unrolled: 1-line block ×3, first 2 shown]
	s_delay_alu instid0(VALU_DEP_4) | instskip(SKIP_3) | instid1(VALU_DEP_4)
	v_add3_u32 v1, v1, v3, v4
	v_cndmask_b32_e64 v3, 0, v7, s6
	v_cndmask_b32_e64 v4, 0, v8, s7
	;; [unrolled: 1-line block ×3, first 2 shown]
	v_add3_u32 v1, v1, v2, v5
	v_cndmask_b32_e64 v2, 0, v9, s8
	v_cndmask_b32_e64 v5, 0, v10, s9
	s_delay_alu instid0(VALU_DEP_3) | instskip(SKIP_2) | instid1(VALU_DEP_3)
	v_add3_u32 v1, v1, v3, v4
	v_cndmask_b32_e64 v3, 0, v11, s10
	v_cndmask_b32_e64 v4, 0, v12, s11
	v_add3_u32 v1, v1, v2, v5
	v_cndmask_b32_e64 v2, 0, v13, s12
	v_cndmask_b32_e64 v5, 0, v14, s13
	s_delay_alu instid0(VALU_DEP_3) | instskip(SKIP_2) | instid1(VALU_DEP_3)
	v_add3_u32 v1, v1, v3, v4
	v_cndmask_b32_e64 v3, 0, v15, s14
	v_cndmask_b32_e64 v4, 0, v16, s15
	v_add3_u32 v1, v1, v2, v5
	v_cndmask_b32_e64 v2, 0, v17, s16
	v_cndmask_b32_e64 v5, 0, v18, s17
	s_delay_alu instid0(VALU_DEP_3) | instskip(SKIP_2) | instid1(VALU_DEP_3)
	v_add3_u32 v1, v1, v3, v4
	v_cndmask_b32_e64 v3, 0, v19, s18
	v_cndmask_b32_e64 v4, 0, v20, s19
	v_add3_u32 v1, v1, v2, v5
	v_cndmask_b32_e64 v2, 0, v21, s20
	v_cndmask_b32_e64 v5, 0, v22, s21
	s_delay_alu instid0(VALU_DEP_3) | instskip(SKIP_2) | instid1(VALU_DEP_3)
	v_add3_u32 v1, v1, v3, v4
	v_cndmask_b32_e64 v3, 0, v23, s22
	v_cndmask_b32_e64 v4, 0, v24, s23
	v_add3_u32 v1, v1, v2, v5
	v_cndmask_b32_e64 v2, 0, v25, s24
	v_cndmask_b32_e64 v5, 0, v26, s25
	s_delay_alu instid0(VALU_DEP_3) | instskip(SKIP_2) | instid1(VALU_DEP_3)
	v_add3_u32 v1, v1, v3, v4
	v_cndmask_b32_e64 v3, 0, v27, s26
	v_cndmask_b32_e64 v4, 0, v28, s27
	v_add3_u32 v1, v1, v2, v5
	v_mbcnt_lo_u32_b32 v2, -1, 0
	v_cndmask_b32_e64 v5, 0, v29, s28
	s_delay_alu instid0(VALU_DEP_3) | instskip(NEXT) | instid1(VALU_DEP_3)
	v_add3_u32 v1, v1, v3, v4
	v_cmp_ne_u32_e32 vcc_lo, 31, v2
	v_cndmask_b32_e64 v3, 0, v32, s31
	s_delay_alu instid0(VALU_DEP_3)
	v_add3_u32 v1, v1, v5, v6
	s_wait_alu 0xfffd
	v_add_co_ci_u32_e64 v4, null, 0, v2, vcc_lo
	v_add_nc_u32_e32 v5, 1, v2
	v_cmp_gt_u32_e32 vcc_lo, 30, v2
	v_add3_u32 v1, v1, v7, v3
	s_delay_alu instid0(VALU_DEP_4)
	v_lshlrev_b32_e32 v4, 2, v4
	s_wait_alu 0xfffd
	v_cndmask_b32_e64 v6, 0, 2, vcc_lo
	ds_bpermute_b32 v3, v4, v1
	v_and_b32_e32 v4, 0xe0, v0
	s_wait_alu 0xfffe
	s_delay_alu instid0(VALU_DEP_1) | instskip(NEXT) | instid1(VALU_DEP_1)
	v_sub_nc_u32_e64 v4, s2, v4 clamp
	v_cmp_lt_u32_e32 vcc_lo, v5, v4
	v_add_lshl_u32 v5, v6, v2, 2
	s_wait_dscnt 0x0
	s_wait_alu 0xfffd
	v_cndmask_b32_e32 v3, 0, v3, vcc_lo
	v_cmp_gt_u32_e32 vcc_lo, 28, v2
	s_delay_alu instid0(VALU_DEP_2) | instskip(SKIP_4) | instid1(VALU_DEP_1)
	v_add_nc_u32_e32 v1, v1, v3
	s_wait_alu 0xfffd
	v_cndmask_b32_e64 v6, 0, 4, vcc_lo
	ds_bpermute_b32 v3, v5, v1
	v_add_nc_u32_e32 v5, 2, v2
	v_cmp_lt_u32_e32 vcc_lo, v5, v4
	v_add_lshl_u32 v5, v6, v2, 2
	s_wait_dscnt 0x0
	s_wait_alu 0xfffd
	v_cndmask_b32_e32 v3, 0, v3, vcc_lo
	v_cmp_gt_u32_e32 vcc_lo, 24, v2
	s_delay_alu instid0(VALU_DEP_2) | instskip(SKIP_4) | instid1(VALU_DEP_1)
	v_add_nc_u32_e32 v1, v1, v3
	s_wait_alu 0xfffd
	v_cndmask_b32_e64 v6, 0, 8, vcc_lo
	ds_bpermute_b32 v3, v5, v1
	v_add_nc_u32_e32 v5, 4, v2
	v_cmp_lt_u32_e32 vcc_lo, v5, v4
	v_add_lshl_u32 v5, v6, v2, 2
	s_wait_dscnt 0x0
	s_wait_alu 0xfffd
	v_cndmask_b32_e32 v3, 0, v3, vcc_lo
	s_delay_alu instid0(VALU_DEP_1) | instskip(SKIP_3) | instid1(VALU_DEP_1)
	v_add_nc_u32_e32 v1, v1, v3
	v_lshlrev_b32_e32 v3, 2, v2
	ds_bpermute_b32 v5, v5, v1
	v_add_nc_u32_e32 v6, 8, v2
	v_cmp_lt_u32_e32 vcc_lo, v6, v4
	v_or_b32_e32 v6, 64, v3
	s_wait_dscnt 0x0
	s_wait_alu 0xfffd
	v_cndmask_b32_e32 v5, 0, v5, vcc_lo
	s_delay_alu instid0(VALU_DEP_1) | instskip(SKIP_2) | instid1(VALU_DEP_1)
	v_add_nc_u32_e32 v1, v1, v5
	ds_bpermute_b32 v5, v6, v1
	v_add_nc_u32_e32 v6, 16, v2
	v_cmp_lt_u32_e32 vcc_lo, v6, v4
	s_wait_dscnt 0x0
	s_wait_alu 0xfffd
	v_cndmask_b32_e32 v4, 0, v5, vcc_lo
	s_delay_alu instid0(VALU_DEP_1)
	v_add_nc_u32_e32 v1, v1, v4
	v_cmpx_eq_u32_e32 0, v2
; %bb.89:
	v_lshrrev_b32_e32 v4, 3, v0
	s_delay_alu instid0(VALU_DEP_1)
	v_and_b32_e32 v4, 28, v4
	ds_store_b32 v4, v1 offset:192
; %bb.90:
	s_or_b32 exec_lo, exec_lo, s3
	s_delay_alu instid0(SALU_CYCLE_1)
	s_mov_b32 s3, exec_lo
	s_wait_dscnt 0x0
	s_barrier_signal -1
	s_barrier_wait -1
	global_inv scope:SCOPE_SE
	v_cmpx_gt_u32_e32 8, v0
	s_cbranch_execz .LBB15_92
; %bb.91:
	ds_load_b32 v1, v3 offset:192
	v_and_b32_e32 v4, 7, v2
	s_add_co_i32 s2, s2, 31
	s_wait_alu 0xfffe
	s_lshr_b32 s2, s2, 5
	s_delay_alu instid0(VALU_DEP_1) | instskip(SKIP_4) | instid1(VALU_DEP_2)
	v_cmp_ne_u32_e32 vcc_lo, 7, v4
	v_add_nc_u32_e32 v6, 1, v4
	s_wait_alu 0xfffd
	v_add_co_ci_u32_e64 v5, null, 0, v2, vcc_lo
	v_cmp_gt_u32_e32 vcc_lo, 6, v4
	v_lshlrev_b32_e32 v5, 2, v5
	s_wait_alu 0xfffd
	v_cndmask_b32_e64 v7, 0, 2, vcc_lo
	s_wait_alu 0xfffe
	v_cmp_gt_u32_e32 vcc_lo, s2, v6
	s_wait_dscnt 0x0
	ds_bpermute_b32 v5, v5, v1
	v_add_lshl_u32 v2, v7, v2, 2
	s_wait_dscnt 0x0
	s_wait_alu 0xfffd
	v_cndmask_b32_e32 v5, 0, v5, vcc_lo
	s_delay_alu instid0(VALU_DEP_1)
	v_add_nc_u32_e32 v1, v5, v1
	v_add_nc_u32_e32 v5, 2, v4
	ds_bpermute_b32 v2, v2, v1
	v_cmp_gt_u32_e32 vcc_lo, s2, v5
	s_wait_dscnt 0x0
	s_wait_alu 0xfffd
	v_cndmask_b32_e32 v2, 0, v2, vcc_lo
	s_delay_alu instid0(VALU_DEP_1)
	v_add_nc_u32_e32 v1, v1, v2
	v_or_b32_e32 v2, 16, v3
	v_add_nc_u32_e32 v3, 4, v4
	ds_bpermute_b32 v2, v2, v1
	v_cmp_gt_u32_e32 vcc_lo, s2, v3
	s_wait_dscnt 0x0
	s_wait_alu 0xfffd
	v_cndmask_b32_e32 v2, 0, v2, vcc_lo
	s_delay_alu instid0(VALU_DEP_1)
	v_add_nc_u32_e32 v1, v1, v2
.LBB15_92:
	s_wait_alu 0xfffe
	s_or_b32 exec_lo, exec_lo, s3
	v_cmp_eq_u32_e64 s2, 0, v0
	s_and_b32 vcc_lo, exec_lo, s42
	s_wait_alu 0xfffe
	s_cbranch_vccnz .LBB15_15
.LBB15_93:
	s_branch .LBB15_142
.LBB15_94:
	s_mov_b32 s3, -1
                                        ; implicit-def: $vgpr1
.LBB15_95:
	s_wait_alu 0xfffe
	s_and_b32 vcc_lo, exec_lo, s3
	s_wait_alu 0xfffe
	s_cbranch_vccz .LBB15_133
; %bb.96:
	v_mov_b32_e32 v1, 0
	s_sub_co_i32 s18, s38, s2
	s_mov_b32 s2, exec_lo
	s_delay_alu instid0(VALU_DEP_1)
	v_dual_mov_b32 v2, v1 :: v_dual_mov_b32 v3, v1
	v_dual_mov_b32 v4, v1 :: v_dual_mov_b32 v5, v1
	;; [unrolled: 1-line block ×7, first 2 shown]
	v_mov_b32_e32 v16, v1
	s_wait_alu 0xfffe
	v_cmpx_gt_u32_e64 s18, v0
	s_cbranch_execz .LBB15_98
; %bb.97:
	v_dual_mov_b32 v3, v1 :: v_dual_lshlrev_b32 v2, 2, v0
	v_dual_mov_b32 v16, v1 :: v_dual_mov_b32 v17, v1
	v_dual_mov_b32 v4, v1 :: v_dual_mov_b32 v5, v1
	global_load_b32 v2, v2, s[16:17]
	v_dual_mov_b32 v6, v1 :: v_dual_mov_b32 v7, v1
	v_dual_mov_b32 v8, v1 :: v_dual_mov_b32 v9, v1
	;; [unrolled: 1-line block ×5, first 2 shown]
	s_wait_loadcnt 0x0
	v_mov_b32_e32 v1, v2
	v_mov_b32_e32 v2, v3
	;; [unrolled: 1-line block ×16, first 2 shown]
.LBB15_98:
	s_or_b32 exec_lo, exec_lo, s2
	v_or_b32_e32 v17, 0x100, v0
	s_delay_alu instid0(VALU_DEP_1)
	v_cmp_gt_u32_e32 vcc_lo, s18, v17
	s_and_saveexec_b32 s2, vcc_lo
	s_cbranch_execz .LBB15_100
; %bb.99:
	v_lshlrev_b32_e32 v2, 2, v0
	global_load_b32 v2, v2, s[16:17] offset:1024
.LBB15_100:
	s_wait_alu 0xfffe
	s_or_b32 exec_lo, exec_lo, s2
	v_or_b32_e32 v17, 0x200, v0
	s_delay_alu instid0(VALU_DEP_1)
	v_cmp_gt_u32_e64 s2, s18, v17
	s_and_saveexec_b32 s3, s2
	s_cbranch_execz .LBB15_102
; %bb.101:
	v_lshlrev_b32_e32 v3, 2, v0
	global_load_b32 v3, v3, s[16:17] offset:2048
.LBB15_102:
	s_wait_alu 0xfffe
	s_or_b32 exec_lo, exec_lo, s3
	v_or_b32_e32 v17, 0x300, v0
	s_delay_alu instid0(VALU_DEP_1)
	v_cmp_gt_u32_e64 s3, s18, v17
	s_and_saveexec_b32 s4, s3
	;; [unrolled: 11-line block ×14, first 2 shown]
	s_cbranch_execz .LBB15_128
; %bb.127:
	v_lshlrev_b32_e32 v16, 2, v0
	global_load_b32 v16, v16, s[16:17] offset:15360
.LBB15_128:
	s_wait_alu 0xfffe
	s_or_b32 exec_lo, exec_lo, s19
	s_wait_loadcnt 0x0
	v_cndmask_b32_e32 v2, 0, v2, vcc_lo
	v_cndmask_b32_e64 v3, 0, v3, s2
	v_cndmask_b32_e64 v4, 0, v4, s3
	s_min_u32 s2, s18, 0x100
	s_mov_b32 s3, exec_lo
	v_add_nc_u32_e32 v1, v2, v1
	v_cndmask_b32_e64 v2, 0, v5, s4
	v_cndmask_b32_e64 v5, 0, v6, s5
	;; [unrolled: 1-line block ×3, first 2 shown]
	s_delay_alu instid0(VALU_DEP_4) | instskip(SKIP_3) | instid1(VALU_DEP_4)
	v_add3_u32 v1, v1, v3, v4
	v_cndmask_b32_e64 v3, 0, v7, s6
	v_cndmask_b32_e64 v4, 0, v8, s7
	;; [unrolled: 1-line block ×3, first 2 shown]
	v_add3_u32 v1, v1, v2, v5
	v_cndmask_b32_e64 v2, 0, v9, s8
	v_cndmask_b32_e64 v5, 0, v10, s9
	s_delay_alu instid0(VALU_DEP_3) | instskip(SKIP_2) | instid1(VALU_DEP_3)
	v_add3_u32 v1, v1, v3, v4
	v_cndmask_b32_e64 v3, 0, v11, s10
	v_cndmask_b32_e64 v4, 0, v12, s11
	v_add3_u32 v1, v1, v2, v5
	v_mbcnt_lo_u32_b32 v2, -1, 0
	v_cndmask_b32_e64 v5, 0, v13, s12
	s_delay_alu instid0(VALU_DEP_3) | instskip(NEXT) | instid1(VALU_DEP_3)
	v_add3_u32 v1, v1, v3, v4
	v_cmp_ne_u32_e32 vcc_lo, 31, v2
	v_cndmask_b32_e64 v3, 0, v16, s15
	s_delay_alu instid0(VALU_DEP_3)
	v_add3_u32 v1, v1, v5, v6
	s_wait_alu 0xfffd
	v_add_co_ci_u32_e64 v4, null, 0, v2, vcc_lo
	v_add_nc_u32_e32 v5, 1, v2
	v_cmp_gt_u32_e32 vcc_lo, 30, v2
	v_add3_u32 v1, v1, v7, v3
	s_delay_alu instid0(VALU_DEP_4)
	v_lshlrev_b32_e32 v4, 2, v4
	s_wait_alu 0xfffd
	v_cndmask_b32_e64 v6, 0, 2, vcc_lo
	ds_bpermute_b32 v3, v4, v1
	v_and_b32_e32 v4, 0xe0, v0
	s_wait_alu 0xfffe
	s_delay_alu instid0(VALU_DEP_1) | instskip(NEXT) | instid1(VALU_DEP_1)
	v_sub_nc_u32_e64 v4, s2, v4 clamp
	v_cmp_lt_u32_e32 vcc_lo, v5, v4
	v_add_lshl_u32 v5, v6, v2, 2
	s_wait_dscnt 0x0
	s_wait_alu 0xfffd
	v_cndmask_b32_e32 v3, 0, v3, vcc_lo
	v_cmp_gt_u32_e32 vcc_lo, 28, v2
	s_delay_alu instid0(VALU_DEP_2) | instskip(SKIP_4) | instid1(VALU_DEP_1)
	v_add_nc_u32_e32 v1, v1, v3
	s_wait_alu 0xfffd
	v_cndmask_b32_e64 v6, 0, 4, vcc_lo
	ds_bpermute_b32 v3, v5, v1
	v_add_nc_u32_e32 v5, 2, v2
	v_cmp_lt_u32_e32 vcc_lo, v5, v4
	v_add_lshl_u32 v5, v6, v2, 2
	s_wait_dscnt 0x0
	s_wait_alu 0xfffd
	v_cndmask_b32_e32 v3, 0, v3, vcc_lo
	v_cmp_gt_u32_e32 vcc_lo, 24, v2
	s_delay_alu instid0(VALU_DEP_2) | instskip(SKIP_4) | instid1(VALU_DEP_1)
	v_add_nc_u32_e32 v1, v1, v3
	s_wait_alu 0xfffd
	v_cndmask_b32_e64 v6, 0, 8, vcc_lo
	ds_bpermute_b32 v3, v5, v1
	v_add_nc_u32_e32 v5, 4, v2
	v_cmp_lt_u32_e32 vcc_lo, v5, v4
	v_add_lshl_u32 v5, v6, v2, 2
	s_wait_dscnt 0x0
	s_wait_alu 0xfffd
	v_cndmask_b32_e32 v3, 0, v3, vcc_lo
	s_delay_alu instid0(VALU_DEP_1) | instskip(SKIP_3) | instid1(VALU_DEP_1)
	v_add_nc_u32_e32 v1, v1, v3
	v_lshlrev_b32_e32 v3, 2, v2
	ds_bpermute_b32 v5, v5, v1
	v_add_nc_u32_e32 v6, 8, v2
	v_cmp_lt_u32_e32 vcc_lo, v6, v4
	v_or_b32_e32 v6, 64, v3
	s_wait_dscnt 0x0
	s_wait_alu 0xfffd
	v_cndmask_b32_e32 v5, 0, v5, vcc_lo
	s_delay_alu instid0(VALU_DEP_1) | instskip(SKIP_2) | instid1(VALU_DEP_1)
	v_add_nc_u32_e32 v1, v1, v5
	ds_bpermute_b32 v5, v6, v1
	v_add_nc_u32_e32 v6, 16, v2
	v_cmp_lt_u32_e32 vcc_lo, v6, v4
	s_wait_dscnt 0x0
	s_wait_alu 0xfffd
	v_cndmask_b32_e32 v4, 0, v5, vcc_lo
	s_delay_alu instid0(VALU_DEP_1)
	v_add_nc_u32_e32 v1, v1, v4
	v_cmpx_eq_u32_e32 0, v2
; %bb.129:
	v_lshrrev_b32_e32 v4, 3, v0
	s_delay_alu instid0(VALU_DEP_1)
	v_and_b32_e32 v4, 28, v4
	ds_store_b32 v4, v1 offset:192
; %bb.130:
	s_or_b32 exec_lo, exec_lo, s3
	s_delay_alu instid0(SALU_CYCLE_1)
	s_mov_b32 s3, exec_lo
	s_wait_dscnt 0x0
	s_barrier_signal -1
	s_barrier_wait -1
	global_inv scope:SCOPE_SE
	v_cmpx_gt_u32_e32 8, v0
	s_cbranch_execz .LBB15_132
; %bb.131:
	ds_load_b32 v1, v3 offset:192
	v_and_b32_e32 v4, 7, v2
	s_add_co_i32 s2, s2, 31
	s_wait_alu 0xfffe
	s_lshr_b32 s2, s2, 5
	s_delay_alu instid0(VALU_DEP_1) | instskip(SKIP_4) | instid1(VALU_DEP_2)
	v_cmp_ne_u32_e32 vcc_lo, 7, v4
	v_add_nc_u32_e32 v6, 1, v4
	s_wait_alu 0xfffd
	v_add_co_ci_u32_e64 v5, null, 0, v2, vcc_lo
	v_cmp_gt_u32_e32 vcc_lo, 6, v4
	v_lshlrev_b32_e32 v5, 2, v5
	s_wait_alu 0xfffd
	v_cndmask_b32_e64 v7, 0, 2, vcc_lo
	s_wait_alu 0xfffe
	v_cmp_gt_u32_e32 vcc_lo, s2, v6
	s_wait_dscnt 0x0
	ds_bpermute_b32 v5, v5, v1
	v_add_lshl_u32 v2, v7, v2, 2
	s_wait_dscnt 0x0
	s_wait_alu 0xfffd
	v_cndmask_b32_e32 v5, 0, v5, vcc_lo
	s_delay_alu instid0(VALU_DEP_1)
	v_add_nc_u32_e32 v1, v5, v1
	v_add_nc_u32_e32 v5, 2, v4
	ds_bpermute_b32 v2, v2, v1
	v_cmp_gt_u32_e32 vcc_lo, s2, v5
	s_wait_dscnt 0x0
	s_wait_alu 0xfffd
	v_cndmask_b32_e32 v2, 0, v2, vcc_lo
	s_delay_alu instid0(VALU_DEP_1)
	v_add_nc_u32_e32 v1, v1, v2
	v_or_b32_e32 v2, 16, v3
	v_add_nc_u32_e32 v3, 4, v4
	ds_bpermute_b32 v2, v2, v1
	v_cmp_gt_u32_e32 vcc_lo, s2, v3
	s_wait_dscnt 0x0
	s_wait_alu 0xfffd
	v_cndmask_b32_e32 v2, 0, v2, vcc_lo
	s_delay_alu instid0(VALU_DEP_1)
	v_add_nc_u32_e32 v1, v1, v2
.LBB15_132:
	s_wait_alu 0xfffe
	s_or_b32 exec_lo, exec_lo, s3
.LBB15_133:
	v_cmp_eq_u32_e64 s2, 0, v0
	s_branch .LBB15_142
.LBB15_134:
	s_cmp_eq_u32 s33, 8
	s_cbranch_scc0 .LBB15_141
; %bb.135:
	s_mov_b32 s35, 0
	s_lshl_b32 s2, s34, 11
	s_mov_b32 s3, s35
	s_lshr_b64 s[4:5], s[38:39], 11
	s_lshl_b64 s[6:7], s[2:3], 2
	s_cmp_lg_u64 s[4:5], s[34:35]
	s_add_nc_u64 s[8:9], s[36:37], s[6:7]
	s_cbranch_scc0 .LBB15_143
; %bb.136:
	v_lshlrev_b32_e32 v1, 2, v0
	s_mov_b32 s3, exec_lo
	s_clause 0x7
	global_load_b32 v2, v1, s[8:9]
	global_load_b32 v3, v1, s[8:9] offset:1024
	global_load_b32 v4, v1, s[8:9] offset:2048
	;; [unrolled: 1-line block ×7, first 2 shown]
	s_wait_loadcnt 0x6
	v_add_nc_u32_e32 v2, v3, v2
	s_wait_loadcnt 0x4
	s_delay_alu instid0(VALU_DEP_1) | instskip(SKIP_1) | instid1(VALU_DEP_1)
	v_add3_u32 v2, v2, v4, v5
	s_wait_loadcnt 0x2
	v_add3_u32 v2, v2, v6, v7
	s_wait_loadcnt 0x0
	s_delay_alu instid0(VALU_DEP_1) | instskip(NEXT) | instid1(VALU_DEP_1)
	v_add3_u32 v1, v2, v8, v1
	v_mov_b32_dpp v2, v1 quad_perm:[1,0,3,2] row_mask:0xf bank_mask:0xf
	s_delay_alu instid0(VALU_DEP_1) | instskip(NEXT) | instid1(VALU_DEP_1)
	v_add_nc_u32_e32 v1, v2, v1
	v_mov_b32_dpp v2, v1 quad_perm:[2,3,0,1] row_mask:0xf bank_mask:0xf
	s_delay_alu instid0(VALU_DEP_1) | instskip(NEXT) | instid1(VALU_DEP_1)
	v_add_nc_u32_e32 v1, v1, v2
	v_mov_b32_dpp v2, v1 row_ror:4 row_mask:0xf bank_mask:0xf
	s_delay_alu instid0(VALU_DEP_1) | instskip(NEXT) | instid1(VALU_DEP_1)
	v_add_nc_u32_e32 v1, v1, v2
	v_mov_b32_dpp v2, v1 row_ror:8 row_mask:0xf bank_mask:0xf
	s_delay_alu instid0(VALU_DEP_1)
	v_add_nc_u32_e32 v1, v1, v2
	ds_swizzle_b32 v2, v1 offset:swizzle(BROADCAST,32,15)
	s_wait_dscnt 0x0
	v_dual_mov_b32 v2, 0 :: v_dual_add_nc_u32 v1, v1, v2
	ds_bpermute_b32 v1, v2, v1 offset:124
	v_mbcnt_lo_u32_b32 v2, -1, 0
	s_delay_alu instid0(VALU_DEP_1)
	v_cmpx_eq_u32_e32 0, v2
	s_cbranch_execz .LBB15_138
; %bb.137:
	v_lshrrev_b32_e32 v3, 3, v0
	s_delay_alu instid0(VALU_DEP_1)
	v_and_b32_e32 v3, 28, v3
	s_wait_dscnt 0x0
	ds_store_b32 v3, v1 offset:160
.LBB15_138:
	s_or_b32 exec_lo, exec_lo, s3
	s_delay_alu instid0(SALU_CYCLE_1)
	s_mov_b32 s3, exec_lo
	s_wait_dscnt 0x0
	s_barrier_signal -1
	s_barrier_wait -1
	global_inv scope:SCOPE_SE
	v_cmpx_gt_u32_e32 32, v0
	s_cbranch_execz .LBB15_140
; %bb.139:
	v_and_b32_e32 v1, 7, v2
	s_delay_alu instid0(VALU_DEP_1) | instskip(SKIP_4) | instid1(VALU_DEP_2)
	v_lshlrev_b32_e32 v3, 2, v1
	v_cmp_ne_u32_e32 vcc_lo, 7, v1
	ds_load_b32 v3, v3 offset:160
	v_add_co_ci_u32_e64 v4, null, 0, v2, vcc_lo
	v_cmp_gt_u32_e32 vcc_lo, 6, v1
	v_lshlrev_b32_e32 v4, 2, v4
	s_wait_alu 0xfffd
	v_cndmask_b32_e64 v1, 0, 2, vcc_lo
	s_delay_alu instid0(VALU_DEP_1) | instskip(SKIP_1) | instid1(VALU_DEP_1)
	v_add_lshl_u32 v1, v1, v2, 2
	v_lshlrev_b32_e32 v2, 2, v2
	v_or_b32_e32 v2, 16, v2
	s_wait_dscnt 0x0
	ds_bpermute_b32 v4, v4, v3
	s_wait_dscnt 0x0
	v_add_nc_u32_e32 v3, v4, v3
	ds_bpermute_b32 v1, v1, v3
	s_wait_dscnt 0x0
	v_add_nc_u32_e32 v1, v1, v3
	;; [unrolled: 3-line block ×3, first 2 shown]
.LBB15_140:
	s_or_b32 exec_lo, exec_lo, s3
	s_branch .LBB15_165
.LBB15_141:
                                        ; implicit-def: $vgpr1
.LBB15_142:
	s_branch .LBB15_224
.LBB15_143:
                                        ; implicit-def: $vgpr1
	s_cbranch_execz .LBB15_165
; %bb.144:
	v_mov_b32_e32 v1, 0
	s_sub_co_i32 s10, s38, s2
	s_mov_b32 s2, exec_lo
	s_delay_alu instid0(VALU_DEP_1)
	v_dual_mov_b32 v2, v1 :: v_dual_mov_b32 v3, v1
	v_dual_mov_b32 v4, v1 :: v_dual_mov_b32 v5, v1
	;; [unrolled: 1-line block ×3, first 2 shown]
	v_mov_b32_e32 v8, v1
	v_cmpx_gt_u32_e64 s10, v0
	s_cbranch_execz .LBB15_146
; %bb.145:
	v_dual_mov_b32 v3, v1 :: v_dual_lshlrev_b32 v2, 2, v0
	v_dual_mov_b32 v8, v1 :: v_dual_mov_b32 v9, v1
	v_dual_mov_b32 v4, v1 :: v_dual_mov_b32 v5, v1
	global_load_b32 v2, v2, s[8:9]
	v_dual_mov_b32 v6, v1 :: v_dual_mov_b32 v7, v1
	s_wait_loadcnt 0x0
	v_mov_b32_e32 v1, v2
	v_mov_b32_e32 v2, v3
	;; [unrolled: 1-line block ×8, first 2 shown]
.LBB15_146:
	s_or_b32 exec_lo, exec_lo, s2
	v_or_b32_e32 v9, 0x100, v0
	s_delay_alu instid0(VALU_DEP_1)
	v_cmp_gt_u32_e32 vcc_lo, s10, v9
	s_and_saveexec_b32 s2, vcc_lo
	s_cbranch_execz .LBB15_148
; %bb.147:
	v_lshlrev_b32_e32 v2, 2, v0
	global_load_b32 v2, v2, s[8:9] offset:1024
.LBB15_148:
	s_or_b32 exec_lo, exec_lo, s2
	v_or_b32_e32 v9, 0x200, v0
	s_delay_alu instid0(VALU_DEP_1)
	v_cmp_gt_u32_e64 s2, s10, v9
	s_and_saveexec_b32 s3, s2
	s_cbranch_execz .LBB15_150
; %bb.149:
	v_lshlrev_b32_e32 v3, 2, v0
	global_load_b32 v3, v3, s[8:9] offset:2048
.LBB15_150:
	s_or_b32 exec_lo, exec_lo, s3
	v_or_b32_e32 v9, 0x300, v0
	s_delay_alu instid0(VALU_DEP_1)
	v_cmp_gt_u32_e64 s3, s10, v9
	s_and_saveexec_b32 s4, s3
	;; [unrolled: 10-line block ×6, first 2 shown]
	s_cbranch_execz .LBB15_160
; %bb.159:
	v_lshlrev_b32_e32 v8, 2, v0
	global_load_b32 v8, v8, s[8:9] offset:7168
.LBB15_160:
	s_wait_alu 0xfffe
	s_or_b32 exec_lo, exec_lo, s11
	s_wait_loadcnt 0x0
	v_cndmask_b32_e32 v2, 0, v2, vcc_lo
	v_cndmask_b32_e64 v3, 0, v3, s2
	v_cndmask_b32_e64 v4, 0, v4, s3
	;; [unrolled: 1-line block ×4, first 2 shown]
	v_add_nc_u32_e32 v1, v2, v1
	v_mbcnt_lo_u32_b32 v2, -1, 0
	v_cndmask_b32_e64 v7, 0, v7, s6
	s_min_u32 s2, s10, 0x100
	s_mov_b32 s3, exec_lo
	v_add3_u32 v1, v1, v3, v4
	v_cmp_ne_u32_e32 vcc_lo, 31, v2
	v_cndmask_b32_e64 v3, 0, v8, s7
	s_delay_alu instid0(VALU_DEP_3)
	v_add3_u32 v1, v1, v5, v6
	s_wait_alu 0xfffd
	v_add_co_ci_u32_e64 v4, null, 0, v2, vcc_lo
	v_add_nc_u32_e32 v5, 1, v2
	v_cmp_gt_u32_e32 vcc_lo, 30, v2
	v_add3_u32 v1, v1, v7, v3
	s_delay_alu instid0(VALU_DEP_4)
	v_lshlrev_b32_e32 v4, 2, v4
	s_wait_alu 0xfffd
	v_cndmask_b32_e64 v6, 0, 2, vcc_lo
	ds_bpermute_b32 v3, v4, v1
	v_and_b32_e32 v4, 0xe0, v0
	s_wait_alu 0xfffe
	s_delay_alu instid0(VALU_DEP_1) | instskip(NEXT) | instid1(VALU_DEP_1)
	v_sub_nc_u32_e64 v4, s2, v4 clamp
	v_cmp_lt_u32_e32 vcc_lo, v5, v4
	v_add_lshl_u32 v5, v6, v2, 2
	s_wait_dscnt 0x0
	s_wait_alu 0xfffd
	v_cndmask_b32_e32 v3, 0, v3, vcc_lo
	v_cmp_gt_u32_e32 vcc_lo, 28, v2
	s_delay_alu instid0(VALU_DEP_2) | instskip(SKIP_4) | instid1(VALU_DEP_1)
	v_add_nc_u32_e32 v1, v1, v3
	s_wait_alu 0xfffd
	v_cndmask_b32_e64 v6, 0, 4, vcc_lo
	ds_bpermute_b32 v3, v5, v1
	v_add_nc_u32_e32 v5, 2, v2
	v_cmp_lt_u32_e32 vcc_lo, v5, v4
	v_add_lshl_u32 v5, v6, v2, 2
	s_wait_dscnt 0x0
	s_wait_alu 0xfffd
	v_cndmask_b32_e32 v3, 0, v3, vcc_lo
	v_cmp_gt_u32_e32 vcc_lo, 24, v2
	s_delay_alu instid0(VALU_DEP_2) | instskip(SKIP_4) | instid1(VALU_DEP_1)
	v_add_nc_u32_e32 v1, v1, v3
	s_wait_alu 0xfffd
	v_cndmask_b32_e64 v6, 0, 8, vcc_lo
	ds_bpermute_b32 v3, v5, v1
	v_add_nc_u32_e32 v5, 4, v2
	v_cmp_lt_u32_e32 vcc_lo, v5, v4
	v_add_lshl_u32 v5, v6, v2, 2
	s_wait_dscnt 0x0
	s_wait_alu 0xfffd
	v_cndmask_b32_e32 v3, 0, v3, vcc_lo
	s_delay_alu instid0(VALU_DEP_1) | instskip(SKIP_3) | instid1(VALU_DEP_1)
	v_add_nc_u32_e32 v1, v1, v3
	v_lshlrev_b32_e32 v3, 2, v2
	ds_bpermute_b32 v5, v5, v1
	v_add_nc_u32_e32 v6, 8, v2
	v_cmp_lt_u32_e32 vcc_lo, v6, v4
	v_or_b32_e32 v6, 64, v3
	s_wait_dscnt 0x0
	s_wait_alu 0xfffd
	v_cndmask_b32_e32 v5, 0, v5, vcc_lo
	s_delay_alu instid0(VALU_DEP_1) | instskip(SKIP_2) | instid1(VALU_DEP_1)
	v_add_nc_u32_e32 v1, v1, v5
	ds_bpermute_b32 v5, v6, v1
	v_add_nc_u32_e32 v6, 16, v2
	v_cmp_lt_u32_e32 vcc_lo, v6, v4
	s_wait_dscnt 0x0
	s_wait_alu 0xfffd
	v_cndmask_b32_e32 v4, 0, v5, vcc_lo
	s_delay_alu instid0(VALU_DEP_1)
	v_add_nc_u32_e32 v1, v1, v4
	v_cmpx_eq_u32_e32 0, v2
; %bb.161:
	v_lshrrev_b32_e32 v4, 3, v0
	s_delay_alu instid0(VALU_DEP_1)
	v_and_b32_e32 v4, 28, v4
	ds_store_b32 v4, v1 offset:192
; %bb.162:
	s_or_b32 exec_lo, exec_lo, s3
	s_delay_alu instid0(SALU_CYCLE_1)
	s_mov_b32 s3, exec_lo
	s_wait_dscnt 0x0
	s_barrier_signal -1
	s_barrier_wait -1
	global_inv scope:SCOPE_SE
	v_cmpx_gt_u32_e32 8, v0
	s_cbranch_execz .LBB15_164
; %bb.163:
	ds_load_b32 v1, v3 offset:192
	v_and_b32_e32 v4, 7, v2
	s_add_co_i32 s2, s2, 31
	s_wait_alu 0xfffe
	s_lshr_b32 s2, s2, 5
	s_delay_alu instid0(VALU_DEP_1) | instskip(SKIP_4) | instid1(VALU_DEP_2)
	v_cmp_ne_u32_e32 vcc_lo, 7, v4
	v_add_nc_u32_e32 v6, 1, v4
	s_wait_alu 0xfffd
	v_add_co_ci_u32_e64 v5, null, 0, v2, vcc_lo
	v_cmp_gt_u32_e32 vcc_lo, 6, v4
	v_lshlrev_b32_e32 v5, 2, v5
	s_wait_alu 0xfffd
	v_cndmask_b32_e64 v7, 0, 2, vcc_lo
	s_wait_alu 0xfffe
	v_cmp_gt_u32_e32 vcc_lo, s2, v6
	s_wait_dscnt 0x0
	ds_bpermute_b32 v5, v5, v1
	v_add_lshl_u32 v2, v7, v2, 2
	s_wait_dscnt 0x0
	s_wait_alu 0xfffd
	v_cndmask_b32_e32 v5, 0, v5, vcc_lo
	s_delay_alu instid0(VALU_DEP_1)
	v_add_nc_u32_e32 v1, v5, v1
	v_add_nc_u32_e32 v5, 2, v4
	ds_bpermute_b32 v2, v2, v1
	v_cmp_gt_u32_e32 vcc_lo, s2, v5
	s_wait_dscnt 0x0
	s_wait_alu 0xfffd
	v_cndmask_b32_e32 v2, 0, v2, vcc_lo
	s_delay_alu instid0(VALU_DEP_1)
	v_add_nc_u32_e32 v1, v1, v2
	v_or_b32_e32 v2, 16, v3
	v_add_nc_u32_e32 v3, 4, v4
	ds_bpermute_b32 v2, v2, v1
	v_cmp_gt_u32_e32 vcc_lo, s2, v3
	s_wait_dscnt 0x0
	s_wait_alu 0xfffd
	v_cndmask_b32_e32 v2, 0, v2, vcc_lo
	s_delay_alu instid0(VALU_DEP_1)
	v_add_nc_u32_e32 v1, v1, v2
.LBB15_164:
	s_wait_alu 0xfffe
	s_or_b32 exec_lo, exec_lo, s3
.LBB15_165:
	v_cmp_eq_u32_e64 s2, 0, v0
	s_branch .LBB15_224
.LBB15_166:
	s_cmp_gt_i32 s33, 1
	s_cbranch_scc0 .LBB15_175
; %bb.167:
	s_cmp_gt_i32 s33, 3
	s_cbranch_scc0 .LBB15_176
; %bb.168:
	s_cmp_eq_u32 s33, 4
	s_cbranch_scc0 .LBB15_177
; %bb.169:
	s_mov_b32 s35, 0
	s_lshl_b32 s2, s34, 10
	s_mov_b32 s3, s35
	s_lshr_b64 s[4:5], s[38:39], 10
	s_lshl_b64 s[6:7], s[2:3], 2
	s_cmp_lg_u64 s[4:5], s[34:35]
	s_add_nc_u64 s[4:5], s[36:37], s[6:7]
	s_cbranch_scc0 .LBB15_179
; %bb.170:
	v_lshlrev_b32_e32 v1, 2, v0
	s_mov_b32 s3, exec_lo
	s_clause 0x3
	global_load_b32 v2, v1, s[4:5]
	global_load_b32 v3, v1, s[4:5] offset:1024
	global_load_b32 v4, v1, s[4:5] offset:2048
	;; [unrolled: 1-line block ×3, first 2 shown]
	s_wait_loadcnt 0x2
	v_add_nc_u32_e32 v2, v3, v2
	s_wait_loadcnt 0x0
	s_delay_alu instid0(VALU_DEP_1) | instskip(NEXT) | instid1(VALU_DEP_1)
	v_add3_u32 v1, v2, v4, v1
	v_mov_b32_dpp v2, v1 quad_perm:[1,0,3,2] row_mask:0xf bank_mask:0xf
	s_delay_alu instid0(VALU_DEP_1) | instskip(NEXT) | instid1(VALU_DEP_1)
	v_add_nc_u32_e32 v1, v2, v1
	v_mov_b32_dpp v2, v1 quad_perm:[2,3,0,1] row_mask:0xf bank_mask:0xf
	s_delay_alu instid0(VALU_DEP_1) | instskip(NEXT) | instid1(VALU_DEP_1)
	v_add_nc_u32_e32 v1, v1, v2
	v_mov_b32_dpp v2, v1 row_ror:4 row_mask:0xf bank_mask:0xf
	s_delay_alu instid0(VALU_DEP_1) | instskip(NEXT) | instid1(VALU_DEP_1)
	v_add_nc_u32_e32 v1, v1, v2
	v_mov_b32_dpp v2, v1 row_ror:8 row_mask:0xf bank_mask:0xf
	s_delay_alu instid0(VALU_DEP_1)
	v_add_nc_u32_e32 v1, v1, v2
	ds_swizzle_b32 v2, v1 offset:swizzle(BROADCAST,32,15)
	s_wait_dscnt 0x0
	v_dual_mov_b32 v2, 0 :: v_dual_add_nc_u32 v1, v1, v2
	ds_bpermute_b32 v1, v2, v1 offset:124
	v_mbcnt_lo_u32_b32 v2, -1, 0
	s_delay_alu instid0(VALU_DEP_1)
	v_cmpx_eq_u32_e32 0, v2
	s_cbranch_execz .LBB15_172
; %bb.171:
	v_lshrrev_b32_e32 v3, 3, v0
	s_delay_alu instid0(VALU_DEP_1)
	v_and_b32_e32 v3, 28, v3
	s_wait_dscnt 0x0
	ds_store_b32 v3, v1 offset:128
.LBB15_172:
	s_or_b32 exec_lo, exec_lo, s3
	s_delay_alu instid0(SALU_CYCLE_1)
	s_mov_b32 s3, exec_lo
	s_wait_dscnt 0x0
	s_barrier_signal -1
	s_barrier_wait -1
	global_inv scope:SCOPE_SE
	v_cmpx_gt_u32_e32 32, v0
	s_cbranch_execz .LBB15_174
; %bb.173:
	v_and_b32_e32 v1, 7, v2
	s_delay_alu instid0(VALU_DEP_1) | instskip(SKIP_4) | instid1(VALU_DEP_2)
	v_lshlrev_b32_e32 v3, 2, v1
	v_cmp_ne_u32_e32 vcc_lo, 7, v1
	ds_load_b32 v3, v3 offset:128
	v_add_co_ci_u32_e64 v4, null, 0, v2, vcc_lo
	v_cmp_gt_u32_e32 vcc_lo, 6, v1
	v_lshlrev_b32_e32 v4, 2, v4
	s_wait_alu 0xfffd
	v_cndmask_b32_e64 v1, 0, 2, vcc_lo
	s_delay_alu instid0(VALU_DEP_1) | instskip(SKIP_1) | instid1(VALU_DEP_1)
	v_add_lshl_u32 v1, v1, v2, 2
	v_lshlrev_b32_e32 v2, 2, v2
	v_or_b32_e32 v2, 16, v2
	s_wait_dscnt 0x0
	ds_bpermute_b32 v4, v4, v3
	s_wait_dscnt 0x0
	v_add_nc_u32_e32 v3, v4, v3
	ds_bpermute_b32 v1, v1, v3
	s_wait_dscnt 0x0
	v_add_nc_u32_e32 v1, v1, v3
	;; [unrolled: 3-line block ×3, first 2 shown]
.LBB15_174:
	s_or_b32 exec_lo, exec_lo, s3
	s_mov_b32 s3, 0
	s_branch .LBB15_180
.LBB15_175:
                                        ; implicit-def: $vgpr1
	s_cbranch_execnz .LBB15_215
	s_branch .LBB15_224
.LBB15_176:
                                        ; implicit-def: $vgpr1
	s_cbranch_execz .LBB15_178
	s_branch .LBB15_195
.LBB15_177:
                                        ; implicit-def: $vgpr1
.LBB15_178:
	s_branch .LBB15_224
.LBB15_179:
	s_mov_b32 s3, -1
                                        ; implicit-def: $vgpr1
.LBB15_180:
	s_delay_alu instid0(SALU_CYCLE_1)
	s_and_b32 vcc_lo, exec_lo, s3
	s_wait_alu 0xfffe
	s_cbranch_vccz .LBB15_194
; %bb.181:
	v_mov_b32_e32 v1, 0
	s_sub_co_i32 s6, s38, s2
	s_mov_b32 s2, exec_lo
	s_delay_alu instid0(VALU_DEP_1)
	v_dual_mov_b32 v2, v1 :: v_dual_mov_b32 v3, v1
	v_mov_b32_e32 v4, v1
	v_cmpx_gt_u32_e64 s6, v0
	s_cbranch_execz .LBB15_183
; %bb.182:
	v_dual_mov_b32 v3, v1 :: v_dual_lshlrev_b32 v2, 2, v0
	v_dual_mov_b32 v4, v1 :: v_dual_mov_b32 v5, v1
	global_load_b32 v2, v2, s[4:5]
	s_wait_loadcnt 0x0
	v_mov_b32_e32 v1, v2
	v_mov_b32_e32 v2, v3
	;; [unrolled: 1-line block ×4, first 2 shown]
.LBB15_183:
	s_or_b32 exec_lo, exec_lo, s2
	v_or_b32_e32 v5, 0x100, v0
	s_delay_alu instid0(VALU_DEP_1)
	v_cmp_gt_u32_e32 vcc_lo, s6, v5
	s_and_saveexec_b32 s2, vcc_lo
	s_cbranch_execz .LBB15_185
; %bb.184:
	v_lshlrev_b32_e32 v2, 2, v0
	global_load_b32 v2, v2, s[4:5] offset:1024
.LBB15_185:
	s_or_b32 exec_lo, exec_lo, s2
	v_or_b32_e32 v5, 0x200, v0
	s_delay_alu instid0(VALU_DEP_1)
	v_cmp_gt_u32_e64 s2, s6, v5
	s_and_saveexec_b32 s3, s2
	s_cbranch_execz .LBB15_187
; %bb.186:
	v_lshlrev_b32_e32 v3, 2, v0
	global_load_b32 v3, v3, s[4:5] offset:2048
.LBB15_187:
	s_or_b32 exec_lo, exec_lo, s3
	v_or_b32_e32 v5, 0x300, v0
	s_delay_alu instid0(VALU_DEP_1)
	v_cmp_gt_u32_e64 s3, s6, v5
	s_and_saveexec_b32 s7, s3
	s_cbranch_execz .LBB15_189
; %bb.188:
	v_lshlrev_b32_e32 v4, 2, v0
	global_load_b32 v4, v4, s[4:5] offset:3072
.LBB15_189:
	s_wait_alu 0xfffe
	s_or_b32 exec_lo, exec_lo, s7
	s_wait_loadcnt 0x0
	v_cndmask_b32_e32 v5, 0, v2, vcc_lo
	v_mbcnt_lo_u32_b32 v2, -1, 0
	v_cndmask_b32_e64 v3, 0, v3, s2
	v_cndmask_b32_e64 v4, 0, v4, s3
	s_min_u32 s2, s6, 0x100
	v_add_nc_u32_e32 v1, v5, v1
	v_cmp_ne_u32_e32 vcc_lo, 31, v2
	s_mov_b32 s3, exec_lo
	s_delay_alu instid0(VALU_DEP_2) | instskip(SKIP_4) | instid1(VALU_DEP_3)
	v_add3_u32 v1, v1, v3, v4
	s_wait_alu 0xfffd
	v_add_co_ci_u32_e64 v5, null, 0, v2, vcc_lo
	v_and_b32_e32 v4, 0xe0, v0
	v_cmp_gt_u32_e32 vcc_lo, 30, v2
	v_lshlrev_b32_e32 v3, 2, v5
	v_add_nc_u32_e32 v5, 1, v2
	s_wait_alu 0xfffe
	v_sub_nc_u32_e64 v4, s2, v4 clamp
	s_wait_alu 0xfffd
	v_cndmask_b32_e64 v6, 0, 2, vcc_lo
	ds_bpermute_b32 v3, v3, v1
	v_cmp_lt_u32_e32 vcc_lo, v5, v4
	v_add_lshl_u32 v5, v6, v2, 2
	s_wait_dscnt 0x0
	s_wait_alu 0xfffd
	v_cndmask_b32_e32 v3, 0, v3, vcc_lo
	v_cmp_gt_u32_e32 vcc_lo, 28, v2
	s_delay_alu instid0(VALU_DEP_2) | instskip(SKIP_4) | instid1(VALU_DEP_1)
	v_add_nc_u32_e32 v1, v3, v1
	s_wait_alu 0xfffd
	v_cndmask_b32_e64 v6, 0, 4, vcc_lo
	ds_bpermute_b32 v3, v5, v1
	v_add_nc_u32_e32 v5, 2, v2
	v_cmp_lt_u32_e32 vcc_lo, v5, v4
	v_add_lshl_u32 v5, v6, v2, 2
	s_wait_dscnt 0x0
	s_wait_alu 0xfffd
	v_cndmask_b32_e32 v3, 0, v3, vcc_lo
	v_cmp_gt_u32_e32 vcc_lo, 24, v2
	s_delay_alu instid0(VALU_DEP_2) | instskip(SKIP_4) | instid1(VALU_DEP_1)
	v_add_nc_u32_e32 v1, v1, v3
	s_wait_alu 0xfffd
	v_cndmask_b32_e64 v6, 0, 8, vcc_lo
	ds_bpermute_b32 v3, v5, v1
	v_add_nc_u32_e32 v5, 4, v2
	v_cmp_lt_u32_e32 vcc_lo, v5, v4
	v_add_lshl_u32 v5, v6, v2, 2
	s_wait_dscnt 0x0
	s_wait_alu 0xfffd
	v_dual_cndmask_b32 v3, 0, v3 :: v_dual_add_nc_u32 v6, 8, v2
	s_delay_alu instid0(VALU_DEP_1) | instskip(NEXT) | instid1(VALU_DEP_2)
	v_cmp_lt_u32_e32 vcc_lo, v6, v4
	v_add_nc_u32_e32 v1, v1, v3
	v_lshlrev_b32_e32 v3, 2, v2
	ds_bpermute_b32 v5, v5, v1
	v_or_b32_e32 v6, 64, v3
	s_wait_dscnt 0x0
	s_wait_alu 0xfffd
	v_cndmask_b32_e32 v5, 0, v5, vcc_lo
	s_delay_alu instid0(VALU_DEP_1) | instskip(SKIP_2) | instid1(VALU_DEP_1)
	v_add_nc_u32_e32 v1, v1, v5
	ds_bpermute_b32 v5, v6, v1
	v_add_nc_u32_e32 v6, 16, v2
	v_cmp_lt_u32_e32 vcc_lo, v6, v4
	s_wait_dscnt 0x0
	s_wait_alu 0xfffd
	v_cndmask_b32_e32 v4, 0, v5, vcc_lo
	s_delay_alu instid0(VALU_DEP_1)
	v_add_nc_u32_e32 v1, v1, v4
	v_cmpx_eq_u32_e32 0, v2
; %bb.190:
	v_lshrrev_b32_e32 v4, 3, v0
	s_delay_alu instid0(VALU_DEP_1)
	v_and_b32_e32 v4, 28, v4
	ds_store_b32 v4, v1 offset:192
; %bb.191:
	s_or_b32 exec_lo, exec_lo, s3
	s_delay_alu instid0(SALU_CYCLE_1)
	s_mov_b32 s3, exec_lo
	s_wait_dscnt 0x0
	s_barrier_signal -1
	s_barrier_wait -1
	global_inv scope:SCOPE_SE
	v_cmpx_gt_u32_e32 8, v0
	s_cbranch_execz .LBB15_193
; %bb.192:
	ds_load_b32 v1, v3 offset:192
	v_and_b32_e32 v4, 7, v2
	s_add_co_i32 s2, s2, 31
	s_wait_alu 0xfffe
	s_lshr_b32 s2, s2, 5
	s_delay_alu instid0(VALU_DEP_1) | instskip(SKIP_4) | instid1(VALU_DEP_2)
	v_cmp_ne_u32_e32 vcc_lo, 7, v4
	v_add_nc_u32_e32 v6, 1, v4
	s_wait_alu 0xfffd
	v_add_co_ci_u32_e64 v5, null, 0, v2, vcc_lo
	v_cmp_gt_u32_e32 vcc_lo, 6, v4
	v_lshlrev_b32_e32 v5, 2, v5
	s_wait_alu 0xfffd
	v_cndmask_b32_e64 v7, 0, 2, vcc_lo
	s_wait_alu 0xfffe
	v_cmp_gt_u32_e32 vcc_lo, s2, v6
	s_wait_dscnt 0x0
	ds_bpermute_b32 v5, v5, v1
	v_add_lshl_u32 v2, v7, v2, 2
	s_wait_dscnt 0x0
	s_wait_alu 0xfffd
	v_cndmask_b32_e32 v5, 0, v5, vcc_lo
	s_delay_alu instid0(VALU_DEP_1)
	v_add_nc_u32_e32 v1, v5, v1
	v_add_nc_u32_e32 v5, 2, v4
	ds_bpermute_b32 v2, v2, v1
	v_cmp_gt_u32_e32 vcc_lo, s2, v5
	s_wait_dscnt 0x0
	s_wait_alu 0xfffd
	v_cndmask_b32_e32 v2, 0, v2, vcc_lo
	s_delay_alu instid0(VALU_DEP_1)
	v_add_nc_u32_e32 v1, v1, v2
	v_or_b32_e32 v2, 16, v3
	v_add_nc_u32_e32 v3, 4, v4
	ds_bpermute_b32 v2, v2, v1
	v_cmp_gt_u32_e32 vcc_lo, s2, v3
	s_wait_dscnt 0x0
	s_wait_alu 0xfffd
	v_cndmask_b32_e32 v2, 0, v2, vcc_lo
	s_delay_alu instid0(VALU_DEP_1)
	v_add_nc_u32_e32 v1, v1, v2
.LBB15_193:
	s_wait_alu 0xfffe
	s_or_b32 exec_lo, exec_lo, s3
.LBB15_194:
	v_cmp_eq_u32_e64 s2, 0, v0
	s_branch .LBB15_178
.LBB15_195:
	s_cmp_eq_u32 s33, 2
	s_cbranch_scc0 .LBB15_202
; %bb.196:
	s_mov_b32 s35, 0
	s_lshl_b32 s4, s34, 9
	s_mov_b32 s5, s35
	s_lshr_b64 s[2:3], s[38:39], 9
	s_lshl_b64 s[6:7], s[4:5], 2
	s_cmp_lg_u64 s[2:3], s[34:35]
	s_add_nc_u64 s[2:3], s[36:37], s[6:7]
	s_cbranch_scc0 .LBB15_203
; %bb.197:
	v_lshlrev_b32_e32 v1, 2, v0
	s_mov_b32 s5, exec_lo
	s_clause 0x1
	global_load_b32 v2, v1, s[2:3]
	global_load_b32 v1, v1, s[2:3] offset:1024
	s_wait_loadcnt 0x0
	v_add_nc_u32_e32 v1, v1, v2
	s_delay_alu instid0(VALU_DEP_1) | instskip(NEXT) | instid1(VALU_DEP_1)
	v_mov_b32_dpp v2, v1 quad_perm:[1,0,3,2] row_mask:0xf bank_mask:0xf
	v_add_nc_u32_e32 v1, v2, v1
	s_delay_alu instid0(VALU_DEP_1) | instskip(NEXT) | instid1(VALU_DEP_1)
	v_mov_b32_dpp v2, v1 quad_perm:[2,3,0,1] row_mask:0xf bank_mask:0xf
	v_add_nc_u32_e32 v1, v1, v2
	s_delay_alu instid0(VALU_DEP_1) | instskip(NEXT) | instid1(VALU_DEP_1)
	v_mov_b32_dpp v2, v1 row_ror:4 row_mask:0xf bank_mask:0xf
	v_add_nc_u32_e32 v1, v1, v2
	s_delay_alu instid0(VALU_DEP_1) | instskip(NEXT) | instid1(VALU_DEP_1)
	v_mov_b32_dpp v2, v1 row_ror:8 row_mask:0xf bank_mask:0xf
	v_add_nc_u32_e32 v1, v1, v2
	ds_swizzle_b32 v2, v1 offset:swizzle(BROADCAST,32,15)
	s_wait_dscnt 0x0
	v_dual_mov_b32 v2, 0 :: v_dual_add_nc_u32 v1, v1, v2
	ds_bpermute_b32 v1, v2, v1 offset:124
	v_mbcnt_lo_u32_b32 v2, -1, 0
	s_delay_alu instid0(VALU_DEP_1)
	v_cmpx_eq_u32_e32 0, v2
	s_cbranch_execz .LBB15_199
; %bb.198:
	v_lshrrev_b32_e32 v3, 3, v0
	s_delay_alu instid0(VALU_DEP_1)
	v_and_b32_e32 v3, 28, v3
	s_wait_dscnt 0x0
	ds_store_b32 v3, v1 offset:64
.LBB15_199:
	s_or_b32 exec_lo, exec_lo, s5
	s_delay_alu instid0(SALU_CYCLE_1)
	s_mov_b32 s5, exec_lo
	s_wait_dscnt 0x0
	s_barrier_signal -1
	s_barrier_wait -1
	global_inv scope:SCOPE_SE
	v_cmpx_gt_u32_e32 32, v0
	s_cbranch_execz .LBB15_201
; %bb.200:
	v_and_b32_e32 v1, 7, v2
	s_delay_alu instid0(VALU_DEP_1) | instskip(SKIP_4) | instid1(VALU_DEP_2)
	v_lshlrev_b32_e32 v3, 2, v1
	v_cmp_ne_u32_e32 vcc_lo, 7, v1
	ds_load_b32 v3, v3 offset:64
	v_add_co_ci_u32_e64 v4, null, 0, v2, vcc_lo
	v_cmp_gt_u32_e32 vcc_lo, 6, v1
	v_lshlrev_b32_e32 v4, 2, v4
	s_wait_alu 0xfffd
	v_cndmask_b32_e64 v1, 0, 2, vcc_lo
	s_delay_alu instid0(VALU_DEP_1) | instskip(SKIP_1) | instid1(VALU_DEP_1)
	v_add_lshl_u32 v1, v1, v2, 2
	v_lshlrev_b32_e32 v2, 2, v2
	v_or_b32_e32 v2, 16, v2
	s_wait_dscnt 0x0
	ds_bpermute_b32 v4, v4, v3
	s_wait_dscnt 0x0
	v_add_nc_u32_e32 v3, v4, v3
	ds_bpermute_b32 v1, v1, v3
	s_wait_dscnt 0x0
	v_add_nc_u32_e32 v1, v1, v3
	;; [unrolled: 3-line block ×3, first 2 shown]
.LBB15_201:
	s_or_b32 exec_lo, exec_lo, s5
	s_mov_b32 s5, 0
	s_branch .LBB15_204
.LBB15_202:
                                        ; implicit-def: $vgpr1
	s_branch .LBB15_224
.LBB15_203:
	s_mov_b32 s5, -1
                                        ; implicit-def: $vgpr1
.LBB15_204:
	s_delay_alu instid0(SALU_CYCLE_1)
	s_and_b32 vcc_lo, exec_lo, s5
	s_wait_alu 0xfffe
	s_cbranch_vccz .LBB15_214
; %bb.205:
	v_mov_b32_e32 v1, 0
	s_sub_co_i32 s4, s38, s4
	s_mov_b32 s5, exec_lo
	s_delay_alu instid0(VALU_DEP_1)
	v_mov_b32_e32 v2, v1
	v_cmpx_gt_u32_e64 s4, v0
	s_cbranch_execz .LBB15_207
; %bb.206:
	v_dual_mov_b32 v3, v1 :: v_dual_lshlrev_b32 v2, 2, v0
	global_load_b32 v2, v2, s[2:3]
	s_wait_loadcnt 0x0
	v_mov_b32_e32 v1, v2
	v_mov_b32_e32 v2, v3
.LBB15_207:
	s_or_b32 exec_lo, exec_lo, s5
	v_or_b32_e32 v3, 0x100, v0
	s_delay_alu instid0(VALU_DEP_1)
	v_cmp_gt_u32_e32 vcc_lo, s4, v3
	s_and_saveexec_b32 s5, vcc_lo
	s_cbranch_execz .LBB15_209
; %bb.208:
	v_lshlrev_b32_e32 v2, 2, v0
	global_load_b32 v2, v2, s[2:3] offset:1024
.LBB15_209:
	s_wait_alu 0xfffe
	s_or_b32 exec_lo, exec_lo, s5
	v_mbcnt_lo_u32_b32 v3, -1, 0
	s_wait_loadcnt 0x0
	v_cndmask_b32_e32 v2, 0, v2, vcc_lo
	s_min_u32 s2, s4, 0x100
	s_mov_b32 s3, exec_lo
	v_cmp_ne_u32_e32 vcc_lo, 31, v3
	v_add_nc_u32_e32 v5, 1, v3
	v_add_nc_u32_e32 v1, v2, v1
	s_wait_alu 0xfffd
	v_add_co_ci_u32_e64 v4, null, 0, v3, vcc_lo
	v_cmp_gt_u32_e32 vcc_lo, 30, v3
	s_delay_alu instid0(VALU_DEP_2)
	v_lshlrev_b32_e32 v2, 2, v4
	v_and_b32_e32 v4, 0xe0, v0
	s_wait_alu 0xfffd
	v_cndmask_b32_e64 v6, 0, 2, vcc_lo
	ds_bpermute_b32 v2, v2, v1
	v_sub_nc_u32_e64 v4, s2, v4 clamp
	s_delay_alu instid0(VALU_DEP_1)
	v_cmp_lt_u32_e32 vcc_lo, v5, v4
	v_add_lshl_u32 v5, v6, v3, 2
	s_wait_dscnt 0x0
	s_wait_alu 0xfffd
	v_cndmask_b32_e32 v2, 0, v2, vcc_lo
	v_cmp_gt_u32_e32 vcc_lo, 28, v3
	s_delay_alu instid0(VALU_DEP_2) | instskip(SKIP_4) | instid1(VALU_DEP_1)
	v_add_nc_u32_e32 v1, v2, v1
	s_wait_alu 0xfffd
	v_cndmask_b32_e64 v6, 0, 4, vcc_lo
	ds_bpermute_b32 v2, v5, v1
	v_add_nc_u32_e32 v5, 2, v3
	v_cmp_lt_u32_e32 vcc_lo, v5, v4
	v_add_lshl_u32 v5, v6, v3, 2
	s_wait_dscnt 0x0
	s_wait_alu 0xfffd
	v_cndmask_b32_e32 v2, 0, v2, vcc_lo
	v_cmp_gt_u32_e32 vcc_lo, 24, v3
	s_delay_alu instid0(VALU_DEP_2) | instskip(SKIP_4) | instid1(VALU_DEP_1)
	v_add_nc_u32_e32 v1, v1, v2
	s_wait_alu 0xfffd
	v_cndmask_b32_e64 v6, 0, 8, vcc_lo
	ds_bpermute_b32 v2, v5, v1
	v_add_nc_u32_e32 v5, 4, v3
	v_cmp_lt_u32_e32 vcc_lo, v5, v4
	v_add_lshl_u32 v5, v6, v3, 2
	v_add_nc_u32_e32 v6, 8, v3
	s_wait_dscnt 0x0
	s_wait_alu 0xfffd
	v_cndmask_b32_e32 v2, 0, v2, vcc_lo
	s_delay_alu instid0(VALU_DEP_2) | instskip(NEXT) | instid1(VALU_DEP_2)
	v_cmp_lt_u32_e32 vcc_lo, v6, v4
	v_add_nc_u32_e32 v1, v1, v2
	v_lshlrev_b32_e32 v2, 2, v3
	ds_bpermute_b32 v5, v5, v1
	v_or_b32_e32 v6, 64, v2
	s_wait_dscnt 0x0
	s_wait_alu 0xfffd
	v_cndmask_b32_e32 v5, 0, v5, vcc_lo
	s_delay_alu instid0(VALU_DEP_1) | instskip(SKIP_2) | instid1(VALU_DEP_1)
	v_add_nc_u32_e32 v1, v1, v5
	ds_bpermute_b32 v5, v6, v1
	v_add_nc_u32_e32 v6, 16, v3
	v_cmp_lt_u32_e32 vcc_lo, v6, v4
	s_wait_dscnt 0x0
	s_wait_alu 0xfffd
	v_cndmask_b32_e32 v4, 0, v5, vcc_lo
	s_delay_alu instid0(VALU_DEP_1)
	v_add_nc_u32_e32 v1, v1, v4
	v_cmpx_eq_u32_e32 0, v3
; %bb.210:
	v_lshrrev_b32_e32 v4, 3, v0
	s_delay_alu instid0(VALU_DEP_1)
	v_and_b32_e32 v4, 28, v4
	ds_store_b32 v4, v1 offset:192
; %bb.211:
	s_or_b32 exec_lo, exec_lo, s3
	s_delay_alu instid0(SALU_CYCLE_1)
	s_mov_b32 s3, exec_lo
	s_wait_dscnt 0x0
	s_barrier_signal -1
	s_barrier_wait -1
	global_inv scope:SCOPE_SE
	v_cmpx_gt_u32_e32 8, v0
	s_cbranch_execz .LBB15_213
; %bb.212:
	ds_load_b32 v1, v2 offset:192
	v_and_b32_e32 v4, 7, v3
	s_add_co_i32 s2, s2, 31
	v_or_b32_e32 v2, 16, v2
	s_wait_alu 0xfffe
	s_lshr_b32 s2, s2, 5
	v_cmp_ne_u32_e32 vcc_lo, 7, v4
	v_add_nc_u32_e32 v6, 1, v4
	s_wait_alu 0xfffd
	v_add_co_ci_u32_e64 v5, null, 0, v3, vcc_lo
	v_cmp_gt_u32_e32 vcc_lo, 6, v4
	s_delay_alu instid0(VALU_DEP_2)
	v_lshlrev_b32_e32 v5, 2, v5
	s_wait_alu 0xfffd
	v_cndmask_b32_e64 v7, 0, 2, vcc_lo
	s_wait_alu 0xfffe
	v_cmp_gt_u32_e32 vcc_lo, s2, v6
	s_wait_dscnt 0x0
	ds_bpermute_b32 v5, v5, v1
	v_add_lshl_u32 v3, v7, v3, 2
	s_wait_dscnt 0x0
	s_wait_alu 0xfffd
	v_cndmask_b32_e32 v5, 0, v5, vcc_lo
	s_delay_alu instid0(VALU_DEP_1)
	v_add_nc_u32_e32 v1, v5, v1
	v_add_nc_u32_e32 v5, 2, v4
	ds_bpermute_b32 v3, v3, v1
	v_cmp_gt_u32_e32 vcc_lo, s2, v5
	s_wait_dscnt 0x0
	s_wait_alu 0xfffd
	v_cndmask_b32_e32 v3, 0, v3, vcc_lo
	s_delay_alu instid0(VALU_DEP_1)
	v_add_nc_u32_e32 v1, v1, v3
	v_add_nc_u32_e32 v3, 4, v4
	ds_bpermute_b32 v2, v2, v1
	v_cmp_gt_u32_e32 vcc_lo, s2, v3
	s_wait_dscnt 0x0
	s_wait_alu 0xfffd
	v_cndmask_b32_e32 v2, 0, v2, vcc_lo
	s_delay_alu instid0(VALU_DEP_1)
	v_add_nc_u32_e32 v1, v1, v2
.LBB15_213:
	s_wait_alu 0xfffe
	s_or_b32 exec_lo, exec_lo, s3
.LBB15_214:
	v_cmp_eq_u32_e64 s2, 0, v0
	s_branch .LBB15_224
.LBB15_215:
	s_cmp_eq_u32 s33, 1
	s_cbranch_scc0 .LBB15_223
; %bb.216:
	s_mov_b32 s3, 0
	v_mbcnt_lo_u32_b32 v2, -1, 0
	s_lshr_b64 s[4:5], s[38:39], 8
	s_mov_b32 s35, s3
	s_lshl_b32 s2, s34, 8
	s_cmp_lg_u64 s[4:5], s[34:35]
	s_cbranch_scc0 .LBB15_227
; %bb.217:
	v_lshlrev_b32_e32 v1, 2, v0
	s_lshl_b64 s[4:5], s[2:3], 2
	s_delay_alu instid0(SALU_CYCLE_1) | instskip(SKIP_4) | instid1(VALU_DEP_1)
	s_add_nc_u64 s[4:5], s[36:37], s[4:5]
	global_load_b32 v1, v1, s[4:5]
	s_mov_b32 s4, exec_lo
	s_wait_loadcnt 0x0
	v_mov_b32_dpp v3, v1 quad_perm:[1,0,3,2] row_mask:0xf bank_mask:0xf
	v_add_nc_u32_e32 v1, v3, v1
	s_delay_alu instid0(VALU_DEP_1) | instskip(NEXT) | instid1(VALU_DEP_1)
	v_mov_b32_dpp v3, v1 quad_perm:[2,3,0,1] row_mask:0xf bank_mask:0xf
	v_add_nc_u32_e32 v1, v1, v3
	s_delay_alu instid0(VALU_DEP_1) | instskip(NEXT) | instid1(VALU_DEP_1)
	v_mov_b32_dpp v3, v1 row_ror:4 row_mask:0xf bank_mask:0xf
	v_add_nc_u32_e32 v1, v1, v3
	s_delay_alu instid0(VALU_DEP_1) | instskip(NEXT) | instid1(VALU_DEP_1)
	v_mov_b32_dpp v3, v1 row_ror:8 row_mask:0xf bank_mask:0xf
	v_add_nc_u32_e32 v1, v1, v3
	ds_swizzle_b32 v3, v1 offset:swizzle(BROADCAST,32,15)
	s_wait_dscnt 0x0
	v_add_nc_u32_e32 v1, v1, v3
	v_mov_b32_e32 v3, 0
	ds_bpermute_b32 v1, v3, v1 offset:124
	v_cmpx_eq_u32_e32 0, v2
	s_cbranch_execz .LBB15_219
; %bb.218:
	v_lshrrev_b32_e32 v3, 3, v0
	s_delay_alu instid0(VALU_DEP_1)
	v_and_b32_e32 v3, 28, v3
	s_wait_dscnt 0x0
	ds_store_b32 v3, v1 offset:32
.LBB15_219:
	s_or_b32 exec_lo, exec_lo, s4
	s_delay_alu instid0(SALU_CYCLE_1)
	s_mov_b32 s4, exec_lo
	s_wait_dscnt 0x0
	s_barrier_signal -1
	s_barrier_wait -1
	global_inv scope:SCOPE_SE
	v_cmpx_gt_u32_e32 32, v0
	s_cbranch_execz .LBB15_221
; %bb.220:
	v_and_b32_e32 v1, 7, v2
	s_delay_alu instid0(VALU_DEP_1) | instskip(SKIP_4) | instid1(VALU_DEP_2)
	v_lshlrev_b32_e32 v3, 2, v1
	v_cmp_ne_u32_e32 vcc_lo, 7, v1
	ds_load_b32 v3, v3 offset:32
	v_add_co_ci_u32_e64 v4, null, 0, v2, vcc_lo
	v_cmp_gt_u32_e32 vcc_lo, 6, v1
	v_lshlrev_b32_e32 v4, 2, v4
	s_wait_alu 0xfffd
	v_cndmask_b32_e64 v1, 0, 2, vcc_lo
	s_delay_alu instid0(VALU_DEP_1)
	v_add_lshl_u32 v1, v1, v2, 2
	s_wait_dscnt 0x0
	ds_bpermute_b32 v4, v4, v3
	s_wait_dscnt 0x0
	v_add_nc_u32_e32 v3, v4, v3
	v_lshlrev_b32_e32 v4, 2, v2
	ds_bpermute_b32 v1, v1, v3
	s_wait_dscnt 0x0
	v_add_nc_u32_e32 v1, v1, v3
	v_or_b32_e32 v3, 16, v4
	ds_bpermute_b32 v3, v3, v1
	s_wait_dscnt 0x0
	v_add_nc_u32_e32 v1, v3, v1
.LBB15_221:
	s_or_b32 exec_lo, exec_lo, s4
.LBB15_222:
	v_cmp_eq_u32_e64 s2, 0, v0
	s_and_saveexec_b32 s3, s2
	s_cbranch_execnz .LBB15_225
	s_branch .LBB15_226
.LBB15_223:
                                        ; implicit-def: $vgpr1
                                        ; implicit-def: $sgpr34_sgpr35
.LBB15_224:
	s_delay_alu instid0(VALU_DEP_1)
	s_and_saveexec_b32 s3, s2
	s_cbranch_execz .LBB15_226
.LBB15_225:
	s_load_b96 s[0:2], s[0:1], 0x18
	s_lshl_b64 s[4:5], s[34:35], 2
	s_cmp_lg_u64 s[38:39], 0
	s_cselect_b32 vcc_lo, -1, 0
	s_wait_alu 0xfffe
	v_dual_cndmask_b32 v0, 0, v1 :: v_dual_mov_b32 v1, 0
	s_wait_kmcnt 0x0
	s_delay_alu instid0(VALU_DEP_1)
	v_add_nc_u32_e32 v0, s2, v0
	s_add_nc_u64 s[0:1], s[0:1], s[4:5]
	global_store_b32 v1, v0, s[0:1]
.LBB15_226:
	s_endpgm
.LBB15_227:
                                        ; implicit-def: $vgpr1
	s_cbranch_execz .LBB15_222
; %bb.228:
	s_sub_co_i32 s4, s38, s2
	s_mov_b32 s5, exec_lo
                                        ; implicit-def: $vgpr1
	v_cmpx_gt_u32_e64 s4, v0
	s_cbranch_execz .LBB15_230
; %bb.229:
	v_lshlrev_b32_e32 v1, 2, v0
	s_lshl_b64 s[2:3], s[2:3], 2
	s_delay_alu instid0(SALU_CYCLE_1)
	s_add_nc_u64 s[2:3], s[36:37], s[2:3]
	global_load_b32 v1, v1, s[2:3]
.LBB15_230:
	s_or_b32 exec_lo, exec_lo, s5
	v_cmp_ne_u32_e32 vcc_lo, 31, v2
	s_min_u32 s2, s4, 0x100
	v_add_nc_u32_e32 v5, 1, v2
	s_mov_b32 s3, exec_lo
	v_add_co_ci_u32_e64 v3, null, 0, v2, vcc_lo
	v_cmp_gt_u32_e32 vcc_lo, 30, v2
	s_delay_alu instid0(VALU_DEP_2)
	v_lshlrev_b32_e32 v3, 2, v3
	s_wait_alu 0xfffd
	v_cndmask_b32_e64 v6, 0, 2, vcc_lo
	s_wait_loadcnt 0x0
	ds_bpermute_b32 v3, v3, v1
	v_and_b32_e32 v4, 0xe0, v0
	s_delay_alu instid0(VALU_DEP_1) | instskip(NEXT) | instid1(VALU_DEP_1)
	v_sub_nc_u32_e64 v4, s2, v4 clamp
	v_cmp_lt_u32_e32 vcc_lo, v5, v4
	v_add_lshl_u32 v5, v6, v2, 2
	s_wait_dscnt 0x0
	s_wait_alu 0xfffd
	v_cndmask_b32_e32 v3, 0, v3, vcc_lo
	v_cmp_gt_u32_e32 vcc_lo, 28, v2
	s_delay_alu instid0(VALU_DEP_2) | instskip(SKIP_4) | instid1(VALU_DEP_1)
	v_add_nc_u32_e32 v1, v3, v1
	s_wait_alu 0xfffd
	v_cndmask_b32_e64 v6, 0, 4, vcc_lo
	ds_bpermute_b32 v3, v5, v1
	v_add_nc_u32_e32 v5, 2, v2
	v_cmp_lt_u32_e32 vcc_lo, v5, v4
	v_add_lshl_u32 v5, v6, v2, 2
	s_wait_dscnt 0x0
	s_wait_alu 0xfffd
	v_cndmask_b32_e32 v3, 0, v3, vcc_lo
	v_cmp_gt_u32_e32 vcc_lo, 24, v2
	s_delay_alu instid0(VALU_DEP_2) | instskip(SKIP_4) | instid1(VALU_DEP_1)
	v_add_nc_u32_e32 v1, v1, v3
	s_wait_alu 0xfffd
	v_cndmask_b32_e64 v6, 0, 8, vcc_lo
	ds_bpermute_b32 v3, v5, v1
	v_add_nc_u32_e32 v5, 4, v2
	v_cmp_lt_u32_e32 vcc_lo, v5, v4
	v_add_lshl_u32 v5, v6, v2, 2
	s_wait_dscnt 0x0
	s_wait_alu 0xfffd
	v_dual_cndmask_b32 v3, 0, v3 :: v_dual_add_nc_u32 v6, 8, v2
	s_delay_alu instid0(VALU_DEP_1) | instskip(NEXT) | instid1(VALU_DEP_2)
	v_cmp_lt_u32_e32 vcc_lo, v6, v4
	v_add_nc_u32_e32 v1, v1, v3
	v_lshlrev_b32_e32 v3, 2, v2
	ds_bpermute_b32 v5, v5, v1
	v_or_b32_e32 v6, 64, v3
	s_wait_dscnt 0x0
	s_wait_alu 0xfffd
	v_cndmask_b32_e32 v5, 0, v5, vcc_lo
	s_delay_alu instid0(VALU_DEP_1) | instskip(SKIP_2) | instid1(VALU_DEP_1)
	v_add_nc_u32_e32 v1, v1, v5
	ds_bpermute_b32 v5, v6, v1
	v_add_nc_u32_e32 v6, 16, v2
	v_cmp_lt_u32_e32 vcc_lo, v6, v4
	s_wait_dscnt 0x0
	s_wait_alu 0xfffd
	v_cndmask_b32_e32 v4, 0, v5, vcc_lo
	s_delay_alu instid0(VALU_DEP_1)
	v_add_nc_u32_e32 v1, v1, v4
	v_cmpx_eq_u32_e32 0, v2
; %bb.231:
	v_lshrrev_b32_e32 v4, 3, v0
	s_delay_alu instid0(VALU_DEP_1)
	v_and_b32_e32 v4, 28, v4
	ds_store_b32 v4, v1 offset:192
; %bb.232:
	s_or_b32 exec_lo, exec_lo, s3
	s_delay_alu instid0(SALU_CYCLE_1)
	s_mov_b32 s3, exec_lo
	s_wait_dscnt 0x0
	s_barrier_signal -1
	s_barrier_wait -1
	global_inv scope:SCOPE_SE
	v_cmpx_gt_u32_e32 8, v0
	s_cbranch_execz .LBB15_234
; %bb.233:
	ds_load_b32 v1, v3 offset:192
	v_and_b32_e32 v4, 7, v2
	s_add_co_i32 s2, s2, 31
	s_wait_alu 0xfffe
	s_lshr_b32 s2, s2, 5
	s_delay_alu instid0(VALU_DEP_1) | instskip(SKIP_4) | instid1(VALU_DEP_2)
	v_cmp_ne_u32_e32 vcc_lo, 7, v4
	v_add_nc_u32_e32 v6, 1, v4
	s_wait_alu 0xfffd
	v_add_co_ci_u32_e64 v5, null, 0, v2, vcc_lo
	v_cmp_gt_u32_e32 vcc_lo, 6, v4
	v_lshlrev_b32_e32 v5, 2, v5
	s_wait_alu 0xfffd
	v_cndmask_b32_e64 v7, 0, 2, vcc_lo
	s_wait_alu 0xfffe
	v_cmp_gt_u32_e32 vcc_lo, s2, v6
	s_wait_dscnt 0x0
	ds_bpermute_b32 v5, v5, v1
	v_add_lshl_u32 v2, v7, v2, 2
	s_wait_dscnt 0x0
	s_wait_alu 0xfffd
	v_cndmask_b32_e32 v5, 0, v5, vcc_lo
	s_delay_alu instid0(VALU_DEP_1)
	v_add_nc_u32_e32 v1, v5, v1
	v_add_nc_u32_e32 v5, 2, v4
	ds_bpermute_b32 v2, v2, v1
	v_cmp_gt_u32_e32 vcc_lo, s2, v5
	s_wait_dscnt 0x0
	s_wait_alu 0xfffd
	v_cndmask_b32_e32 v2, 0, v2, vcc_lo
	s_delay_alu instid0(VALU_DEP_1)
	v_add_nc_u32_e32 v1, v1, v2
	v_or_b32_e32 v2, 16, v3
	v_add_nc_u32_e32 v3, 4, v4
	ds_bpermute_b32 v2, v2, v1
	v_cmp_gt_u32_e32 vcc_lo, s2, v3
	s_wait_dscnt 0x0
	s_wait_alu 0xfffd
	v_cndmask_b32_e32 v2, 0, v2, vcc_lo
	s_delay_alu instid0(VALU_DEP_1)
	v_add_nc_u32_e32 v1, v1, v2
.LBB15_234:
	s_wait_alu 0xfffe
	s_or_b32 exec_lo, exec_lo, s3
	v_cmp_eq_u32_e64 s2, 0, v0
	s_and_saveexec_b32 s3, s2
	s_cbranch_execnz .LBB15_225
	s_branch .LBB15_226
	.section	.rodata,"a",@progbits
	.p2align	6, 0x0
	.amdhsa_kernel _ZN7rocprim17ROCPRIM_400000_NS6detail17trampoline_kernelINS0_14default_configENS1_22reduce_config_selectorIiEEZNS1_11reduce_implILb1ES3_PiS7_iN6hipcub16HIPCUB_304000_NS6detail34convert_binary_result_type_wrapperINS9_3SumENS9_22TransformInputIteratorIbN2at6native12_GLOBAL__N_19NonZeroOpIhEEPKhlEEiEEEE10hipError_tPvRmT1_T2_T3_mT4_P12ihipStream_tbEUlT_E1_NS1_11comp_targetILNS1_3genE10ELNS1_11target_archE1201ELNS1_3gpuE5ELNS1_3repE0EEENS1_30default_config_static_selectorELNS0_4arch9wavefront6targetE0EEEvSQ_
		.amdhsa_group_segment_fixed_size 224
		.amdhsa_private_segment_fixed_size 0
		.amdhsa_kernarg_size 40
		.amdhsa_user_sgpr_count 2
		.amdhsa_user_sgpr_dispatch_ptr 0
		.amdhsa_user_sgpr_queue_ptr 0
		.amdhsa_user_sgpr_kernarg_segment_ptr 1
		.amdhsa_user_sgpr_dispatch_id 0
		.amdhsa_user_sgpr_private_segment_size 0
		.amdhsa_wavefront_size32 1
		.amdhsa_uses_dynamic_stack 0
		.amdhsa_enable_private_segment 0
		.amdhsa_system_sgpr_workgroup_id_x 1
		.amdhsa_system_sgpr_workgroup_id_y 0
		.amdhsa_system_sgpr_workgroup_id_z 0
		.amdhsa_system_sgpr_workgroup_info 0
		.amdhsa_system_vgpr_workitem_id 0
		.amdhsa_next_free_vgpr 34
		.amdhsa_next_free_sgpr 45
		.amdhsa_reserve_vcc 1
		.amdhsa_float_round_mode_32 0
		.amdhsa_float_round_mode_16_64 0
		.amdhsa_float_denorm_mode_32 3
		.amdhsa_float_denorm_mode_16_64 3
		.amdhsa_fp16_overflow 0
		.amdhsa_workgroup_processor_mode 1
		.amdhsa_memory_ordered 1
		.amdhsa_forward_progress 1
		.amdhsa_inst_pref_size 93
		.amdhsa_round_robin_scheduling 0
		.amdhsa_exception_fp_ieee_invalid_op 0
		.amdhsa_exception_fp_denorm_src 0
		.amdhsa_exception_fp_ieee_div_zero 0
		.amdhsa_exception_fp_ieee_overflow 0
		.amdhsa_exception_fp_ieee_underflow 0
		.amdhsa_exception_fp_ieee_inexact 0
		.amdhsa_exception_int_div_zero 0
	.end_amdhsa_kernel
	.section	.text._ZN7rocprim17ROCPRIM_400000_NS6detail17trampoline_kernelINS0_14default_configENS1_22reduce_config_selectorIiEEZNS1_11reduce_implILb1ES3_PiS7_iN6hipcub16HIPCUB_304000_NS6detail34convert_binary_result_type_wrapperINS9_3SumENS9_22TransformInputIteratorIbN2at6native12_GLOBAL__N_19NonZeroOpIhEEPKhlEEiEEEE10hipError_tPvRmT1_T2_T3_mT4_P12ihipStream_tbEUlT_E1_NS1_11comp_targetILNS1_3genE10ELNS1_11target_archE1201ELNS1_3gpuE5ELNS1_3repE0EEENS1_30default_config_static_selectorELNS0_4arch9wavefront6targetE0EEEvSQ_,"axG",@progbits,_ZN7rocprim17ROCPRIM_400000_NS6detail17trampoline_kernelINS0_14default_configENS1_22reduce_config_selectorIiEEZNS1_11reduce_implILb1ES3_PiS7_iN6hipcub16HIPCUB_304000_NS6detail34convert_binary_result_type_wrapperINS9_3SumENS9_22TransformInputIteratorIbN2at6native12_GLOBAL__N_19NonZeroOpIhEEPKhlEEiEEEE10hipError_tPvRmT1_T2_T3_mT4_P12ihipStream_tbEUlT_E1_NS1_11comp_targetILNS1_3genE10ELNS1_11target_archE1201ELNS1_3gpuE5ELNS1_3repE0EEENS1_30default_config_static_selectorELNS0_4arch9wavefront6targetE0EEEvSQ_,comdat
.Lfunc_end15:
	.size	_ZN7rocprim17ROCPRIM_400000_NS6detail17trampoline_kernelINS0_14default_configENS1_22reduce_config_selectorIiEEZNS1_11reduce_implILb1ES3_PiS7_iN6hipcub16HIPCUB_304000_NS6detail34convert_binary_result_type_wrapperINS9_3SumENS9_22TransformInputIteratorIbN2at6native12_GLOBAL__N_19NonZeroOpIhEEPKhlEEiEEEE10hipError_tPvRmT1_T2_T3_mT4_P12ihipStream_tbEUlT_E1_NS1_11comp_targetILNS1_3genE10ELNS1_11target_archE1201ELNS1_3gpuE5ELNS1_3repE0EEENS1_30default_config_static_selectorELNS0_4arch9wavefront6targetE0EEEvSQ_, .Lfunc_end15-_ZN7rocprim17ROCPRIM_400000_NS6detail17trampoline_kernelINS0_14default_configENS1_22reduce_config_selectorIiEEZNS1_11reduce_implILb1ES3_PiS7_iN6hipcub16HIPCUB_304000_NS6detail34convert_binary_result_type_wrapperINS9_3SumENS9_22TransformInputIteratorIbN2at6native12_GLOBAL__N_19NonZeroOpIhEEPKhlEEiEEEE10hipError_tPvRmT1_T2_T3_mT4_P12ihipStream_tbEUlT_E1_NS1_11comp_targetILNS1_3genE10ELNS1_11target_archE1201ELNS1_3gpuE5ELNS1_3repE0EEENS1_30default_config_static_selectorELNS0_4arch9wavefront6targetE0EEEvSQ_
                                        ; -- End function
	.set _ZN7rocprim17ROCPRIM_400000_NS6detail17trampoline_kernelINS0_14default_configENS1_22reduce_config_selectorIiEEZNS1_11reduce_implILb1ES3_PiS7_iN6hipcub16HIPCUB_304000_NS6detail34convert_binary_result_type_wrapperINS9_3SumENS9_22TransformInputIteratorIbN2at6native12_GLOBAL__N_19NonZeroOpIhEEPKhlEEiEEEE10hipError_tPvRmT1_T2_T3_mT4_P12ihipStream_tbEUlT_E1_NS1_11comp_targetILNS1_3genE10ELNS1_11target_archE1201ELNS1_3gpuE5ELNS1_3repE0EEENS1_30default_config_static_selectorELNS0_4arch9wavefront6targetE0EEEvSQ_.num_vgpr, 34
	.set _ZN7rocprim17ROCPRIM_400000_NS6detail17trampoline_kernelINS0_14default_configENS1_22reduce_config_selectorIiEEZNS1_11reduce_implILb1ES3_PiS7_iN6hipcub16HIPCUB_304000_NS6detail34convert_binary_result_type_wrapperINS9_3SumENS9_22TransformInputIteratorIbN2at6native12_GLOBAL__N_19NonZeroOpIhEEPKhlEEiEEEE10hipError_tPvRmT1_T2_T3_mT4_P12ihipStream_tbEUlT_E1_NS1_11comp_targetILNS1_3genE10ELNS1_11target_archE1201ELNS1_3gpuE5ELNS1_3repE0EEENS1_30default_config_static_selectorELNS0_4arch9wavefront6targetE0EEEvSQ_.num_agpr, 0
	.set _ZN7rocprim17ROCPRIM_400000_NS6detail17trampoline_kernelINS0_14default_configENS1_22reduce_config_selectorIiEEZNS1_11reduce_implILb1ES3_PiS7_iN6hipcub16HIPCUB_304000_NS6detail34convert_binary_result_type_wrapperINS9_3SumENS9_22TransformInputIteratorIbN2at6native12_GLOBAL__N_19NonZeroOpIhEEPKhlEEiEEEE10hipError_tPvRmT1_T2_T3_mT4_P12ihipStream_tbEUlT_E1_NS1_11comp_targetILNS1_3genE10ELNS1_11target_archE1201ELNS1_3gpuE5ELNS1_3repE0EEENS1_30default_config_static_selectorELNS0_4arch9wavefront6targetE0EEEvSQ_.numbered_sgpr, 45
	.set _ZN7rocprim17ROCPRIM_400000_NS6detail17trampoline_kernelINS0_14default_configENS1_22reduce_config_selectorIiEEZNS1_11reduce_implILb1ES3_PiS7_iN6hipcub16HIPCUB_304000_NS6detail34convert_binary_result_type_wrapperINS9_3SumENS9_22TransformInputIteratorIbN2at6native12_GLOBAL__N_19NonZeroOpIhEEPKhlEEiEEEE10hipError_tPvRmT1_T2_T3_mT4_P12ihipStream_tbEUlT_E1_NS1_11comp_targetILNS1_3genE10ELNS1_11target_archE1201ELNS1_3gpuE5ELNS1_3repE0EEENS1_30default_config_static_selectorELNS0_4arch9wavefront6targetE0EEEvSQ_.num_named_barrier, 0
	.set _ZN7rocprim17ROCPRIM_400000_NS6detail17trampoline_kernelINS0_14default_configENS1_22reduce_config_selectorIiEEZNS1_11reduce_implILb1ES3_PiS7_iN6hipcub16HIPCUB_304000_NS6detail34convert_binary_result_type_wrapperINS9_3SumENS9_22TransformInputIteratorIbN2at6native12_GLOBAL__N_19NonZeroOpIhEEPKhlEEiEEEE10hipError_tPvRmT1_T2_T3_mT4_P12ihipStream_tbEUlT_E1_NS1_11comp_targetILNS1_3genE10ELNS1_11target_archE1201ELNS1_3gpuE5ELNS1_3repE0EEENS1_30default_config_static_selectorELNS0_4arch9wavefront6targetE0EEEvSQ_.private_seg_size, 0
	.set _ZN7rocprim17ROCPRIM_400000_NS6detail17trampoline_kernelINS0_14default_configENS1_22reduce_config_selectorIiEEZNS1_11reduce_implILb1ES3_PiS7_iN6hipcub16HIPCUB_304000_NS6detail34convert_binary_result_type_wrapperINS9_3SumENS9_22TransformInputIteratorIbN2at6native12_GLOBAL__N_19NonZeroOpIhEEPKhlEEiEEEE10hipError_tPvRmT1_T2_T3_mT4_P12ihipStream_tbEUlT_E1_NS1_11comp_targetILNS1_3genE10ELNS1_11target_archE1201ELNS1_3gpuE5ELNS1_3repE0EEENS1_30default_config_static_selectorELNS0_4arch9wavefront6targetE0EEEvSQ_.uses_vcc, 1
	.set _ZN7rocprim17ROCPRIM_400000_NS6detail17trampoline_kernelINS0_14default_configENS1_22reduce_config_selectorIiEEZNS1_11reduce_implILb1ES3_PiS7_iN6hipcub16HIPCUB_304000_NS6detail34convert_binary_result_type_wrapperINS9_3SumENS9_22TransformInputIteratorIbN2at6native12_GLOBAL__N_19NonZeroOpIhEEPKhlEEiEEEE10hipError_tPvRmT1_T2_T3_mT4_P12ihipStream_tbEUlT_E1_NS1_11comp_targetILNS1_3genE10ELNS1_11target_archE1201ELNS1_3gpuE5ELNS1_3repE0EEENS1_30default_config_static_selectorELNS0_4arch9wavefront6targetE0EEEvSQ_.uses_flat_scratch, 0
	.set _ZN7rocprim17ROCPRIM_400000_NS6detail17trampoline_kernelINS0_14default_configENS1_22reduce_config_selectorIiEEZNS1_11reduce_implILb1ES3_PiS7_iN6hipcub16HIPCUB_304000_NS6detail34convert_binary_result_type_wrapperINS9_3SumENS9_22TransformInputIteratorIbN2at6native12_GLOBAL__N_19NonZeroOpIhEEPKhlEEiEEEE10hipError_tPvRmT1_T2_T3_mT4_P12ihipStream_tbEUlT_E1_NS1_11comp_targetILNS1_3genE10ELNS1_11target_archE1201ELNS1_3gpuE5ELNS1_3repE0EEENS1_30default_config_static_selectorELNS0_4arch9wavefront6targetE0EEEvSQ_.has_dyn_sized_stack, 0
	.set _ZN7rocprim17ROCPRIM_400000_NS6detail17trampoline_kernelINS0_14default_configENS1_22reduce_config_selectorIiEEZNS1_11reduce_implILb1ES3_PiS7_iN6hipcub16HIPCUB_304000_NS6detail34convert_binary_result_type_wrapperINS9_3SumENS9_22TransformInputIteratorIbN2at6native12_GLOBAL__N_19NonZeroOpIhEEPKhlEEiEEEE10hipError_tPvRmT1_T2_T3_mT4_P12ihipStream_tbEUlT_E1_NS1_11comp_targetILNS1_3genE10ELNS1_11target_archE1201ELNS1_3gpuE5ELNS1_3repE0EEENS1_30default_config_static_selectorELNS0_4arch9wavefront6targetE0EEEvSQ_.has_recursion, 0
	.set _ZN7rocprim17ROCPRIM_400000_NS6detail17trampoline_kernelINS0_14default_configENS1_22reduce_config_selectorIiEEZNS1_11reduce_implILb1ES3_PiS7_iN6hipcub16HIPCUB_304000_NS6detail34convert_binary_result_type_wrapperINS9_3SumENS9_22TransformInputIteratorIbN2at6native12_GLOBAL__N_19NonZeroOpIhEEPKhlEEiEEEE10hipError_tPvRmT1_T2_T3_mT4_P12ihipStream_tbEUlT_E1_NS1_11comp_targetILNS1_3genE10ELNS1_11target_archE1201ELNS1_3gpuE5ELNS1_3repE0EEENS1_30default_config_static_selectorELNS0_4arch9wavefront6targetE0EEEvSQ_.has_indirect_call, 0
	.section	.AMDGPU.csdata,"",@progbits
; Kernel info:
; codeLenInByte = 11904
; TotalNumSgprs: 47
; NumVgprs: 34
; ScratchSize: 0
; MemoryBound: 0
; FloatMode: 240
; IeeeMode: 1
; LDSByteSize: 224 bytes/workgroup (compile time only)
; SGPRBlocks: 0
; VGPRBlocks: 4
; NumSGPRsForWavesPerEU: 47
; NumVGPRsForWavesPerEU: 34
; Occupancy: 16
; WaveLimiterHint : 1
; COMPUTE_PGM_RSRC2:SCRATCH_EN: 0
; COMPUTE_PGM_RSRC2:USER_SGPR: 2
; COMPUTE_PGM_RSRC2:TRAP_HANDLER: 0
; COMPUTE_PGM_RSRC2:TGID_X_EN: 1
; COMPUTE_PGM_RSRC2:TGID_Y_EN: 0
; COMPUTE_PGM_RSRC2:TGID_Z_EN: 0
; COMPUTE_PGM_RSRC2:TIDIG_COMP_CNT: 0
	.section	.text._ZN7rocprim17ROCPRIM_400000_NS6detail17trampoline_kernelINS0_14default_configENS1_22reduce_config_selectorIiEEZNS1_11reduce_implILb1ES3_PiS7_iN6hipcub16HIPCUB_304000_NS6detail34convert_binary_result_type_wrapperINS9_3SumENS9_22TransformInputIteratorIbN2at6native12_GLOBAL__N_19NonZeroOpIhEEPKhlEEiEEEE10hipError_tPvRmT1_T2_T3_mT4_P12ihipStream_tbEUlT_E1_NS1_11comp_targetILNS1_3genE10ELNS1_11target_archE1200ELNS1_3gpuE4ELNS1_3repE0EEENS1_30default_config_static_selectorELNS0_4arch9wavefront6targetE0EEEvSQ_,"axG",@progbits,_ZN7rocprim17ROCPRIM_400000_NS6detail17trampoline_kernelINS0_14default_configENS1_22reduce_config_selectorIiEEZNS1_11reduce_implILb1ES3_PiS7_iN6hipcub16HIPCUB_304000_NS6detail34convert_binary_result_type_wrapperINS9_3SumENS9_22TransformInputIteratorIbN2at6native12_GLOBAL__N_19NonZeroOpIhEEPKhlEEiEEEE10hipError_tPvRmT1_T2_T3_mT4_P12ihipStream_tbEUlT_E1_NS1_11comp_targetILNS1_3genE10ELNS1_11target_archE1200ELNS1_3gpuE4ELNS1_3repE0EEENS1_30default_config_static_selectorELNS0_4arch9wavefront6targetE0EEEvSQ_,comdat
	.globl	_ZN7rocprim17ROCPRIM_400000_NS6detail17trampoline_kernelINS0_14default_configENS1_22reduce_config_selectorIiEEZNS1_11reduce_implILb1ES3_PiS7_iN6hipcub16HIPCUB_304000_NS6detail34convert_binary_result_type_wrapperINS9_3SumENS9_22TransformInputIteratorIbN2at6native12_GLOBAL__N_19NonZeroOpIhEEPKhlEEiEEEE10hipError_tPvRmT1_T2_T3_mT4_P12ihipStream_tbEUlT_E1_NS1_11comp_targetILNS1_3genE10ELNS1_11target_archE1200ELNS1_3gpuE4ELNS1_3repE0EEENS1_30default_config_static_selectorELNS0_4arch9wavefront6targetE0EEEvSQ_ ; -- Begin function _ZN7rocprim17ROCPRIM_400000_NS6detail17trampoline_kernelINS0_14default_configENS1_22reduce_config_selectorIiEEZNS1_11reduce_implILb1ES3_PiS7_iN6hipcub16HIPCUB_304000_NS6detail34convert_binary_result_type_wrapperINS9_3SumENS9_22TransformInputIteratorIbN2at6native12_GLOBAL__N_19NonZeroOpIhEEPKhlEEiEEEE10hipError_tPvRmT1_T2_T3_mT4_P12ihipStream_tbEUlT_E1_NS1_11comp_targetILNS1_3genE10ELNS1_11target_archE1200ELNS1_3gpuE4ELNS1_3repE0EEENS1_30default_config_static_selectorELNS0_4arch9wavefront6targetE0EEEvSQ_
	.p2align	8
	.type	_ZN7rocprim17ROCPRIM_400000_NS6detail17trampoline_kernelINS0_14default_configENS1_22reduce_config_selectorIiEEZNS1_11reduce_implILb1ES3_PiS7_iN6hipcub16HIPCUB_304000_NS6detail34convert_binary_result_type_wrapperINS9_3SumENS9_22TransformInputIteratorIbN2at6native12_GLOBAL__N_19NonZeroOpIhEEPKhlEEiEEEE10hipError_tPvRmT1_T2_T3_mT4_P12ihipStream_tbEUlT_E1_NS1_11comp_targetILNS1_3genE10ELNS1_11target_archE1200ELNS1_3gpuE4ELNS1_3repE0EEENS1_30default_config_static_selectorELNS0_4arch9wavefront6targetE0EEEvSQ_,@function
_ZN7rocprim17ROCPRIM_400000_NS6detail17trampoline_kernelINS0_14default_configENS1_22reduce_config_selectorIiEEZNS1_11reduce_implILb1ES3_PiS7_iN6hipcub16HIPCUB_304000_NS6detail34convert_binary_result_type_wrapperINS9_3SumENS9_22TransformInputIteratorIbN2at6native12_GLOBAL__N_19NonZeroOpIhEEPKhlEEiEEEE10hipError_tPvRmT1_T2_T3_mT4_P12ihipStream_tbEUlT_E1_NS1_11comp_targetILNS1_3genE10ELNS1_11target_archE1200ELNS1_3gpuE4ELNS1_3repE0EEENS1_30default_config_static_selectorELNS0_4arch9wavefront6targetE0EEEvSQ_: ; @_ZN7rocprim17ROCPRIM_400000_NS6detail17trampoline_kernelINS0_14default_configENS1_22reduce_config_selectorIiEEZNS1_11reduce_implILb1ES3_PiS7_iN6hipcub16HIPCUB_304000_NS6detail34convert_binary_result_type_wrapperINS9_3SumENS9_22TransformInputIteratorIbN2at6native12_GLOBAL__N_19NonZeroOpIhEEPKhlEEiEEEE10hipError_tPvRmT1_T2_T3_mT4_P12ihipStream_tbEUlT_E1_NS1_11comp_targetILNS1_3genE10ELNS1_11target_archE1200ELNS1_3gpuE4ELNS1_3repE0EEENS1_30default_config_static_selectorELNS0_4arch9wavefront6targetE0EEEvSQ_
; %bb.0:
	.section	.rodata,"a",@progbits
	.p2align	6, 0x0
	.amdhsa_kernel _ZN7rocprim17ROCPRIM_400000_NS6detail17trampoline_kernelINS0_14default_configENS1_22reduce_config_selectorIiEEZNS1_11reduce_implILb1ES3_PiS7_iN6hipcub16HIPCUB_304000_NS6detail34convert_binary_result_type_wrapperINS9_3SumENS9_22TransformInputIteratorIbN2at6native12_GLOBAL__N_19NonZeroOpIhEEPKhlEEiEEEE10hipError_tPvRmT1_T2_T3_mT4_P12ihipStream_tbEUlT_E1_NS1_11comp_targetILNS1_3genE10ELNS1_11target_archE1200ELNS1_3gpuE4ELNS1_3repE0EEENS1_30default_config_static_selectorELNS0_4arch9wavefront6targetE0EEEvSQ_
		.amdhsa_group_segment_fixed_size 0
		.amdhsa_private_segment_fixed_size 0
		.amdhsa_kernarg_size 40
		.amdhsa_user_sgpr_count 2
		.amdhsa_user_sgpr_dispatch_ptr 0
		.amdhsa_user_sgpr_queue_ptr 0
		.amdhsa_user_sgpr_kernarg_segment_ptr 1
		.amdhsa_user_sgpr_dispatch_id 0
		.amdhsa_user_sgpr_private_segment_size 0
		.amdhsa_wavefront_size32 1
		.amdhsa_uses_dynamic_stack 0
		.amdhsa_enable_private_segment 0
		.amdhsa_system_sgpr_workgroup_id_x 1
		.amdhsa_system_sgpr_workgroup_id_y 0
		.amdhsa_system_sgpr_workgroup_id_z 0
		.amdhsa_system_sgpr_workgroup_info 0
		.amdhsa_system_vgpr_workitem_id 0
		.amdhsa_next_free_vgpr 1
		.amdhsa_next_free_sgpr 1
		.amdhsa_reserve_vcc 0
		.amdhsa_float_round_mode_32 0
		.amdhsa_float_round_mode_16_64 0
		.amdhsa_float_denorm_mode_32 3
		.amdhsa_float_denorm_mode_16_64 3
		.amdhsa_fp16_overflow 0
		.amdhsa_workgroup_processor_mode 1
		.amdhsa_memory_ordered 1
		.amdhsa_forward_progress 1
		.amdhsa_inst_pref_size 0
		.amdhsa_round_robin_scheduling 0
		.amdhsa_exception_fp_ieee_invalid_op 0
		.amdhsa_exception_fp_denorm_src 0
		.amdhsa_exception_fp_ieee_div_zero 0
		.amdhsa_exception_fp_ieee_overflow 0
		.amdhsa_exception_fp_ieee_underflow 0
		.amdhsa_exception_fp_ieee_inexact 0
		.amdhsa_exception_int_div_zero 0
	.end_amdhsa_kernel
	.section	.text._ZN7rocprim17ROCPRIM_400000_NS6detail17trampoline_kernelINS0_14default_configENS1_22reduce_config_selectorIiEEZNS1_11reduce_implILb1ES3_PiS7_iN6hipcub16HIPCUB_304000_NS6detail34convert_binary_result_type_wrapperINS9_3SumENS9_22TransformInputIteratorIbN2at6native12_GLOBAL__N_19NonZeroOpIhEEPKhlEEiEEEE10hipError_tPvRmT1_T2_T3_mT4_P12ihipStream_tbEUlT_E1_NS1_11comp_targetILNS1_3genE10ELNS1_11target_archE1200ELNS1_3gpuE4ELNS1_3repE0EEENS1_30default_config_static_selectorELNS0_4arch9wavefront6targetE0EEEvSQ_,"axG",@progbits,_ZN7rocprim17ROCPRIM_400000_NS6detail17trampoline_kernelINS0_14default_configENS1_22reduce_config_selectorIiEEZNS1_11reduce_implILb1ES3_PiS7_iN6hipcub16HIPCUB_304000_NS6detail34convert_binary_result_type_wrapperINS9_3SumENS9_22TransformInputIteratorIbN2at6native12_GLOBAL__N_19NonZeroOpIhEEPKhlEEiEEEE10hipError_tPvRmT1_T2_T3_mT4_P12ihipStream_tbEUlT_E1_NS1_11comp_targetILNS1_3genE10ELNS1_11target_archE1200ELNS1_3gpuE4ELNS1_3repE0EEENS1_30default_config_static_selectorELNS0_4arch9wavefront6targetE0EEEvSQ_,comdat
.Lfunc_end16:
	.size	_ZN7rocprim17ROCPRIM_400000_NS6detail17trampoline_kernelINS0_14default_configENS1_22reduce_config_selectorIiEEZNS1_11reduce_implILb1ES3_PiS7_iN6hipcub16HIPCUB_304000_NS6detail34convert_binary_result_type_wrapperINS9_3SumENS9_22TransformInputIteratorIbN2at6native12_GLOBAL__N_19NonZeroOpIhEEPKhlEEiEEEE10hipError_tPvRmT1_T2_T3_mT4_P12ihipStream_tbEUlT_E1_NS1_11comp_targetILNS1_3genE10ELNS1_11target_archE1200ELNS1_3gpuE4ELNS1_3repE0EEENS1_30default_config_static_selectorELNS0_4arch9wavefront6targetE0EEEvSQ_, .Lfunc_end16-_ZN7rocprim17ROCPRIM_400000_NS6detail17trampoline_kernelINS0_14default_configENS1_22reduce_config_selectorIiEEZNS1_11reduce_implILb1ES3_PiS7_iN6hipcub16HIPCUB_304000_NS6detail34convert_binary_result_type_wrapperINS9_3SumENS9_22TransformInputIteratorIbN2at6native12_GLOBAL__N_19NonZeroOpIhEEPKhlEEiEEEE10hipError_tPvRmT1_T2_T3_mT4_P12ihipStream_tbEUlT_E1_NS1_11comp_targetILNS1_3genE10ELNS1_11target_archE1200ELNS1_3gpuE4ELNS1_3repE0EEENS1_30default_config_static_selectorELNS0_4arch9wavefront6targetE0EEEvSQ_
                                        ; -- End function
	.set _ZN7rocprim17ROCPRIM_400000_NS6detail17trampoline_kernelINS0_14default_configENS1_22reduce_config_selectorIiEEZNS1_11reduce_implILb1ES3_PiS7_iN6hipcub16HIPCUB_304000_NS6detail34convert_binary_result_type_wrapperINS9_3SumENS9_22TransformInputIteratorIbN2at6native12_GLOBAL__N_19NonZeroOpIhEEPKhlEEiEEEE10hipError_tPvRmT1_T2_T3_mT4_P12ihipStream_tbEUlT_E1_NS1_11comp_targetILNS1_3genE10ELNS1_11target_archE1200ELNS1_3gpuE4ELNS1_3repE0EEENS1_30default_config_static_selectorELNS0_4arch9wavefront6targetE0EEEvSQ_.num_vgpr, 0
	.set _ZN7rocprim17ROCPRIM_400000_NS6detail17trampoline_kernelINS0_14default_configENS1_22reduce_config_selectorIiEEZNS1_11reduce_implILb1ES3_PiS7_iN6hipcub16HIPCUB_304000_NS6detail34convert_binary_result_type_wrapperINS9_3SumENS9_22TransformInputIteratorIbN2at6native12_GLOBAL__N_19NonZeroOpIhEEPKhlEEiEEEE10hipError_tPvRmT1_T2_T3_mT4_P12ihipStream_tbEUlT_E1_NS1_11comp_targetILNS1_3genE10ELNS1_11target_archE1200ELNS1_3gpuE4ELNS1_3repE0EEENS1_30default_config_static_selectorELNS0_4arch9wavefront6targetE0EEEvSQ_.num_agpr, 0
	.set _ZN7rocprim17ROCPRIM_400000_NS6detail17trampoline_kernelINS0_14default_configENS1_22reduce_config_selectorIiEEZNS1_11reduce_implILb1ES3_PiS7_iN6hipcub16HIPCUB_304000_NS6detail34convert_binary_result_type_wrapperINS9_3SumENS9_22TransformInputIteratorIbN2at6native12_GLOBAL__N_19NonZeroOpIhEEPKhlEEiEEEE10hipError_tPvRmT1_T2_T3_mT4_P12ihipStream_tbEUlT_E1_NS1_11comp_targetILNS1_3genE10ELNS1_11target_archE1200ELNS1_3gpuE4ELNS1_3repE0EEENS1_30default_config_static_selectorELNS0_4arch9wavefront6targetE0EEEvSQ_.numbered_sgpr, 0
	.set _ZN7rocprim17ROCPRIM_400000_NS6detail17trampoline_kernelINS0_14default_configENS1_22reduce_config_selectorIiEEZNS1_11reduce_implILb1ES3_PiS7_iN6hipcub16HIPCUB_304000_NS6detail34convert_binary_result_type_wrapperINS9_3SumENS9_22TransformInputIteratorIbN2at6native12_GLOBAL__N_19NonZeroOpIhEEPKhlEEiEEEE10hipError_tPvRmT1_T2_T3_mT4_P12ihipStream_tbEUlT_E1_NS1_11comp_targetILNS1_3genE10ELNS1_11target_archE1200ELNS1_3gpuE4ELNS1_3repE0EEENS1_30default_config_static_selectorELNS0_4arch9wavefront6targetE0EEEvSQ_.num_named_barrier, 0
	.set _ZN7rocprim17ROCPRIM_400000_NS6detail17trampoline_kernelINS0_14default_configENS1_22reduce_config_selectorIiEEZNS1_11reduce_implILb1ES3_PiS7_iN6hipcub16HIPCUB_304000_NS6detail34convert_binary_result_type_wrapperINS9_3SumENS9_22TransformInputIteratorIbN2at6native12_GLOBAL__N_19NonZeroOpIhEEPKhlEEiEEEE10hipError_tPvRmT1_T2_T3_mT4_P12ihipStream_tbEUlT_E1_NS1_11comp_targetILNS1_3genE10ELNS1_11target_archE1200ELNS1_3gpuE4ELNS1_3repE0EEENS1_30default_config_static_selectorELNS0_4arch9wavefront6targetE0EEEvSQ_.private_seg_size, 0
	.set _ZN7rocprim17ROCPRIM_400000_NS6detail17trampoline_kernelINS0_14default_configENS1_22reduce_config_selectorIiEEZNS1_11reduce_implILb1ES3_PiS7_iN6hipcub16HIPCUB_304000_NS6detail34convert_binary_result_type_wrapperINS9_3SumENS9_22TransformInputIteratorIbN2at6native12_GLOBAL__N_19NonZeroOpIhEEPKhlEEiEEEE10hipError_tPvRmT1_T2_T3_mT4_P12ihipStream_tbEUlT_E1_NS1_11comp_targetILNS1_3genE10ELNS1_11target_archE1200ELNS1_3gpuE4ELNS1_3repE0EEENS1_30default_config_static_selectorELNS0_4arch9wavefront6targetE0EEEvSQ_.uses_vcc, 0
	.set _ZN7rocprim17ROCPRIM_400000_NS6detail17trampoline_kernelINS0_14default_configENS1_22reduce_config_selectorIiEEZNS1_11reduce_implILb1ES3_PiS7_iN6hipcub16HIPCUB_304000_NS6detail34convert_binary_result_type_wrapperINS9_3SumENS9_22TransformInputIteratorIbN2at6native12_GLOBAL__N_19NonZeroOpIhEEPKhlEEiEEEE10hipError_tPvRmT1_T2_T3_mT4_P12ihipStream_tbEUlT_E1_NS1_11comp_targetILNS1_3genE10ELNS1_11target_archE1200ELNS1_3gpuE4ELNS1_3repE0EEENS1_30default_config_static_selectorELNS0_4arch9wavefront6targetE0EEEvSQ_.uses_flat_scratch, 0
	.set _ZN7rocprim17ROCPRIM_400000_NS6detail17trampoline_kernelINS0_14default_configENS1_22reduce_config_selectorIiEEZNS1_11reduce_implILb1ES3_PiS7_iN6hipcub16HIPCUB_304000_NS6detail34convert_binary_result_type_wrapperINS9_3SumENS9_22TransformInputIteratorIbN2at6native12_GLOBAL__N_19NonZeroOpIhEEPKhlEEiEEEE10hipError_tPvRmT1_T2_T3_mT4_P12ihipStream_tbEUlT_E1_NS1_11comp_targetILNS1_3genE10ELNS1_11target_archE1200ELNS1_3gpuE4ELNS1_3repE0EEENS1_30default_config_static_selectorELNS0_4arch9wavefront6targetE0EEEvSQ_.has_dyn_sized_stack, 0
	.set _ZN7rocprim17ROCPRIM_400000_NS6detail17trampoline_kernelINS0_14default_configENS1_22reduce_config_selectorIiEEZNS1_11reduce_implILb1ES3_PiS7_iN6hipcub16HIPCUB_304000_NS6detail34convert_binary_result_type_wrapperINS9_3SumENS9_22TransformInputIteratorIbN2at6native12_GLOBAL__N_19NonZeroOpIhEEPKhlEEiEEEE10hipError_tPvRmT1_T2_T3_mT4_P12ihipStream_tbEUlT_E1_NS1_11comp_targetILNS1_3genE10ELNS1_11target_archE1200ELNS1_3gpuE4ELNS1_3repE0EEENS1_30default_config_static_selectorELNS0_4arch9wavefront6targetE0EEEvSQ_.has_recursion, 0
	.set _ZN7rocprim17ROCPRIM_400000_NS6detail17trampoline_kernelINS0_14default_configENS1_22reduce_config_selectorIiEEZNS1_11reduce_implILb1ES3_PiS7_iN6hipcub16HIPCUB_304000_NS6detail34convert_binary_result_type_wrapperINS9_3SumENS9_22TransformInputIteratorIbN2at6native12_GLOBAL__N_19NonZeroOpIhEEPKhlEEiEEEE10hipError_tPvRmT1_T2_T3_mT4_P12ihipStream_tbEUlT_E1_NS1_11comp_targetILNS1_3genE10ELNS1_11target_archE1200ELNS1_3gpuE4ELNS1_3repE0EEENS1_30default_config_static_selectorELNS0_4arch9wavefront6targetE0EEEvSQ_.has_indirect_call, 0
	.section	.AMDGPU.csdata,"",@progbits
; Kernel info:
; codeLenInByte = 0
; TotalNumSgprs: 0
; NumVgprs: 0
; ScratchSize: 0
; MemoryBound: 0
; FloatMode: 240
; IeeeMode: 1
; LDSByteSize: 0 bytes/workgroup (compile time only)
; SGPRBlocks: 0
; VGPRBlocks: 0
; NumSGPRsForWavesPerEU: 1
; NumVGPRsForWavesPerEU: 1
; Occupancy: 16
; WaveLimiterHint : 0
; COMPUTE_PGM_RSRC2:SCRATCH_EN: 0
; COMPUTE_PGM_RSRC2:USER_SGPR: 2
; COMPUTE_PGM_RSRC2:TRAP_HANDLER: 0
; COMPUTE_PGM_RSRC2:TGID_X_EN: 1
; COMPUTE_PGM_RSRC2:TGID_Y_EN: 0
; COMPUTE_PGM_RSRC2:TGID_Z_EN: 0
; COMPUTE_PGM_RSRC2:TIDIG_COMP_CNT: 0
	.section	.text._ZN7rocprim17ROCPRIM_400000_NS6detail17trampoline_kernelINS0_14default_configENS1_22reduce_config_selectorIiEEZNS1_11reduce_implILb1ES3_PiS7_iN6hipcub16HIPCUB_304000_NS6detail34convert_binary_result_type_wrapperINS9_3SumENS9_22TransformInputIteratorIbN2at6native12_GLOBAL__N_19NonZeroOpIhEEPKhlEEiEEEE10hipError_tPvRmT1_T2_T3_mT4_P12ihipStream_tbEUlT_E1_NS1_11comp_targetILNS1_3genE9ELNS1_11target_archE1100ELNS1_3gpuE3ELNS1_3repE0EEENS1_30default_config_static_selectorELNS0_4arch9wavefront6targetE0EEEvSQ_,"axG",@progbits,_ZN7rocprim17ROCPRIM_400000_NS6detail17trampoline_kernelINS0_14default_configENS1_22reduce_config_selectorIiEEZNS1_11reduce_implILb1ES3_PiS7_iN6hipcub16HIPCUB_304000_NS6detail34convert_binary_result_type_wrapperINS9_3SumENS9_22TransformInputIteratorIbN2at6native12_GLOBAL__N_19NonZeroOpIhEEPKhlEEiEEEE10hipError_tPvRmT1_T2_T3_mT4_P12ihipStream_tbEUlT_E1_NS1_11comp_targetILNS1_3genE9ELNS1_11target_archE1100ELNS1_3gpuE3ELNS1_3repE0EEENS1_30default_config_static_selectorELNS0_4arch9wavefront6targetE0EEEvSQ_,comdat
	.globl	_ZN7rocprim17ROCPRIM_400000_NS6detail17trampoline_kernelINS0_14default_configENS1_22reduce_config_selectorIiEEZNS1_11reduce_implILb1ES3_PiS7_iN6hipcub16HIPCUB_304000_NS6detail34convert_binary_result_type_wrapperINS9_3SumENS9_22TransformInputIteratorIbN2at6native12_GLOBAL__N_19NonZeroOpIhEEPKhlEEiEEEE10hipError_tPvRmT1_T2_T3_mT4_P12ihipStream_tbEUlT_E1_NS1_11comp_targetILNS1_3genE9ELNS1_11target_archE1100ELNS1_3gpuE3ELNS1_3repE0EEENS1_30default_config_static_selectorELNS0_4arch9wavefront6targetE0EEEvSQ_ ; -- Begin function _ZN7rocprim17ROCPRIM_400000_NS6detail17trampoline_kernelINS0_14default_configENS1_22reduce_config_selectorIiEEZNS1_11reduce_implILb1ES3_PiS7_iN6hipcub16HIPCUB_304000_NS6detail34convert_binary_result_type_wrapperINS9_3SumENS9_22TransformInputIteratorIbN2at6native12_GLOBAL__N_19NonZeroOpIhEEPKhlEEiEEEE10hipError_tPvRmT1_T2_T3_mT4_P12ihipStream_tbEUlT_E1_NS1_11comp_targetILNS1_3genE9ELNS1_11target_archE1100ELNS1_3gpuE3ELNS1_3repE0EEENS1_30default_config_static_selectorELNS0_4arch9wavefront6targetE0EEEvSQ_
	.p2align	8
	.type	_ZN7rocprim17ROCPRIM_400000_NS6detail17trampoline_kernelINS0_14default_configENS1_22reduce_config_selectorIiEEZNS1_11reduce_implILb1ES3_PiS7_iN6hipcub16HIPCUB_304000_NS6detail34convert_binary_result_type_wrapperINS9_3SumENS9_22TransformInputIteratorIbN2at6native12_GLOBAL__N_19NonZeroOpIhEEPKhlEEiEEEE10hipError_tPvRmT1_T2_T3_mT4_P12ihipStream_tbEUlT_E1_NS1_11comp_targetILNS1_3genE9ELNS1_11target_archE1100ELNS1_3gpuE3ELNS1_3repE0EEENS1_30default_config_static_selectorELNS0_4arch9wavefront6targetE0EEEvSQ_,@function
_ZN7rocprim17ROCPRIM_400000_NS6detail17trampoline_kernelINS0_14default_configENS1_22reduce_config_selectorIiEEZNS1_11reduce_implILb1ES3_PiS7_iN6hipcub16HIPCUB_304000_NS6detail34convert_binary_result_type_wrapperINS9_3SumENS9_22TransformInputIteratorIbN2at6native12_GLOBAL__N_19NonZeroOpIhEEPKhlEEiEEEE10hipError_tPvRmT1_T2_T3_mT4_P12ihipStream_tbEUlT_E1_NS1_11comp_targetILNS1_3genE9ELNS1_11target_archE1100ELNS1_3gpuE3ELNS1_3repE0EEENS1_30default_config_static_selectorELNS0_4arch9wavefront6targetE0EEEvSQ_: ; @_ZN7rocprim17ROCPRIM_400000_NS6detail17trampoline_kernelINS0_14default_configENS1_22reduce_config_selectorIiEEZNS1_11reduce_implILb1ES3_PiS7_iN6hipcub16HIPCUB_304000_NS6detail34convert_binary_result_type_wrapperINS9_3SumENS9_22TransformInputIteratorIbN2at6native12_GLOBAL__N_19NonZeroOpIhEEPKhlEEiEEEE10hipError_tPvRmT1_T2_T3_mT4_P12ihipStream_tbEUlT_E1_NS1_11comp_targetILNS1_3genE9ELNS1_11target_archE1100ELNS1_3gpuE3ELNS1_3repE0EEENS1_30default_config_static_selectorELNS0_4arch9wavefront6targetE0EEEvSQ_
; %bb.0:
	.section	.rodata,"a",@progbits
	.p2align	6, 0x0
	.amdhsa_kernel _ZN7rocprim17ROCPRIM_400000_NS6detail17trampoline_kernelINS0_14default_configENS1_22reduce_config_selectorIiEEZNS1_11reduce_implILb1ES3_PiS7_iN6hipcub16HIPCUB_304000_NS6detail34convert_binary_result_type_wrapperINS9_3SumENS9_22TransformInputIteratorIbN2at6native12_GLOBAL__N_19NonZeroOpIhEEPKhlEEiEEEE10hipError_tPvRmT1_T2_T3_mT4_P12ihipStream_tbEUlT_E1_NS1_11comp_targetILNS1_3genE9ELNS1_11target_archE1100ELNS1_3gpuE3ELNS1_3repE0EEENS1_30default_config_static_selectorELNS0_4arch9wavefront6targetE0EEEvSQ_
		.amdhsa_group_segment_fixed_size 0
		.amdhsa_private_segment_fixed_size 0
		.amdhsa_kernarg_size 40
		.amdhsa_user_sgpr_count 2
		.amdhsa_user_sgpr_dispatch_ptr 0
		.amdhsa_user_sgpr_queue_ptr 0
		.amdhsa_user_sgpr_kernarg_segment_ptr 1
		.amdhsa_user_sgpr_dispatch_id 0
		.amdhsa_user_sgpr_private_segment_size 0
		.amdhsa_wavefront_size32 1
		.amdhsa_uses_dynamic_stack 0
		.amdhsa_enable_private_segment 0
		.amdhsa_system_sgpr_workgroup_id_x 1
		.amdhsa_system_sgpr_workgroup_id_y 0
		.amdhsa_system_sgpr_workgroup_id_z 0
		.amdhsa_system_sgpr_workgroup_info 0
		.amdhsa_system_vgpr_workitem_id 0
		.amdhsa_next_free_vgpr 1
		.amdhsa_next_free_sgpr 1
		.amdhsa_reserve_vcc 0
		.amdhsa_float_round_mode_32 0
		.amdhsa_float_round_mode_16_64 0
		.amdhsa_float_denorm_mode_32 3
		.amdhsa_float_denorm_mode_16_64 3
		.amdhsa_fp16_overflow 0
		.amdhsa_workgroup_processor_mode 1
		.amdhsa_memory_ordered 1
		.amdhsa_forward_progress 1
		.amdhsa_inst_pref_size 0
		.amdhsa_round_robin_scheduling 0
		.amdhsa_exception_fp_ieee_invalid_op 0
		.amdhsa_exception_fp_denorm_src 0
		.amdhsa_exception_fp_ieee_div_zero 0
		.amdhsa_exception_fp_ieee_overflow 0
		.amdhsa_exception_fp_ieee_underflow 0
		.amdhsa_exception_fp_ieee_inexact 0
		.amdhsa_exception_int_div_zero 0
	.end_amdhsa_kernel
	.section	.text._ZN7rocprim17ROCPRIM_400000_NS6detail17trampoline_kernelINS0_14default_configENS1_22reduce_config_selectorIiEEZNS1_11reduce_implILb1ES3_PiS7_iN6hipcub16HIPCUB_304000_NS6detail34convert_binary_result_type_wrapperINS9_3SumENS9_22TransformInputIteratorIbN2at6native12_GLOBAL__N_19NonZeroOpIhEEPKhlEEiEEEE10hipError_tPvRmT1_T2_T3_mT4_P12ihipStream_tbEUlT_E1_NS1_11comp_targetILNS1_3genE9ELNS1_11target_archE1100ELNS1_3gpuE3ELNS1_3repE0EEENS1_30default_config_static_selectorELNS0_4arch9wavefront6targetE0EEEvSQ_,"axG",@progbits,_ZN7rocprim17ROCPRIM_400000_NS6detail17trampoline_kernelINS0_14default_configENS1_22reduce_config_selectorIiEEZNS1_11reduce_implILb1ES3_PiS7_iN6hipcub16HIPCUB_304000_NS6detail34convert_binary_result_type_wrapperINS9_3SumENS9_22TransformInputIteratorIbN2at6native12_GLOBAL__N_19NonZeroOpIhEEPKhlEEiEEEE10hipError_tPvRmT1_T2_T3_mT4_P12ihipStream_tbEUlT_E1_NS1_11comp_targetILNS1_3genE9ELNS1_11target_archE1100ELNS1_3gpuE3ELNS1_3repE0EEENS1_30default_config_static_selectorELNS0_4arch9wavefront6targetE0EEEvSQ_,comdat
.Lfunc_end17:
	.size	_ZN7rocprim17ROCPRIM_400000_NS6detail17trampoline_kernelINS0_14default_configENS1_22reduce_config_selectorIiEEZNS1_11reduce_implILb1ES3_PiS7_iN6hipcub16HIPCUB_304000_NS6detail34convert_binary_result_type_wrapperINS9_3SumENS9_22TransformInputIteratorIbN2at6native12_GLOBAL__N_19NonZeroOpIhEEPKhlEEiEEEE10hipError_tPvRmT1_T2_T3_mT4_P12ihipStream_tbEUlT_E1_NS1_11comp_targetILNS1_3genE9ELNS1_11target_archE1100ELNS1_3gpuE3ELNS1_3repE0EEENS1_30default_config_static_selectorELNS0_4arch9wavefront6targetE0EEEvSQ_, .Lfunc_end17-_ZN7rocprim17ROCPRIM_400000_NS6detail17trampoline_kernelINS0_14default_configENS1_22reduce_config_selectorIiEEZNS1_11reduce_implILb1ES3_PiS7_iN6hipcub16HIPCUB_304000_NS6detail34convert_binary_result_type_wrapperINS9_3SumENS9_22TransformInputIteratorIbN2at6native12_GLOBAL__N_19NonZeroOpIhEEPKhlEEiEEEE10hipError_tPvRmT1_T2_T3_mT4_P12ihipStream_tbEUlT_E1_NS1_11comp_targetILNS1_3genE9ELNS1_11target_archE1100ELNS1_3gpuE3ELNS1_3repE0EEENS1_30default_config_static_selectorELNS0_4arch9wavefront6targetE0EEEvSQ_
                                        ; -- End function
	.set _ZN7rocprim17ROCPRIM_400000_NS6detail17trampoline_kernelINS0_14default_configENS1_22reduce_config_selectorIiEEZNS1_11reduce_implILb1ES3_PiS7_iN6hipcub16HIPCUB_304000_NS6detail34convert_binary_result_type_wrapperINS9_3SumENS9_22TransformInputIteratorIbN2at6native12_GLOBAL__N_19NonZeroOpIhEEPKhlEEiEEEE10hipError_tPvRmT1_T2_T3_mT4_P12ihipStream_tbEUlT_E1_NS1_11comp_targetILNS1_3genE9ELNS1_11target_archE1100ELNS1_3gpuE3ELNS1_3repE0EEENS1_30default_config_static_selectorELNS0_4arch9wavefront6targetE0EEEvSQ_.num_vgpr, 0
	.set _ZN7rocprim17ROCPRIM_400000_NS6detail17trampoline_kernelINS0_14default_configENS1_22reduce_config_selectorIiEEZNS1_11reduce_implILb1ES3_PiS7_iN6hipcub16HIPCUB_304000_NS6detail34convert_binary_result_type_wrapperINS9_3SumENS9_22TransformInputIteratorIbN2at6native12_GLOBAL__N_19NonZeroOpIhEEPKhlEEiEEEE10hipError_tPvRmT1_T2_T3_mT4_P12ihipStream_tbEUlT_E1_NS1_11comp_targetILNS1_3genE9ELNS1_11target_archE1100ELNS1_3gpuE3ELNS1_3repE0EEENS1_30default_config_static_selectorELNS0_4arch9wavefront6targetE0EEEvSQ_.num_agpr, 0
	.set _ZN7rocprim17ROCPRIM_400000_NS6detail17trampoline_kernelINS0_14default_configENS1_22reduce_config_selectorIiEEZNS1_11reduce_implILb1ES3_PiS7_iN6hipcub16HIPCUB_304000_NS6detail34convert_binary_result_type_wrapperINS9_3SumENS9_22TransformInputIteratorIbN2at6native12_GLOBAL__N_19NonZeroOpIhEEPKhlEEiEEEE10hipError_tPvRmT1_T2_T3_mT4_P12ihipStream_tbEUlT_E1_NS1_11comp_targetILNS1_3genE9ELNS1_11target_archE1100ELNS1_3gpuE3ELNS1_3repE0EEENS1_30default_config_static_selectorELNS0_4arch9wavefront6targetE0EEEvSQ_.numbered_sgpr, 0
	.set _ZN7rocprim17ROCPRIM_400000_NS6detail17trampoline_kernelINS0_14default_configENS1_22reduce_config_selectorIiEEZNS1_11reduce_implILb1ES3_PiS7_iN6hipcub16HIPCUB_304000_NS6detail34convert_binary_result_type_wrapperINS9_3SumENS9_22TransformInputIteratorIbN2at6native12_GLOBAL__N_19NonZeroOpIhEEPKhlEEiEEEE10hipError_tPvRmT1_T2_T3_mT4_P12ihipStream_tbEUlT_E1_NS1_11comp_targetILNS1_3genE9ELNS1_11target_archE1100ELNS1_3gpuE3ELNS1_3repE0EEENS1_30default_config_static_selectorELNS0_4arch9wavefront6targetE0EEEvSQ_.num_named_barrier, 0
	.set _ZN7rocprim17ROCPRIM_400000_NS6detail17trampoline_kernelINS0_14default_configENS1_22reduce_config_selectorIiEEZNS1_11reduce_implILb1ES3_PiS7_iN6hipcub16HIPCUB_304000_NS6detail34convert_binary_result_type_wrapperINS9_3SumENS9_22TransformInputIteratorIbN2at6native12_GLOBAL__N_19NonZeroOpIhEEPKhlEEiEEEE10hipError_tPvRmT1_T2_T3_mT4_P12ihipStream_tbEUlT_E1_NS1_11comp_targetILNS1_3genE9ELNS1_11target_archE1100ELNS1_3gpuE3ELNS1_3repE0EEENS1_30default_config_static_selectorELNS0_4arch9wavefront6targetE0EEEvSQ_.private_seg_size, 0
	.set _ZN7rocprim17ROCPRIM_400000_NS6detail17trampoline_kernelINS0_14default_configENS1_22reduce_config_selectorIiEEZNS1_11reduce_implILb1ES3_PiS7_iN6hipcub16HIPCUB_304000_NS6detail34convert_binary_result_type_wrapperINS9_3SumENS9_22TransformInputIteratorIbN2at6native12_GLOBAL__N_19NonZeroOpIhEEPKhlEEiEEEE10hipError_tPvRmT1_T2_T3_mT4_P12ihipStream_tbEUlT_E1_NS1_11comp_targetILNS1_3genE9ELNS1_11target_archE1100ELNS1_3gpuE3ELNS1_3repE0EEENS1_30default_config_static_selectorELNS0_4arch9wavefront6targetE0EEEvSQ_.uses_vcc, 0
	.set _ZN7rocprim17ROCPRIM_400000_NS6detail17trampoline_kernelINS0_14default_configENS1_22reduce_config_selectorIiEEZNS1_11reduce_implILb1ES3_PiS7_iN6hipcub16HIPCUB_304000_NS6detail34convert_binary_result_type_wrapperINS9_3SumENS9_22TransformInputIteratorIbN2at6native12_GLOBAL__N_19NonZeroOpIhEEPKhlEEiEEEE10hipError_tPvRmT1_T2_T3_mT4_P12ihipStream_tbEUlT_E1_NS1_11comp_targetILNS1_3genE9ELNS1_11target_archE1100ELNS1_3gpuE3ELNS1_3repE0EEENS1_30default_config_static_selectorELNS0_4arch9wavefront6targetE0EEEvSQ_.uses_flat_scratch, 0
	.set _ZN7rocprim17ROCPRIM_400000_NS6detail17trampoline_kernelINS0_14default_configENS1_22reduce_config_selectorIiEEZNS1_11reduce_implILb1ES3_PiS7_iN6hipcub16HIPCUB_304000_NS6detail34convert_binary_result_type_wrapperINS9_3SumENS9_22TransformInputIteratorIbN2at6native12_GLOBAL__N_19NonZeroOpIhEEPKhlEEiEEEE10hipError_tPvRmT1_T2_T3_mT4_P12ihipStream_tbEUlT_E1_NS1_11comp_targetILNS1_3genE9ELNS1_11target_archE1100ELNS1_3gpuE3ELNS1_3repE0EEENS1_30default_config_static_selectorELNS0_4arch9wavefront6targetE0EEEvSQ_.has_dyn_sized_stack, 0
	.set _ZN7rocprim17ROCPRIM_400000_NS6detail17trampoline_kernelINS0_14default_configENS1_22reduce_config_selectorIiEEZNS1_11reduce_implILb1ES3_PiS7_iN6hipcub16HIPCUB_304000_NS6detail34convert_binary_result_type_wrapperINS9_3SumENS9_22TransformInputIteratorIbN2at6native12_GLOBAL__N_19NonZeroOpIhEEPKhlEEiEEEE10hipError_tPvRmT1_T2_T3_mT4_P12ihipStream_tbEUlT_E1_NS1_11comp_targetILNS1_3genE9ELNS1_11target_archE1100ELNS1_3gpuE3ELNS1_3repE0EEENS1_30default_config_static_selectorELNS0_4arch9wavefront6targetE0EEEvSQ_.has_recursion, 0
	.set _ZN7rocprim17ROCPRIM_400000_NS6detail17trampoline_kernelINS0_14default_configENS1_22reduce_config_selectorIiEEZNS1_11reduce_implILb1ES3_PiS7_iN6hipcub16HIPCUB_304000_NS6detail34convert_binary_result_type_wrapperINS9_3SumENS9_22TransformInputIteratorIbN2at6native12_GLOBAL__N_19NonZeroOpIhEEPKhlEEiEEEE10hipError_tPvRmT1_T2_T3_mT4_P12ihipStream_tbEUlT_E1_NS1_11comp_targetILNS1_3genE9ELNS1_11target_archE1100ELNS1_3gpuE3ELNS1_3repE0EEENS1_30default_config_static_selectorELNS0_4arch9wavefront6targetE0EEEvSQ_.has_indirect_call, 0
	.section	.AMDGPU.csdata,"",@progbits
; Kernel info:
; codeLenInByte = 0
; TotalNumSgprs: 0
; NumVgprs: 0
; ScratchSize: 0
; MemoryBound: 0
; FloatMode: 240
; IeeeMode: 1
; LDSByteSize: 0 bytes/workgroup (compile time only)
; SGPRBlocks: 0
; VGPRBlocks: 0
; NumSGPRsForWavesPerEU: 1
; NumVGPRsForWavesPerEU: 1
; Occupancy: 16
; WaveLimiterHint : 0
; COMPUTE_PGM_RSRC2:SCRATCH_EN: 0
; COMPUTE_PGM_RSRC2:USER_SGPR: 2
; COMPUTE_PGM_RSRC2:TRAP_HANDLER: 0
; COMPUTE_PGM_RSRC2:TGID_X_EN: 1
; COMPUTE_PGM_RSRC2:TGID_Y_EN: 0
; COMPUTE_PGM_RSRC2:TGID_Z_EN: 0
; COMPUTE_PGM_RSRC2:TIDIG_COMP_CNT: 0
	.section	.text._ZN7rocprim17ROCPRIM_400000_NS6detail17trampoline_kernelINS0_14default_configENS1_22reduce_config_selectorIiEEZNS1_11reduce_implILb1ES3_PiS7_iN6hipcub16HIPCUB_304000_NS6detail34convert_binary_result_type_wrapperINS9_3SumENS9_22TransformInputIteratorIbN2at6native12_GLOBAL__N_19NonZeroOpIhEEPKhlEEiEEEE10hipError_tPvRmT1_T2_T3_mT4_P12ihipStream_tbEUlT_E1_NS1_11comp_targetILNS1_3genE8ELNS1_11target_archE1030ELNS1_3gpuE2ELNS1_3repE0EEENS1_30default_config_static_selectorELNS0_4arch9wavefront6targetE0EEEvSQ_,"axG",@progbits,_ZN7rocprim17ROCPRIM_400000_NS6detail17trampoline_kernelINS0_14default_configENS1_22reduce_config_selectorIiEEZNS1_11reduce_implILb1ES3_PiS7_iN6hipcub16HIPCUB_304000_NS6detail34convert_binary_result_type_wrapperINS9_3SumENS9_22TransformInputIteratorIbN2at6native12_GLOBAL__N_19NonZeroOpIhEEPKhlEEiEEEE10hipError_tPvRmT1_T2_T3_mT4_P12ihipStream_tbEUlT_E1_NS1_11comp_targetILNS1_3genE8ELNS1_11target_archE1030ELNS1_3gpuE2ELNS1_3repE0EEENS1_30default_config_static_selectorELNS0_4arch9wavefront6targetE0EEEvSQ_,comdat
	.globl	_ZN7rocprim17ROCPRIM_400000_NS6detail17trampoline_kernelINS0_14default_configENS1_22reduce_config_selectorIiEEZNS1_11reduce_implILb1ES3_PiS7_iN6hipcub16HIPCUB_304000_NS6detail34convert_binary_result_type_wrapperINS9_3SumENS9_22TransformInputIteratorIbN2at6native12_GLOBAL__N_19NonZeroOpIhEEPKhlEEiEEEE10hipError_tPvRmT1_T2_T3_mT4_P12ihipStream_tbEUlT_E1_NS1_11comp_targetILNS1_3genE8ELNS1_11target_archE1030ELNS1_3gpuE2ELNS1_3repE0EEENS1_30default_config_static_selectorELNS0_4arch9wavefront6targetE0EEEvSQ_ ; -- Begin function _ZN7rocprim17ROCPRIM_400000_NS6detail17trampoline_kernelINS0_14default_configENS1_22reduce_config_selectorIiEEZNS1_11reduce_implILb1ES3_PiS7_iN6hipcub16HIPCUB_304000_NS6detail34convert_binary_result_type_wrapperINS9_3SumENS9_22TransformInputIteratorIbN2at6native12_GLOBAL__N_19NonZeroOpIhEEPKhlEEiEEEE10hipError_tPvRmT1_T2_T3_mT4_P12ihipStream_tbEUlT_E1_NS1_11comp_targetILNS1_3genE8ELNS1_11target_archE1030ELNS1_3gpuE2ELNS1_3repE0EEENS1_30default_config_static_selectorELNS0_4arch9wavefront6targetE0EEEvSQ_
	.p2align	8
	.type	_ZN7rocprim17ROCPRIM_400000_NS6detail17trampoline_kernelINS0_14default_configENS1_22reduce_config_selectorIiEEZNS1_11reduce_implILb1ES3_PiS7_iN6hipcub16HIPCUB_304000_NS6detail34convert_binary_result_type_wrapperINS9_3SumENS9_22TransformInputIteratorIbN2at6native12_GLOBAL__N_19NonZeroOpIhEEPKhlEEiEEEE10hipError_tPvRmT1_T2_T3_mT4_P12ihipStream_tbEUlT_E1_NS1_11comp_targetILNS1_3genE8ELNS1_11target_archE1030ELNS1_3gpuE2ELNS1_3repE0EEENS1_30default_config_static_selectorELNS0_4arch9wavefront6targetE0EEEvSQ_,@function
_ZN7rocprim17ROCPRIM_400000_NS6detail17trampoline_kernelINS0_14default_configENS1_22reduce_config_selectorIiEEZNS1_11reduce_implILb1ES3_PiS7_iN6hipcub16HIPCUB_304000_NS6detail34convert_binary_result_type_wrapperINS9_3SumENS9_22TransformInputIteratorIbN2at6native12_GLOBAL__N_19NonZeroOpIhEEPKhlEEiEEEE10hipError_tPvRmT1_T2_T3_mT4_P12ihipStream_tbEUlT_E1_NS1_11comp_targetILNS1_3genE8ELNS1_11target_archE1030ELNS1_3gpuE2ELNS1_3repE0EEENS1_30default_config_static_selectorELNS0_4arch9wavefront6targetE0EEEvSQ_: ; @_ZN7rocprim17ROCPRIM_400000_NS6detail17trampoline_kernelINS0_14default_configENS1_22reduce_config_selectorIiEEZNS1_11reduce_implILb1ES3_PiS7_iN6hipcub16HIPCUB_304000_NS6detail34convert_binary_result_type_wrapperINS9_3SumENS9_22TransformInputIteratorIbN2at6native12_GLOBAL__N_19NonZeroOpIhEEPKhlEEiEEEE10hipError_tPvRmT1_T2_T3_mT4_P12ihipStream_tbEUlT_E1_NS1_11comp_targetILNS1_3genE8ELNS1_11target_archE1030ELNS1_3gpuE2ELNS1_3repE0EEENS1_30default_config_static_selectorELNS0_4arch9wavefront6targetE0EEEvSQ_
; %bb.0:
	.section	.rodata,"a",@progbits
	.p2align	6, 0x0
	.amdhsa_kernel _ZN7rocprim17ROCPRIM_400000_NS6detail17trampoline_kernelINS0_14default_configENS1_22reduce_config_selectorIiEEZNS1_11reduce_implILb1ES3_PiS7_iN6hipcub16HIPCUB_304000_NS6detail34convert_binary_result_type_wrapperINS9_3SumENS9_22TransformInputIteratorIbN2at6native12_GLOBAL__N_19NonZeroOpIhEEPKhlEEiEEEE10hipError_tPvRmT1_T2_T3_mT4_P12ihipStream_tbEUlT_E1_NS1_11comp_targetILNS1_3genE8ELNS1_11target_archE1030ELNS1_3gpuE2ELNS1_3repE0EEENS1_30default_config_static_selectorELNS0_4arch9wavefront6targetE0EEEvSQ_
		.amdhsa_group_segment_fixed_size 0
		.amdhsa_private_segment_fixed_size 0
		.amdhsa_kernarg_size 40
		.amdhsa_user_sgpr_count 2
		.amdhsa_user_sgpr_dispatch_ptr 0
		.amdhsa_user_sgpr_queue_ptr 0
		.amdhsa_user_sgpr_kernarg_segment_ptr 1
		.amdhsa_user_sgpr_dispatch_id 0
		.amdhsa_user_sgpr_private_segment_size 0
		.amdhsa_wavefront_size32 1
		.amdhsa_uses_dynamic_stack 0
		.amdhsa_enable_private_segment 0
		.amdhsa_system_sgpr_workgroup_id_x 1
		.amdhsa_system_sgpr_workgroup_id_y 0
		.amdhsa_system_sgpr_workgroup_id_z 0
		.amdhsa_system_sgpr_workgroup_info 0
		.amdhsa_system_vgpr_workitem_id 0
		.amdhsa_next_free_vgpr 1
		.amdhsa_next_free_sgpr 1
		.amdhsa_reserve_vcc 0
		.amdhsa_float_round_mode_32 0
		.amdhsa_float_round_mode_16_64 0
		.amdhsa_float_denorm_mode_32 3
		.amdhsa_float_denorm_mode_16_64 3
		.amdhsa_fp16_overflow 0
		.amdhsa_workgroup_processor_mode 1
		.amdhsa_memory_ordered 1
		.amdhsa_forward_progress 1
		.amdhsa_inst_pref_size 0
		.amdhsa_round_robin_scheduling 0
		.amdhsa_exception_fp_ieee_invalid_op 0
		.amdhsa_exception_fp_denorm_src 0
		.amdhsa_exception_fp_ieee_div_zero 0
		.amdhsa_exception_fp_ieee_overflow 0
		.amdhsa_exception_fp_ieee_underflow 0
		.amdhsa_exception_fp_ieee_inexact 0
		.amdhsa_exception_int_div_zero 0
	.end_amdhsa_kernel
	.section	.text._ZN7rocprim17ROCPRIM_400000_NS6detail17trampoline_kernelINS0_14default_configENS1_22reduce_config_selectorIiEEZNS1_11reduce_implILb1ES3_PiS7_iN6hipcub16HIPCUB_304000_NS6detail34convert_binary_result_type_wrapperINS9_3SumENS9_22TransformInputIteratorIbN2at6native12_GLOBAL__N_19NonZeroOpIhEEPKhlEEiEEEE10hipError_tPvRmT1_T2_T3_mT4_P12ihipStream_tbEUlT_E1_NS1_11comp_targetILNS1_3genE8ELNS1_11target_archE1030ELNS1_3gpuE2ELNS1_3repE0EEENS1_30default_config_static_selectorELNS0_4arch9wavefront6targetE0EEEvSQ_,"axG",@progbits,_ZN7rocprim17ROCPRIM_400000_NS6detail17trampoline_kernelINS0_14default_configENS1_22reduce_config_selectorIiEEZNS1_11reduce_implILb1ES3_PiS7_iN6hipcub16HIPCUB_304000_NS6detail34convert_binary_result_type_wrapperINS9_3SumENS9_22TransformInputIteratorIbN2at6native12_GLOBAL__N_19NonZeroOpIhEEPKhlEEiEEEE10hipError_tPvRmT1_T2_T3_mT4_P12ihipStream_tbEUlT_E1_NS1_11comp_targetILNS1_3genE8ELNS1_11target_archE1030ELNS1_3gpuE2ELNS1_3repE0EEENS1_30default_config_static_selectorELNS0_4arch9wavefront6targetE0EEEvSQ_,comdat
.Lfunc_end18:
	.size	_ZN7rocprim17ROCPRIM_400000_NS6detail17trampoline_kernelINS0_14default_configENS1_22reduce_config_selectorIiEEZNS1_11reduce_implILb1ES3_PiS7_iN6hipcub16HIPCUB_304000_NS6detail34convert_binary_result_type_wrapperINS9_3SumENS9_22TransformInputIteratorIbN2at6native12_GLOBAL__N_19NonZeroOpIhEEPKhlEEiEEEE10hipError_tPvRmT1_T2_T3_mT4_P12ihipStream_tbEUlT_E1_NS1_11comp_targetILNS1_3genE8ELNS1_11target_archE1030ELNS1_3gpuE2ELNS1_3repE0EEENS1_30default_config_static_selectorELNS0_4arch9wavefront6targetE0EEEvSQ_, .Lfunc_end18-_ZN7rocprim17ROCPRIM_400000_NS6detail17trampoline_kernelINS0_14default_configENS1_22reduce_config_selectorIiEEZNS1_11reduce_implILb1ES3_PiS7_iN6hipcub16HIPCUB_304000_NS6detail34convert_binary_result_type_wrapperINS9_3SumENS9_22TransformInputIteratorIbN2at6native12_GLOBAL__N_19NonZeroOpIhEEPKhlEEiEEEE10hipError_tPvRmT1_T2_T3_mT4_P12ihipStream_tbEUlT_E1_NS1_11comp_targetILNS1_3genE8ELNS1_11target_archE1030ELNS1_3gpuE2ELNS1_3repE0EEENS1_30default_config_static_selectorELNS0_4arch9wavefront6targetE0EEEvSQ_
                                        ; -- End function
	.set _ZN7rocprim17ROCPRIM_400000_NS6detail17trampoline_kernelINS0_14default_configENS1_22reduce_config_selectorIiEEZNS1_11reduce_implILb1ES3_PiS7_iN6hipcub16HIPCUB_304000_NS6detail34convert_binary_result_type_wrapperINS9_3SumENS9_22TransformInputIteratorIbN2at6native12_GLOBAL__N_19NonZeroOpIhEEPKhlEEiEEEE10hipError_tPvRmT1_T2_T3_mT4_P12ihipStream_tbEUlT_E1_NS1_11comp_targetILNS1_3genE8ELNS1_11target_archE1030ELNS1_3gpuE2ELNS1_3repE0EEENS1_30default_config_static_selectorELNS0_4arch9wavefront6targetE0EEEvSQ_.num_vgpr, 0
	.set _ZN7rocprim17ROCPRIM_400000_NS6detail17trampoline_kernelINS0_14default_configENS1_22reduce_config_selectorIiEEZNS1_11reduce_implILb1ES3_PiS7_iN6hipcub16HIPCUB_304000_NS6detail34convert_binary_result_type_wrapperINS9_3SumENS9_22TransformInputIteratorIbN2at6native12_GLOBAL__N_19NonZeroOpIhEEPKhlEEiEEEE10hipError_tPvRmT1_T2_T3_mT4_P12ihipStream_tbEUlT_E1_NS1_11comp_targetILNS1_3genE8ELNS1_11target_archE1030ELNS1_3gpuE2ELNS1_3repE0EEENS1_30default_config_static_selectorELNS0_4arch9wavefront6targetE0EEEvSQ_.num_agpr, 0
	.set _ZN7rocprim17ROCPRIM_400000_NS6detail17trampoline_kernelINS0_14default_configENS1_22reduce_config_selectorIiEEZNS1_11reduce_implILb1ES3_PiS7_iN6hipcub16HIPCUB_304000_NS6detail34convert_binary_result_type_wrapperINS9_3SumENS9_22TransformInputIteratorIbN2at6native12_GLOBAL__N_19NonZeroOpIhEEPKhlEEiEEEE10hipError_tPvRmT1_T2_T3_mT4_P12ihipStream_tbEUlT_E1_NS1_11comp_targetILNS1_3genE8ELNS1_11target_archE1030ELNS1_3gpuE2ELNS1_3repE0EEENS1_30default_config_static_selectorELNS0_4arch9wavefront6targetE0EEEvSQ_.numbered_sgpr, 0
	.set _ZN7rocprim17ROCPRIM_400000_NS6detail17trampoline_kernelINS0_14default_configENS1_22reduce_config_selectorIiEEZNS1_11reduce_implILb1ES3_PiS7_iN6hipcub16HIPCUB_304000_NS6detail34convert_binary_result_type_wrapperINS9_3SumENS9_22TransformInputIteratorIbN2at6native12_GLOBAL__N_19NonZeroOpIhEEPKhlEEiEEEE10hipError_tPvRmT1_T2_T3_mT4_P12ihipStream_tbEUlT_E1_NS1_11comp_targetILNS1_3genE8ELNS1_11target_archE1030ELNS1_3gpuE2ELNS1_3repE0EEENS1_30default_config_static_selectorELNS0_4arch9wavefront6targetE0EEEvSQ_.num_named_barrier, 0
	.set _ZN7rocprim17ROCPRIM_400000_NS6detail17trampoline_kernelINS0_14default_configENS1_22reduce_config_selectorIiEEZNS1_11reduce_implILb1ES3_PiS7_iN6hipcub16HIPCUB_304000_NS6detail34convert_binary_result_type_wrapperINS9_3SumENS9_22TransformInputIteratorIbN2at6native12_GLOBAL__N_19NonZeroOpIhEEPKhlEEiEEEE10hipError_tPvRmT1_T2_T3_mT4_P12ihipStream_tbEUlT_E1_NS1_11comp_targetILNS1_3genE8ELNS1_11target_archE1030ELNS1_3gpuE2ELNS1_3repE0EEENS1_30default_config_static_selectorELNS0_4arch9wavefront6targetE0EEEvSQ_.private_seg_size, 0
	.set _ZN7rocprim17ROCPRIM_400000_NS6detail17trampoline_kernelINS0_14default_configENS1_22reduce_config_selectorIiEEZNS1_11reduce_implILb1ES3_PiS7_iN6hipcub16HIPCUB_304000_NS6detail34convert_binary_result_type_wrapperINS9_3SumENS9_22TransformInputIteratorIbN2at6native12_GLOBAL__N_19NonZeroOpIhEEPKhlEEiEEEE10hipError_tPvRmT1_T2_T3_mT4_P12ihipStream_tbEUlT_E1_NS1_11comp_targetILNS1_3genE8ELNS1_11target_archE1030ELNS1_3gpuE2ELNS1_3repE0EEENS1_30default_config_static_selectorELNS0_4arch9wavefront6targetE0EEEvSQ_.uses_vcc, 0
	.set _ZN7rocprim17ROCPRIM_400000_NS6detail17trampoline_kernelINS0_14default_configENS1_22reduce_config_selectorIiEEZNS1_11reduce_implILb1ES3_PiS7_iN6hipcub16HIPCUB_304000_NS6detail34convert_binary_result_type_wrapperINS9_3SumENS9_22TransformInputIteratorIbN2at6native12_GLOBAL__N_19NonZeroOpIhEEPKhlEEiEEEE10hipError_tPvRmT1_T2_T3_mT4_P12ihipStream_tbEUlT_E1_NS1_11comp_targetILNS1_3genE8ELNS1_11target_archE1030ELNS1_3gpuE2ELNS1_3repE0EEENS1_30default_config_static_selectorELNS0_4arch9wavefront6targetE0EEEvSQ_.uses_flat_scratch, 0
	.set _ZN7rocprim17ROCPRIM_400000_NS6detail17trampoline_kernelINS0_14default_configENS1_22reduce_config_selectorIiEEZNS1_11reduce_implILb1ES3_PiS7_iN6hipcub16HIPCUB_304000_NS6detail34convert_binary_result_type_wrapperINS9_3SumENS9_22TransformInputIteratorIbN2at6native12_GLOBAL__N_19NonZeroOpIhEEPKhlEEiEEEE10hipError_tPvRmT1_T2_T3_mT4_P12ihipStream_tbEUlT_E1_NS1_11comp_targetILNS1_3genE8ELNS1_11target_archE1030ELNS1_3gpuE2ELNS1_3repE0EEENS1_30default_config_static_selectorELNS0_4arch9wavefront6targetE0EEEvSQ_.has_dyn_sized_stack, 0
	.set _ZN7rocprim17ROCPRIM_400000_NS6detail17trampoline_kernelINS0_14default_configENS1_22reduce_config_selectorIiEEZNS1_11reduce_implILb1ES3_PiS7_iN6hipcub16HIPCUB_304000_NS6detail34convert_binary_result_type_wrapperINS9_3SumENS9_22TransformInputIteratorIbN2at6native12_GLOBAL__N_19NonZeroOpIhEEPKhlEEiEEEE10hipError_tPvRmT1_T2_T3_mT4_P12ihipStream_tbEUlT_E1_NS1_11comp_targetILNS1_3genE8ELNS1_11target_archE1030ELNS1_3gpuE2ELNS1_3repE0EEENS1_30default_config_static_selectorELNS0_4arch9wavefront6targetE0EEEvSQ_.has_recursion, 0
	.set _ZN7rocprim17ROCPRIM_400000_NS6detail17trampoline_kernelINS0_14default_configENS1_22reduce_config_selectorIiEEZNS1_11reduce_implILb1ES3_PiS7_iN6hipcub16HIPCUB_304000_NS6detail34convert_binary_result_type_wrapperINS9_3SumENS9_22TransformInputIteratorIbN2at6native12_GLOBAL__N_19NonZeroOpIhEEPKhlEEiEEEE10hipError_tPvRmT1_T2_T3_mT4_P12ihipStream_tbEUlT_E1_NS1_11comp_targetILNS1_3genE8ELNS1_11target_archE1030ELNS1_3gpuE2ELNS1_3repE0EEENS1_30default_config_static_selectorELNS0_4arch9wavefront6targetE0EEEvSQ_.has_indirect_call, 0
	.section	.AMDGPU.csdata,"",@progbits
; Kernel info:
; codeLenInByte = 0
; TotalNumSgprs: 0
; NumVgprs: 0
; ScratchSize: 0
; MemoryBound: 0
; FloatMode: 240
; IeeeMode: 1
; LDSByteSize: 0 bytes/workgroup (compile time only)
; SGPRBlocks: 0
; VGPRBlocks: 0
; NumSGPRsForWavesPerEU: 1
; NumVGPRsForWavesPerEU: 1
; Occupancy: 16
; WaveLimiterHint : 0
; COMPUTE_PGM_RSRC2:SCRATCH_EN: 0
; COMPUTE_PGM_RSRC2:USER_SGPR: 2
; COMPUTE_PGM_RSRC2:TRAP_HANDLER: 0
; COMPUTE_PGM_RSRC2:TGID_X_EN: 1
; COMPUTE_PGM_RSRC2:TGID_Y_EN: 0
; COMPUTE_PGM_RSRC2:TGID_Z_EN: 0
; COMPUTE_PGM_RSRC2:TIDIG_COMP_CNT: 0
	.section	.text._ZN7rocprim17ROCPRIM_400000_NS6detail17trampoline_kernelINS0_14default_configENS1_22reduce_config_selectorIbEEZNS1_11reduce_implILb1ES3_N6hipcub16HIPCUB_304000_NS22TransformInputIteratorIbN2at6native12_GLOBAL__N_19NonZeroOpIhEEPKhlEEPiiNS8_6detail34convert_binary_result_type_wrapperINS8_3SumESH_iEEEE10hipError_tPvRmT1_T2_T3_mT4_P12ihipStream_tbEUlT_E0_NS1_11comp_targetILNS1_3genE0ELNS1_11target_archE4294967295ELNS1_3gpuE0ELNS1_3repE0EEENS1_30default_config_static_selectorELNS0_4arch9wavefront6targetE0EEEvSQ_,"axG",@progbits,_ZN7rocprim17ROCPRIM_400000_NS6detail17trampoline_kernelINS0_14default_configENS1_22reduce_config_selectorIbEEZNS1_11reduce_implILb1ES3_N6hipcub16HIPCUB_304000_NS22TransformInputIteratorIbN2at6native12_GLOBAL__N_19NonZeroOpIhEEPKhlEEPiiNS8_6detail34convert_binary_result_type_wrapperINS8_3SumESH_iEEEE10hipError_tPvRmT1_T2_T3_mT4_P12ihipStream_tbEUlT_E0_NS1_11comp_targetILNS1_3genE0ELNS1_11target_archE4294967295ELNS1_3gpuE0ELNS1_3repE0EEENS1_30default_config_static_selectorELNS0_4arch9wavefront6targetE0EEEvSQ_,comdat
	.globl	_ZN7rocprim17ROCPRIM_400000_NS6detail17trampoline_kernelINS0_14default_configENS1_22reduce_config_selectorIbEEZNS1_11reduce_implILb1ES3_N6hipcub16HIPCUB_304000_NS22TransformInputIteratorIbN2at6native12_GLOBAL__N_19NonZeroOpIhEEPKhlEEPiiNS8_6detail34convert_binary_result_type_wrapperINS8_3SumESH_iEEEE10hipError_tPvRmT1_T2_T3_mT4_P12ihipStream_tbEUlT_E0_NS1_11comp_targetILNS1_3genE0ELNS1_11target_archE4294967295ELNS1_3gpuE0ELNS1_3repE0EEENS1_30default_config_static_selectorELNS0_4arch9wavefront6targetE0EEEvSQ_ ; -- Begin function _ZN7rocprim17ROCPRIM_400000_NS6detail17trampoline_kernelINS0_14default_configENS1_22reduce_config_selectorIbEEZNS1_11reduce_implILb1ES3_N6hipcub16HIPCUB_304000_NS22TransformInputIteratorIbN2at6native12_GLOBAL__N_19NonZeroOpIhEEPKhlEEPiiNS8_6detail34convert_binary_result_type_wrapperINS8_3SumESH_iEEEE10hipError_tPvRmT1_T2_T3_mT4_P12ihipStream_tbEUlT_E0_NS1_11comp_targetILNS1_3genE0ELNS1_11target_archE4294967295ELNS1_3gpuE0ELNS1_3repE0EEENS1_30default_config_static_selectorELNS0_4arch9wavefront6targetE0EEEvSQ_
	.p2align	8
	.type	_ZN7rocprim17ROCPRIM_400000_NS6detail17trampoline_kernelINS0_14default_configENS1_22reduce_config_selectorIbEEZNS1_11reduce_implILb1ES3_N6hipcub16HIPCUB_304000_NS22TransformInputIteratorIbN2at6native12_GLOBAL__N_19NonZeroOpIhEEPKhlEEPiiNS8_6detail34convert_binary_result_type_wrapperINS8_3SumESH_iEEEE10hipError_tPvRmT1_T2_T3_mT4_P12ihipStream_tbEUlT_E0_NS1_11comp_targetILNS1_3genE0ELNS1_11target_archE4294967295ELNS1_3gpuE0ELNS1_3repE0EEENS1_30default_config_static_selectorELNS0_4arch9wavefront6targetE0EEEvSQ_,@function
_ZN7rocprim17ROCPRIM_400000_NS6detail17trampoline_kernelINS0_14default_configENS1_22reduce_config_selectorIbEEZNS1_11reduce_implILb1ES3_N6hipcub16HIPCUB_304000_NS22TransformInputIteratorIbN2at6native12_GLOBAL__N_19NonZeroOpIhEEPKhlEEPiiNS8_6detail34convert_binary_result_type_wrapperINS8_3SumESH_iEEEE10hipError_tPvRmT1_T2_T3_mT4_P12ihipStream_tbEUlT_E0_NS1_11comp_targetILNS1_3genE0ELNS1_11target_archE4294967295ELNS1_3gpuE0ELNS1_3repE0EEENS1_30default_config_static_selectorELNS0_4arch9wavefront6targetE0EEEvSQ_: ; @_ZN7rocprim17ROCPRIM_400000_NS6detail17trampoline_kernelINS0_14default_configENS1_22reduce_config_selectorIbEEZNS1_11reduce_implILb1ES3_N6hipcub16HIPCUB_304000_NS22TransformInputIteratorIbN2at6native12_GLOBAL__N_19NonZeroOpIhEEPKhlEEPiiNS8_6detail34convert_binary_result_type_wrapperINS8_3SumESH_iEEEE10hipError_tPvRmT1_T2_T3_mT4_P12ihipStream_tbEUlT_E0_NS1_11comp_targetILNS1_3genE0ELNS1_11target_archE4294967295ELNS1_3gpuE0ELNS1_3repE0EEENS1_30default_config_static_selectorELNS0_4arch9wavefront6targetE0EEEvSQ_
; %bb.0:
	.section	.rodata,"a",@progbits
	.p2align	6, 0x0
	.amdhsa_kernel _ZN7rocprim17ROCPRIM_400000_NS6detail17trampoline_kernelINS0_14default_configENS1_22reduce_config_selectorIbEEZNS1_11reduce_implILb1ES3_N6hipcub16HIPCUB_304000_NS22TransformInputIteratorIbN2at6native12_GLOBAL__N_19NonZeroOpIhEEPKhlEEPiiNS8_6detail34convert_binary_result_type_wrapperINS8_3SumESH_iEEEE10hipError_tPvRmT1_T2_T3_mT4_P12ihipStream_tbEUlT_E0_NS1_11comp_targetILNS1_3genE0ELNS1_11target_archE4294967295ELNS1_3gpuE0ELNS1_3repE0EEENS1_30default_config_static_selectorELNS0_4arch9wavefront6targetE0EEEvSQ_
		.amdhsa_group_segment_fixed_size 0
		.amdhsa_private_segment_fixed_size 0
		.amdhsa_kernarg_size 64
		.amdhsa_user_sgpr_count 2
		.amdhsa_user_sgpr_dispatch_ptr 0
		.amdhsa_user_sgpr_queue_ptr 0
		.amdhsa_user_sgpr_kernarg_segment_ptr 1
		.amdhsa_user_sgpr_dispatch_id 0
		.amdhsa_user_sgpr_private_segment_size 0
		.amdhsa_wavefront_size32 1
		.amdhsa_uses_dynamic_stack 0
		.amdhsa_enable_private_segment 0
		.amdhsa_system_sgpr_workgroup_id_x 1
		.amdhsa_system_sgpr_workgroup_id_y 0
		.amdhsa_system_sgpr_workgroup_id_z 0
		.amdhsa_system_sgpr_workgroup_info 0
		.amdhsa_system_vgpr_workitem_id 0
		.amdhsa_next_free_vgpr 1
		.amdhsa_next_free_sgpr 1
		.amdhsa_reserve_vcc 0
		.amdhsa_float_round_mode_32 0
		.amdhsa_float_round_mode_16_64 0
		.amdhsa_float_denorm_mode_32 3
		.amdhsa_float_denorm_mode_16_64 3
		.amdhsa_fp16_overflow 0
		.amdhsa_workgroup_processor_mode 1
		.amdhsa_memory_ordered 1
		.amdhsa_forward_progress 1
		.amdhsa_inst_pref_size 0
		.amdhsa_round_robin_scheduling 0
		.amdhsa_exception_fp_ieee_invalid_op 0
		.amdhsa_exception_fp_denorm_src 0
		.amdhsa_exception_fp_ieee_div_zero 0
		.amdhsa_exception_fp_ieee_overflow 0
		.amdhsa_exception_fp_ieee_underflow 0
		.amdhsa_exception_fp_ieee_inexact 0
		.amdhsa_exception_int_div_zero 0
	.end_amdhsa_kernel
	.section	.text._ZN7rocprim17ROCPRIM_400000_NS6detail17trampoline_kernelINS0_14default_configENS1_22reduce_config_selectorIbEEZNS1_11reduce_implILb1ES3_N6hipcub16HIPCUB_304000_NS22TransformInputIteratorIbN2at6native12_GLOBAL__N_19NonZeroOpIhEEPKhlEEPiiNS8_6detail34convert_binary_result_type_wrapperINS8_3SumESH_iEEEE10hipError_tPvRmT1_T2_T3_mT4_P12ihipStream_tbEUlT_E0_NS1_11comp_targetILNS1_3genE0ELNS1_11target_archE4294967295ELNS1_3gpuE0ELNS1_3repE0EEENS1_30default_config_static_selectorELNS0_4arch9wavefront6targetE0EEEvSQ_,"axG",@progbits,_ZN7rocprim17ROCPRIM_400000_NS6detail17trampoline_kernelINS0_14default_configENS1_22reduce_config_selectorIbEEZNS1_11reduce_implILb1ES3_N6hipcub16HIPCUB_304000_NS22TransformInputIteratorIbN2at6native12_GLOBAL__N_19NonZeroOpIhEEPKhlEEPiiNS8_6detail34convert_binary_result_type_wrapperINS8_3SumESH_iEEEE10hipError_tPvRmT1_T2_T3_mT4_P12ihipStream_tbEUlT_E0_NS1_11comp_targetILNS1_3genE0ELNS1_11target_archE4294967295ELNS1_3gpuE0ELNS1_3repE0EEENS1_30default_config_static_selectorELNS0_4arch9wavefront6targetE0EEEvSQ_,comdat
.Lfunc_end19:
	.size	_ZN7rocprim17ROCPRIM_400000_NS6detail17trampoline_kernelINS0_14default_configENS1_22reduce_config_selectorIbEEZNS1_11reduce_implILb1ES3_N6hipcub16HIPCUB_304000_NS22TransformInputIteratorIbN2at6native12_GLOBAL__N_19NonZeroOpIhEEPKhlEEPiiNS8_6detail34convert_binary_result_type_wrapperINS8_3SumESH_iEEEE10hipError_tPvRmT1_T2_T3_mT4_P12ihipStream_tbEUlT_E0_NS1_11comp_targetILNS1_3genE0ELNS1_11target_archE4294967295ELNS1_3gpuE0ELNS1_3repE0EEENS1_30default_config_static_selectorELNS0_4arch9wavefront6targetE0EEEvSQ_, .Lfunc_end19-_ZN7rocprim17ROCPRIM_400000_NS6detail17trampoline_kernelINS0_14default_configENS1_22reduce_config_selectorIbEEZNS1_11reduce_implILb1ES3_N6hipcub16HIPCUB_304000_NS22TransformInputIteratorIbN2at6native12_GLOBAL__N_19NonZeroOpIhEEPKhlEEPiiNS8_6detail34convert_binary_result_type_wrapperINS8_3SumESH_iEEEE10hipError_tPvRmT1_T2_T3_mT4_P12ihipStream_tbEUlT_E0_NS1_11comp_targetILNS1_3genE0ELNS1_11target_archE4294967295ELNS1_3gpuE0ELNS1_3repE0EEENS1_30default_config_static_selectorELNS0_4arch9wavefront6targetE0EEEvSQ_
                                        ; -- End function
	.set _ZN7rocprim17ROCPRIM_400000_NS6detail17trampoline_kernelINS0_14default_configENS1_22reduce_config_selectorIbEEZNS1_11reduce_implILb1ES3_N6hipcub16HIPCUB_304000_NS22TransformInputIteratorIbN2at6native12_GLOBAL__N_19NonZeroOpIhEEPKhlEEPiiNS8_6detail34convert_binary_result_type_wrapperINS8_3SumESH_iEEEE10hipError_tPvRmT1_T2_T3_mT4_P12ihipStream_tbEUlT_E0_NS1_11comp_targetILNS1_3genE0ELNS1_11target_archE4294967295ELNS1_3gpuE0ELNS1_3repE0EEENS1_30default_config_static_selectorELNS0_4arch9wavefront6targetE0EEEvSQ_.num_vgpr, 0
	.set _ZN7rocprim17ROCPRIM_400000_NS6detail17trampoline_kernelINS0_14default_configENS1_22reduce_config_selectorIbEEZNS1_11reduce_implILb1ES3_N6hipcub16HIPCUB_304000_NS22TransformInputIteratorIbN2at6native12_GLOBAL__N_19NonZeroOpIhEEPKhlEEPiiNS8_6detail34convert_binary_result_type_wrapperINS8_3SumESH_iEEEE10hipError_tPvRmT1_T2_T3_mT4_P12ihipStream_tbEUlT_E0_NS1_11comp_targetILNS1_3genE0ELNS1_11target_archE4294967295ELNS1_3gpuE0ELNS1_3repE0EEENS1_30default_config_static_selectorELNS0_4arch9wavefront6targetE0EEEvSQ_.num_agpr, 0
	.set _ZN7rocprim17ROCPRIM_400000_NS6detail17trampoline_kernelINS0_14default_configENS1_22reduce_config_selectorIbEEZNS1_11reduce_implILb1ES3_N6hipcub16HIPCUB_304000_NS22TransformInputIteratorIbN2at6native12_GLOBAL__N_19NonZeroOpIhEEPKhlEEPiiNS8_6detail34convert_binary_result_type_wrapperINS8_3SumESH_iEEEE10hipError_tPvRmT1_T2_T3_mT4_P12ihipStream_tbEUlT_E0_NS1_11comp_targetILNS1_3genE0ELNS1_11target_archE4294967295ELNS1_3gpuE0ELNS1_3repE0EEENS1_30default_config_static_selectorELNS0_4arch9wavefront6targetE0EEEvSQ_.numbered_sgpr, 0
	.set _ZN7rocprim17ROCPRIM_400000_NS6detail17trampoline_kernelINS0_14default_configENS1_22reduce_config_selectorIbEEZNS1_11reduce_implILb1ES3_N6hipcub16HIPCUB_304000_NS22TransformInputIteratorIbN2at6native12_GLOBAL__N_19NonZeroOpIhEEPKhlEEPiiNS8_6detail34convert_binary_result_type_wrapperINS8_3SumESH_iEEEE10hipError_tPvRmT1_T2_T3_mT4_P12ihipStream_tbEUlT_E0_NS1_11comp_targetILNS1_3genE0ELNS1_11target_archE4294967295ELNS1_3gpuE0ELNS1_3repE0EEENS1_30default_config_static_selectorELNS0_4arch9wavefront6targetE0EEEvSQ_.num_named_barrier, 0
	.set _ZN7rocprim17ROCPRIM_400000_NS6detail17trampoline_kernelINS0_14default_configENS1_22reduce_config_selectorIbEEZNS1_11reduce_implILb1ES3_N6hipcub16HIPCUB_304000_NS22TransformInputIteratorIbN2at6native12_GLOBAL__N_19NonZeroOpIhEEPKhlEEPiiNS8_6detail34convert_binary_result_type_wrapperINS8_3SumESH_iEEEE10hipError_tPvRmT1_T2_T3_mT4_P12ihipStream_tbEUlT_E0_NS1_11comp_targetILNS1_3genE0ELNS1_11target_archE4294967295ELNS1_3gpuE0ELNS1_3repE0EEENS1_30default_config_static_selectorELNS0_4arch9wavefront6targetE0EEEvSQ_.private_seg_size, 0
	.set _ZN7rocprim17ROCPRIM_400000_NS6detail17trampoline_kernelINS0_14default_configENS1_22reduce_config_selectorIbEEZNS1_11reduce_implILb1ES3_N6hipcub16HIPCUB_304000_NS22TransformInputIteratorIbN2at6native12_GLOBAL__N_19NonZeroOpIhEEPKhlEEPiiNS8_6detail34convert_binary_result_type_wrapperINS8_3SumESH_iEEEE10hipError_tPvRmT1_T2_T3_mT4_P12ihipStream_tbEUlT_E0_NS1_11comp_targetILNS1_3genE0ELNS1_11target_archE4294967295ELNS1_3gpuE0ELNS1_3repE0EEENS1_30default_config_static_selectorELNS0_4arch9wavefront6targetE0EEEvSQ_.uses_vcc, 0
	.set _ZN7rocprim17ROCPRIM_400000_NS6detail17trampoline_kernelINS0_14default_configENS1_22reduce_config_selectorIbEEZNS1_11reduce_implILb1ES3_N6hipcub16HIPCUB_304000_NS22TransformInputIteratorIbN2at6native12_GLOBAL__N_19NonZeroOpIhEEPKhlEEPiiNS8_6detail34convert_binary_result_type_wrapperINS8_3SumESH_iEEEE10hipError_tPvRmT1_T2_T3_mT4_P12ihipStream_tbEUlT_E0_NS1_11comp_targetILNS1_3genE0ELNS1_11target_archE4294967295ELNS1_3gpuE0ELNS1_3repE0EEENS1_30default_config_static_selectorELNS0_4arch9wavefront6targetE0EEEvSQ_.uses_flat_scratch, 0
	.set _ZN7rocprim17ROCPRIM_400000_NS6detail17trampoline_kernelINS0_14default_configENS1_22reduce_config_selectorIbEEZNS1_11reduce_implILb1ES3_N6hipcub16HIPCUB_304000_NS22TransformInputIteratorIbN2at6native12_GLOBAL__N_19NonZeroOpIhEEPKhlEEPiiNS8_6detail34convert_binary_result_type_wrapperINS8_3SumESH_iEEEE10hipError_tPvRmT1_T2_T3_mT4_P12ihipStream_tbEUlT_E0_NS1_11comp_targetILNS1_3genE0ELNS1_11target_archE4294967295ELNS1_3gpuE0ELNS1_3repE0EEENS1_30default_config_static_selectorELNS0_4arch9wavefront6targetE0EEEvSQ_.has_dyn_sized_stack, 0
	.set _ZN7rocprim17ROCPRIM_400000_NS6detail17trampoline_kernelINS0_14default_configENS1_22reduce_config_selectorIbEEZNS1_11reduce_implILb1ES3_N6hipcub16HIPCUB_304000_NS22TransformInputIteratorIbN2at6native12_GLOBAL__N_19NonZeroOpIhEEPKhlEEPiiNS8_6detail34convert_binary_result_type_wrapperINS8_3SumESH_iEEEE10hipError_tPvRmT1_T2_T3_mT4_P12ihipStream_tbEUlT_E0_NS1_11comp_targetILNS1_3genE0ELNS1_11target_archE4294967295ELNS1_3gpuE0ELNS1_3repE0EEENS1_30default_config_static_selectorELNS0_4arch9wavefront6targetE0EEEvSQ_.has_recursion, 0
	.set _ZN7rocprim17ROCPRIM_400000_NS6detail17trampoline_kernelINS0_14default_configENS1_22reduce_config_selectorIbEEZNS1_11reduce_implILb1ES3_N6hipcub16HIPCUB_304000_NS22TransformInputIteratorIbN2at6native12_GLOBAL__N_19NonZeroOpIhEEPKhlEEPiiNS8_6detail34convert_binary_result_type_wrapperINS8_3SumESH_iEEEE10hipError_tPvRmT1_T2_T3_mT4_P12ihipStream_tbEUlT_E0_NS1_11comp_targetILNS1_3genE0ELNS1_11target_archE4294967295ELNS1_3gpuE0ELNS1_3repE0EEENS1_30default_config_static_selectorELNS0_4arch9wavefront6targetE0EEEvSQ_.has_indirect_call, 0
	.section	.AMDGPU.csdata,"",@progbits
; Kernel info:
; codeLenInByte = 0
; TotalNumSgprs: 0
; NumVgprs: 0
; ScratchSize: 0
; MemoryBound: 0
; FloatMode: 240
; IeeeMode: 1
; LDSByteSize: 0 bytes/workgroup (compile time only)
; SGPRBlocks: 0
; VGPRBlocks: 0
; NumSGPRsForWavesPerEU: 1
; NumVGPRsForWavesPerEU: 1
; Occupancy: 16
; WaveLimiterHint : 0
; COMPUTE_PGM_RSRC2:SCRATCH_EN: 0
; COMPUTE_PGM_RSRC2:USER_SGPR: 2
; COMPUTE_PGM_RSRC2:TRAP_HANDLER: 0
; COMPUTE_PGM_RSRC2:TGID_X_EN: 1
; COMPUTE_PGM_RSRC2:TGID_Y_EN: 0
; COMPUTE_PGM_RSRC2:TGID_Z_EN: 0
; COMPUTE_PGM_RSRC2:TIDIG_COMP_CNT: 0
	.section	.text._ZN7rocprim17ROCPRIM_400000_NS6detail17trampoline_kernelINS0_14default_configENS1_22reduce_config_selectorIbEEZNS1_11reduce_implILb1ES3_N6hipcub16HIPCUB_304000_NS22TransformInputIteratorIbN2at6native12_GLOBAL__N_19NonZeroOpIhEEPKhlEEPiiNS8_6detail34convert_binary_result_type_wrapperINS8_3SumESH_iEEEE10hipError_tPvRmT1_T2_T3_mT4_P12ihipStream_tbEUlT_E0_NS1_11comp_targetILNS1_3genE5ELNS1_11target_archE942ELNS1_3gpuE9ELNS1_3repE0EEENS1_30default_config_static_selectorELNS0_4arch9wavefront6targetE0EEEvSQ_,"axG",@progbits,_ZN7rocprim17ROCPRIM_400000_NS6detail17trampoline_kernelINS0_14default_configENS1_22reduce_config_selectorIbEEZNS1_11reduce_implILb1ES3_N6hipcub16HIPCUB_304000_NS22TransformInputIteratorIbN2at6native12_GLOBAL__N_19NonZeroOpIhEEPKhlEEPiiNS8_6detail34convert_binary_result_type_wrapperINS8_3SumESH_iEEEE10hipError_tPvRmT1_T2_T3_mT4_P12ihipStream_tbEUlT_E0_NS1_11comp_targetILNS1_3genE5ELNS1_11target_archE942ELNS1_3gpuE9ELNS1_3repE0EEENS1_30default_config_static_selectorELNS0_4arch9wavefront6targetE0EEEvSQ_,comdat
	.globl	_ZN7rocprim17ROCPRIM_400000_NS6detail17trampoline_kernelINS0_14default_configENS1_22reduce_config_selectorIbEEZNS1_11reduce_implILb1ES3_N6hipcub16HIPCUB_304000_NS22TransformInputIteratorIbN2at6native12_GLOBAL__N_19NonZeroOpIhEEPKhlEEPiiNS8_6detail34convert_binary_result_type_wrapperINS8_3SumESH_iEEEE10hipError_tPvRmT1_T2_T3_mT4_P12ihipStream_tbEUlT_E0_NS1_11comp_targetILNS1_3genE5ELNS1_11target_archE942ELNS1_3gpuE9ELNS1_3repE0EEENS1_30default_config_static_selectorELNS0_4arch9wavefront6targetE0EEEvSQ_ ; -- Begin function _ZN7rocprim17ROCPRIM_400000_NS6detail17trampoline_kernelINS0_14default_configENS1_22reduce_config_selectorIbEEZNS1_11reduce_implILb1ES3_N6hipcub16HIPCUB_304000_NS22TransformInputIteratorIbN2at6native12_GLOBAL__N_19NonZeroOpIhEEPKhlEEPiiNS8_6detail34convert_binary_result_type_wrapperINS8_3SumESH_iEEEE10hipError_tPvRmT1_T2_T3_mT4_P12ihipStream_tbEUlT_E0_NS1_11comp_targetILNS1_3genE5ELNS1_11target_archE942ELNS1_3gpuE9ELNS1_3repE0EEENS1_30default_config_static_selectorELNS0_4arch9wavefront6targetE0EEEvSQ_
	.p2align	8
	.type	_ZN7rocprim17ROCPRIM_400000_NS6detail17trampoline_kernelINS0_14default_configENS1_22reduce_config_selectorIbEEZNS1_11reduce_implILb1ES3_N6hipcub16HIPCUB_304000_NS22TransformInputIteratorIbN2at6native12_GLOBAL__N_19NonZeroOpIhEEPKhlEEPiiNS8_6detail34convert_binary_result_type_wrapperINS8_3SumESH_iEEEE10hipError_tPvRmT1_T2_T3_mT4_P12ihipStream_tbEUlT_E0_NS1_11comp_targetILNS1_3genE5ELNS1_11target_archE942ELNS1_3gpuE9ELNS1_3repE0EEENS1_30default_config_static_selectorELNS0_4arch9wavefront6targetE0EEEvSQ_,@function
_ZN7rocprim17ROCPRIM_400000_NS6detail17trampoline_kernelINS0_14default_configENS1_22reduce_config_selectorIbEEZNS1_11reduce_implILb1ES3_N6hipcub16HIPCUB_304000_NS22TransformInputIteratorIbN2at6native12_GLOBAL__N_19NonZeroOpIhEEPKhlEEPiiNS8_6detail34convert_binary_result_type_wrapperINS8_3SumESH_iEEEE10hipError_tPvRmT1_T2_T3_mT4_P12ihipStream_tbEUlT_E0_NS1_11comp_targetILNS1_3genE5ELNS1_11target_archE942ELNS1_3gpuE9ELNS1_3repE0EEENS1_30default_config_static_selectorELNS0_4arch9wavefront6targetE0EEEvSQ_: ; @_ZN7rocprim17ROCPRIM_400000_NS6detail17trampoline_kernelINS0_14default_configENS1_22reduce_config_selectorIbEEZNS1_11reduce_implILb1ES3_N6hipcub16HIPCUB_304000_NS22TransformInputIteratorIbN2at6native12_GLOBAL__N_19NonZeroOpIhEEPKhlEEPiiNS8_6detail34convert_binary_result_type_wrapperINS8_3SumESH_iEEEE10hipError_tPvRmT1_T2_T3_mT4_P12ihipStream_tbEUlT_E0_NS1_11comp_targetILNS1_3genE5ELNS1_11target_archE942ELNS1_3gpuE9ELNS1_3repE0EEENS1_30default_config_static_selectorELNS0_4arch9wavefront6targetE0EEEvSQ_
; %bb.0:
	.section	.rodata,"a",@progbits
	.p2align	6, 0x0
	.amdhsa_kernel _ZN7rocprim17ROCPRIM_400000_NS6detail17trampoline_kernelINS0_14default_configENS1_22reduce_config_selectorIbEEZNS1_11reduce_implILb1ES3_N6hipcub16HIPCUB_304000_NS22TransformInputIteratorIbN2at6native12_GLOBAL__N_19NonZeroOpIhEEPKhlEEPiiNS8_6detail34convert_binary_result_type_wrapperINS8_3SumESH_iEEEE10hipError_tPvRmT1_T2_T3_mT4_P12ihipStream_tbEUlT_E0_NS1_11comp_targetILNS1_3genE5ELNS1_11target_archE942ELNS1_3gpuE9ELNS1_3repE0EEENS1_30default_config_static_selectorELNS0_4arch9wavefront6targetE0EEEvSQ_
		.amdhsa_group_segment_fixed_size 0
		.amdhsa_private_segment_fixed_size 0
		.amdhsa_kernarg_size 64
		.amdhsa_user_sgpr_count 2
		.amdhsa_user_sgpr_dispatch_ptr 0
		.amdhsa_user_sgpr_queue_ptr 0
		.amdhsa_user_sgpr_kernarg_segment_ptr 1
		.amdhsa_user_sgpr_dispatch_id 0
		.amdhsa_user_sgpr_private_segment_size 0
		.amdhsa_wavefront_size32 1
		.amdhsa_uses_dynamic_stack 0
		.amdhsa_enable_private_segment 0
		.amdhsa_system_sgpr_workgroup_id_x 1
		.amdhsa_system_sgpr_workgroup_id_y 0
		.amdhsa_system_sgpr_workgroup_id_z 0
		.amdhsa_system_sgpr_workgroup_info 0
		.amdhsa_system_vgpr_workitem_id 0
		.amdhsa_next_free_vgpr 1
		.amdhsa_next_free_sgpr 1
		.amdhsa_reserve_vcc 0
		.amdhsa_float_round_mode_32 0
		.amdhsa_float_round_mode_16_64 0
		.amdhsa_float_denorm_mode_32 3
		.amdhsa_float_denorm_mode_16_64 3
		.amdhsa_fp16_overflow 0
		.amdhsa_workgroup_processor_mode 1
		.amdhsa_memory_ordered 1
		.amdhsa_forward_progress 1
		.amdhsa_inst_pref_size 0
		.amdhsa_round_robin_scheduling 0
		.amdhsa_exception_fp_ieee_invalid_op 0
		.amdhsa_exception_fp_denorm_src 0
		.amdhsa_exception_fp_ieee_div_zero 0
		.amdhsa_exception_fp_ieee_overflow 0
		.amdhsa_exception_fp_ieee_underflow 0
		.amdhsa_exception_fp_ieee_inexact 0
		.amdhsa_exception_int_div_zero 0
	.end_amdhsa_kernel
	.section	.text._ZN7rocprim17ROCPRIM_400000_NS6detail17trampoline_kernelINS0_14default_configENS1_22reduce_config_selectorIbEEZNS1_11reduce_implILb1ES3_N6hipcub16HIPCUB_304000_NS22TransformInputIteratorIbN2at6native12_GLOBAL__N_19NonZeroOpIhEEPKhlEEPiiNS8_6detail34convert_binary_result_type_wrapperINS8_3SumESH_iEEEE10hipError_tPvRmT1_T2_T3_mT4_P12ihipStream_tbEUlT_E0_NS1_11comp_targetILNS1_3genE5ELNS1_11target_archE942ELNS1_3gpuE9ELNS1_3repE0EEENS1_30default_config_static_selectorELNS0_4arch9wavefront6targetE0EEEvSQ_,"axG",@progbits,_ZN7rocprim17ROCPRIM_400000_NS6detail17trampoline_kernelINS0_14default_configENS1_22reduce_config_selectorIbEEZNS1_11reduce_implILb1ES3_N6hipcub16HIPCUB_304000_NS22TransformInputIteratorIbN2at6native12_GLOBAL__N_19NonZeroOpIhEEPKhlEEPiiNS8_6detail34convert_binary_result_type_wrapperINS8_3SumESH_iEEEE10hipError_tPvRmT1_T2_T3_mT4_P12ihipStream_tbEUlT_E0_NS1_11comp_targetILNS1_3genE5ELNS1_11target_archE942ELNS1_3gpuE9ELNS1_3repE0EEENS1_30default_config_static_selectorELNS0_4arch9wavefront6targetE0EEEvSQ_,comdat
.Lfunc_end20:
	.size	_ZN7rocprim17ROCPRIM_400000_NS6detail17trampoline_kernelINS0_14default_configENS1_22reduce_config_selectorIbEEZNS1_11reduce_implILb1ES3_N6hipcub16HIPCUB_304000_NS22TransformInputIteratorIbN2at6native12_GLOBAL__N_19NonZeroOpIhEEPKhlEEPiiNS8_6detail34convert_binary_result_type_wrapperINS8_3SumESH_iEEEE10hipError_tPvRmT1_T2_T3_mT4_P12ihipStream_tbEUlT_E0_NS1_11comp_targetILNS1_3genE5ELNS1_11target_archE942ELNS1_3gpuE9ELNS1_3repE0EEENS1_30default_config_static_selectorELNS0_4arch9wavefront6targetE0EEEvSQ_, .Lfunc_end20-_ZN7rocprim17ROCPRIM_400000_NS6detail17trampoline_kernelINS0_14default_configENS1_22reduce_config_selectorIbEEZNS1_11reduce_implILb1ES3_N6hipcub16HIPCUB_304000_NS22TransformInputIteratorIbN2at6native12_GLOBAL__N_19NonZeroOpIhEEPKhlEEPiiNS8_6detail34convert_binary_result_type_wrapperINS8_3SumESH_iEEEE10hipError_tPvRmT1_T2_T3_mT4_P12ihipStream_tbEUlT_E0_NS1_11comp_targetILNS1_3genE5ELNS1_11target_archE942ELNS1_3gpuE9ELNS1_3repE0EEENS1_30default_config_static_selectorELNS0_4arch9wavefront6targetE0EEEvSQ_
                                        ; -- End function
	.set _ZN7rocprim17ROCPRIM_400000_NS6detail17trampoline_kernelINS0_14default_configENS1_22reduce_config_selectorIbEEZNS1_11reduce_implILb1ES3_N6hipcub16HIPCUB_304000_NS22TransformInputIteratorIbN2at6native12_GLOBAL__N_19NonZeroOpIhEEPKhlEEPiiNS8_6detail34convert_binary_result_type_wrapperINS8_3SumESH_iEEEE10hipError_tPvRmT1_T2_T3_mT4_P12ihipStream_tbEUlT_E0_NS1_11comp_targetILNS1_3genE5ELNS1_11target_archE942ELNS1_3gpuE9ELNS1_3repE0EEENS1_30default_config_static_selectorELNS0_4arch9wavefront6targetE0EEEvSQ_.num_vgpr, 0
	.set _ZN7rocprim17ROCPRIM_400000_NS6detail17trampoline_kernelINS0_14default_configENS1_22reduce_config_selectorIbEEZNS1_11reduce_implILb1ES3_N6hipcub16HIPCUB_304000_NS22TransformInputIteratorIbN2at6native12_GLOBAL__N_19NonZeroOpIhEEPKhlEEPiiNS8_6detail34convert_binary_result_type_wrapperINS8_3SumESH_iEEEE10hipError_tPvRmT1_T2_T3_mT4_P12ihipStream_tbEUlT_E0_NS1_11comp_targetILNS1_3genE5ELNS1_11target_archE942ELNS1_3gpuE9ELNS1_3repE0EEENS1_30default_config_static_selectorELNS0_4arch9wavefront6targetE0EEEvSQ_.num_agpr, 0
	.set _ZN7rocprim17ROCPRIM_400000_NS6detail17trampoline_kernelINS0_14default_configENS1_22reduce_config_selectorIbEEZNS1_11reduce_implILb1ES3_N6hipcub16HIPCUB_304000_NS22TransformInputIteratorIbN2at6native12_GLOBAL__N_19NonZeroOpIhEEPKhlEEPiiNS8_6detail34convert_binary_result_type_wrapperINS8_3SumESH_iEEEE10hipError_tPvRmT1_T2_T3_mT4_P12ihipStream_tbEUlT_E0_NS1_11comp_targetILNS1_3genE5ELNS1_11target_archE942ELNS1_3gpuE9ELNS1_3repE0EEENS1_30default_config_static_selectorELNS0_4arch9wavefront6targetE0EEEvSQ_.numbered_sgpr, 0
	.set _ZN7rocprim17ROCPRIM_400000_NS6detail17trampoline_kernelINS0_14default_configENS1_22reduce_config_selectorIbEEZNS1_11reduce_implILb1ES3_N6hipcub16HIPCUB_304000_NS22TransformInputIteratorIbN2at6native12_GLOBAL__N_19NonZeroOpIhEEPKhlEEPiiNS8_6detail34convert_binary_result_type_wrapperINS8_3SumESH_iEEEE10hipError_tPvRmT1_T2_T3_mT4_P12ihipStream_tbEUlT_E0_NS1_11comp_targetILNS1_3genE5ELNS1_11target_archE942ELNS1_3gpuE9ELNS1_3repE0EEENS1_30default_config_static_selectorELNS0_4arch9wavefront6targetE0EEEvSQ_.num_named_barrier, 0
	.set _ZN7rocprim17ROCPRIM_400000_NS6detail17trampoline_kernelINS0_14default_configENS1_22reduce_config_selectorIbEEZNS1_11reduce_implILb1ES3_N6hipcub16HIPCUB_304000_NS22TransformInputIteratorIbN2at6native12_GLOBAL__N_19NonZeroOpIhEEPKhlEEPiiNS8_6detail34convert_binary_result_type_wrapperINS8_3SumESH_iEEEE10hipError_tPvRmT1_T2_T3_mT4_P12ihipStream_tbEUlT_E0_NS1_11comp_targetILNS1_3genE5ELNS1_11target_archE942ELNS1_3gpuE9ELNS1_3repE0EEENS1_30default_config_static_selectorELNS0_4arch9wavefront6targetE0EEEvSQ_.private_seg_size, 0
	.set _ZN7rocprim17ROCPRIM_400000_NS6detail17trampoline_kernelINS0_14default_configENS1_22reduce_config_selectorIbEEZNS1_11reduce_implILb1ES3_N6hipcub16HIPCUB_304000_NS22TransformInputIteratorIbN2at6native12_GLOBAL__N_19NonZeroOpIhEEPKhlEEPiiNS8_6detail34convert_binary_result_type_wrapperINS8_3SumESH_iEEEE10hipError_tPvRmT1_T2_T3_mT4_P12ihipStream_tbEUlT_E0_NS1_11comp_targetILNS1_3genE5ELNS1_11target_archE942ELNS1_3gpuE9ELNS1_3repE0EEENS1_30default_config_static_selectorELNS0_4arch9wavefront6targetE0EEEvSQ_.uses_vcc, 0
	.set _ZN7rocprim17ROCPRIM_400000_NS6detail17trampoline_kernelINS0_14default_configENS1_22reduce_config_selectorIbEEZNS1_11reduce_implILb1ES3_N6hipcub16HIPCUB_304000_NS22TransformInputIteratorIbN2at6native12_GLOBAL__N_19NonZeroOpIhEEPKhlEEPiiNS8_6detail34convert_binary_result_type_wrapperINS8_3SumESH_iEEEE10hipError_tPvRmT1_T2_T3_mT4_P12ihipStream_tbEUlT_E0_NS1_11comp_targetILNS1_3genE5ELNS1_11target_archE942ELNS1_3gpuE9ELNS1_3repE0EEENS1_30default_config_static_selectorELNS0_4arch9wavefront6targetE0EEEvSQ_.uses_flat_scratch, 0
	.set _ZN7rocprim17ROCPRIM_400000_NS6detail17trampoline_kernelINS0_14default_configENS1_22reduce_config_selectorIbEEZNS1_11reduce_implILb1ES3_N6hipcub16HIPCUB_304000_NS22TransformInputIteratorIbN2at6native12_GLOBAL__N_19NonZeroOpIhEEPKhlEEPiiNS8_6detail34convert_binary_result_type_wrapperINS8_3SumESH_iEEEE10hipError_tPvRmT1_T2_T3_mT4_P12ihipStream_tbEUlT_E0_NS1_11comp_targetILNS1_3genE5ELNS1_11target_archE942ELNS1_3gpuE9ELNS1_3repE0EEENS1_30default_config_static_selectorELNS0_4arch9wavefront6targetE0EEEvSQ_.has_dyn_sized_stack, 0
	.set _ZN7rocprim17ROCPRIM_400000_NS6detail17trampoline_kernelINS0_14default_configENS1_22reduce_config_selectorIbEEZNS1_11reduce_implILb1ES3_N6hipcub16HIPCUB_304000_NS22TransformInputIteratorIbN2at6native12_GLOBAL__N_19NonZeroOpIhEEPKhlEEPiiNS8_6detail34convert_binary_result_type_wrapperINS8_3SumESH_iEEEE10hipError_tPvRmT1_T2_T3_mT4_P12ihipStream_tbEUlT_E0_NS1_11comp_targetILNS1_3genE5ELNS1_11target_archE942ELNS1_3gpuE9ELNS1_3repE0EEENS1_30default_config_static_selectorELNS0_4arch9wavefront6targetE0EEEvSQ_.has_recursion, 0
	.set _ZN7rocprim17ROCPRIM_400000_NS6detail17trampoline_kernelINS0_14default_configENS1_22reduce_config_selectorIbEEZNS1_11reduce_implILb1ES3_N6hipcub16HIPCUB_304000_NS22TransformInputIteratorIbN2at6native12_GLOBAL__N_19NonZeroOpIhEEPKhlEEPiiNS8_6detail34convert_binary_result_type_wrapperINS8_3SumESH_iEEEE10hipError_tPvRmT1_T2_T3_mT4_P12ihipStream_tbEUlT_E0_NS1_11comp_targetILNS1_3genE5ELNS1_11target_archE942ELNS1_3gpuE9ELNS1_3repE0EEENS1_30default_config_static_selectorELNS0_4arch9wavefront6targetE0EEEvSQ_.has_indirect_call, 0
	.section	.AMDGPU.csdata,"",@progbits
; Kernel info:
; codeLenInByte = 0
; TotalNumSgprs: 0
; NumVgprs: 0
; ScratchSize: 0
; MemoryBound: 0
; FloatMode: 240
; IeeeMode: 1
; LDSByteSize: 0 bytes/workgroup (compile time only)
; SGPRBlocks: 0
; VGPRBlocks: 0
; NumSGPRsForWavesPerEU: 1
; NumVGPRsForWavesPerEU: 1
; Occupancy: 16
; WaveLimiterHint : 0
; COMPUTE_PGM_RSRC2:SCRATCH_EN: 0
; COMPUTE_PGM_RSRC2:USER_SGPR: 2
; COMPUTE_PGM_RSRC2:TRAP_HANDLER: 0
; COMPUTE_PGM_RSRC2:TGID_X_EN: 1
; COMPUTE_PGM_RSRC2:TGID_Y_EN: 0
; COMPUTE_PGM_RSRC2:TGID_Z_EN: 0
; COMPUTE_PGM_RSRC2:TIDIG_COMP_CNT: 0
	.section	.text._ZN7rocprim17ROCPRIM_400000_NS6detail17trampoline_kernelINS0_14default_configENS1_22reduce_config_selectorIbEEZNS1_11reduce_implILb1ES3_N6hipcub16HIPCUB_304000_NS22TransformInputIteratorIbN2at6native12_GLOBAL__N_19NonZeroOpIhEEPKhlEEPiiNS8_6detail34convert_binary_result_type_wrapperINS8_3SumESH_iEEEE10hipError_tPvRmT1_T2_T3_mT4_P12ihipStream_tbEUlT_E0_NS1_11comp_targetILNS1_3genE4ELNS1_11target_archE910ELNS1_3gpuE8ELNS1_3repE0EEENS1_30default_config_static_selectorELNS0_4arch9wavefront6targetE0EEEvSQ_,"axG",@progbits,_ZN7rocprim17ROCPRIM_400000_NS6detail17trampoline_kernelINS0_14default_configENS1_22reduce_config_selectorIbEEZNS1_11reduce_implILb1ES3_N6hipcub16HIPCUB_304000_NS22TransformInputIteratorIbN2at6native12_GLOBAL__N_19NonZeroOpIhEEPKhlEEPiiNS8_6detail34convert_binary_result_type_wrapperINS8_3SumESH_iEEEE10hipError_tPvRmT1_T2_T3_mT4_P12ihipStream_tbEUlT_E0_NS1_11comp_targetILNS1_3genE4ELNS1_11target_archE910ELNS1_3gpuE8ELNS1_3repE0EEENS1_30default_config_static_selectorELNS0_4arch9wavefront6targetE0EEEvSQ_,comdat
	.globl	_ZN7rocprim17ROCPRIM_400000_NS6detail17trampoline_kernelINS0_14default_configENS1_22reduce_config_selectorIbEEZNS1_11reduce_implILb1ES3_N6hipcub16HIPCUB_304000_NS22TransformInputIteratorIbN2at6native12_GLOBAL__N_19NonZeroOpIhEEPKhlEEPiiNS8_6detail34convert_binary_result_type_wrapperINS8_3SumESH_iEEEE10hipError_tPvRmT1_T2_T3_mT4_P12ihipStream_tbEUlT_E0_NS1_11comp_targetILNS1_3genE4ELNS1_11target_archE910ELNS1_3gpuE8ELNS1_3repE0EEENS1_30default_config_static_selectorELNS0_4arch9wavefront6targetE0EEEvSQ_ ; -- Begin function _ZN7rocprim17ROCPRIM_400000_NS6detail17trampoline_kernelINS0_14default_configENS1_22reduce_config_selectorIbEEZNS1_11reduce_implILb1ES3_N6hipcub16HIPCUB_304000_NS22TransformInputIteratorIbN2at6native12_GLOBAL__N_19NonZeroOpIhEEPKhlEEPiiNS8_6detail34convert_binary_result_type_wrapperINS8_3SumESH_iEEEE10hipError_tPvRmT1_T2_T3_mT4_P12ihipStream_tbEUlT_E0_NS1_11comp_targetILNS1_3genE4ELNS1_11target_archE910ELNS1_3gpuE8ELNS1_3repE0EEENS1_30default_config_static_selectorELNS0_4arch9wavefront6targetE0EEEvSQ_
	.p2align	8
	.type	_ZN7rocprim17ROCPRIM_400000_NS6detail17trampoline_kernelINS0_14default_configENS1_22reduce_config_selectorIbEEZNS1_11reduce_implILb1ES3_N6hipcub16HIPCUB_304000_NS22TransformInputIteratorIbN2at6native12_GLOBAL__N_19NonZeroOpIhEEPKhlEEPiiNS8_6detail34convert_binary_result_type_wrapperINS8_3SumESH_iEEEE10hipError_tPvRmT1_T2_T3_mT4_P12ihipStream_tbEUlT_E0_NS1_11comp_targetILNS1_3genE4ELNS1_11target_archE910ELNS1_3gpuE8ELNS1_3repE0EEENS1_30default_config_static_selectorELNS0_4arch9wavefront6targetE0EEEvSQ_,@function
_ZN7rocprim17ROCPRIM_400000_NS6detail17trampoline_kernelINS0_14default_configENS1_22reduce_config_selectorIbEEZNS1_11reduce_implILb1ES3_N6hipcub16HIPCUB_304000_NS22TransformInputIteratorIbN2at6native12_GLOBAL__N_19NonZeroOpIhEEPKhlEEPiiNS8_6detail34convert_binary_result_type_wrapperINS8_3SumESH_iEEEE10hipError_tPvRmT1_T2_T3_mT4_P12ihipStream_tbEUlT_E0_NS1_11comp_targetILNS1_3genE4ELNS1_11target_archE910ELNS1_3gpuE8ELNS1_3repE0EEENS1_30default_config_static_selectorELNS0_4arch9wavefront6targetE0EEEvSQ_: ; @_ZN7rocprim17ROCPRIM_400000_NS6detail17trampoline_kernelINS0_14default_configENS1_22reduce_config_selectorIbEEZNS1_11reduce_implILb1ES3_N6hipcub16HIPCUB_304000_NS22TransformInputIteratorIbN2at6native12_GLOBAL__N_19NonZeroOpIhEEPKhlEEPiiNS8_6detail34convert_binary_result_type_wrapperINS8_3SumESH_iEEEE10hipError_tPvRmT1_T2_T3_mT4_P12ihipStream_tbEUlT_E0_NS1_11comp_targetILNS1_3genE4ELNS1_11target_archE910ELNS1_3gpuE8ELNS1_3repE0EEENS1_30default_config_static_selectorELNS0_4arch9wavefront6targetE0EEEvSQ_
; %bb.0:
	.section	.rodata,"a",@progbits
	.p2align	6, 0x0
	.amdhsa_kernel _ZN7rocprim17ROCPRIM_400000_NS6detail17trampoline_kernelINS0_14default_configENS1_22reduce_config_selectorIbEEZNS1_11reduce_implILb1ES3_N6hipcub16HIPCUB_304000_NS22TransformInputIteratorIbN2at6native12_GLOBAL__N_19NonZeroOpIhEEPKhlEEPiiNS8_6detail34convert_binary_result_type_wrapperINS8_3SumESH_iEEEE10hipError_tPvRmT1_T2_T3_mT4_P12ihipStream_tbEUlT_E0_NS1_11comp_targetILNS1_3genE4ELNS1_11target_archE910ELNS1_3gpuE8ELNS1_3repE0EEENS1_30default_config_static_selectorELNS0_4arch9wavefront6targetE0EEEvSQ_
		.amdhsa_group_segment_fixed_size 0
		.amdhsa_private_segment_fixed_size 0
		.amdhsa_kernarg_size 64
		.amdhsa_user_sgpr_count 2
		.amdhsa_user_sgpr_dispatch_ptr 0
		.amdhsa_user_sgpr_queue_ptr 0
		.amdhsa_user_sgpr_kernarg_segment_ptr 1
		.amdhsa_user_sgpr_dispatch_id 0
		.amdhsa_user_sgpr_private_segment_size 0
		.amdhsa_wavefront_size32 1
		.amdhsa_uses_dynamic_stack 0
		.amdhsa_enable_private_segment 0
		.amdhsa_system_sgpr_workgroup_id_x 1
		.amdhsa_system_sgpr_workgroup_id_y 0
		.amdhsa_system_sgpr_workgroup_id_z 0
		.amdhsa_system_sgpr_workgroup_info 0
		.amdhsa_system_vgpr_workitem_id 0
		.amdhsa_next_free_vgpr 1
		.amdhsa_next_free_sgpr 1
		.amdhsa_reserve_vcc 0
		.amdhsa_float_round_mode_32 0
		.amdhsa_float_round_mode_16_64 0
		.amdhsa_float_denorm_mode_32 3
		.amdhsa_float_denorm_mode_16_64 3
		.amdhsa_fp16_overflow 0
		.amdhsa_workgroup_processor_mode 1
		.amdhsa_memory_ordered 1
		.amdhsa_forward_progress 1
		.amdhsa_inst_pref_size 0
		.amdhsa_round_robin_scheduling 0
		.amdhsa_exception_fp_ieee_invalid_op 0
		.amdhsa_exception_fp_denorm_src 0
		.amdhsa_exception_fp_ieee_div_zero 0
		.amdhsa_exception_fp_ieee_overflow 0
		.amdhsa_exception_fp_ieee_underflow 0
		.amdhsa_exception_fp_ieee_inexact 0
		.amdhsa_exception_int_div_zero 0
	.end_amdhsa_kernel
	.section	.text._ZN7rocprim17ROCPRIM_400000_NS6detail17trampoline_kernelINS0_14default_configENS1_22reduce_config_selectorIbEEZNS1_11reduce_implILb1ES3_N6hipcub16HIPCUB_304000_NS22TransformInputIteratorIbN2at6native12_GLOBAL__N_19NonZeroOpIhEEPKhlEEPiiNS8_6detail34convert_binary_result_type_wrapperINS8_3SumESH_iEEEE10hipError_tPvRmT1_T2_T3_mT4_P12ihipStream_tbEUlT_E0_NS1_11comp_targetILNS1_3genE4ELNS1_11target_archE910ELNS1_3gpuE8ELNS1_3repE0EEENS1_30default_config_static_selectorELNS0_4arch9wavefront6targetE0EEEvSQ_,"axG",@progbits,_ZN7rocprim17ROCPRIM_400000_NS6detail17trampoline_kernelINS0_14default_configENS1_22reduce_config_selectorIbEEZNS1_11reduce_implILb1ES3_N6hipcub16HIPCUB_304000_NS22TransformInputIteratorIbN2at6native12_GLOBAL__N_19NonZeroOpIhEEPKhlEEPiiNS8_6detail34convert_binary_result_type_wrapperINS8_3SumESH_iEEEE10hipError_tPvRmT1_T2_T3_mT4_P12ihipStream_tbEUlT_E0_NS1_11comp_targetILNS1_3genE4ELNS1_11target_archE910ELNS1_3gpuE8ELNS1_3repE0EEENS1_30default_config_static_selectorELNS0_4arch9wavefront6targetE0EEEvSQ_,comdat
.Lfunc_end21:
	.size	_ZN7rocprim17ROCPRIM_400000_NS6detail17trampoline_kernelINS0_14default_configENS1_22reduce_config_selectorIbEEZNS1_11reduce_implILb1ES3_N6hipcub16HIPCUB_304000_NS22TransformInputIteratorIbN2at6native12_GLOBAL__N_19NonZeroOpIhEEPKhlEEPiiNS8_6detail34convert_binary_result_type_wrapperINS8_3SumESH_iEEEE10hipError_tPvRmT1_T2_T3_mT4_P12ihipStream_tbEUlT_E0_NS1_11comp_targetILNS1_3genE4ELNS1_11target_archE910ELNS1_3gpuE8ELNS1_3repE0EEENS1_30default_config_static_selectorELNS0_4arch9wavefront6targetE0EEEvSQ_, .Lfunc_end21-_ZN7rocprim17ROCPRIM_400000_NS6detail17trampoline_kernelINS0_14default_configENS1_22reduce_config_selectorIbEEZNS1_11reduce_implILb1ES3_N6hipcub16HIPCUB_304000_NS22TransformInputIteratorIbN2at6native12_GLOBAL__N_19NonZeroOpIhEEPKhlEEPiiNS8_6detail34convert_binary_result_type_wrapperINS8_3SumESH_iEEEE10hipError_tPvRmT1_T2_T3_mT4_P12ihipStream_tbEUlT_E0_NS1_11comp_targetILNS1_3genE4ELNS1_11target_archE910ELNS1_3gpuE8ELNS1_3repE0EEENS1_30default_config_static_selectorELNS0_4arch9wavefront6targetE0EEEvSQ_
                                        ; -- End function
	.set _ZN7rocprim17ROCPRIM_400000_NS6detail17trampoline_kernelINS0_14default_configENS1_22reduce_config_selectorIbEEZNS1_11reduce_implILb1ES3_N6hipcub16HIPCUB_304000_NS22TransformInputIteratorIbN2at6native12_GLOBAL__N_19NonZeroOpIhEEPKhlEEPiiNS8_6detail34convert_binary_result_type_wrapperINS8_3SumESH_iEEEE10hipError_tPvRmT1_T2_T3_mT4_P12ihipStream_tbEUlT_E0_NS1_11comp_targetILNS1_3genE4ELNS1_11target_archE910ELNS1_3gpuE8ELNS1_3repE0EEENS1_30default_config_static_selectorELNS0_4arch9wavefront6targetE0EEEvSQ_.num_vgpr, 0
	.set _ZN7rocprim17ROCPRIM_400000_NS6detail17trampoline_kernelINS0_14default_configENS1_22reduce_config_selectorIbEEZNS1_11reduce_implILb1ES3_N6hipcub16HIPCUB_304000_NS22TransformInputIteratorIbN2at6native12_GLOBAL__N_19NonZeroOpIhEEPKhlEEPiiNS8_6detail34convert_binary_result_type_wrapperINS8_3SumESH_iEEEE10hipError_tPvRmT1_T2_T3_mT4_P12ihipStream_tbEUlT_E0_NS1_11comp_targetILNS1_3genE4ELNS1_11target_archE910ELNS1_3gpuE8ELNS1_3repE0EEENS1_30default_config_static_selectorELNS0_4arch9wavefront6targetE0EEEvSQ_.num_agpr, 0
	.set _ZN7rocprim17ROCPRIM_400000_NS6detail17trampoline_kernelINS0_14default_configENS1_22reduce_config_selectorIbEEZNS1_11reduce_implILb1ES3_N6hipcub16HIPCUB_304000_NS22TransformInputIteratorIbN2at6native12_GLOBAL__N_19NonZeroOpIhEEPKhlEEPiiNS8_6detail34convert_binary_result_type_wrapperINS8_3SumESH_iEEEE10hipError_tPvRmT1_T2_T3_mT4_P12ihipStream_tbEUlT_E0_NS1_11comp_targetILNS1_3genE4ELNS1_11target_archE910ELNS1_3gpuE8ELNS1_3repE0EEENS1_30default_config_static_selectorELNS0_4arch9wavefront6targetE0EEEvSQ_.numbered_sgpr, 0
	.set _ZN7rocprim17ROCPRIM_400000_NS6detail17trampoline_kernelINS0_14default_configENS1_22reduce_config_selectorIbEEZNS1_11reduce_implILb1ES3_N6hipcub16HIPCUB_304000_NS22TransformInputIteratorIbN2at6native12_GLOBAL__N_19NonZeroOpIhEEPKhlEEPiiNS8_6detail34convert_binary_result_type_wrapperINS8_3SumESH_iEEEE10hipError_tPvRmT1_T2_T3_mT4_P12ihipStream_tbEUlT_E0_NS1_11comp_targetILNS1_3genE4ELNS1_11target_archE910ELNS1_3gpuE8ELNS1_3repE0EEENS1_30default_config_static_selectorELNS0_4arch9wavefront6targetE0EEEvSQ_.num_named_barrier, 0
	.set _ZN7rocprim17ROCPRIM_400000_NS6detail17trampoline_kernelINS0_14default_configENS1_22reduce_config_selectorIbEEZNS1_11reduce_implILb1ES3_N6hipcub16HIPCUB_304000_NS22TransformInputIteratorIbN2at6native12_GLOBAL__N_19NonZeroOpIhEEPKhlEEPiiNS8_6detail34convert_binary_result_type_wrapperINS8_3SumESH_iEEEE10hipError_tPvRmT1_T2_T3_mT4_P12ihipStream_tbEUlT_E0_NS1_11comp_targetILNS1_3genE4ELNS1_11target_archE910ELNS1_3gpuE8ELNS1_3repE0EEENS1_30default_config_static_selectorELNS0_4arch9wavefront6targetE0EEEvSQ_.private_seg_size, 0
	.set _ZN7rocprim17ROCPRIM_400000_NS6detail17trampoline_kernelINS0_14default_configENS1_22reduce_config_selectorIbEEZNS1_11reduce_implILb1ES3_N6hipcub16HIPCUB_304000_NS22TransformInputIteratorIbN2at6native12_GLOBAL__N_19NonZeroOpIhEEPKhlEEPiiNS8_6detail34convert_binary_result_type_wrapperINS8_3SumESH_iEEEE10hipError_tPvRmT1_T2_T3_mT4_P12ihipStream_tbEUlT_E0_NS1_11comp_targetILNS1_3genE4ELNS1_11target_archE910ELNS1_3gpuE8ELNS1_3repE0EEENS1_30default_config_static_selectorELNS0_4arch9wavefront6targetE0EEEvSQ_.uses_vcc, 0
	.set _ZN7rocprim17ROCPRIM_400000_NS6detail17trampoline_kernelINS0_14default_configENS1_22reduce_config_selectorIbEEZNS1_11reduce_implILb1ES3_N6hipcub16HIPCUB_304000_NS22TransformInputIteratorIbN2at6native12_GLOBAL__N_19NonZeroOpIhEEPKhlEEPiiNS8_6detail34convert_binary_result_type_wrapperINS8_3SumESH_iEEEE10hipError_tPvRmT1_T2_T3_mT4_P12ihipStream_tbEUlT_E0_NS1_11comp_targetILNS1_3genE4ELNS1_11target_archE910ELNS1_3gpuE8ELNS1_3repE0EEENS1_30default_config_static_selectorELNS0_4arch9wavefront6targetE0EEEvSQ_.uses_flat_scratch, 0
	.set _ZN7rocprim17ROCPRIM_400000_NS6detail17trampoline_kernelINS0_14default_configENS1_22reduce_config_selectorIbEEZNS1_11reduce_implILb1ES3_N6hipcub16HIPCUB_304000_NS22TransformInputIteratorIbN2at6native12_GLOBAL__N_19NonZeroOpIhEEPKhlEEPiiNS8_6detail34convert_binary_result_type_wrapperINS8_3SumESH_iEEEE10hipError_tPvRmT1_T2_T3_mT4_P12ihipStream_tbEUlT_E0_NS1_11comp_targetILNS1_3genE4ELNS1_11target_archE910ELNS1_3gpuE8ELNS1_3repE0EEENS1_30default_config_static_selectorELNS0_4arch9wavefront6targetE0EEEvSQ_.has_dyn_sized_stack, 0
	.set _ZN7rocprim17ROCPRIM_400000_NS6detail17trampoline_kernelINS0_14default_configENS1_22reduce_config_selectorIbEEZNS1_11reduce_implILb1ES3_N6hipcub16HIPCUB_304000_NS22TransformInputIteratorIbN2at6native12_GLOBAL__N_19NonZeroOpIhEEPKhlEEPiiNS8_6detail34convert_binary_result_type_wrapperINS8_3SumESH_iEEEE10hipError_tPvRmT1_T2_T3_mT4_P12ihipStream_tbEUlT_E0_NS1_11comp_targetILNS1_3genE4ELNS1_11target_archE910ELNS1_3gpuE8ELNS1_3repE0EEENS1_30default_config_static_selectorELNS0_4arch9wavefront6targetE0EEEvSQ_.has_recursion, 0
	.set _ZN7rocprim17ROCPRIM_400000_NS6detail17trampoline_kernelINS0_14default_configENS1_22reduce_config_selectorIbEEZNS1_11reduce_implILb1ES3_N6hipcub16HIPCUB_304000_NS22TransformInputIteratorIbN2at6native12_GLOBAL__N_19NonZeroOpIhEEPKhlEEPiiNS8_6detail34convert_binary_result_type_wrapperINS8_3SumESH_iEEEE10hipError_tPvRmT1_T2_T3_mT4_P12ihipStream_tbEUlT_E0_NS1_11comp_targetILNS1_3genE4ELNS1_11target_archE910ELNS1_3gpuE8ELNS1_3repE0EEENS1_30default_config_static_selectorELNS0_4arch9wavefront6targetE0EEEvSQ_.has_indirect_call, 0
	.section	.AMDGPU.csdata,"",@progbits
; Kernel info:
; codeLenInByte = 0
; TotalNumSgprs: 0
; NumVgprs: 0
; ScratchSize: 0
; MemoryBound: 0
; FloatMode: 240
; IeeeMode: 1
; LDSByteSize: 0 bytes/workgroup (compile time only)
; SGPRBlocks: 0
; VGPRBlocks: 0
; NumSGPRsForWavesPerEU: 1
; NumVGPRsForWavesPerEU: 1
; Occupancy: 16
; WaveLimiterHint : 0
; COMPUTE_PGM_RSRC2:SCRATCH_EN: 0
; COMPUTE_PGM_RSRC2:USER_SGPR: 2
; COMPUTE_PGM_RSRC2:TRAP_HANDLER: 0
; COMPUTE_PGM_RSRC2:TGID_X_EN: 1
; COMPUTE_PGM_RSRC2:TGID_Y_EN: 0
; COMPUTE_PGM_RSRC2:TGID_Z_EN: 0
; COMPUTE_PGM_RSRC2:TIDIG_COMP_CNT: 0
	.section	.text._ZN7rocprim17ROCPRIM_400000_NS6detail17trampoline_kernelINS0_14default_configENS1_22reduce_config_selectorIbEEZNS1_11reduce_implILb1ES3_N6hipcub16HIPCUB_304000_NS22TransformInputIteratorIbN2at6native12_GLOBAL__N_19NonZeroOpIhEEPKhlEEPiiNS8_6detail34convert_binary_result_type_wrapperINS8_3SumESH_iEEEE10hipError_tPvRmT1_T2_T3_mT4_P12ihipStream_tbEUlT_E0_NS1_11comp_targetILNS1_3genE3ELNS1_11target_archE908ELNS1_3gpuE7ELNS1_3repE0EEENS1_30default_config_static_selectorELNS0_4arch9wavefront6targetE0EEEvSQ_,"axG",@progbits,_ZN7rocprim17ROCPRIM_400000_NS6detail17trampoline_kernelINS0_14default_configENS1_22reduce_config_selectorIbEEZNS1_11reduce_implILb1ES3_N6hipcub16HIPCUB_304000_NS22TransformInputIteratorIbN2at6native12_GLOBAL__N_19NonZeroOpIhEEPKhlEEPiiNS8_6detail34convert_binary_result_type_wrapperINS8_3SumESH_iEEEE10hipError_tPvRmT1_T2_T3_mT4_P12ihipStream_tbEUlT_E0_NS1_11comp_targetILNS1_3genE3ELNS1_11target_archE908ELNS1_3gpuE7ELNS1_3repE0EEENS1_30default_config_static_selectorELNS0_4arch9wavefront6targetE0EEEvSQ_,comdat
	.globl	_ZN7rocprim17ROCPRIM_400000_NS6detail17trampoline_kernelINS0_14default_configENS1_22reduce_config_selectorIbEEZNS1_11reduce_implILb1ES3_N6hipcub16HIPCUB_304000_NS22TransformInputIteratorIbN2at6native12_GLOBAL__N_19NonZeroOpIhEEPKhlEEPiiNS8_6detail34convert_binary_result_type_wrapperINS8_3SumESH_iEEEE10hipError_tPvRmT1_T2_T3_mT4_P12ihipStream_tbEUlT_E0_NS1_11comp_targetILNS1_3genE3ELNS1_11target_archE908ELNS1_3gpuE7ELNS1_3repE0EEENS1_30default_config_static_selectorELNS0_4arch9wavefront6targetE0EEEvSQ_ ; -- Begin function _ZN7rocprim17ROCPRIM_400000_NS6detail17trampoline_kernelINS0_14default_configENS1_22reduce_config_selectorIbEEZNS1_11reduce_implILb1ES3_N6hipcub16HIPCUB_304000_NS22TransformInputIteratorIbN2at6native12_GLOBAL__N_19NonZeroOpIhEEPKhlEEPiiNS8_6detail34convert_binary_result_type_wrapperINS8_3SumESH_iEEEE10hipError_tPvRmT1_T2_T3_mT4_P12ihipStream_tbEUlT_E0_NS1_11comp_targetILNS1_3genE3ELNS1_11target_archE908ELNS1_3gpuE7ELNS1_3repE0EEENS1_30default_config_static_selectorELNS0_4arch9wavefront6targetE0EEEvSQ_
	.p2align	8
	.type	_ZN7rocprim17ROCPRIM_400000_NS6detail17trampoline_kernelINS0_14default_configENS1_22reduce_config_selectorIbEEZNS1_11reduce_implILb1ES3_N6hipcub16HIPCUB_304000_NS22TransformInputIteratorIbN2at6native12_GLOBAL__N_19NonZeroOpIhEEPKhlEEPiiNS8_6detail34convert_binary_result_type_wrapperINS8_3SumESH_iEEEE10hipError_tPvRmT1_T2_T3_mT4_P12ihipStream_tbEUlT_E0_NS1_11comp_targetILNS1_3genE3ELNS1_11target_archE908ELNS1_3gpuE7ELNS1_3repE0EEENS1_30default_config_static_selectorELNS0_4arch9wavefront6targetE0EEEvSQ_,@function
_ZN7rocprim17ROCPRIM_400000_NS6detail17trampoline_kernelINS0_14default_configENS1_22reduce_config_selectorIbEEZNS1_11reduce_implILb1ES3_N6hipcub16HIPCUB_304000_NS22TransformInputIteratorIbN2at6native12_GLOBAL__N_19NonZeroOpIhEEPKhlEEPiiNS8_6detail34convert_binary_result_type_wrapperINS8_3SumESH_iEEEE10hipError_tPvRmT1_T2_T3_mT4_P12ihipStream_tbEUlT_E0_NS1_11comp_targetILNS1_3genE3ELNS1_11target_archE908ELNS1_3gpuE7ELNS1_3repE0EEENS1_30default_config_static_selectorELNS0_4arch9wavefront6targetE0EEEvSQ_: ; @_ZN7rocprim17ROCPRIM_400000_NS6detail17trampoline_kernelINS0_14default_configENS1_22reduce_config_selectorIbEEZNS1_11reduce_implILb1ES3_N6hipcub16HIPCUB_304000_NS22TransformInputIteratorIbN2at6native12_GLOBAL__N_19NonZeroOpIhEEPKhlEEPiiNS8_6detail34convert_binary_result_type_wrapperINS8_3SumESH_iEEEE10hipError_tPvRmT1_T2_T3_mT4_P12ihipStream_tbEUlT_E0_NS1_11comp_targetILNS1_3genE3ELNS1_11target_archE908ELNS1_3gpuE7ELNS1_3repE0EEENS1_30default_config_static_selectorELNS0_4arch9wavefront6targetE0EEEvSQ_
; %bb.0:
	.section	.rodata,"a",@progbits
	.p2align	6, 0x0
	.amdhsa_kernel _ZN7rocprim17ROCPRIM_400000_NS6detail17trampoline_kernelINS0_14default_configENS1_22reduce_config_selectorIbEEZNS1_11reduce_implILb1ES3_N6hipcub16HIPCUB_304000_NS22TransformInputIteratorIbN2at6native12_GLOBAL__N_19NonZeroOpIhEEPKhlEEPiiNS8_6detail34convert_binary_result_type_wrapperINS8_3SumESH_iEEEE10hipError_tPvRmT1_T2_T3_mT4_P12ihipStream_tbEUlT_E0_NS1_11comp_targetILNS1_3genE3ELNS1_11target_archE908ELNS1_3gpuE7ELNS1_3repE0EEENS1_30default_config_static_selectorELNS0_4arch9wavefront6targetE0EEEvSQ_
		.amdhsa_group_segment_fixed_size 0
		.amdhsa_private_segment_fixed_size 0
		.amdhsa_kernarg_size 64
		.amdhsa_user_sgpr_count 2
		.amdhsa_user_sgpr_dispatch_ptr 0
		.amdhsa_user_sgpr_queue_ptr 0
		.amdhsa_user_sgpr_kernarg_segment_ptr 1
		.amdhsa_user_sgpr_dispatch_id 0
		.amdhsa_user_sgpr_private_segment_size 0
		.amdhsa_wavefront_size32 1
		.amdhsa_uses_dynamic_stack 0
		.amdhsa_enable_private_segment 0
		.amdhsa_system_sgpr_workgroup_id_x 1
		.amdhsa_system_sgpr_workgroup_id_y 0
		.amdhsa_system_sgpr_workgroup_id_z 0
		.amdhsa_system_sgpr_workgroup_info 0
		.amdhsa_system_vgpr_workitem_id 0
		.amdhsa_next_free_vgpr 1
		.amdhsa_next_free_sgpr 1
		.amdhsa_reserve_vcc 0
		.amdhsa_float_round_mode_32 0
		.amdhsa_float_round_mode_16_64 0
		.amdhsa_float_denorm_mode_32 3
		.amdhsa_float_denorm_mode_16_64 3
		.amdhsa_fp16_overflow 0
		.amdhsa_workgroup_processor_mode 1
		.amdhsa_memory_ordered 1
		.amdhsa_forward_progress 1
		.amdhsa_inst_pref_size 0
		.amdhsa_round_robin_scheduling 0
		.amdhsa_exception_fp_ieee_invalid_op 0
		.amdhsa_exception_fp_denorm_src 0
		.amdhsa_exception_fp_ieee_div_zero 0
		.amdhsa_exception_fp_ieee_overflow 0
		.amdhsa_exception_fp_ieee_underflow 0
		.amdhsa_exception_fp_ieee_inexact 0
		.amdhsa_exception_int_div_zero 0
	.end_amdhsa_kernel
	.section	.text._ZN7rocprim17ROCPRIM_400000_NS6detail17trampoline_kernelINS0_14default_configENS1_22reduce_config_selectorIbEEZNS1_11reduce_implILb1ES3_N6hipcub16HIPCUB_304000_NS22TransformInputIteratorIbN2at6native12_GLOBAL__N_19NonZeroOpIhEEPKhlEEPiiNS8_6detail34convert_binary_result_type_wrapperINS8_3SumESH_iEEEE10hipError_tPvRmT1_T2_T3_mT4_P12ihipStream_tbEUlT_E0_NS1_11comp_targetILNS1_3genE3ELNS1_11target_archE908ELNS1_3gpuE7ELNS1_3repE0EEENS1_30default_config_static_selectorELNS0_4arch9wavefront6targetE0EEEvSQ_,"axG",@progbits,_ZN7rocprim17ROCPRIM_400000_NS6detail17trampoline_kernelINS0_14default_configENS1_22reduce_config_selectorIbEEZNS1_11reduce_implILb1ES3_N6hipcub16HIPCUB_304000_NS22TransformInputIteratorIbN2at6native12_GLOBAL__N_19NonZeroOpIhEEPKhlEEPiiNS8_6detail34convert_binary_result_type_wrapperINS8_3SumESH_iEEEE10hipError_tPvRmT1_T2_T3_mT4_P12ihipStream_tbEUlT_E0_NS1_11comp_targetILNS1_3genE3ELNS1_11target_archE908ELNS1_3gpuE7ELNS1_3repE0EEENS1_30default_config_static_selectorELNS0_4arch9wavefront6targetE0EEEvSQ_,comdat
.Lfunc_end22:
	.size	_ZN7rocprim17ROCPRIM_400000_NS6detail17trampoline_kernelINS0_14default_configENS1_22reduce_config_selectorIbEEZNS1_11reduce_implILb1ES3_N6hipcub16HIPCUB_304000_NS22TransformInputIteratorIbN2at6native12_GLOBAL__N_19NonZeroOpIhEEPKhlEEPiiNS8_6detail34convert_binary_result_type_wrapperINS8_3SumESH_iEEEE10hipError_tPvRmT1_T2_T3_mT4_P12ihipStream_tbEUlT_E0_NS1_11comp_targetILNS1_3genE3ELNS1_11target_archE908ELNS1_3gpuE7ELNS1_3repE0EEENS1_30default_config_static_selectorELNS0_4arch9wavefront6targetE0EEEvSQ_, .Lfunc_end22-_ZN7rocprim17ROCPRIM_400000_NS6detail17trampoline_kernelINS0_14default_configENS1_22reduce_config_selectorIbEEZNS1_11reduce_implILb1ES3_N6hipcub16HIPCUB_304000_NS22TransformInputIteratorIbN2at6native12_GLOBAL__N_19NonZeroOpIhEEPKhlEEPiiNS8_6detail34convert_binary_result_type_wrapperINS8_3SumESH_iEEEE10hipError_tPvRmT1_T2_T3_mT4_P12ihipStream_tbEUlT_E0_NS1_11comp_targetILNS1_3genE3ELNS1_11target_archE908ELNS1_3gpuE7ELNS1_3repE0EEENS1_30default_config_static_selectorELNS0_4arch9wavefront6targetE0EEEvSQ_
                                        ; -- End function
	.set _ZN7rocprim17ROCPRIM_400000_NS6detail17trampoline_kernelINS0_14default_configENS1_22reduce_config_selectorIbEEZNS1_11reduce_implILb1ES3_N6hipcub16HIPCUB_304000_NS22TransformInputIteratorIbN2at6native12_GLOBAL__N_19NonZeroOpIhEEPKhlEEPiiNS8_6detail34convert_binary_result_type_wrapperINS8_3SumESH_iEEEE10hipError_tPvRmT1_T2_T3_mT4_P12ihipStream_tbEUlT_E0_NS1_11comp_targetILNS1_3genE3ELNS1_11target_archE908ELNS1_3gpuE7ELNS1_3repE0EEENS1_30default_config_static_selectorELNS0_4arch9wavefront6targetE0EEEvSQ_.num_vgpr, 0
	.set _ZN7rocprim17ROCPRIM_400000_NS6detail17trampoline_kernelINS0_14default_configENS1_22reduce_config_selectorIbEEZNS1_11reduce_implILb1ES3_N6hipcub16HIPCUB_304000_NS22TransformInputIteratorIbN2at6native12_GLOBAL__N_19NonZeroOpIhEEPKhlEEPiiNS8_6detail34convert_binary_result_type_wrapperINS8_3SumESH_iEEEE10hipError_tPvRmT1_T2_T3_mT4_P12ihipStream_tbEUlT_E0_NS1_11comp_targetILNS1_3genE3ELNS1_11target_archE908ELNS1_3gpuE7ELNS1_3repE0EEENS1_30default_config_static_selectorELNS0_4arch9wavefront6targetE0EEEvSQ_.num_agpr, 0
	.set _ZN7rocprim17ROCPRIM_400000_NS6detail17trampoline_kernelINS0_14default_configENS1_22reduce_config_selectorIbEEZNS1_11reduce_implILb1ES3_N6hipcub16HIPCUB_304000_NS22TransformInputIteratorIbN2at6native12_GLOBAL__N_19NonZeroOpIhEEPKhlEEPiiNS8_6detail34convert_binary_result_type_wrapperINS8_3SumESH_iEEEE10hipError_tPvRmT1_T2_T3_mT4_P12ihipStream_tbEUlT_E0_NS1_11comp_targetILNS1_3genE3ELNS1_11target_archE908ELNS1_3gpuE7ELNS1_3repE0EEENS1_30default_config_static_selectorELNS0_4arch9wavefront6targetE0EEEvSQ_.numbered_sgpr, 0
	.set _ZN7rocprim17ROCPRIM_400000_NS6detail17trampoline_kernelINS0_14default_configENS1_22reduce_config_selectorIbEEZNS1_11reduce_implILb1ES3_N6hipcub16HIPCUB_304000_NS22TransformInputIteratorIbN2at6native12_GLOBAL__N_19NonZeroOpIhEEPKhlEEPiiNS8_6detail34convert_binary_result_type_wrapperINS8_3SumESH_iEEEE10hipError_tPvRmT1_T2_T3_mT4_P12ihipStream_tbEUlT_E0_NS1_11comp_targetILNS1_3genE3ELNS1_11target_archE908ELNS1_3gpuE7ELNS1_3repE0EEENS1_30default_config_static_selectorELNS0_4arch9wavefront6targetE0EEEvSQ_.num_named_barrier, 0
	.set _ZN7rocprim17ROCPRIM_400000_NS6detail17trampoline_kernelINS0_14default_configENS1_22reduce_config_selectorIbEEZNS1_11reduce_implILb1ES3_N6hipcub16HIPCUB_304000_NS22TransformInputIteratorIbN2at6native12_GLOBAL__N_19NonZeroOpIhEEPKhlEEPiiNS8_6detail34convert_binary_result_type_wrapperINS8_3SumESH_iEEEE10hipError_tPvRmT1_T2_T3_mT4_P12ihipStream_tbEUlT_E0_NS1_11comp_targetILNS1_3genE3ELNS1_11target_archE908ELNS1_3gpuE7ELNS1_3repE0EEENS1_30default_config_static_selectorELNS0_4arch9wavefront6targetE0EEEvSQ_.private_seg_size, 0
	.set _ZN7rocprim17ROCPRIM_400000_NS6detail17trampoline_kernelINS0_14default_configENS1_22reduce_config_selectorIbEEZNS1_11reduce_implILb1ES3_N6hipcub16HIPCUB_304000_NS22TransformInputIteratorIbN2at6native12_GLOBAL__N_19NonZeroOpIhEEPKhlEEPiiNS8_6detail34convert_binary_result_type_wrapperINS8_3SumESH_iEEEE10hipError_tPvRmT1_T2_T3_mT4_P12ihipStream_tbEUlT_E0_NS1_11comp_targetILNS1_3genE3ELNS1_11target_archE908ELNS1_3gpuE7ELNS1_3repE0EEENS1_30default_config_static_selectorELNS0_4arch9wavefront6targetE0EEEvSQ_.uses_vcc, 0
	.set _ZN7rocprim17ROCPRIM_400000_NS6detail17trampoline_kernelINS0_14default_configENS1_22reduce_config_selectorIbEEZNS1_11reduce_implILb1ES3_N6hipcub16HIPCUB_304000_NS22TransformInputIteratorIbN2at6native12_GLOBAL__N_19NonZeroOpIhEEPKhlEEPiiNS8_6detail34convert_binary_result_type_wrapperINS8_3SumESH_iEEEE10hipError_tPvRmT1_T2_T3_mT4_P12ihipStream_tbEUlT_E0_NS1_11comp_targetILNS1_3genE3ELNS1_11target_archE908ELNS1_3gpuE7ELNS1_3repE0EEENS1_30default_config_static_selectorELNS0_4arch9wavefront6targetE0EEEvSQ_.uses_flat_scratch, 0
	.set _ZN7rocprim17ROCPRIM_400000_NS6detail17trampoline_kernelINS0_14default_configENS1_22reduce_config_selectorIbEEZNS1_11reduce_implILb1ES3_N6hipcub16HIPCUB_304000_NS22TransformInputIteratorIbN2at6native12_GLOBAL__N_19NonZeroOpIhEEPKhlEEPiiNS8_6detail34convert_binary_result_type_wrapperINS8_3SumESH_iEEEE10hipError_tPvRmT1_T2_T3_mT4_P12ihipStream_tbEUlT_E0_NS1_11comp_targetILNS1_3genE3ELNS1_11target_archE908ELNS1_3gpuE7ELNS1_3repE0EEENS1_30default_config_static_selectorELNS0_4arch9wavefront6targetE0EEEvSQ_.has_dyn_sized_stack, 0
	.set _ZN7rocprim17ROCPRIM_400000_NS6detail17trampoline_kernelINS0_14default_configENS1_22reduce_config_selectorIbEEZNS1_11reduce_implILb1ES3_N6hipcub16HIPCUB_304000_NS22TransformInputIteratorIbN2at6native12_GLOBAL__N_19NonZeroOpIhEEPKhlEEPiiNS8_6detail34convert_binary_result_type_wrapperINS8_3SumESH_iEEEE10hipError_tPvRmT1_T2_T3_mT4_P12ihipStream_tbEUlT_E0_NS1_11comp_targetILNS1_3genE3ELNS1_11target_archE908ELNS1_3gpuE7ELNS1_3repE0EEENS1_30default_config_static_selectorELNS0_4arch9wavefront6targetE0EEEvSQ_.has_recursion, 0
	.set _ZN7rocprim17ROCPRIM_400000_NS6detail17trampoline_kernelINS0_14default_configENS1_22reduce_config_selectorIbEEZNS1_11reduce_implILb1ES3_N6hipcub16HIPCUB_304000_NS22TransformInputIteratorIbN2at6native12_GLOBAL__N_19NonZeroOpIhEEPKhlEEPiiNS8_6detail34convert_binary_result_type_wrapperINS8_3SumESH_iEEEE10hipError_tPvRmT1_T2_T3_mT4_P12ihipStream_tbEUlT_E0_NS1_11comp_targetILNS1_3genE3ELNS1_11target_archE908ELNS1_3gpuE7ELNS1_3repE0EEENS1_30default_config_static_selectorELNS0_4arch9wavefront6targetE0EEEvSQ_.has_indirect_call, 0
	.section	.AMDGPU.csdata,"",@progbits
; Kernel info:
; codeLenInByte = 0
; TotalNumSgprs: 0
; NumVgprs: 0
; ScratchSize: 0
; MemoryBound: 0
; FloatMode: 240
; IeeeMode: 1
; LDSByteSize: 0 bytes/workgroup (compile time only)
; SGPRBlocks: 0
; VGPRBlocks: 0
; NumSGPRsForWavesPerEU: 1
; NumVGPRsForWavesPerEU: 1
; Occupancy: 16
; WaveLimiterHint : 0
; COMPUTE_PGM_RSRC2:SCRATCH_EN: 0
; COMPUTE_PGM_RSRC2:USER_SGPR: 2
; COMPUTE_PGM_RSRC2:TRAP_HANDLER: 0
; COMPUTE_PGM_RSRC2:TGID_X_EN: 1
; COMPUTE_PGM_RSRC2:TGID_Y_EN: 0
; COMPUTE_PGM_RSRC2:TGID_Z_EN: 0
; COMPUTE_PGM_RSRC2:TIDIG_COMP_CNT: 0
	.section	.text._ZN7rocprim17ROCPRIM_400000_NS6detail17trampoline_kernelINS0_14default_configENS1_22reduce_config_selectorIbEEZNS1_11reduce_implILb1ES3_N6hipcub16HIPCUB_304000_NS22TransformInputIteratorIbN2at6native12_GLOBAL__N_19NonZeroOpIhEEPKhlEEPiiNS8_6detail34convert_binary_result_type_wrapperINS8_3SumESH_iEEEE10hipError_tPvRmT1_T2_T3_mT4_P12ihipStream_tbEUlT_E0_NS1_11comp_targetILNS1_3genE2ELNS1_11target_archE906ELNS1_3gpuE6ELNS1_3repE0EEENS1_30default_config_static_selectorELNS0_4arch9wavefront6targetE0EEEvSQ_,"axG",@progbits,_ZN7rocprim17ROCPRIM_400000_NS6detail17trampoline_kernelINS0_14default_configENS1_22reduce_config_selectorIbEEZNS1_11reduce_implILb1ES3_N6hipcub16HIPCUB_304000_NS22TransformInputIteratorIbN2at6native12_GLOBAL__N_19NonZeroOpIhEEPKhlEEPiiNS8_6detail34convert_binary_result_type_wrapperINS8_3SumESH_iEEEE10hipError_tPvRmT1_T2_T3_mT4_P12ihipStream_tbEUlT_E0_NS1_11comp_targetILNS1_3genE2ELNS1_11target_archE906ELNS1_3gpuE6ELNS1_3repE0EEENS1_30default_config_static_selectorELNS0_4arch9wavefront6targetE0EEEvSQ_,comdat
	.globl	_ZN7rocprim17ROCPRIM_400000_NS6detail17trampoline_kernelINS0_14default_configENS1_22reduce_config_selectorIbEEZNS1_11reduce_implILb1ES3_N6hipcub16HIPCUB_304000_NS22TransformInputIteratorIbN2at6native12_GLOBAL__N_19NonZeroOpIhEEPKhlEEPiiNS8_6detail34convert_binary_result_type_wrapperINS8_3SumESH_iEEEE10hipError_tPvRmT1_T2_T3_mT4_P12ihipStream_tbEUlT_E0_NS1_11comp_targetILNS1_3genE2ELNS1_11target_archE906ELNS1_3gpuE6ELNS1_3repE0EEENS1_30default_config_static_selectorELNS0_4arch9wavefront6targetE0EEEvSQ_ ; -- Begin function _ZN7rocprim17ROCPRIM_400000_NS6detail17trampoline_kernelINS0_14default_configENS1_22reduce_config_selectorIbEEZNS1_11reduce_implILb1ES3_N6hipcub16HIPCUB_304000_NS22TransformInputIteratorIbN2at6native12_GLOBAL__N_19NonZeroOpIhEEPKhlEEPiiNS8_6detail34convert_binary_result_type_wrapperINS8_3SumESH_iEEEE10hipError_tPvRmT1_T2_T3_mT4_P12ihipStream_tbEUlT_E0_NS1_11comp_targetILNS1_3genE2ELNS1_11target_archE906ELNS1_3gpuE6ELNS1_3repE0EEENS1_30default_config_static_selectorELNS0_4arch9wavefront6targetE0EEEvSQ_
	.p2align	8
	.type	_ZN7rocprim17ROCPRIM_400000_NS6detail17trampoline_kernelINS0_14default_configENS1_22reduce_config_selectorIbEEZNS1_11reduce_implILb1ES3_N6hipcub16HIPCUB_304000_NS22TransformInputIteratorIbN2at6native12_GLOBAL__N_19NonZeroOpIhEEPKhlEEPiiNS8_6detail34convert_binary_result_type_wrapperINS8_3SumESH_iEEEE10hipError_tPvRmT1_T2_T3_mT4_P12ihipStream_tbEUlT_E0_NS1_11comp_targetILNS1_3genE2ELNS1_11target_archE906ELNS1_3gpuE6ELNS1_3repE0EEENS1_30default_config_static_selectorELNS0_4arch9wavefront6targetE0EEEvSQ_,@function
_ZN7rocprim17ROCPRIM_400000_NS6detail17trampoline_kernelINS0_14default_configENS1_22reduce_config_selectorIbEEZNS1_11reduce_implILb1ES3_N6hipcub16HIPCUB_304000_NS22TransformInputIteratorIbN2at6native12_GLOBAL__N_19NonZeroOpIhEEPKhlEEPiiNS8_6detail34convert_binary_result_type_wrapperINS8_3SumESH_iEEEE10hipError_tPvRmT1_T2_T3_mT4_P12ihipStream_tbEUlT_E0_NS1_11comp_targetILNS1_3genE2ELNS1_11target_archE906ELNS1_3gpuE6ELNS1_3repE0EEENS1_30default_config_static_selectorELNS0_4arch9wavefront6targetE0EEEvSQ_: ; @_ZN7rocprim17ROCPRIM_400000_NS6detail17trampoline_kernelINS0_14default_configENS1_22reduce_config_selectorIbEEZNS1_11reduce_implILb1ES3_N6hipcub16HIPCUB_304000_NS22TransformInputIteratorIbN2at6native12_GLOBAL__N_19NonZeroOpIhEEPKhlEEPiiNS8_6detail34convert_binary_result_type_wrapperINS8_3SumESH_iEEEE10hipError_tPvRmT1_T2_T3_mT4_P12ihipStream_tbEUlT_E0_NS1_11comp_targetILNS1_3genE2ELNS1_11target_archE906ELNS1_3gpuE6ELNS1_3repE0EEENS1_30default_config_static_selectorELNS0_4arch9wavefront6targetE0EEEvSQ_
; %bb.0:
	.section	.rodata,"a",@progbits
	.p2align	6, 0x0
	.amdhsa_kernel _ZN7rocprim17ROCPRIM_400000_NS6detail17trampoline_kernelINS0_14default_configENS1_22reduce_config_selectorIbEEZNS1_11reduce_implILb1ES3_N6hipcub16HIPCUB_304000_NS22TransformInputIteratorIbN2at6native12_GLOBAL__N_19NonZeroOpIhEEPKhlEEPiiNS8_6detail34convert_binary_result_type_wrapperINS8_3SumESH_iEEEE10hipError_tPvRmT1_T2_T3_mT4_P12ihipStream_tbEUlT_E0_NS1_11comp_targetILNS1_3genE2ELNS1_11target_archE906ELNS1_3gpuE6ELNS1_3repE0EEENS1_30default_config_static_selectorELNS0_4arch9wavefront6targetE0EEEvSQ_
		.amdhsa_group_segment_fixed_size 0
		.amdhsa_private_segment_fixed_size 0
		.amdhsa_kernarg_size 64
		.amdhsa_user_sgpr_count 2
		.amdhsa_user_sgpr_dispatch_ptr 0
		.amdhsa_user_sgpr_queue_ptr 0
		.amdhsa_user_sgpr_kernarg_segment_ptr 1
		.amdhsa_user_sgpr_dispatch_id 0
		.amdhsa_user_sgpr_private_segment_size 0
		.amdhsa_wavefront_size32 1
		.amdhsa_uses_dynamic_stack 0
		.amdhsa_enable_private_segment 0
		.amdhsa_system_sgpr_workgroup_id_x 1
		.amdhsa_system_sgpr_workgroup_id_y 0
		.amdhsa_system_sgpr_workgroup_id_z 0
		.amdhsa_system_sgpr_workgroup_info 0
		.amdhsa_system_vgpr_workitem_id 0
		.amdhsa_next_free_vgpr 1
		.amdhsa_next_free_sgpr 1
		.amdhsa_reserve_vcc 0
		.amdhsa_float_round_mode_32 0
		.amdhsa_float_round_mode_16_64 0
		.amdhsa_float_denorm_mode_32 3
		.amdhsa_float_denorm_mode_16_64 3
		.amdhsa_fp16_overflow 0
		.amdhsa_workgroup_processor_mode 1
		.amdhsa_memory_ordered 1
		.amdhsa_forward_progress 1
		.amdhsa_inst_pref_size 0
		.amdhsa_round_robin_scheduling 0
		.amdhsa_exception_fp_ieee_invalid_op 0
		.amdhsa_exception_fp_denorm_src 0
		.amdhsa_exception_fp_ieee_div_zero 0
		.amdhsa_exception_fp_ieee_overflow 0
		.amdhsa_exception_fp_ieee_underflow 0
		.amdhsa_exception_fp_ieee_inexact 0
		.amdhsa_exception_int_div_zero 0
	.end_amdhsa_kernel
	.section	.text._ZN7rocprim17ROCPRIM_400000_NS6detail17trampoline_kernelINS0_14default_configENS1_22reduce_config_selectorIbEEZNS1_11reduce_implILb1ES3_N6hipcub16HIPCUB_304000_NS22TransformInputIteratorIbN2at6native12_GLOBAL__N_19NonZeroOpIhEEPKhlEEPiiNS8_6detail34convert_binary_result_type_wrapperINS8_3SumESH_iEEEE10hipError_tPvRmT1_T2_T3_mT4_P12ihipStream_tbEUlT_E0_NS1_11comp_targetILNS1_3genE2ELNS1_11target_archE906ELNS1_3gpuE6ELNS1_3repE0EEENS1_30default_config_static_selectorELNS0_4arch9wavefront6targetE0EEEvSQ_,"axG",@progbits,_ZN7rocprim17ROCPRIM_400000_NS6detail17trampoline_kernelINS0_14default_configENS1_22reduce_config_selectorIbEEZNS1_11reduce_implILb1ES3_N6hipcub16HIPCUB_304000_NS22TransformInputIteratorIbN2at6native12_GLOBAL__N_19NonZeroOpIhEEPKhlEEPiiNS8_6detail34convert_binary_result_type_wrapperINS8_3SumESH_iEEEE10hipError_tPvRmT1_T2_T3_mT4_P12ihipStream_tbEUlT_E0_NS1_11comp_targetILNS1_3genE2ELNS1_11target_archE906ELNS1_3gpuE6ELNS1_3repE0EEENS1_30default_config_static_selectorELNS0_4arch9wavefront6targetE0EEEvSQ_,comdat
.Lfunc_end23:
	.size	_ZN7rocprim17ROCPRIM_400000_NS6detail17trampoline_kernelINS0_14default_configENS1_22reduce_config_selectorIbEEZNS1_11reduce_implILb1ES3_N6hipcub16HIPCUB_304000_NS22TransformInputIteratorIbN2at6native12_GLOBAL__N_19NonZeroOpIhEEPKhlEEPiiNS8_6detail34convert_binary_result_type_wrapperINS8_3SumESH_iEEEE10hipError_tPvRmT1_T2_T3_mT4_P12ihipStream_tbEUlT_E0_NS1_11comp_targetILNS1_3genE2ELNS1_11target_archE906ELNS1_3gpuE6ELNS1_3repE0EEENS1_30default_config_static_selectorELNS0_4arch9wavefront6targetE0EEEvSQ_, .Lfunc_end23-_ZN7rocprim17ROCPRIM_400000_NS6detail17trampoline_kernelINS0_14default_configENS1_22reduce_config_selectorIbEEZNS1_11reduce_implILb1ES3_N6hipcub16HIPCUB_304000_NS22TransformInputIteratorIbN2at6native12_GLOBAL__N_19NonZeroOpIhEEPKhlEEPiiNS8_6detail34convert_binary_result_type_wrapperINS8_3SumESH_iEEEE10hipError_tPvRmT1_T2_T3_mT4_P12ihipStream_tbEUlT_E0_NS1_11comp_targetILNS1_3genE2ELNS1_11target_archE906ELNS1_3gpuE6ELNS1_3repE0EEENS1_30default_config_static_selectorELNS0_4arch9wavefront6targetE0EEEvSQ_
                                        ; -- End function
	.set _ZN7rocprim17ROCPRIM_400000_NS6detail17trampoline_kernelINS0_14default_configENS1_22reduce_config_selectorIbEEZNS1_11reduce_implILb1ES3_N6hipcub16HIPCUB_304000_NS22TransformInputIteratorIbN2at6native12_GLOBAL__N_19NonZeroOpIhEEPKhlEEPiiNS8_6detail34convert_binary_result_type_wrapperINS8_3SumESH_iEEEE10hipError_tPvRmT1_T2_T3_mT4_P12ihipStream_tbEUlT_E0_NS1_11comp_targetILNS1_3genE2ELNS1_11target_archE906ELNS1_3gpuE6ELNS1_3repE0EEENS1_30default_config_static_selectorELNS0_4arch9wavefront6targetE0EEEvSQ_.num_vgpr, 0
	.set _ZN7rocprim17ROCPRIM_400000_NS6detail17trampoline_kernelINS0_14default_configENS1_22reduce_config_selectorIbEEZNS1_11reduce_implILb1ES3_N6hipcub16HIPCUB_304000_NS22TransformInputIteratorIbN2at6native12_GLOBAL__N_19NonZeroOpIhEEPKhlEEPiiNS8_6detail34convert_binary_result_type_wrapperINS8_3SumESH_iEEEE10hipError_tPvRmT1_T2_T3_mT4_P12ihipStream_tbEUlT_E0_NS1_11comp_targetILNS1_3genE2ELNS1_11target_archE906ELNS1_3gpuE6ELNS1_3repE0EEENS1_30default_config_static_selectorELNS0_4arch9wavefront6targetE0EEEvSQ_.num_agpr, 0
	.set _ZN7rocprim17ROCPRIM_400000_NS6detail17trampoline_kernelINS0_14default_configENS1_22reduce_config_selectorIbEEZNS1_11reduce_implILb1ES3_N6hipcub16HIPCUB_304000_NS22TransformInputIteratorIbN2at6native12_GLOBAL__N_19NonZeroOpIhEEPKhlEEPiiNS8_6detail34convert_binary_result_type_wrapperINS8_3SumESH_iEEEE10hipError_tPvRmT1_T2_T3_mT4_P12ihipStream_tbEUlT_E0_NS1_11comp_targetILNS1_3genE2ELNS1_11target_archE906ELNS1_3gpuE6ELNS1_3repE0EEENS1_30default_config_static_selectorELNS0_4arch9wavefront6targetE0EEEvSQ_.numbered_sgpr, 0
	.set _ZN7rocprim17ROCPRIM_400000_NS6detail17trampoline_kernelINS0_14default_configENS1_22reduce_config_selectorIbEEZNS1_11reduce_implILb1ES3_N6hipcub16HIPCUB_304000_NS22TransformInputIteratorIbN2at6native12_GLOBAL__N_19NonZeroOpIhEEPKhlEEPiiNS8_6detail34convert_binary_result_type_wrapperINS8_3SumESH_iEEEE10hipError_tPvRmT1_T2_T3_mT4_P12ihipStream_tbEUlT_E0_NS1_11comp_targetILNS1_3genE2ELNS1_11target_archE906ELNS1_3gpuE6ELNS1_3repE0EEENS1_30default_config_static_selectorELNS0_4arch9wavefront6targetE0EEEvSQ_.num_named_barrier, 0
	.set _ZN7rocprim17ROCPRIM_400000_NS6detail17trampoline_kernelINS0_14default_configENS1_22reduce_config_selectorIbEEZNS1_11reduce_implILb1ES3_N6hipcub16HIPCUB_304000_NS22TransformInputIteratorIbN2at6native12_GLOBAL__N_19NonZeroOpIhEEPKhlEEPiiNS8_6detail34convert_binary_result_type_wrapperINS8_3SumESH_iEEEE10hipError_tPvRmT1_T2_T3_mT4_P12ihipStream_tbEUlT_E0_NS1_11comp_targetILNS1_3genE2ELNS1_11target_archE906ELNS1_3gpuE6ELNS1_3repE0EEENS1_30default_config_static_selectorELNS0_4arch9wavefront6targetE0EEEvSQ_.private_seg_size, 0
	.set _ZN7rocprim17ROCPRIM_400000_NS6detail17trampoline_kernelINS0_14default_configENS1_22reduce_config_selectorIbEEZNS1_11reduce_implILb1ES3_N6hipcub16HIPCUB_304000_NS22TransformInputIteratorIbN2at6native12_GLOBAL__N_19NonZeroOpIhEEPKhlEEPiiNS8_6detail34convert_binary_result_type_wrapperINS8_3SumESH_iEEEE10hipError_tPvRmT1_T2_T3_mT4_P12ihipStream_tbEUlT_E0_NS1_11comp_targetILNS1_3genE2ELNS1_11target_archE906ELNS1_3gpuE6ELNS1_3repE0EEENS1_30default_config_static_selectorELNS0_4arch9wavefront6targetE0EEEvSQ_.uses_vcc, 0
	.set _ZN7rocprim17ROCPRIM_400000_NS6detail17trampoline_kernelINS0_14default_configENS1_22reduce_config_selectorIbEEZNS1_11reduce_implILb1ES3_N6hipcub16HIPCUB_304000_NS22TransformInputIteratorIbN2at6native12_GLOBAL__N_19NonZeroOpIhEEPKhlEEPiiNS8_6detail34convert_binary_result_type_wrapperINS8_3SumESH_iEEEE10hipError_tPvRmT1_T2_T3_mT4_P12ihipStream_tbEUlT_E0_NS1_11comp_targetILNS1_3genE2ELNS1_11target_archE906ELNS1_3gpuE6ELNS1_3repE0EEENS1_30default_config_static_selectorELNS0_4arch9wavefront6targetE0EEEvSQ_.uses_flat_scratch, 0
	.set _ZN7rocprim17ROCPRIM_400000_NS6detail17trampoline_kernelINS0_14default_configENS1_22reduce_config_selectorIbEEZNS1_11reduce_implILb1ES3_N6hipcub16HIPCUB_304000_NS22TransformInputIteratorIbN2at6native12_GLOBAL__N_19NonZeroOpIhEEPKhlEEPiiNS8_6detail34convert_binary_result_type_wrapperINS8_3SumESH_iEEEE10hipError_tPvRmT1_T2_T3_mT4_P12ihipStream_tbEUlT_E0_NS1_11comp_targetILNS1_3genE2ELNS1_11target_archE906ELNS1_3gpuE6ELNS1_3repE0EEENS1_30default_config_static_selectorELNS0_4arch9wavefront6targetE0EEEvSQ_.has_dyn_sized_stack, 0
	.set _ZN7rocprim17ROCPRIM_400000_NS6detail17trampoline_kernelINS0_14default_configENS1_22reduce_config_selectorIbEEZNS1_11reduce_implILb1ES3_N6hipcub16HIPCUB_304000_NS22TransformInputIteratorIbN2at6native12_GLOBAL__N_19NonZeroOpIhEEPKhlEEPiiNS8_6detail34convert_binary_result_type_wrapperINS8_3SumESH_iEEEE10hipError_tPvRmT1_T2_T3_mT4_P12ihipStream_tbEUlT_E0_NS1_11comp_targetILNS1_3genE2ELNS1_11target_archE906ELNS1_3gpuE6ELNS1_3repE0EEENS1_30default_config_static_selectorELNS0_4arch9wavefront6targetE0EEEvSQ_.has_recursion, 0
	.set _ZN7rocprim17ROCPRIM_400000_NS6detail17trampoline_kernelINS0_14default_configENS1_22reduce_config_selectorIbEEZNS1_11reduce_implILb1ES3_N6hipcub16HIPCUB_304000_NS22TransformInputIteratorIbN2at6native12_GLOBAL__N_19NonZeroOpIhEEPKhlEEPiiNS8_6detail34convert_binary_result_type_wrapperINS8_3SumESH_iEEEE10hipError_tPvRmT1_T2_T3_mT4_P12ihipStream_tbEUlT_E0_NS1_11comp_targetILNS1_3genE2ELNS1_11target_archE906ELNS1_3gpuE6ELNS1_3repE0EEENS1_30default_config_static_selectorELNS0_4arch9wavefront6targetE0EEEvSQ_.has_indirect_call, 0
	.section	.AMDGPU.csdata,"",@progbits
; Kernel info:
; codeLenInByte = 0
; TotalNumSgprs: 0
; NumVgprs: 0
; ScratchSize: 0
; MemoryBound: 0
; FloatMode: 240
; IeeeMode: 1
; LDSByteSize: 0 bytes/workgroup (compile time only)
; SGPRBlocks: 0
; VGPRBlocks: 0
; NumSGPRsForWavesPerEU: 1
; NumVGPRsForWavesPerEU: 1
; Occupancy: 16
; WaveLimiterHint : 0
; COMPUTE_PGM_RSRC2:SCRATCH_EN: 0
; COMPUTE_PGM_RSRC2:USER_SGPR: 2
; COMPUTE_PGM_RSRC2:TRAP_HANDLER: 0
; COMPUTE_PGM_RSRC2:TGID_X_EN: 1
; COMPUTE_PGM_RSRC2:TGID_Y_EN: 0
; COMPUTE_PGM_RSRC2:TGID_Z_EN: 0
; COMPUTE_PGM_RSRC2:TIDIG_COMP_CNT: 0
	.section	.text._ZN7rocprim17ROCPRIM_400000_NS6detail17trampoline_kernelINS0_14default_configENS1_22reduce_config_selectorIbEEZNS1_11reduce_implILb1ES3_N6hipcub16HIPCUB_304000_NS22TransformInputIteratorIbN2at6native12_GLOBAL__N_19NonZeroOpIhEEPKhlEEPiiNS8_6detail34convert_binary_result_type_wrapperINS8_3SumESH_iEEEE10hipError_tPvRmT1_T2_T3_mT4_P12ihipStream_tbEUlT_E0_NS1_11comp_targetILNS1_3genE10ELNS1_11target_archE1201ELNS1_3gpuE5ELNS1_3repE0EEENS1_30default_config_static_selectorELNS0_4arch9wavefront6targetE0EEEvSQ_,"axG",@progbits,_ZN7rocprim17ROCPRIM_400000_NS6detail17trampoline_kernelINS0_14default_configENS1_22reduce_config_selectorIbEEZNS1_11reduce_implILb1ES3_N6hipcub16HIPCUB_304000_NS22TransformInputIteratorIbN2at6native12_GLOBAL__N_19NonZeroOpIhEEPKhlEEPiiNS8_6detail34convert_binary_result_type_wrapperINS8_3SumESH_iEEEE10hipError_tPvRmT1_T2_T3_mT4_P12ihipStream_tbEUlT_E0_NS1_11comp_targetILNS1_3genE10ELNS1_11target_archE1201ELNS1_3gpuE5ELNS1_3repE0EEENS1_30default_config_static_selectorELNS0_4arch9wavefront6targetE0EEEvSQ_,comdat
	.globl	_ZN7rocprim17ROCPRIM_400000_NS6detail17trampoline_kernelINS0_14default_configENS1_22reduce_config_selectorIbEEZNS1_11reduce_implILb1ES3_N6hipcub16HIPCUB_304000_NS22TransformInputIteratorIbN2at6native12_GLOBAL__N_19NonZeroOpIhEEPKhlEEPiiNS8_6detail34convert_binary_result_type_wrapperINS8_3SumESH_iEEEE10hipError_tPvRmT1_T2_T3_mT4_P12ihipStream_tbEUlT_E0_NS1_11comp_targetILNS1_3genE10ELNS1_11target_archE1201ELNS1_3gpuE5ELNS1_3repE0EEENS1_30default_config_static_selectorELNS0_4arch9wavefront6targetE0EEEvSQ_ ; -- Begin function _ZN7rocprim17ROCPRIM_400000_NS6detail17trampoline_kernelINS0_14default_configENS1_22reduce_config_selectorIbEEZNS1_11reduce_implILb1ES3_N6hipcub16HIPCUB_304000_NS22TransformInputIteratorIbN2at6native12_GLOBAL__N_19NonZeroOpIhEEPKhlEEPiiNS8_6detail34convert_binary_result_type_wrapperINS8_3SumESH_iEEEE10hipError_tPvRmT1_T2_T3_mT4_P12ihipStream_tbEUlT_E0_NS1_11comp_targetILNS1_3genE10ELNS1_11target_archE1201ELNS1_3gpuE5ELNS1_3repE0EEENS1_30default_config_static_selectorELNS0_4arch9wavefront6targetE0EEEvSQ_
	.p2align	8
	.type	_ZN7rocprim17ROCPRIM_400000_NS6detail17trampoline_kernelINS0_14default_configENS1_22reduce_config_selectorIbEEZNS1_11reduce_implILb1ES3_N6hipcub16HIPCUB_304000_NS22TransformInputIteratorIbN2at6native12_GLOBAL__N_19NonZeroOpIhEEPKhlEEPiiNS8_6detail34convert_binary_result_type_wrapperINS8_3SumESH_iEEEE10hipError_tPvRmT1_T2_T3_mT4_P12ihipStream_tbEUlT_E0_NS1_11comp_targetILNS1_3genE10ELNS1_11target_archE1201ELNS1_3gpuE5ELNS1_3repE0EEENS1_30default_config_static_selectorELNS0_4arch9wavefront6targetE0EEEvSQ_,@function
_ZN7rocprim17ROCPRIM_400000_NS6detail17trampoline_kernelINS0_14default_configENS1_22reduce_config_selectorIbEEZNS1_11reduce_implILb1ES3_N6hipcub16HIPCUB_304000_NS22TransformInputIteratorIbN2at6native12_GLOBAL__N_19NonZeroOpIhEEPKhlEEPiiNS8_6detail34convert_binary_result_type_wrapperINS8_3SumESH_iEEEE10hipError_tPvRmT1_T2_T3_mT4_P12ihipStream_tbEUlT_E0_NS1_11comp_targetILNS1_3genE10ELNS1_11target_archE1201ELNS1_3gpuE5ELNS1_3repE0EEENS1_30default_config_static_selectorELNS0_4arch9wavefront6targetE0EEEvSQ_: ; @_ZN7rocprim17ROCPRIM_400000_NS6detail17trampoline_kernelINS0_14default_configENS1_22reduce_config_selectorIbEEZNS1_11reduce_implILb1ES3_N6hipcub16HIPCUB_304000_NS22TransformInputIteratorIbN2at6native12_GLOBAL__N_19NonZeroOpIhEEPKhlEEPiiNS8_6detail34convert_binary_result_type_wrapperINS8_3SumESH_iEEEE10hipError_tPvRmT1_T2_T3_mT4_P12ihipStream_tbEUlT_E0_NS1_11comp_targetILNS1_3genE10ELNS1_11target_archE1201ELNS1_3gpuE5ELNS1_3repE0EEENS1_30default_config_static_selectorELNS0_4arch9wavefront6targetE0EEEvSQ_
; %bb.0:
	s_clause 0x2
	s_load_b256 s[16:23], s[0:1], 0x10
	s_load_b64 s[4:5], s[0:1], 0x0
	s_load_b64 s[26:27], s[0:1], 0x30
	s_mov_b32 s3, 0
	v_mbcnt_lo_u32_b32 v18, -1, 0
	s_mov_b32 s24, ttmp9
	s_mov_b32 s25, s3
	s_lshl_b32 s2, ttmp9, 12
	s_wait_kmcnt 0x0
	s_lshr_b64 s[6:7], s[18:19], 12
	s_add_nc_u64 s[4:5], s[4:5], s[16:17]
	s_cmp_lg_u64 s[6:7], s[24:25]
	s_add_nc_u64 s[16:17], s[4:5], s[2:3]
	s_cbranch_scc0 .LBB24_6
; %bb.1:
	s_clause 0xf
	global_load_u8 v1, v0, s[16:17]
	global_load_u8 v2, v0, s[16:17] offset:512
	global_load_u8 v3, v0, s[16:17] offset:256
	;; [unrolled: 1-line block ×15, first 2 shown]
	s_mov_b32 s3, exec_lo
	s_wait_loadcnt 0xf
	v_cmp_ne_u16_e32 vcc_lo, 0, v1
	v_cndmask_b32_e64 v1, 0, 1, vcc_lo
	s_wait_loadcnt 0xe
	v_cmp_ne_u16_e32 vcc_lo, 0, v2
	s_wait_alu 0xfffd
	v_cndmask_b32_e64 v2, 0, 1, vcc_lo
	s_wait_loadcnt 0xd
	v_cmp_ne_u16_e32 vcc_lo, 0, v3
	s_wait_alu 0xfffd
	v_add_co_ci_u32_e64 v1, null, 0, v1, vcc_lo
	s_wait_loadcnt 0xc
	v_cmp_ne_u16_e32 vcc_lo, 0, v4
	s_wait_alu 0xfffd
	v_cndmask_b32_e64 v3, 0, 1, vcc_lo
	s_wait_loadcnt 0xb
	v_cmp_ne_u16_e32 vcc_lo, 0, v5
	s_wait_alu 0xfffd
	v_add_co_ci_u32_e64 v1, null, v1, v2, vcc_lo
	;; [unrolled: 8-line block ×7, first 2 shown]
	s_wait_loadcnt 0x0
	v_cmp_ne_u16_e32 vcc_lo, 0, v16
	s_wait_alu 0xfffd
	s_delay_alu instid0(VALU_DEP_2) | instskip(NEXT) | instid1(VALU_DEP_1)
	v_add_co_ci_u32_e64 v1, null, v1, v2, vcc_lo
	v_mov_b32_dpp v2, v1 quad_perm:[1,0,3,2] row_mask:0xf bank_mask:0xf
	s_delay_alu instid0(VALU_DEP_1) | instskip(NEXT) | instid1(VALU_DEP_1)
	v_add_nc_u32_e32 v1, v1, v2
	v_mov_b32_dpp v2, v1 quad_perm:[2,3,0,1] row_mask:0xf bank_mask:0xf
	s_delay_alu instid0(VALU_DEP_1) | instskip(NEXT) | instid1(VALU_DEP_1)
	v_add_nc_u32_e32 v1, v1, v2
	v_mov_b32_dpp v2, v1 row_ror:4 row_mask:0xf bank_mask:0xf
	s_delay_alu instid0(VALU_DEP_1) | instskip(NEXT) | instid1(VALU_DEP_1)
	v_add_nc_u32_e32 v1, v1, v2
	v_mov_b32_dpp v2, v1 row_ror:8 row_mask:0xf bank_mask:0xf
	s_delay_alu instid0(VALU_DEP_1)
	v_add_nc_u32_e32 v1, v1, v2
	ds_swizzle_b32 v2, v1 offset:swizzle(BROADCAST,32,15)
	s_wait_dscnt 0x0
	v_dual_mov_b32 v2, 0 :: v_dual_add_nc_u32 v1, v1, v2
	ds_bpermute_b32 v1, v2, v1 offset:124
	v_cmpx_eq_u32_e32 0, v18
	s_cbranch_execz .LBB24_3
; %bb.2:
	v_lshrrev_b32_e32 v2, 3, v0
	s_delay_alu instid0(VALU_DEP_1)
	v_and_b32_e32 v2, 28, v2
	s_wait_dscnt 0x0
	ds_store_b32 v2, v1
.LBB24_3:
	s_or_b32 exec_lo, exec_lo, s3
	s_delay_alu instid0(SALU_CYCLE_1)
	s_mov_b32 s3, exec_lo
	s_wait_dscnt 0x0
	s_barrier_signal -1
	s_barrier_wait -1
	global_inv scope:SCOPE_SE
	v_cmpx_gt_u32_e32 32, v0
	s_cbranch_execz .LBB24_5
; %bb.4:
	v_and_b32_e32 v1, 7, v18
	s_delay_alu instid0(VALU_DEP_1)
	v_lshlrev_b32_e32 v2, 2, v1
	v_cmp_ne_u32_e32 vcc_lo, 7, v1
	ds_load_b32 v2, v2
	s_wait_alu 0xfffd
	v_add_co_ci_u32_e64 v3, null, 0, v18, vcc_lo
	v_cmp_gt_u32_e32 vcc_lo, 6, v1
	s_delay_alu instid0(VALU_DEP_2) | instskip(SKIP_2) | instid1(VALU_DEP_1)
	v_lshlrev_b32_e32 v3, 2, v3
	s_wait_alu 0xfffd
	v_cndmask_b32_e64 v1, 0, 2, vcc_lo
	v_add_lshl_u32 v1, v1, v18, 2
	s_wait_dscnt 0x0
	ds_bpermute_b32 v3, v3, v2
	s_wait_dscnt 0x0
	v_add_nc_u32_e32 v2, v3, v2
	v_lshlrev_b32_e32 v3, 2, v18
	ds_bpermute_b32 v1, v1, v2
	s_wait_dscnt 0x0
	v_add_nc_u32_e32 v1, v1, v2
	v_or_b32_e32 v2, 16, v3
	ds_bpermute_b32 v2, v2, v1
	s_wait_dscnt 0x0
	v_add_nc_u32_e32 v1, v2, v1
.LBB24_5:
	s_or_b32 exec_lo, exec_lo, s3
	s_branch .LBB24_44
.LBB24_6:
                                        ; implicit-def: $vgpr1
	s_cbranch_execz .LBB24_44
; %bb.7:
	v_mov_b32_e32 v1, 0
	s_sub_co_i32 s28, s18, s2
	s_mov_b32 s2, exec_lo
	s_delay_alu instid0(VALU_DEP_1)
	v_dual_mov_b32 v2, v1 :: v_dual_mov_b32 v3, v1
	v_dual_mov_b32 v4, v1 :: v_dual_mov_b32 v5, v1
	;; [unrolled: 1-line block ×7, first 2 shown]
	v_mov_b32_e32 v16, v1
	v_cmpx_gt_u32_e64 s28, v0
	s_cbranch_execz .LBB24_9
; %bb.8:
	global_load_u8 v2, v0, s[16:17]
	v_dual_mov_b32 v3, v1 :: v_dual_mov_b32 v4, v1
	v_dual_mov_b32 v5, v1 :: v_dual_mov_b32 v6, v1
	;; [unrolled: 1-line block ×7, first 2 shown]
	v_mov_b32_e32 v17, v1
	s_wait_loadcnt 0x0
	v_cmp_ne_u16_e32 vcc_lo, 0, v2
	v_cndmask_b32_e64 v2, 0, 1, vcc_lo
	s_delay_alu instid0(VALU_DEP_1) | instskip(NEXT) | instid1(VALU_DEP_1)
	v_and_b32_e32 v2, 0xffff, v2
	v_mov_b32_e32 v1, v2
	v_mov_b32_e32 v2, v3
	;; [unrolled: 1-line block ×16, first 2 shown]
.LBB24_9:
	s_or_b32 exec_lo, exec_lo, s2
	v_or_b32_e32 v17, 0x100, v0
	s_delay_alu instid0(VALU_DEP_1)
	v_cmp_gt_u32_e32 vcc_lo, s28, v17
	s_and_saveexec_b32 s3, vcc_lo
	s_cbranch_execz .LBB24_11
; %bb.10:
	global_load_u8 v2, v0, s[16:17] offset:256
	s_wait_loadcnt 0x0
	v_cmp_ne_u16_e64 s2, 0, v2
	s_delay_alu instid0(VALU_DEP_1)
	v_cndmask_b32_e64 v2, 0, 1, s2
.LBB24_11:
	s_or_b32 exec_lo, exec_lo, s3
	v_or_b32_e32 v17, 0x200, v0
	s_delay_alu instid0(VALU_DEP_1)
	v_cmp_gt_u32_e64 s2, s28, v17
	s_and_saveexec_b32 s4, s2
	s_cbranch_execz .LBB24_13
; %bb.12:
	global_load_u8 v3, v0, s[16:17] offset:512
	s_wait_loadcnt 0x0
	v_cmp_ne_u16_e64 s3, 0, v3
	s_wait_alu 0xf1ff
	s_delay_alu instid0(VALU_DEP_1)
	v_cndmask_b32_e64 v3, 0, 1, s3
.LBB24_13:
	s_or_b32 exec_lo, exec_lo, s4
	v_or_b32_e32 v17, 0x300, v0
	s_delay_alu instid0(VALU_DEP_1)
	v_cmp_gt_u32_e64 s3, s28, v17
	s_and_saveexec_b32 s5, s3
	s_cbranch_execz .LBB24_15
; %bb.14:
	global_load_u8 v4, v0, s[16:17] offset:768
	s_wait_loadcnt 0x0
	v_cmp_ne_u16_e64 s4, 0, v4
	s_delay_alu instid0(VALU_DEP_1)
	v_cndmask_b32_e64 v4, 0, 1, s4
.LBB24_15:
	s_or_b32 exec_lo, exec_lo, s5
	v_or_b32_e32 v17, 0x400, v0
	s_delay_alu instid0(VALU_DEP_1)
	v_cmp_gt_u32_e64 s4, s28, v17
	s_and_saveexec_b32 s6, s4
	s_cbranch_execz .LBB24_17
; %bb.16:
	global_load_u8 v5, v0, s[16:17] offset:1024
	s_wait_loadcnt 0x0
	v_cmp_ne_u16_e64 s5, 0, v5
	s_wait_alu 0xf1ff
	s_delay_alu instid0(VALU_DEP_1)
	v_cndmask_b32_e64 v5, 0, 1, s5
.LBB24_17:
	s_or_b32 exec_lo, exec_lo, s6
	v_or_b32_e32 v17, 0x500, v0
	s_delay_alu instid0(VALU_DEP_1)
	v_cmp_gt_u32_e64 s5, s28, v17
	s_and_saveexec_b32 s7, s5
	s_cbranch_execz .LBB24_19
; %bb.18:
	global_load_u8 v6, v0, s[16:17] offset:1280
	s_wait_loadcnt 0x0
	v_cmp_ne_u16_e64 s6, 0, v6
	s_delay_alu instid0(VALU_DEP_1)
	v_cndmask_b32_e64 v6, 0, 1, s6
.LBB24_19:
	s_or_b32 exec_lo, exec_lo, s7
	v_or_b32_e32 v17, 0x600, v0
	s_delay_alu instid0(VALU_DEP_1)
	v_cmp_gt_u32_e64 s6, s28, v17
	s_and_saveexec_b32 s8, s6
	s_cbranch_execz .LBB24_21
; %bb.20:
	global_load_u8 v7, v0, s[16:17] offset:1536
	s_wait_loadcnt 0x0
	v_cmp_ne_u16_e64 s7, 0, v7
	s_wait_alu 0xf1ff
	s_delay_alu instid0(VALU_DEP_1)
	v_cndmask_b32_e64 v7, 0, 1, s7
.LBB24_21:
	s_or_b32 exec_lo, exec_lo, s8
	v_or_b32_e32 v17, 0x700, v0
	s_delay_alu instid0(VALU_DEP_1)
	v_cmp_gt_u32_e64 s7, s28, v17
	s_and_saveexec_b32 s9, s7
	s_cbranch_execz .LBB24_23
; %bb.22:
	global_load_u8 v8, v0, s[16:17] offset:1792
	s_wait_loadcnt 0x0
	v_cmp_ne_u16_e64 s8, 0, v8
	s_delay_alu instid0(VALU_DEP_1)
	v_cndmask_b32_e64 v8, 0, 1, s8
.LBB24_23:
	s_or_b32 exec_lo, exec_lo, s9
	v_or_b32_e32 v17, 0x800, v0
	s_delay_alu instid0(VALU_DEP_1)
	v_cmp_gt_u32_e64 s8, s28, v17
	s_and_saveexec_b32 s10, s8
	s_cbranch_execz .LBB24_25
; %bb.24:
	global_load_u8 v9, v0, s[16:17] offset:2048
	s_wait_loadcnt 0x0
	v_cmp_ne_u16_e64 s9, 0, v9
	s_wait_alu 0xf1ff
	s_delay_alu instid0(VALU_DEP_1)
	v_cndmask_b32_e64 v9, 0, 1, s9
.LBB24_25:
	s_or_b32 exec_lo, exec_lo, s10
	v_or_b32_e32 v17, 0x900, v0
	s_delay_alu instid0(VALU_DEP_1)
	v_cmp_gt_u32_e64 s9, s28, v17
	s_and_saveexec_b32 s11, s9
	s_cbranch_execz .LBB24_27
; %bb.26:
	global_load_u8 v10, v0, s[16:17] offset:2304
	s_wait_loadcnt 0x0
	v_cmp_ne_u16_e64 s10, 0, v10
	s_delay_alu instid0(VALU_DEP_1)
	v_cndmask_b32_e64 v10, 0, 1, s10
.LBB24_27:
	s_or_b32 exec_lo, exec_lo, s11
	v_or_b32_e32 v17, 0xa00, v0
	s_delay_alu instid0(VALU_DEP_1)
	v_cmp_gt_u32_e64 s10, s28, v17
	s_and_saveexec_b32 s12, s10
	s_cbranch_execz .LBB24_29
; %bb.28:
	global_load_u8 v11, v0, s[16:17] offset:2560
	s_wait_loadcnt 0x0
	v_cmp_ne_u16_e64 s11, 0, v11
	s_wait_alu 0xf1ff
	s_delay_alu instid0(VALU_DEP_1)
	v_cndmask_b32_e64 v11, 0, 1, s11
.LBB24_29:
	s_or_b32 exec_lo, exec_lo, s12
	v_or_b32_e32 v17, 0xb00, v0
	s_delay_alu instid0(VALU_DEP_1)
	v_cmp_gt_u32_e64 s11, s28, v17
	s_and_saveexec_b32 s13, s11
	s_cbranch_execz .LBB24_31
; %bb.30:
	global_load_u8 v12, v0, s[16:17] offset:2816
	s_wait_loadcnt 0x0
	v_cmp_ne_u16_e64 s12, 0, v12
	s_delay_alu instid0(VALU_DEP_1)
	v_cndmask_b32_e64 v12, 0, 1, s12
.LBB24_31:
	s_or_b32 exec_lo, exec_lo, s13
	v_or_b32_e32 v17, 0xc00, v0
	s_delay_alu instid0(VALU_DEP_1)
	v_cmp_gt_u32_e64 s12, s28, v17
	s_and_saveexec_b32 s14, s12
	s_cbranch_execz .LBB24_33
; %bb.32:
	global_load_u8 v13, v0, s[16:17] offset:3072
	s_wait_loadcnt 0x0
	v_cmp_ne_u16_e64 s13, 0, v13
	s_wait_alu 0xf1ff
	s_delay_alu instid0(VALU_DEP_1)
	v_cndmask_b32_e64 v13, 0, 1, s13
.LBB24_33:
	s_or_b32 exec_lo, exec_lo, s14
	v_or_b32_e32 v17, 0xd00, v0
	s_delay_alu instid0(VALU_DEP_1)
	v_cmp_gt_u32_e64 s13, s28, v17
	s_and_saveexec_b32 s15, s13
	s_cbranch_execz .LBB24_35
; %bb.34:
	global_load_u8 v14, v0, s[16:17] offset:3328
	s_wait_loadcnt 0x0
	v_cmp_ne_u16_e64 s14, 0, v14
	s_delay_alu instid0(VALU_DEP_1)
	v_cndmask_b32_e64 v14, 0, 1, s14
.LBB24_35:
	s_or_b32 exec_lo, exec_lo, s15
	v_or_b32_e32 v17, 0xe00, v0
	s_delay_alu instid0(VALU_DEP_1)
	v_cmp_gt_u32_e64 s14, s28, v17
	s_and_saveexec_b32 s29, s14
	s_cbranch_execz .LBB24_37
; %bb.36:
	global_load_u8 v15, v0, s[16:17] offset:3584
	s_wait_loadcnt 0x0
	v_cmp_ne_u16_e64 s15, 0, v15
	s_wait_alu 0xf1ff
	s_delay_alu instid0(VALU_DEP_1)
	v_cndmask_b32_e64 v15, 0, 1, s15
.LBB24_37:
	s_wait_alu 0xfffe
	s_or_b32 exec_lo, exec_lo, s29
	v_or_b32_e32 v17, 0xf00, v0
	s_delay_alu instid0(VALU_DEP_1)
	v_cmp_gt_u32_e64 s15, s28, v17
	s_and_saveexec_b32 s29, s15
	s_cbranch_execz .LBB24_39
; %bb.38:
	global_load_u8 v16, v0, s[16:17] offset:3840
	s_wait_loadcnt 0x0
	v_cmp_ne_u16_e64 s16, 0, v16
	s_delay_alu instid0(VALU_DEP_1)
	v_cndmask_b32_e64 v16, 0, 1, s16
.LBB24_39:
	s_wait_alu 0xfffe
	s_or_b32 exec_lo, exec_lo, s29
	v_cndmask_b32_e32 v2, 0, v2, vcc_lo
	v_cndmask_b32_e64 v3, 0, v3, s2
	v_cndmask_b32_e64 v4, 0, v4, s3
	v_cmp_ne_u32_e32 vcc_lo, 31, v18
	s_min_u32 s2, s28, 0x100
	v_add_nc_u32_e32 v1, v2, v1
	v_cndmask_b32_e64 v2, 0, v5, s4
	v_cndmask_b32_e64 v5, 0, v6, s5
	;; [unrolled: 1-line block ×3, first 2 shown]
	s_mov_b32 s3, exec_lo
	v_add3_u32 v1, v1, v3, v4
	v_cndmask_b32_e64 v3, 0, v7, s6
	v_cndmask_b32_e64 v4, 0, v8, s7
	s_delay_alu instid0(VALU_DEP_3) | instskip(SKIP_2) | instid1(VALU_DEP_3)
	v_add3_u32 v1, v1, v2, v5
	v_cndmask_b32_e64 v2, 0, v9, s8
	v_cndmask_b32_e64 v5, 0, v10, s9
	v_add3_u32 v1, v1, v3, v4
	v_cndmask_b32_e64 v3, 0, v11, s10
	v_cndmask_b32_e64 v4, 0, v12, s11
	s_delay_alu instid0(VALU_DEP_3) | instskip(SKIP_2) | instid1(VALU_DEP_3)
	v_add3_u32 v1, v1, v2, v5
	v_cndmask_b32_e64 v2, 0, v13, s12
	v_cndmask_b32_e64 v5, 0, v14, s13
	v_add3_u32 v1, v1, v3, v4
	v_cndmask_b32_e64 v3, 0, v16, s15
	s_wait_alu 0xfffd
	v_add_co_ci_u32_e64 v4, null, 0, v18, vcc_lo
	v_cmp_gt_u32_e32 vcc_lo, 30, v18
	v_add3_u32 v1, v1, v2, v5
	s_delay_alu instid0(VALU_DEP_3)
	v_lshlrev_b32_e32 v2, 2, v4
	v_add_nc_u32_e32 v4, 1, v18
	s_wait_alu 0xfffd
	v_cndmask_b32_e64 v5, 0, 2, vcc_lo
	v_add3_u32 v1, v1, v6, v3
	v_and_b32_e32 v3, 0xe0, v0
	ds_bpermute_b32 v2, v2, v1
	s_wait_alu 0xfffe
	v_sub_nc_u32_e64 v3, s2, v3 clamp
	s_delay_alu instid0(VALU_DEP_1)
	v_cmp_lt_u32_e32 vcc_lo, v4, v3
	v_add_lshl_u32 v4, v5, v18, 2
	s_wait_dscnt 0x0
	s_wait_alu 0xfffd
	v_cndmask_b32_e32 v2, 0, v2, vcc_lo
	v_cmp_gt_u32_e32 vcc_lo, 28, v18
	s_delay_alu instid0(VALU_DEP_2) | instskip(SKIP_4) | instid1(VALU_DEP_1)
	v_add_nc_u32_e32 v1, v1, v2
	s_wait_alu 0xfffd
	v_cndmask_b32_e64 v5, 0, 4, vcc_lo
	ds_bpermute_b32 v2, v4, v1
	v_add_nc_u32_e32 v4, 2, v18
	v_cmp_lt_u32_e32 vcc_lo, v4, v3
	v_add_lshl_u32 v4, v5, v18, 2
	s_wait_dscnt 0x0
	s_wait_alu 0xfffd
	v_cndmask_b32_e32 v2, 0, v2, vcc_lo
	v_cmp_gt_u32_e32 vcc_lo, 24, v18
	s_delay_alu instid0(VALU_DEP_2) | instskip(SKIP_4) | instid1(VALU_DEP_1)
	v_add_nc_u32_e32 v1, v1, v2
	s_wait_alu 0xfffd
	v_cndmask_b32_e64 v5, 0, 8, vcc_lo
	ds_bpermute_b32 v2, v4, v1
	v_add_nc_u32_e32 v4, 4, v18
	v_cmp_lt_u32_e32 vcc_lo, v4, v3
	v_add_lshl_u32 v4, v5, v18, 2
	v_add_nc_u32_e32 v5, 8, v18
	s_wait_dscnt 0x0
	s_wait_alu 0xfffd
	v_cndmask_b32_e32 v2, 0, v2, vcc_lo
	s_delay_alu instid0(VALU_DEP_2) | instskip(NEXT) | instid1(VALU_DEP_2)
	v_cmp_lt_u32_e32 vcc_lo, v5, v3
	v_add_nc_u32_e32 v1, v1, v2
	v_lshlrev_b32_e32 v2, 2, v18
	ds_bpermute_b32 v4, v4, v1
	v_or_b32_e32 v5, 64, v2
	s_wait_dscnt 0x0
	s_wait_alu 0xfffd
	v_cndmask_b32_e32 v4, 0, v4, vcc_lo
	s_delay_alu instid0(VALU_DEP_1) | instskip(SKIP_2) | instid1(VALU_DEP_1)
	v_add_nc_u32_e32 v1, v1, v4
	ds_bpermute_b32 v4, v5, v1
	v_add_nc_u32_e32 v5, 16, v18
	v_cmp_lt_u32_e32 vcc_lo, v5, v3
	s_wait_dscnt 0x0
	s_wait_alu 0xfffd
	v_cndmask_b32_e32 v3, 0, v4, vcc_lo
	s_delay_alu instid0(VALU_DEP_1)
	v_add_nc_u32_e32 v1, v1, v3
	v_cmpx_eq_u32_e32 0, v18
; %bb.40:
	v_lshrrev_b32_e32 v3, 3, v0
	s_delay_alu instid0(VALU_DEP_1)
	v_and_b32_e32 v3, 28, v3
	ds_store_b32 v3, v1 offset:32
; %bb.41:
	s_or_b32 exec_lo, exec_lo, s3
	s_delay_alu instid0(SALU_CYCLE_1)
	s_mov_b32 s3, exec_lo
	s_wait_loadcnt_dscnt 0x0
	s_barrier_signal -1
	s_barrier_wait -1
	global_inv scope:SCOPE_SE
	v_cmpx_gt_u32_e32 8, v0
	s_cbranch_execz .LBB24_43
; %bb.42:
	ds_load_b32 v1, v2 offset:32
	v_and_b32_e32 v3, 7, v18
	s_add_co_i32 s2, s2, 31
	v_or_b32_e32 v2, 16, v2
	s_wait_alu 0xfffe
	s_lshr_b32 s2, s2, 5
	v_cmp_ne_u32_e32 vcc_lo, 7, v3
	v_add_nc_u32_e32 v5, 1, v3
	s_wait_alu 0xfffd
	v_add_co_ci_u32_e64 v4, null, 0, v18, vcc_lo
	v_cmp_gt_u32_e32 vcc_lo, 6, v3
	s_delay_alu instid0(VALU_DEP_2)
	v_lshlrev_b32_e32 v4, 2, v4
	s_wait_alu 0xfffd
	v_cndmask_b32_e64 v6, 0, 2, vcc_lo
	s_wait_alu 0xfffe
	v_cmp_gt_u32_e32 vcc_lo, s2, v5
	s_wait_dscnt 0x0
	ds_bpermute_b32 v4, v4, v1
	v_add_lshl_u32 v5, v6, v18, 2
	s_wait_dscnt 0x0
	s_wait_alu 0xfffd
	v_cndmask_b32_e32 v4, 0, v4, vcc_lo
	s_delay_alu instid0(VALU_DEP_1) | instskip(SKIP_3) | instid1(VALU_DEP_2)
	v_add_nc_u32_e32 v1, v4, v1
	ds_bpermute_b32 v4, v5, v1
	v_add_nc_u32_e32 v5, 2, v3
	v_add_nc_u32_e32 v3, 4, v3
	v_cmp_gt_u32_e32 vcc_lo, s2, v5
	s_wait_dscnt 0x0
	s_wait_alu 0xfffd
	v_cndmask_b32_e32 v4, 0, v4, vcc_lo
	v_cmp_gt_u32_e32 vcc_lo, s2, v3
	s_delay_alu instid0(VALU_DEP_2) | instskip(SKIP_4) | instid1(VALU_DEP_1)
	v_add_nc_u32_e32 v1, v1, v4
	ds_bpermute_b32 v2, v2, v1
	s_wait_dscnt 0x0
	s_wait_alu 0xfffd
	v_cndmask_b32_e32 v2, 0, v2, vcc_lo
	v_add_nc_u32_e32 v1, v1, v2
.LBB24_43:
	s_wait_alu 0xfffe
	s_or_b32 exec_lo, exec_lo, s3
.LBB24_44:
	s_load_b32 s0, s[0:1], 0x38
	s_mov_b32 s1, exec_lo
	v_cmpx_eq_u32_e32 0, v0
	s_cbranch_execz .LBB24_46
; %bb.45:
	s_mul_u64 s[2:3], s[26:27], s[22:23]
	s_wait_alu 0xfffe
	s_lshl_b64 s[2:3], s[2:3], 2
	s_cmp_eq_u64 s[18:19], 0
	s_wait_alu 0xfffe
	s_add_nc_u64 s[2:3], s[20:21], s[2:3]
	s_cselect_b32 s1, -1, 0
	s_wait_kmcnt 0x0
	v_cndmask_b32_e64 v0, v1, s0, s1
	v_mov_b32_e32 v1, 0
	s_lshl_b64 s[0:1], s[24:25], 2
	s_wait_alu 0xfffe
	s_add_nc_u64 s[0:1], s[2:3], s[0:1]
	global_store_b32 v1, v0, s[0:1]
.LBB24_46:
	s_endpgm
	.section	.rodata,"a",@progbits
	.p2align	6, 0x0
	.amdhsa_kernel _ZN7rocprim17ROCPRIM_400000_NS6detail17trampoline_kernelINS0_14default_configENS1_22reduce_config_selectorIbEEZNS1_11reduce_implILb1ES3_N6hipcub16HIPCUB_304000_NS22TransformInputIteratorIbN2at6native12_GLOBAL__N_19NonZeroOpIhEEPKhlEEPiiNS8_6detail34convert_binary_result_type_wrapperINS8_3SumESH_iEEEE10hipError_tPvRmT1_T2_T3_mT4_P12ihipStream_tbEUlT_E0_NS1_11comp_targetILNS1_3genE10ELNS1_11target_archE1201ELNS1_3gpuE5ELNS1_3repE0EEENS1_30default_config_static_selectorELNS0_4arch9wavefront6targetE0EEEvSQ_
		.amdhsa_group_segment_fixed_size 64
		.amdhsa_private_segment_fixed_size 0
		.amdhsa_kernarg_size 64
		.amdhsa_user_sgpr_count 2
		.amdhsa_user_sgpr_dispatch_ptr 0
		.amdhsa_user_sgpr_queue_ptr 0
		.amdhsa_user_sgpr_kernarg_segment_ptr 1
		.amdhsa_user_sgpr_dispatch_id 0
		.amdhsa_user_sgpr_private_segment_size 0
		.amdhsa_wavefront_size32 1
		.amdhsa_uses_dynamic_stack 0
		.amdhsa_enable_private_segment 0
		.amdhsa_system_sgpr_workgroup_id_x 1
		.amdhsa_system_sgpr_workgroup_id_y 0
		.amdhsa_system_sgpr_workgroup_id_z 0
		.amdhsa_system_sgpr_workgroup_info 0
		.amdhsa_system_vgpr_workitem_id 0
		.amdhsa_next_free_vgpr 19
		.amdhsa_next_free_sgpr 30
		.amdhsa_reserve_vcc 1
		.amdhsa_float_round_mode_32 0
		.amdhsa_float_round_mode_16_64 0
		.amdhsa_float_denorm_mode_32 3
		.amdhsa_float_denorm_mode_16_64 3
		.amdhsa_fp16_overflow 0
		.amdhsa_workgroup_processor_mode 1
		.amdhsa_memory_ordered 1
		.amdhsa_forward_progress 1
		.amdhsa_inst_pref_size 24
		.amdhsa_round_robin_scheduling 0
		.amdhsa_exception_fp_ieee_invalid_op 0
		.amdhsa_exception_fp_denorm_src 0
		.amdhsa_exception_fp_ieee_div_zero 0
		.amdhsa_exception_fp_ieee_overflow 0
		.amdhsa_exception_fp_ieee_underflow 0
		.amdhsa_exception_fp_ieee_inexact 0
		.amdhsa_exception_int_div_zero 0
	.end_amdhsa_kernel
	.section	.text._ZN7rocprim17ROCPRIM_400000_NS6detail17trampoline_kernelINS0_14default_configENS1_22reduce_config_selectorIbEEZNS1_11reduce_implILb1ES3_N6hipcub16HIPCUB_304000_NS22TransformInputIteratorIbN2at6native12_GLOBAL__N_19NonZeroOpIhEEPKhlEEPiiNS8_6detail34convert_binary_result_type_wrapperINS8_3SumESH_iEEEE10hipError_tPvRmT1_T2_T3_mT4_P12ihipStream_tbEUlT_E0_NS1_11comp_targetILNS1_3genE10ELNS1_11target_archE1201ELNS1_3gpuE5ELNS1_3repE0EEENS1_30default_config_static_selectorELNS0_4arch9wavefront6targetE0EEEvSQ_,"axG",@progbits,_ZN7rocprim17ROCPRIM_400000_NS6detail17trampoline_kernelINS0_14default_configENS1_22reduce_config_selectorIbEEZNS1_11reduce_implILb1ES3_N6hipcub16HIPCUB_304000_NS22TransformInputIteratorIbN2at6native12_GLOBAL__N_19NonZeroOpIhEEPKhlEEPiiNS8_6detail34convert_binary_result_type_wrapperINS8_3SumESH_iEEEE10hipError_tPvRmT1_T2_T3_mT4_P12ihipStream_tbEUlT_E0_NS1_11comp_targetILNS1_3genE10ELNS1_11target_archE1201ELNS1_3gpuE5ELNS1_3repE0EEENS1_30default_config_static_selectorELNS0_4arch9wavefront6targetE0EEEvSQ_,comdat
.Lfunc_end24:
	.size	_ZN7rocprim17ROCPRIM_400000_NS6detail17trampoline_kernelINS0_14default_configENS1_22reduce_config_selectorIbEEZNS1_11reduce_implILb1ES3_N6hipcub16HIPCUB_304000_NS22TransformInputIteratorIbN2at6native12_GLOBAL__N_19NonZeroOpIhEEPKhlEEPiiNS8_6detail34convert_binary_result_type_wrapperINS8_3SumESH_iEEEE10hipError_tPvRmT1_T2_T3_mT4_P12ihipStream_tbEUlT_E0_NS1_11comp_targetILNS1_3genE10ELNS1_11target_archE1201ELNS1_3gpuE5ELNS1_3repE0EEENS1_30default_config_static_selectorELNS0_4arch9wavefront6targetE0EEEvSQ_, .Lfunc_end24-_ZN7rocprim17ROCPRIM_400000_NS6detail17trampoline_kernelINS0_14default_configENS1_22reduce_config_selectorIbEEZNS1_11reduce_implILb1ES3_N6hipcub16HIPCUB_304000_NS22TransformInputIteratorIbN2at6native12_GLOBAL__N_19NonZeroOpIhEEPKhlEEPiiNS8_6detail34convert_binary_result_type_wrapperINS8_3SumESH_iEEEE10hipError_tPvRmT1_T2_T3_mT4_P12ihipStream_tbEUlT_E0_NS1_11comp_targetILNS1_3genE10ELNS1_11target_archE1201ELNS1_3gpuE5ELNS1_3repE0EEENS1_30default_config_static_selectorELNS0_4arch9wavefront6targetE0EEEvSQ_
                                        ; -- End function
	.set _ZN7rocprim17ROCPRIM_400000_NS6detail17trampoline_kernelINS0_14default_configENS1_22reduce_config_selectorIbEEZNS1_11reduce_implILb1ES3_N6hipcub16HIPCUB_304000_NS22TransformInputIteratorIbN2at6native12_GLOBAL__N_19NonZeroOpIhEEPKhlEEPiiNS8_6detail34convert_binary_result_type_wrapperINS8_3SumESH_iEEEE10hipError_tPvRmT1_T2_T3_mT4_P12ihipStream_tbEUlT_E0_NS1_11comp_targetILNS1_3genE10ELNS1_11target_archE1201ELNS1_3gpuE5ELNS1_3repE0EEENS1_30default_config_static_selectorELNS0_4arch9wavefront6targetE0EEEvSQ_.num_vgpr, 19
	.set _ZN7rocprim17ROCPRIM_400000_NS6detail17trampoline_kernelINS0_14default_configENS1_22reduce_config_selectorIbEEZNS1_11reduce_implILb1ES3_N6hipcub16HIPCUB_304000_NS22TransformInputIteratorIbN2at6native12_GLOBAL__N_19NonZeroOpIhEEPKhlEEPiiNS8_6detail34convert_binary_result_type_wrapperINS8_3SumESH_iEEEE10hipError_tPvRmT1_T2_T3_mT4_P12ihipStream_tbEUlT_E0_NS1_11comp_targetILNS1_3genE10ELNS1_11target_archE1201ELNS1_3gpuE5ELNS1_3repE0EEENS1_30default_config_static_selectorELNS0_4arch9wavefront6targetE0EEEvSQ_.num_agpr, 0
	.set _ZN7rocprim17ROCPRIM_400000_NS6detail17trampoline_kernelINS0_14default_configENS1_22reduce_config_selectorIbEEZNS1_11reduce_implILb1ES3_N6hipcub16HIPCUB_304000_NS22TransformInputIteratorIbN2at6native12_GLOBAL__N_19NonZeroOpIhEEPKhlEEPiiNS8_6detail34convert_binary_result_type_wrapperINS8_3SumESH_iEEEE10hipError_tPvRmT1_T2_T3_mT4_P12ihipStream_tbEUlT_E0_NS1_11comp_targetILNS1_3genE10ELNS1_11target_archE1201ELNS1_3gpuE5ELNS1_3repE0EEENS1_30default_config_static_selectorELNS0_4arch9wavefront6targetE0EEEvSQ_.numbered_sgpr, 30
	.set _ZN7rocprim17ROCPRIM_400000_NS6detail17trampoline_kernelINS0_14default_configENS1_22reduce_config_selectorIbEEZNS1_11reduce_implILb1ES3_N6hipcub16HIPCUB_304000_NS22TransformInputIteratorIbN2at6native12_GLOBAL__N_19NonZeroOpIhEEPKhlEEPiiNS8_6detail34convert_binary_result_type_wrapperINS8_3SumESH_iEEEE10hipError_tPvRmT1_T2_T3_mT4_P12ihipStream_tbEUlT_E0_NS1_11comp_targetILNS1_3genE10ELNS1_11target_archE1201ELNS1_3gpuE5ELNS1_3repE0EEENS1_30default_config_static_selectorELNS0_4arch9wavefront6targetE0EEEvSQ_.num_named_barrier, 0
	.set _ZN7rocprim17ROCPRIM_400000_NS6detail17trampoline_kernelINS0_14default_configENS1_22reduce_config_selectorIbEEZNS1_11reduce_implILb1ES3_N6hipcub16HIPCUB_304000_NS22TransformInputIteratorIbN2at6native12_GLOBAL__N_19NonZeroOpIhEEPKhlEEPiiNS8_6detail34convert_binary_result_type_wrapperINS8_3SumESH_iEEEE10hipError_tPvRmT1_T2_T3_mT4_P12ihipStream_tbEUlT_E0_NS1_11comp_targetILNS1_3genE10ELNS1_11target_archE1201ELNS1_3gpuE5ELNS1_3repE0EEENS1_30default_config_static_selectorELNS0_4arch9wavefront6targetE0EEEvSQ_.private_seg_size, 0
	.set _ZN7rocprim17ROCPRIM_400000_NS6detail17trampoline_kernelINS0_14default_configENS1_22reduce_config_selectorIbEEZNS1_11reduce_implILb1ES3_N6hipcub16HIPCUB_304000_NS22TransformInputIteratorIbN2at6native12_GLOBAL__N_19NonZeroOpIhEEPKhlEEPiiNS8_6detail34convert_binary_result_type_wrapperINS8_3SumESH_iEEEE10hipError_tPvRmT1_T2_T3_mT4_P12ihipStream_tbEUlT_E0_NS1_11comp_targetILNS1_3genE10ELNS1_11target_archE1201ELNS1_3gpuE5ELNS1_3repE0EEENS1_30default_config_static_selectorELNS0_4arch9wavefront6targetE0EEEvSQ_.uses_vcc, 1
	.set _ZN7rocprim17ROCPRIM_400000_NS6detail17trampoline_kernelINS0_14default_configENS1_22reduce_config_selectorIbEEZNS1_11reduce_implILb1ES3_N6hipcub16HIPCUB_304000_NS22TransformInputIteratorIbN2at6native12_GLOBAL__N_19NonZeroOpIhEEPKhlEEPiiNS8_6detail34convert_binary_result_type_wrapperINS8_3SumESH_iEEEE10hipError_tPvRmT1_T2_T3_mT4_P12ihipStream_tbEUlT_E0_NS1_11comp_targetILNS1_3genE10ELNS1_11target_archE1201ELNS1_3gpuE5ELNS1_3repE0EEENS1_30default_config_static_selectorELNS0_4arch9wavefront6targetE0EEEvSQ_.uses_flat_scratch, 0
	.set _ZN7rocprim17ROCPRIM_400000_NS6detail17trampoline_kernelINS0_14default_configENS1_22reduce_config_selectorIbEEZNS1_11reduce_implILb1ES3_N6hipcub16HIPCUB_304000_NS22TransformInputIteratorIbN2at6native12_GLOBAL__N_19NonZeroOpIhEEPKhlEEPiiNS8_6detail34convert_binary_result_type_wrapperINS8_3SumESH_iEEEE10hipError_tPvRmT1_T2_T3_mT4_P12ihipStream_tbEUlT_E0_NS1_11comp_targetILNS1_3genE10ELNS1_11target_archE1201ELNS1_3gpuE5ELNS1_3repE0EEENS1_30default_config_static_selectorELNS0_4arch9wavefront6targetE0EEEvSQ_.has_dyn_sized_stack, 0
	.set _ZN7rocprim17ROCPRIM_400000_NS6detail17trampoline_kernelINS0_14default_configENS1_22reduce_config_selectorIbEEZNS1_11reduce_implILb1ES3_N6hipcub16HIPCUB_304000_NS22TransformInputIteratorIbN2at6native12_GLOBAL__N_19NonZeroOpIhEEPKhlEEPiiNS8_6detail34convert_binary_result_type_wrapperINS8_3SumESH_iEEEE10hipError_tPvRmT1_T2_T3_mT4_P12ihipStream_tbEUlT_E0_NS1_11comp_targetILNS1_3genE10ELNS1_11target_archE1201ELNS1_3gpuE5ELNS1_3repE0EEENS1_30default_config_static_selectorELNS0_4arch9wavefront6targetE0EEEvSQ_.has_recursion, 0
	.set _ZN7rocprim17ROCPRIM_400000_NS6detail17trampoline_kernelINS0_14default_configENS1_22reduce_config_selectorIbEEZNS1_11reduce_implILb1ES3_N6hipcub16HIPCUB_304000_NS22TransformInputIteratorIbN2at6native12_GLOBAL__N_19NonZeroOpIhEEPKhlEEPiiNS8_6detail34convert_binary_result_type_wrapperINS8_3SumESH_iEEEE10hipError_tPvRmT1_T2_T3_mT4_P12ihipStream_tbEUlT_E0_NS1_11comp_targetILNS1_3genE10ELNS1_11target_archE1201ELNS1_3gpuE5ELNS1_3repE0EEENS1_30default_config_static_selectorELNS0_4arch9wavefront6targetE0EEEvSQ_.has_indirect_call, 0
	.section	.AMDGPU.csdata,"",@progbits
; Kernel info:
; codeLenInByte = 3072
; TotalNumSgprs: 32
; NumVgprs: 19
; ScratchSize: 0
; MemoryBound: 0
; FloatMode: 240
; IeeeMode: 1
; LDSByteSize: 64 bytes/workgroup (compile time only)
; SGPRBlocks: 0
; VGPRBlocks: 2
; NumSGPRsForWavesPerEU: 32
; NumVGPRsForWavesPerEU: 19
; Occupancy: 16
; WaveLimiterHint : 1
; COMPUTE_PGM_RSRC2:SCRATCH_EN: 0
; COMPUTE_PGM_RSRC2:USER_SGPR: 2
; COMPUTE_PGM_RSRC2:TRAP_HANDLER: 0
; COMPUTE_PGM_RSRC2:TGID_X_EN: 1
; COMPUTE_PGM_RSRC2:TGID_Y_EN: 0
; COMPUTE_PGM_RSRC2:TGID_Z_EN: 0
; COMPUTE_PGM_RSRC2:TIDIG_COMP_CNT: 0
	.section	.text._ZN7rocprim17ROCPRIM_400000_NS6detail17trampoline_kernelINS0_14default_configENS1_22reduce_config_selectorIbEEZNS1_11reduce_implILb1ES3_N6hipcub16HIPCUB_304000_NS22TransformInputIteratorIbN2at6native12_GLOBAL__N_19NonZeroOpIhEEPKhlEEPiiNS8_6detail34convert_binary_result_type_wrapperINS8_3SumESH_iEEEE10hipError_tPvRmT1_T2_T3_mT4_P12ihipStream_tbEUlT_E0_NS1_11comp_targetILNS1_3genE10ELNS1_11target_archE1200ELNS1_3gpuE4ELNS1_3repE0EEENS1_30default_config_static_selectorELNS0_4arch9wavefront6targetE0EEEvSQ_,"axG",@progbits,_ZN7rocprim17ROCPRIM_400000_NS6detail17trampoline_kernelINS0_14default_configENS1_22reduce_config_selectorIbEEZNS1_11reduce_implILb1ES3_N6hipcub16HIPCUB_304000_NS22TransformInputIteratorIbN2at6native12_GLOBAL__N_19NonZeroOpIhEEPKhlEEPiiNS8_6detail34convert_binary_result_type_wrapperINS8_3SumESH_iEEEE10hipError_tPvRmT1_T2_T3_mT4_P12ihipStream_tbEUlT_E0_NS1_11comp_targetILNS1_3genE10ELNS1_11target_archE1200ELNS1_3gpuE4ELNS1_3repE0EEENS1_30default_config_static_selectorELNS0_4arch9wavefront6targetE0EEEvSQ_,comdat
	.globl	_ZN7rocprim17ROCPRIM_400000_NS6detail17trampoline_kernelINS0_14default_configENS1_22reduce_config_selectorIbEEZNS1_11reduce_implILb1ES3_N6hipcub16HIPCUB_304000_NS22TransformInputIteratorIbN2at6native12_GLOBAL__N_19NonZeroOpIhEEPKhlEEPiiNS8_6detail34convert_binary_result_type_wrapperINS8_3SumESH_iEEEE10hipError_tPvRmT1_T2_T3_mT4_P12ihipStream_tbEUlT_E0_NS1_11comp_targetILNS1_3genE10ELNS1_11target_archE1200ELNS1_3gpuE4ELNS1_3repE0EEENS1_30default_config_static_selectorELNS0_4arch9wavefront6targetE0EEEvSQ_ ; -- Begin function _ZN7rocprim17ROCPRIM_400000_NS6detail17trampoline_kernelINS0_14default_configENS1_22reduce_config_selectorIbEEZNS1_11reduce_implILb1ES3_N6hipcub16HIPCUB_304000_NS22TransformInputIteratorIbN2at6native12_GLOBAL__N_19NonZeroOpIhEEPKhlEEPiiNS8_6detail34convert_binary_result_type_wrapperINS8_3SumESH_iEEEE10hipError_tPvRmT1_T2_T3_mT4_P12ihipStream_tbEUlT_E0_NS1_11comp_targetILNS1_3genE10ELNS1_11target_archE1200ELNS1_3gpuE4ELNS1_3repE0EEENS1_30default_config_static_selectorELNS0_4arch9wavefront6targetE0EEEvSQ_
	.p2align	8
	.type	_ZN7rocprim17ROCPRIM_400000_NS6detail17trampoline_kernelINS0_14default_configENS1_22reduce_config_selectorIbEEZNS1_11reduce_implILb1ES3_N6hipcub16HIPCUB_304000_NS22TransformInputIteratorIbN2at6native12_GLOBAL__N_19NonZeroOpIhEEPKhlEEPiiNS8_6detail34convert_binary_result_type_wrapperINS8_3SumESH_iEEEE10hipError_tPvRmT1_T2_T3_mT4_P12ihipStream_tbEUlT_E0_NS1_11comp_targetILNS1_3genE10ELNS1_11target_archE1200ELNS1_3gpuE4ELNS1_3repE0EEENS1_30default_config_static_selectorELNS0_4arch9wavefront6targetE0EEEvSQ_,@function
_ZN7rocprim17ROCPRIM_400000_NS6detail17trampoline_kernelINS0_14default_configENS1_22reduce_config_selectorIbEEZNS1_11reduce_implILb1ES3_N6hipcub16HIPCUB_304000_NS22TransformInputIteratorIbN2at6native12_GLOBAL__N_19NonZeroOpIhEEPKhlEEPiiNS8_6detail34convert_binary_result_type_wrapperINS8_3SumESH_iEEEE10hipError_tPvRmT1_T2_T3_mT4_P12ihipStream_tbEUlT_E0_NS1_11comp_targetILNS1_3genE10ELNS1_11target_archE1200ELNS1_3gpuE4ELNS1_3repE0EEENS1_30default_config_static_selectorELNS0_4arch9wavefront6targetE0EEEvSQ_: ; @_ZN7rocprim17ROCPRIM_400000_NS6detail17trampoline_kernelINS0_14default_configENS1_22reduce_config_selectorIbEEZNS1_11reduce_implILb1ES3_N6hipcub16HIPCUB_304000_NS22TransformInputIteratorIbN2at6native12_GLOBAL__N_19NonZeroOpIhEEPKhlEEPiiNS8_6detail34convert_binary_result_type_wrapperINS8_3SumESH_iEEEE10hipError_tPvRmT1_T2_T3_mT4_P12ihipStream_tbEUlT_E0_NS1_11comp_targetILNS1_3genE10ELNS1_11target_archE1200ELNS1_3gpuE4ELNS1_3repE0EEENS1_30default_config_static_selectorELNS0_4arch9wavefront6targetE0EEEvSQ_
; %bb.0:
	.section	.rodata,"a",@progbits
	.p2align	6, 0x0
	.amdhsa_kernel _ZN7rocprim17ROCPRIM_400000_NS6detail17trampoline_kernelINS0_14default_configENS1_22reduce_config_selectorIbEEZNS1_11reduce_implILb1ES3_N6hipcub16HIPCUB_304000_NS22TransformInputIteratorIbN2at6native12_GLOBAL__N_19NonZeroOpIhEEPKhlEEPiiNS8_6detail34convert_binary_result_type_wrapperINS8_3SumESH_iEEEE10hipError_tPvRmT1_T2_T3_mT4_P12ihipStream_tbEUlT_E0_NS1_11comp_targetILNS1_3genE10ELNS1_11target_archE1200ELNS1_3gpuE4ELNS1_3repE0EEENS1_30default_config_static_selectorELNS0_4arch9wavefront6targetE0EEEvSQ_
		.amdhsa_group_segment_fixed_size 0
		.amdhsa_private_segment_fixed_size 0
		.amdhsa_kernarg_size 64
		.amdhsa_user_sgpr_count 2
		.amdhsa_user_sgpr_dispatch_ptr 0
		.amdhsa_user_sgpr_queue_ptr 0
		.amdhsa_user_sgpr_kernarg_segment_ptr 1
		.amdhsa_user_sgpr_dispatch_id 0
		.amdhsa_user_sgpr_private_segment_size 0
		.amdhsa_wavefront_size32 1
		.amdhsa_uses_dynamic_stack 0
		.amdhsa_enable_private_segment 0
		.amdhsa_system_sgpr_workgroup_id_x 1
		.amdhsa_system_sgpr_workgroup_id_y 0
		.amdhsa_system_sgpr_workgroup_id_z 0
		.amdhsa_system_sgpr_workgroup_info 0
		.amdhsa_system_vgpr_workitem_id 0
		.amdhsa_next_free_vgpr 1
		.amdhsa_next_free_sgpr 1
		.amdhsa_reserve_vcc 0
		.amdhsa_float_round_mode_32 0
		.amdhsa_float_round_mode_16_64 0
		.amdhsa_float_denorm_mode_32 3
		.amdhsa_float_denorm_mode_16_64 3
		.amdhsa_fp16_overflow 0
		.amdhsa_workgroup_processor_mode 1
		.amdhsa_memory_ordered 1
		.amdhsa_forward_progress 1
		.amdhsa_inst_pref_size 0
		.amdhsa_round_robin_scheduling 0
		.amdhsa_exception_fp_ieee_invalid_op 0
		.amdhsa_exception_fp_denorm_src 0
		.amdhsa_exception_fp_ieee_div_zero 0
		.amdhsa_exception_fp_ieee_overflow 0
		.amdhsa_exception_fp_ieee_underflow 0
		.amdhsa_exception_fp_ieee_inexact 0
		.amdhsa_exception_int_div_zero 0
	.end_amdhsa_kernel
	.section	.text._ZN7rocprim17ROCPRIM_400000_NS6detail17trampoline_kernelINS0_14default_configENS1_22reduce_config_selectorIbEEZNS1_11reduce_implILb1ES3_N6hipcub16HIPCUB_304000_NS22TransformInputIteratorIbN2at6native12_GLOBAL__N_19NonZeroOpIhEEPKhlEEPiiNS8_6detail34convert_binary_result_type_wrapperINS8_3SumESH_iEEEE10hipError_tPvRmT1_T2_T3_mT4_P12ihipStream_tbEUlT_E0_NS1_11comp_targetILNS1_3genE10ELNS1_11target_archE1200ELNS1_3gpuE4ELNS1_3repE0EEENS1_30default_config_static_selectorELNS0_4arch9wavefront6targetE0EEEvSQ_,"axG",@progbits,_ZN7rocprim17ROCPRIM_400000_NS6detail17trampoline_kernelINS0_14default_configENS1_22reduce_config_selectorIbEEZNS1_11reduce_implILb1ES3_N6hipcub16HIPCUB_304000_NS22TransformInputIteratorIbN2at6native12_GLOBAL__N_19NonZeroOpIhEEPKhlEEPiiNS8_6detail34convert_binary_result_type_wrapperINS8_3SumESH_iEEEE10hipError_tPvRmT1_T2_T3_mT4_P12ihipStream_tbEUlT_E0_NS1_11comp_targetILNS1_3genE10ELNS1_11target_archE1200ELNS1_3gpuE4ELNS1_3repE0EEENS1_30default_config_static_selectorELNS0_4arch9wavefront6targetE0EEEvSQ_,comdat
.Lfunc_end25:
	.size	_ZN7rocprim17ROCPRIM_400000_NS6detail17trampoline_kernelINS0_14default_configENS1_22reduce_config_selectorIbEEZNS1_11reduce_implILb1ES3_N6hipcub16HIPCUB_304000_NS22TransformInputIteratorIbN2at6native12_GLOBAL__N_19NonZeroOpIhEEPKhlEEPiiNS8_6detail34convert_binary_result_type_wrapperINS8_3SumESH_iEEEE10hipError_tPvRmT1_T2_T3_mT4_P12ihipStream_tbEUlT_E0_NS1_11comp_targetILNS1_3genE10ELNS1_11target_archE1200ELNS1_3gpuE4ELNS1_3repE0EEENS1_30default_config_static_selectorELNS0_4arch9wavefront6targetE0EEEvSQ_, .Lfunc_end25-_ZN7rocprim17ROCPRIM_400000_NS6detail17trampoline_kernelINS0_14default_configENS1_22reduce_config_selectorIbEEZNS1_11reduce_implILb1ES3_N6hipcub16HIPCUB_304000_NS22TransformInputIteratorIbN2at6native12_GLOBAL__N_19NonZeroOpIhEEPKhlEEPiiNS8_6detail34convert_binary_result_type_wrapperINS8_3SumESH_iEEEE10hipError_tPvRmT1_T2_T3_mT4_P12ihipStream_tbEUlT_E0_NS1_11comp_targetILNS1_3genE10ELNS1_11target_archE1200ELNS1_3gpuE4ELNS1_3repE0EEENS1_30default_config_static_selectorELNS0_4arch9wavefront6targetE0EEEvSQ_
                                        ; -- End function
	.set _ZN7rocprim17ROCPRIM_400000_NS6detail17trampoline_kernelINS0_14default_configENS1_22reduce_config_selectorIbEEZNS1_11reduce_implILb1ES3_N6hipcub16HIPCUB_304000_NS22TransformInputIteratorIbN2at6native12_GLOBAL__N_19NonZeroOpIhEEPKhlEEPiiNS8_6detail34convert_binary_result_type_wrapperINS8_3SumESH_iEEEE10hipError_tPvRmT1_T2_T3_mT4_P12ihipStream_tbEUlT_E0_NS1_11comp_targetILNS1_3genE10ELNS1_11target_archE1200ELNS1_3gpuE4ELNS1_3repE0EEENS1_30default_config_static_selectorELNS0_4arch9wavefront6targetE0EEEvSQ_.num_vgpr, 0
	.set _ZN7rocprim17ROCPRIM_400000_NS6detail17trampoline_kernelINS0_14default_configENS1_22reduce_config_selectorIbEEZNS1_11reduce_implILb1ES3_N6hipcub16HIPCUB_304000_NS22TransformInputIteratorIbN2at6native12_GLOBAL__N_19NonZeroOpIhEEPKhlEEPiiNS8_6detail34convert_binary_result_type_wrapperINS8_3SumESH_iEEEE10hipError_tPvRmT1_T2_T3_mT4_P12ihipStream_tbEUlT_E0_NS1_11comp_targetILNS1_3genE10ELNS1_11target_archE1200ELNS1_3gpuE4ELNS1_3repE0EEENS1_30default_config_static_selectorELNS0_4arch9wavefront6targetE0EEEvSQ_.num_agpr, 0
	.set _ZN7rocprim17ROCPRIM_400000_NS6detail17trampoline_kernelINS0_14default_configENS1_22reduce_config_selectorIbEEZNS1_11reduce_implILb1ES3_N6hipcub16HIPCUB_304000_NS22TransformInputIteratorIbN2at6native12_GLOBAL__N_19NonZeroOpIhEEPKhlEEPiiNS8_6detail34convert_binary_result_type_wrapperINS8_3SumESH_iEEEE10hipError_tPvRmT1_T2_T3_mT4_P12ihipStream_tbEUlT_E0_NS1_11comp_targetILNS1_3genE10ELNS1_11target_archE1200ELNS1_3gpuE4ELNS1_3repE0EEENS1_30default_config_static_selectorELNS0_4arch9wavefront6targetE0EEEvSQ_.numbered_sgpr, 0
	.set _ZN7rocprim17ROCPRIM_400000_NS6detail17trampoline_kernelINS0_14default_configENS1_22reduce_config_selectorIbEEZNS1_11reduce_implILb1ES3_N6hipcub16HIPCUB_304000_NS22TransformInputIteratorIbN2at6native12_GLOBAL__N_19NonZeroOpIhEEPKhlEEPiiNS8_6detail34convert_binary_result_type_wrapperINS8_3SumESH_iEEEE10hipError_tPvRmT1_T2_T3_mT4_P12ihipStream_tbEUlT_E0_NS1_11comp_targetILNS1_3genE10ELNS1_11target_archE1200ELNS1_3gpuE4ELNS1_3repE0EEENS1_30default_config_static_selectorELNS0_4arch9wavefront6targetE0EEEvSQ_.num_named_barrier, 0
	.set _ZN7rocprim17ROCPRIM_400000_NS6detail17trampoline_kernelINS0_14default_configENS1_22reduce_config_selectorIbEEZNS1_11reduce_implILb1ES3_N6hipcub16HIPCUB_304000_NS22TransformInputIteratorIbN2at6native12_GLOBAL__N_19NonZeroOpIhEEPKhlEEPiiNS8_6detail34convert_binary_result_type_wrapperINS8_3SumESH_iEEEE10hipError_tPvRmT1_T2_T3_mT4_P12ihipStream_tbEUlT_E0_NS1_11comp_targetILNS1_3genE10ELNS1_11target_archE1200ELNS1_3gpuE4ELNS1_3repE0EEENS1_30default_config_static_selectorELNS0_4arch9wavefront6targetE0EEEvSQ_.private_seg_size, 0
	.set _ZN7rocprim17ROCPRIM_400000_NS6detail17trampoline_kernelINS0_14default_configENS1_22reduce_config_selectorIbEEZNS1_11reduce_implILb1ES3_N6hipcub16HIPCUB_304000_NS22TransformInputIteratorIbN2at6native12_GLOBAL__N_19NonZeroOpIhEEPKhlEEPiiNS8_6detail34convert_binary_result_type_wrapperINS8_3SumESH_iEEEE10hipError_tPvRmT1_T2_T3_mT4_P12ihipStream_tbEUlT_E0_NS1_11comp_targetILNS1_3genE10ELNS1_11target_archE1200ELNS1_3gpuE4ELNS1_3repE0EEENS1_30default_config_static_selectorELNS0_4arch9wavefront6targetE0EEEvSQ_.uses_vcc, 0
	.set _ZN7rocprim17ROCPRIM_400000_NS6detail17trampoline_kernelINS0_14default_configENS1_22reduce_config_selectorIbEEZNS1_11reduce_implILb1ES3_N6hipcub16HIPCUB_304000_NS22TransformInputIteratorIbN2at6native12_GLOBAL__N_19NonZeroOpIhEEPKhlEEPiiNS8_6detail34convert_binary_result_type_wrapperINS8_3SumESH_iEEEE10hipError_tPvRmT1_T2_T3_mT4_P12ihipStream_tbEUlT_E0_NS1_11comp_targetILNS1_3genE10ELNS1_11target_archE1200ELNS1_3gpuE4ELNS1_3repE0EEENS1_30default_config_static_selectorELNS0_4arch9wavefront6targetE0EEEvSQ_.uses_flat_scratch, 0
	.set _ZN7rocprim17ROCPRIM_400000_NS6detail17trampoline_kernelINS0_14default_configENS1_22reduce_config_selectorIbEEZNS1_11reduce_implILb1ES3_N6hipcub16HIPCUB_304000_NS22TransformInputIteratorIbN2at6native12_GLOBAL__N_19NonZeroOpIhEEPKhlEEPiiNS8_6detail34convert_binary_result_type_wrapperINS8_3SumESH_iEEEE10hipError_tPvRmT1_T2_T3_mT4_P12ihipStream_tbEUlT_E0_NS1_11comp_targetILNS1_3genE10ELNS1_11target_archE1200ELNS1_3gpuE4ELNS1_3repE0EEENS1_30default_config_static_selectorELNS0_4arch9wavefront6targetE0EEEvSQ_.has_dyn_sized_stack, 0
	.set _ZN7rocprim17ROCPRIM_400000_NS6detail17trampoline_kernelINS0_14default_configENS1_22reduce_config_selectorIbEEZNS1_11reduce_implILb1ES3_N6hipcub16HIPCUB_304000_NS22TransformInputIteratorIbN2at6native12_GLOBAL__N_19NonZeroOpIhEEPKhlEEPiiNS8_6detail34convert_binary_result_type_wrapperINS8_3SumESH_iEEEE10hipError_tPvRmT1_T2_T3_mT4_P12ihipStream_tbEUlT_E0_NS1_11comp_targetILNS1_3genE10ELNS1_11target_archE1200ELNS1_3gpuE4ELNS1_3repE0EEENS1_30default_config_static_selectorELNS0_4arch9wavefront6targetE0EEEvSQ_.has_recursion, 0
	.set _ZN7rocprim17ROCPRIM_400000_NS6detail17trampoline_kernelINS0_14default_configENS1_22reduce_config_selectorIbEEZNS1_11reduce_implILb1ES3_N6hipcub16HIPCUB_304000_NS22TransformInputIteratorIbN2at6native12_GLOBAL__N_19NonZeroOpIhEEPKhlEEPiiNS8_6detail34convert_binary_result_type_wrapperINS8_3SumESH_iEEEE10hipError_tPvRmT1_T2_T3_mT4_P12ihipStream_tbEUlT_E0_NS1_11comp_targetILNS1_3genE10ELNS1_11target_archE1200ELNS1_3gpuE4ELNS1_3repE0EEENS1_30default_config_static_selectorELNS0_4arch9wavefront6targetE0EEEvSQ_.has_indirect_call, 0
	.section	.AMDGPU.csdata,"",@progbits
; Kernel info:
; codeLenInByte = 0
; TotalNumSgprs: 0
; NumVgprs: 0
; ScratchSize: 0
; MemoryBound: 0
; FloatMode: 240
; IeeeMode: 1
; LDSByteSize: 0 bytes/workgroup (compile time only)
; SGPRBlocks: 0
; VGPRBlocks: 0
; NumSGPRsForWavesPerEU: 1
; NumVGPRsForWavesPerEU: 1
; Occupancy: 16
; WaveLimiterHint : 0
; COMPUTE_PGM_RSRC2:SCRATCH_EN: 0
; COMPUTE_PGM_RSRC2:USER_SGPR: 2
; COMPUTE_PGM_RSRC2:TRAP_HANDLER: 0
; COMPUTE_PGM_RSRC2:TGID_X_EN: 1
; COMPUTE_PGM_RSRC2:TGID_Y_EN: 0
; COMPUTE_PGM_RSRC2:TGID_Z_EN: 0
; COMPUTE_PGM_RSRC2:TIDIG_COMP_CNT: 0
	.section	.text._ZN7rocprim17ROCPRIM_400000_NS6detail17trampoline_kernelINS0_14default_configENS1_22reduce_config_selectorIbEEZNS1_11reduce_implILb1ES3_N6hipcub16HIPCUB_304000_NS22TransformInputIteratorIbN2at6native12_GLOBAL__N_19NonZeroOpIhEEPKhlEEPiiNS8_6detail34convert_binary_result_type_wrapperINS8_3SumESH_iEEEE10hipError_tPvRmT1_T2_T3_mT4_P12ihipStream_tbEUlT_E0_NS1_11comp_targetILNS1_3genE9ELNS1_11target_archE1100ELNS1_3gpuE3ELNS1_3repE0EEENS1_30default_config_static_selectorELNS0_4arch9wavefront6targetE0EEEvSQ_,"axG",@progbits,_ZN7rocprim17ROCPRIM_400000_NS6detail17trampoline_kernelINS0_14default_configENS1_22reduce_config_selectorIbEEZNS1_11reduce_implILb1ES3_N6hipcub16HIPCUB_304000_NS22TransformInputIteratorIbN2at6native12_GLOBAL__N_19NonZeroOpIhEEPKhlEEPiiNS8_6detail34convert_binary_result_type_wrapperINS8_3SumESH_iEEEE10hipError_tPvRmT1_T2_T3_mT4_P12ihipStream_tbEUlT_E0_NS1_11comp_targetILNS1_3genE9ELNS1_11target_archE1100ELNS1_3gpuE3ELNS1_3repE0EEENS1_30default_config_static_selectorELNS0_4arch9wavefront6targetE0EEEvSQ_,comdat
	.globl	_ZN7rocprim17ROCPRIM_400000_NS6detail17trampoline_kernelINS0_14default_configENS1_22reduce_config_selectorIbEEZNS1_11reduce_implILb1ES3_N6hipcub16HIPCUB_304000_NS22TransformInputIteratorIbN2at6native12_GLOBAL__N_19NonZeroOpIhEEPKhlEEPiiNS8_6detail34convert_binary_result_type_wrapperINS8_3SumESH_iEEEE10hipError_tPvRmT1_T2_T3_mT4_P12ihipStream_tbEUlT_E0_NS1_11comp_targetILNS1_3genE9ELNS1_11target_archE1100ELNS1_3gpuE3ELNS1_3repE0EEENS1_30default_config_static_selectorELNS0_4arch9wavefront6targetE0EEEvSQ_ ; -- Begin function _ZN7rocprim17ROCPRIM_400000_NS6detail17trampoline_kernelINS0_14default_configENS1_22reduce_config_selectorIbEEZNS1_11reduce_implILb1ES3_N6hipcub16HIPCUB_304000_NS22TransformInputIteratorIbN2at6native12_GLOBAL__N_19NonZeroOpIhEEPKhlEEPiiNS8_6detail34convert_binary_result_type_wrapperINS8_3SumESH_iEEEE10hipError_tPvRmT1_T2_T3_mT4_P12ihipStream_tbEUlT_E0_NS1_11comp_targetILNS1_3genE9ELNS1_11target_archE1100ELNS1_3gpuE3ELNS1_3repE0EEENS1_30default_config_static_selectorELNS0_4arch9wavefront6targetE0EEEvSQ_
	.p2align	8
	.type	_ZN7rocprim17ROCPRIM_400000_NS6detail17trampoline_kernelINS0_14default_configENS1_22reduce_config_selectorIbEEZNS1_11reduce_implILb1ES3_N6hipcub16HIPCUB_304000_NS22TransformInputIteratorIbN2at6native12_GLOBAL__N_19NonZeroOpIhEEPKhlEEPiiNS8_6detail34convert_binary_result_type_wrapperINS8_3SumESH_iEEEE10hipError_tPvRmT1_T2_T3_mT4_P12ihipStream_tbEUlT_E0_NS1_11comp_targetILNS1_3genE9ELNS1_11target_archE1100ELNS1_3gpuE3ELNS1_3repE0EEENS1_30default_config_static_selectorELNS0_4arch9wavefront6targetE0EEEvSQ_,@function
_ZN7rocprim17ROCPRIM_400000_NS6detail17trampoline_kernelINS0_14default_configENS1_22reduce_config_selectorIbEEZNS1_11reduce_implILb1ES3_N6hipcub16HIPCUB_304000_NS22TransformInputIteratorIbN2at6native12_GLOBAL__N_19NonZeroOpIhEEPKhlEEPiiNS8_6detail34convert_binary_result_type_wrapperINS8_3SumESH_iEEEE10hipError_tPvRmT1_T2_T3_mT4_P12ihipStream_tbEUlT_E0_NS1_11comp_targetILNS1_3genE9ELNS1_11target_archE1100ELNS1_3gpuE3ELNS1_3repE0EEENS1_30default_config_static_selectorELNS0_4arch9wavefront6targetE0EEEvSQ_: ; @_ZN7rocprim17ROCPRIM_400000_NS6detail17trampoline_kernelINS0_14default_configENS1_22reduce_config_selectorIbEEZNS1_11reduce_implILb1ES3_N6hipcub16HIPCUB_304000_NS22TransformInputIteratorIbN2at6native12_GLOBAL__N_19NonZeroOpIhEEPKhlEEPiiNS8_6detail34convert_binary_result_type_wrapperINS8_3SumESH_iEEEE10hipError_tPvRmT1_T2_T3_mT4_P12ihipStream_tbEUlT_E0_NS1_11comp_targetILNS1_3genE9ELNS1_11target_archE1100ELNS1_3gpuE3ELNS1_3repE0EEENS1_30default_config_static_selectorELNS0_4arch9wavefront6targetE0EEEvSQ_
; %bb.0:
	.section	.rodata,"a",@progbits
	.p2align	6, 0x0
	.amdhsa_kernel _ZN7rocprim17ROCPRIM_400000_NS6detail17trampoline_kernelINS0_14default_configENS1_22reduce_config_selectorIbEEZNS1_11reduce_implILb1ES3_N6hipcub16HIPCUB_304000_NS22TransformInputIteratorIbN2at6native12_GLOBAL__N_19NonZeroOpIhEEPKhlEEPiiNS8_6detail34convert_binary_result_type_wrapperINS8_3SumESH_iEEEE10hipError_tPvRmT1_T2_T3_mT4_P12ihipStream_tbEUlT_E0_NS1_11comp_targetILNS1_3genE9ELNS1_11target_archE1100ELNS1_3gpuE3ELNS1_3repE0EEENS1_30default_config_static_selectorELNS0_4arch9wavefront6targetE0EEEvSQ_
		.amdhsa_group_segment_fixed_size 0
		.amdhsa_private_segment_fixed_size 0
		.amdhsa_kernarg_size 64
		.amdhsa_user_sgpr_count 2
		.amdhsa_user_sgpr_dispatch_ptr 0
		.amdhsa_user_sgpr_queue_ptr 0
		.amdhsa_user_sgpr_kernarg_segment_ptr 1
		.amdhsa_user_sgpr_dispatch_id 0
		.amdhsa_user_sgpr_private_segment_size 0
		.amdhsa_wavefront_size32 1
		.amdhsa_uses_dynamic_stack 0
		.amdhsa_enable_private_segment 0
		.amdhsa_system_sgpr_workgroup_id_x 1
		.amdhsa_system_sgpr_workgroup_id_y 0
		.amdhsa_system_sgpr_workgroup_id_z 0
		.amdhsa_system_sgpr_workgroup_info 0
		.amdhsa_system_vgpr_workitem_id 0
		.amdhsa_next_free_vgpr 1
		.amdhsa_next_free_sgpr 1
		.amdhsa_reserve_vcc 0
		.amdhsa_float_round_mode_32 0
		.amdhsa_float_round_mode_16_64 0
		.amdhsa_float_denorm_mode_32 3
		.amdhsa_float_denorm_mode_16_64 3
		.amdhsa_fp16_overflow 0
		.amdhsa_workgroup_processor_mode 1
		.amdhsa_memory_ordered 1
		.amdhsa_forward_progress 1
		.amdhsa_inst_pref_size 0
		.amdhsa_round_robin_scheduling 0
		.amdhsa_exception_fp_ieee_invalid_op 0
		.amdhsa_exception_fp_denorm_src 0
		.amdhsa_exception_fp_ieee_div_zero 0
		.amdhsa_exception_fp_ieee_overflow 0
		.amdhsa_exception_fp_ieee_underflow 0
		.amdhsa_exception_fp_ieee_inexact 0
		.amdhsa_exception_int_div_zero 0
	.end_amdhsa_kernel
	.section	.text._ZN7rocprim17ROCPRIM_400000_NS6detail17trampoline_kernelINS0_14default_configENS1_22reduce_config_selectorIbEEZNS1_11reduce_implILb1ES3_N6hipcub16HIPCUB_304000_NS22TransformInputIteratorIbN2at6native12_GLOBAL__N_19NonZeroOpIhEEPKhlEEPiiNS8_6detail34convert_binary_result_type_wrapperINS8_3SumESH_iEEEE10hipError_tPvRmT1_T2_T3_mT4_P12ihipStream_tbEUlT_E0_NS1_11comp_targetILNS1_3genE9ELNS1_11target_archE1100ELNS1_3gpuE3ELNS1_3repE0EEENS1_30default_config_static_selectorELNS0_4arch9wavefront6targetE0EEEvSQ_,"axG",@progbits,_ZN7rocprim17ROCPRIM_400000_NS6detail17trampoline_kernelINS0_14default_configENS1_22reduce_config_selectorIbEEZNS1_11reduce_implILb1ES3_N6hipcub16HIPCUB_304000_NS22TransformInputIteratorIbN2at6native12_GLOBAL__N_19NonZeroOpIhEEPKhlEEPiiNS8_6detail34convert_binary_result_type_wrapperINS8_3SumESH_iEEEE10hipError_tPvRmT1_T2_T3_mT4_P12ihipStream_tbEUlT_E0_NS1_11comp_targetILNS1_3genE9ELNS1_11target_archE1100ELNS1_3gpuE3ELNS1_3repE0EEENS1_30default_config_static_selectorELNS0_4arch9wavefront6targetE0EEEvSQ_,comdat
.Lfunc_end26:
	.size	_ZN7rocprim17ROCPRIM_400000_NS6detail17trampoline_kernelINS0_14default_configENS1_22reduce_config_selectorIbEEZNS1_11reduce_implILb1ES3_N6hipcub16HIPCUB_304000_NS22TransformInputIteratorIbN2at6native12_GLOBAL__N_19NonZeroOpIhEEPKhlEEPiiNS8_6detail34convert_binary_result_type_wrapperINS8_3SumESH_iEEEE10hipError_tPvRmT1_T2_T3_mT4_P12ihipStream_tbEUlT_E0_NS1_11comp_targetILNS1_3genE9ELNS1_11target_archE1100ELNS1_3gpuE3ELNS1_3repE0EEENS1_30default_config_static_selectorELNS0_4arch9wavefront6targetE0EEEvSQ_, .Lfunc_end26-_ZN7rocprim17ROCPRIM_400000_NS6detail17trampoline_kernelINS0_14default_configENS1_22reduce_config_selectorIbEEZNS1_11reduce_implILb1ES3_N6hipcub16HIPCUB_304000_NS22TransformInputIteratorIbN2at6native12_GLOBAL__N_19NonZeroOpIhEEPKhlEEPiiNS8_6detail34convert_binary_result_type_wrapperINS8_3SumESH_iEEEE10hipError_tPvRmT1_T2_T3_mT4_P12ihipStream_tbEUlT_E0_NS1_11comp_targetILNS1_3genE9ELNS1_11target_archE1100ELNS1_3gpuE3ELNS1_3repE0EEENS1_30default_config_static_selectorELNS0_4arch9wavefront6targetE0EEEvSQ_
                                        ; -- End function
	.set _ZN7rocprim17ROCPRIM_400000_NS6detail17trampoline_kernelINS0_14default_configENS1_22reduce_config_selectorIbEEZNS1_11reduce_implILb1ES3_N6hipcub16HIPCUB_304000_NS22TransformInputIteratorIbN2at6native12_GLOBAL__N_19NonZeroOpIhEEPKhlEEPiiNS8_6detail34convert_binary_result_type_wrapperINS8_3SumESH_iEEEE10hipError_tPvRmT1_T2_T3_mT4_P12ihipStream_tbEUlT_E0_NS1_11comp_targetILNS1_3genE9ELNS1_11target_archE1100ELNS1_3gpuE3ELNS1_3repE0EEENS1_30default_config_static_selectorELNS0_4arch9wavefront6targetE0EEEvSQ_.num_vgpr, 0
	.set _ZN7rocprim17ROCPRIM_400000_NS6detail17trampoline_kernelINS0_14default_configENS1_22reduce_config_selectorIbEEZNS1_11reduce_implILb1ES3_N6hipcub16HIPCUB_304000_NS22TransformInputIteratorIbN2at6native12_GLOBAL__N_19NonZeroOpIhEEPKhlEEPiiNS8_6detail34convert_binary_result_type_wrapperINS8_3SumESH_iEEEE10hipError_tPvRmT1_T2_T3_mT4_P12ihipStream_tbEUlT_E0_NS1_11comp_targetILNS1_3genE9ELNS1_11target_archE1100ELNS1_3gpuE3ELNS1_3repE0EEENS1_30default_config_static_selectorELNS0_4arch9wavefront6targetE0EEEvSQ_.num_agpr, 0
	.set _ZN7rocprim17ROCPRIM_400000_NS6detail17trampoline_kernelINS0_14default_configENS1_22reduce_config_selectorIbEEZNS1_11reduce_implILb1ES3_N6hipcub16HIPCUB_304000_NS22TransformInputIteratorIbN2at6native12_GLOBAL__N_19NonZeroOpIhEEPKhlEEPiiNS8_6detail34convert_binary_result_type_wrapperINS8_3SumESH_iEEEE10hipError_tPvRmT1_T2_T3_mT4_P12ihipStream_tbEUlT_E0_NS1_11comp_targetILNS1_3genE9ELNS1_11target_archE1100ELNS1_3gpuE3ELNS1_3repE0EEENS1_30default_config_static_selectorELNS0_4arch9wavefront6targetE0EEEvSQ_.numbered_sgpr, 0
	.set _ZN7rocprim17ROCPRIM_400000_NS6detail17trampoline_kernelINS0_14default_configENS1_22reduce_config_selectorIbEEZNS1_11reduce_implILb1ES3_N6hipcub16HIPCUB_304000_NS22TransformInputIteratorIbN2at6native12_GLOBAL__N_19NonZeroOpIhEEPKhlEEPiiNS8_6detail34convert_binary_result_type_wrapperINS8_3SumESH_iEEEE10hipError_tPvRmT1_T2_T3_mT4_P12ihipStream_tbEUlT_E0_NS1_11comp_targetILNS1_3genE9ELNS1_11target_archE1100ELNS1_3gpuE3ELNS1_3repE0EEENS1_30default_config_static_selectorELNS0_4arch9wavefront6targetE0EEEvSQ_.num_named_barrier, 0
	.set _ZN7rocprim17ROCPRIM_400000_NS6detail17trampoline_kernelINS0_14default_configENS1_22reduce_config_selectorIbEEZNS1_11reduce_implILb1ES3_N6hipcub16HIPCUB_304000_NS22TransformInputIteratorIbN2at6native12_GLOBAL__N_19NonZeroOpIhEEPKhlEEPiiNS8_6detail34convert_binary_result_type_wrapperINS8_3SumESH_iEEEE10hipError_tPvRmT1_T2_T3_mT4_P12ihipStream_tbEUlT_E0_NS1_11comp_targetILNS1_3genE9ELNS1_11target_archE1100ELNS1_3gpuE3ELNS1_3repE0EEENS1_30default_config_static_selectorELNS0_4arch9wavefront6targetE0EEEvSQ_.private_seg_size, 0
	.set _ZN7rocprim17ROCPRIM_400000_NS6detail17trampoline_kernelINS0_14default_configENS1_22reduce_config_selectorIbEEZNS1_11reduce_implILb1ES3_N6hipcub16HIPCUB_304000_NS22TransformInputIteratorIbN2at6native12_GLOBAL__N_19NonZeroOpIhEEPKhlEEPiiNS8_6detail34convert_binary_result_type_wrapperINS8_3SumESH_iEEEE10hipError_tPvRmT1_T2_T3_mT4_P12ihipStream_tbEUlT_E0_NS1_11comp_targetILNS1_3genE9ELNS1_11target_archE1100ELNS1_3gpuE3ELNS1_3repE0EEENS1_30default_config_static_selectorELNS0_4arch9wavefront6targetE0EEEvSQ_.uses_vcc, 0
	.set _ZN7rocprim17ROCPRIM_400000_NS6detail17trampoline_kernelINS0_14default_configENS1_22reduce_config_selectorIbEEZNS1_11reduce_implILb1ES3_N6hipcub16HIPCUB_304000_NS22TransformInputIteratorIbN2at6native12_GLOBAL__N_19NonZeroOpIhEEPKhlEEPiiNS8_6detail34convert_binary_result_type_wrapperINS8_3SumESH_iEEEE10hipError_tPvRmT1_T2_T3_mT4_P12ihipStream_tbEUlT_E0_NS1_11comp_targetILNS1_3genE9ELNS1_11target_archE1100ELNS1_3gpuE3ELNS1_3repE0EEENS1_30default_config_static_selectorELNS0_4arch9wavefront6targetE0EEEvSQ_.uses_flat_scratch, 0
	.set _ZN7rocprim17ROCPRIM_400000_NS6detail17trampoline_kernelINS0_14default_configENS1_22reduce_config_selectorIbEEZNS1_11reduce_implILb1ES3_N6hipcub16HIPCUB_304000_NS22TransformInputIteratorIbN2at6native12_GLOBAL__N_19NonZeroOpIhEEPKhlEEPiiNS8_6detail34convert_binary_result_type_wrapperINS8_3SumESH_iEEEE10hipError_tPvRmT1_T2_T3_mT4_P12ihipStream_tbEUlT_E0_NS1_11comp_targetILNS1_3genE9ELNS1_11target_archE1100ELNS1_3gpuE3ELNS1_3repE0EEENS1_30default_config_static_selectorELNS0_4arch9wavefront6targetE0EEEvSQ_.has_dyn_sized_stack, 0
	.set _ZN7rocprim17ROCPRIM_400000_NS6detail17trampoline_kernelINS0_14default_configENS1_22reduce_config_selectorIbEEZNS1_11reduce_implILb1ES3_N6hipcub16HIPCUB_304000_NS22TransformInputIteratorIbN2at6native12_GLOBAL__N_19NonZeroOpIhEEPKhlEEPiiNS8_6detail34convert_binary_result_type_wrapperINS8_3SumESH_iEEEE10hipError_tPvRmT1_T2_T3_mT4_P12ihipStream_tbEUlT_E0_NS1_11comp_targetILNS1_3genE9ELNS1_11target_archE1100ELNS1_3gpuE3ELNS1_3repE0EEENS1_30default_config_static_selectorELNS0_4arch9wavefront6targetE0EEEvSQ_.has_recursion, 0
	.set _ZN7rocprim17ROCPRIM_400000_NS6detail17trampoline_kernelINS0_14default_configENS1_22reduce_config_selectorIbEEZNS1_11reduce_implILb1ES3_N6hipcub16HIPCUB_304000_NS22TransformInputIteratorIbN2at6native12_GLOBAL__N_19NonZeroOpIhEEPKhlEEPiiNS8_6detail34convert_binary_result_type_wrapperINS8_3SumESH_iEEEE10hipError_tPvRmT1_T2_T3_mT4_P12ihipStream_tbEUlT_E0_NS1_11comp_targetILNS1_3genE9ELNS1_11target_archE1100ELNS1_3gpuE3ELNS1_3repE0EEENS1_30default_config_static_selectorELNS0_4arch9wavefront6targetE0EEEvSQ_.has_indirect_call, 0
	.section	.AMDGPU.csdata,"",@progbits
; Kernel info:
; codeLenInByte = 0
; TotalNumSgprs: 0
; NumVgprs: 0
; ScratchSize: 0
; MemoryBound: 0
; FloatMode: 240
; IeeeMode: 1
; LDSByteSize: 0 bytes/workgroup (compile time only)
; SGPRBlocks: 0
; VGPRBlocks: 0
; NumSGPRsForWavesPerEU: 1
; NumVGPRsForWavesPerEU: 1
; Occupancy: 16
; WaveLimiterHint : 0
; COMPUTE_PGM_RSRC2:SCRATCH_EN: 0
; COMPUTE_PGM_RSRC2:USER_SGPR: 2
; COMPUTE_PGM_RSRC2:TRAP_HANDLER: 0
; COMPUTE_PGM_RSRC2:TGID_X_EN: 1
; COMPUTE_PGM_RSRC2:TGID_Y_EN: 0
; COMPUTE_PGM_RSRC2:TGID_Z_EN: 0
; COMPUTE_PGM_RSRC2:TIDIG_COMP_CNT: 0
	.section	.text._ZN7rocprim17ROCPRIM_400000_NS6detail17trampoline_kernelINS0_14default_configENS1_22reduce_config_selectorIbEEZNS1_11reduce_implILb1ES3_N6hipcub16HIPCUB_304000_NS22TransformInputIteratorIbN2at6native12_GLOBAL__N_19NonZeroOpIhEEPKhlEEPiiNS8_6detail34convert_binary_result_type_wrapperINS8_3SumESH_iEEEE10hipError_tPvRmT1_T2_T3_mT4_P12ihipStream_tbEUlT_E0_NS1_11comp_targetILNS1_3genE8ELNS1_11target_archE1030ELNS1_3gpuE2ELNS1_3repE0EEENS1_30default_config_static_selectorELNS0_4arch9wavefront6targetE0EEEvSQ_,"axG",@progbits,_ZN7rocprim17ROCPRIM_400000_NS6detail17trampoline_kernelINS0_14default_configENS1_22reduce_config_selectorIbEEZNS1_11reduce_implILb1ES3_N6hipcub16HIPCUB_304000_NS22TransformInputIteratorIbN2at6native12_GLOBAL__N_19NonZeroOpIhEEPKhlEEPiiNS8_6detail34convert_binary_result_type_wrapperINS8_3SumESH_iEEEE10hipError_tPvRmT1_T2_T3_mT4_P12ihipStream_tbEUlT_E0_NS1_11comp_targetILNS1_3genE8ELNS1_11target_archE1030ELNS1_3gpuE2ELNS1_3repE0EEENS1_30default_config_static_selectorELNS0_4arch9wavefront6targetE0EEEvSQ_,comdat
	.globl	_ZN7rocprim17ROCPRIM_400000_NS6detail17trampoline_kernelINS0_14default_configENS1_22reduce_config_selectorIbEEZNS1_11reduce_implILb1ES3_N6hipcub16HIPCUB_304000_NS22TransformInputIteratorIbN2at6native12_GLOBAL__N_19NonZeroOpIhEEPKhlEEPiiNS8_6detail34convert_binary_result_type_wrapperINS8_3SumESH_iEEEE10hipError_tPvRmT1_T2_T3_mT4_P12ihipStream_tbEUlT_E0_NS1_11comp_targetILNS1_3genE8ELNS1_11target_archE1030ELNS1_3gpuE2ELNS1_3repE0EEENS1_30default_config_static_selectorELNS0_4arch9wavefront6targetE0EEEvSQ_ ; -- Begin function _ZN7rocprim17ROCPRIM_400000_NS6detail17trampoline_kernelINS0_14default_configENS1_22reduce_config_selectorIbEEZNS1_11reduce_implILb1ES3_N6hipcub16HIPCUB_304000_NS22TransformInputIteratorIbN2at6native12_GLOBAL__N_19NonZeroOpIhEEPKhlEEPiiNS8_6detail34convert_binary_result_type_wrapperINS8_3SumESH_iEEEE10hipError_tPvRmT1_T2_T3_mT4_P12ihipStream_tbEUlT_E0_NS1_11comp_targetILNS1_3genE8ELNS1_11target_archE1030ELNS1_3gpuE2ELNS1_3repE0EEENS1_30default_config_static_selectorELNS0_4arch9wavefront6targetE0EEEvSQ_
	.p2align	8
	.type	_ZN7rocprim17ROCPRIM_400000_NS6detail17trampoline_kernelINS0_14default_configENS1_22reduce_config_selectorIbEEZNS1_11reduce_implILb1ES3_N6hipcub16HIPCUB_304000_NS22TransformInputIteratorIbN2at6native12_GLOBAL__N_19NonZeroOpIhEEPKhlEEPiiNS8_6detail34convert_binary_result_type_wrapperINS8_3SumESH_iEEEE10hipError_tPvRmT1_T2_T3_mT4_P12ihipStream_tbEUlT_E0_NS1_11comp_targetILNS1_3genE8ELNS1_11target_archE1030ELNS1_3gpuE2ELNS1_3repE0EEENS1_30default_config_static_selectorELNS0_4arch9wavefront6targetE0EEEvSQ_,@function
_ZN7rocprim17ROCPRIM_400000_NS6detail17trampoline_kernelINS0_14default_configENS1_22reduce_config_selectorIbEEZNS1_11reduce_implILb1ES3_N6hipcub16HIPCUB_304000_NS22TransformInputIteratorIbN2at6native12_GLOBAL__N_19NonZeroOpIhEEPKhlEEPiiNS8_6detail34convert_binary_result_type_wrapperINS8_3SumESH_iEEEE10hipError_tPvRmT1_T2_T3_mT4_P12ihipStream_tbEUlT_E0_NS1_11comp_targetILNS1_3genE8ELNS1_11target_archE1030ELNS1_3gpuE2ELNS1_3repE0EEENS1_30default_config_static_selectorELNS0_4arch9wavefront6targetE0EEEvSQ_: ; @_ZN7rocprim17ROCPRIM_400000_NS6detail17trampoline_kernelINS0_14default_configENS1_22reduce_config_selectorIbEEZNS1_11reduce_implILb1ES3_N6hipcub16HIPCUB_304000_NS22TransformInputIteratorIbN2at6native12_GLOBAL__N_19NonZeroOpIhEEPKhlEEPiiNS8_6detail34convert_binary_result_type_wrapperINS8_3SumESH_iEEEE10hipError_tPvRmT1_T2_T3_mT4_P12ihipStream_tbEUlT_E0_NS1_11comp_targetILNS1_3genE8ELNS1_11target_archE1030ELNS1_3gpuE2ELNS1_3repE0EEENS1_30default_config_static_selectorELNS0_4arch9wavefront6targetE0EEEvSQ_
; %bb.0:
	.section	.rodata,"a",@progbits
	.p2align	6, 0x0
	.amdhsa_kernel _ZN7rocprim17ROCPRIM_400000_NS6detail17trampoline_kernelINS0_14default_configENS1_22reduce_config_selectorIbEEZNS1_11reduce_implILb1ES3_N6hipcub16HIPCUB_304000_NS22TransformInputIteratorIbN2at6native12_GLOBAL__N_19NonZeroOpIhEEPKhlEEPiiNS8_6detail34convert_binary_result_type_wrapperINS8_3SumESH_iEEEE10hipError_tPvRmT1_T2_T3_mT4_P12ihipStream_tbEUlT_E0_NS1_11comp_targetILNS1_3genE8ELNS1_11target_archE1030ELNS1_3gpuE2ELNS1_3repE0EEENS1_30default_config_static_selectorELNS0_4arch9wavefront6targetE0EEEvSQ_
		.amdhsa_group_segment_fixed_size 0
		.amdhsa_private_segment_fixed_size 0
		.amdhsa_kernarg_size 64
		.amdhsa_user_sgpr_count 2
		.amdhsa_user_sgpr_dispatch_ptr 0
		.amdhsa_user_sgpr_queue_ptr 0
		.amdhsa_user_sgpr_kernarg_segment_ptr 1
		.amdhsa_user_sgpr_dispatch_id 0
		.amdhsa_user_sgpr_private_segment_size 0
		.amdhsa_wavefront_size32 1
		.amdhsa_uses_dynamic_stack 0
		.amdhsa_enable_private_segment 0
		.amdhsa_system_sgpr_workgroup_id_x 1
		.amdhsa_system_sgpr_workgroup_id_y 0
		.amdhsa_system_sgpr_workgroup_id_z 0
		.amdhsa_system_sgpr_workgroup_info 0
		.amdhsa_system_vgpr_workitem_id 0
		.amdhsa_next_free_vgpr 1
		.amdhsa_next_free_sgpr 1
		.amdhsa_reserve_vcc 0
		.amdhsa_float_round_mode_32 0
		.amdhsa_float_round_mode_16_64 0
		.amdhsa_float_denorm_mode_32 3
		.amdhsa_float_denorm_mode_16_64 3
		.amdhsa_fp16_overflow 0
		.amdhsa_workgroup_processor_mode 1
		.amdhsa_memory_ordered 1
		.amdhsa_forward_progress 1
		.amdhsa_inst_pref_size 0
		.amdhsa_round_robin_scheduling 0
		.amdhsa_exception_fp_ieee_invalid_op 0
		.amdhsa_exception_fp_denorm_src 0
		.amdhsa_exception_fp_ieee_div_zero 0
		.amdhsa_exception_fp_ieee_overflow 0
		.amdhsa_exception_fp_ieee_underflow 0
		.amdhsa_exception_fp_ieee_inexact 0
		.amdhsa_exception_int_div_zero 0
	.end_amdhsa_kernel
	.section	.text._ZN7rocprim17ROCPRIM_400000_NS6detail17trampoline_kernelINS0_14default_configENS1_22reduce_config_selectorIbEEZNS1_11reduce_implILb1ES3_N6hipcub16HIPCUB_304000_NS22TransformInputIteratorIbN2at6native12_GLOBAL__N_19NonZeroOpIhEEPKhlEEPiiNS8_6detail34convert_binary_result_type_wrapperINS8_3SumESH_iEEEE10hipError_tPvRmT1_T2_T3_mT4_P12ihipStream_tbEUlT_E0_NS1_11comp_targetILNS1_3genE8ELNS1_11target_archE1030ELNS1_3gpuE2ELNS1_3repE0EEENS1_30default_config_static_selectorELNS0_4arch9wavefront6targetE0EEEvSQ_,"axG",@progbits,_ZN7rocprim17ROCPRIM_400000_NS6detail17trampoline_kernelINS0_14default_configENS1_22reduce_config_selectorIbEEZNS1_11reduce_implILb1ES3_N6hipcub16HIPCUB_304000_NS22TransformInputIteratorIbN2at6native12_GLOBAL__N_19NonZeroOpIhEEPKhlEEPiiNS8_6detail34convert_binary_result_type_wrapperINS8_3SumESH_iEEEE10hipError_tPvRmT1_T2_T3_mT4_P12ihipStream_tbEUlT_E0_NS1_11comp_targetILNS1_3genE8ELNS1_11target_archE1030ELNS1_3gpuE2ELNS1_3repE0EEENS1_30default_config_static_selectorELNS0_4arch9wavefront6targetE0EEEvSQ_,comdat
.Lfunc_end27:
	.size	_ZN7rocprim17ROCPRIM_400000_NS6detail17trampoline_kernelINS0_14default_configENS1_22reduce_config_selectorIbEEZNS1_11reduce_implILb1ES3_N6hipcub16HIPCUB_304000_NS22TransformInputIteratorIbN2at6native12_GLOBAL__N_19NonZeroOpIhEEPKhlEEPiiNS8_6detail34convert_binary_result_type_wrapperINS8_3SumESH_iEEEE10hipError_tPvRmT1_T2_T3_mT4_P12ihipStream_tbEUlT_E0_NS1_11comp_targetILNS1_3genE8ELNS1_11target_archE1030ELNS1_3gpuE2ELNS1_3repE0EEENS1_30default_config_static_selectorELNS0_4arch9wavefront6targetE0EEEvSQ_, .Lfunc_end27-_ZN7rocprim17ROCPRIM_400000_NS6detail17trampoline_kernelINS0_14default_configENS1_22reduce_config_selectorIbEEZNS1_11reduce_implILb1ES3_N6hipcub16HIPCUB_304000_NS22TransformInputIteratorIbN2at6native12_GLOBAL__N_19NonZeroOpIhEEPKhlEEPiiNS8_6detail34convert_binary_result_type_wrapperINS8_3SumESH_iEEEE10hipError_tPvRmT1_T2_T3_mT4_P12ihipStream_tbEUlT_E0_NS1_11comp_targetILNS1_3genE8ELNS1_11target_archE1030ELNS1_3gpuE2ELNS1_3repE0EEENS1_30default_config_static_selectorELNS0_4arch9wavefront6targetE0EEEvSQ_
                                        ; -- End function
	.set _ZN7rocprim17ROCPRIM_400000_NS6detail17trampoline_kernelINS0_14default_configENS1_22reduce_config_selectorIbEEZNS1_11reduce_implILb1ES3_N6hipcub16HIPCUB_304000_NS22TransformInputIteratorIbN2at6native12_GLOBAL__N_19NonZeroOpIhEEPKhlEEPiiNS8_6detail34convert_binary_result_type_wrapperINS8_3SumESH_iEEEE10hipError_tPvRmT1_T2_T3_mT4_P12ihipStream_tbEUlT_E0_NS1_11comp_targetILNS1_3genE8ELNS1_11target_archE1030ELNS1_3gpuE2ELNS1_3repE0EEENS1_30default_config_static_selectorELNS0_4arch9wavefront6targetE0EEEvSQ_.num_vgpr, 0
	.set _ZN7rocprim17ROCPRIM_400000_NS6detail17trampoline_kernelINS0_14default_configENS1_22reduce_config_selectorIbEEZNS1_11reduce_implILb1ES3_N6hipcub16HIPCUB_304000_NS22TransformInputIteratorIbN2at6native12_GLOBAL__N_19NonZeroOpIhEEPKhlEEPiiNS8_6detail34convert_binary_result_type_wrapperINS8_3SumESH_iEEEE10hipError_tPvRmT1_T2_T3_mT4_P12ihipStream_tbEUlT_E0_NS1_11comp_targetILNS1_3genE8ELNS1_11target_archE1030ELNS1_3gpuE2ELNS1_3repE0EEENS1_30default_config_static_selectorELNS0_4arch9wavefront6targetE0EEEvSQ_.num_agpr, 0
	.set _ZN7rocprim17ROCPRIM_400000_NS6detail17trampoline_kernelINS0_14default_configENS1_22reduce_config_selectorIbEEZNS1_11reduce_implILb1ES3_N6hipcub16HIPCUB_304000_NS22TransformInputIteratorIbN2at6native12_GLOBAL__N_19NonZeroOpIhEEPKhlEEPiiNS8_6detail34convert_binary_result_type_wrapperINS8_3SumESH_iEEEE10hipError_tPvRmT1_T2_T3_mT4_P12ihipStream_tbEUlT_E0_NS1_11comp_targetILNS1_3genE8ELNS1_11target_archE1030ELNS1_3gpuE2ELNS1_3repE0EEENS1_30default_config_static_selectorELNS0_4arch9wavefront6targetE0EEEvSQ_.numbered_sgpr, 0
	.set _ZN7rocprim17ROCPRIM_400000_NS6detail17trampoline_kernelINS0_14default_configENS1_22reduce_config_selectorIbEEZNS1_11reduce_implILb1ES3_N6hipcub16HIPCUB_304000_NS22TransformInputIteratorIbN2at6native12_GLOBAL__N_19NonZeroOpIhEEPKhlEEPiiNS8_6detail34convert_binary_result_type_wrapperINS8_3SumESH_iEEEE10hipError_tPvRmT1_T2_T3_mT4_P12ihipStream_tbEUlT_E0_NS1_11comp_targetILNS1_3genE8ELNS1_11target_archE1030ELNS1_3gpuE2ELNS1_3repE0EEENS1_30default_config_static_selectorELNS0_4arch9wavefront6targetE0EEEvSQ_.num_named_barrier, 0
	.set _ZN7rocprim17ROCPRIM_400000_NS6detail17trampoline_kernelINS0_14default_configENS1_22reduce_config_selectorIbEEZNS1_11reduce_implILb1ES3_N6hipcub16HIPCUB_304000_NS22TransformInputIteratorIbN2at6native12_GLOBAL__N_19NonZeroOpIhEEPKhlEEPiiNS8_6detail34convert_binary_result_type_wrapperINS8_3SumESH_iEEEE10hipError_tPvRmT1_T2_T3_mT4_P12ihipStream_tbEUlT_E0_NS1_11comp_targetILNS1_3genE8ELNS1_11target_archE1030ELNS1_3gpuE2ELNS1_3repE0EEENS1_30default_config_static_selectorELNS0_4arch9wavefront6targetE0EEEvSQ_.private_seg_size, 0
	.set _ZN7rocprim17ROCPRIM_400000_NS6detail17trampoline_kernelINS0_14default_configENS1_22reduce_config_selectorIbEEZNS1_11reduce_implILb1ES3_N6hipcub16HIPCUB_304000_NS22TransformInputIteratorIbN2at6native12_GLOBAL__N_19NonZeroOpIhEEPKhlEEPiiNS8_6detail34convert_binary_result_type_wrapperINS8_3SumESH_iEEEE10hipError_tPvRmT1_T2_T3_mT4_P12ihipStream_tbEUlT_E0_NS1_11comp_targetILNS1_3genE8ELNS1_11target_archE1030ELNS1_3gpuE2ELNS1_3repE0EEENS1_30default_config_static_selectorELNS0_4arch9wavefront6targetE0EEEvSQ_.uses_vcc, 0
	.set _ZN7rocprim17ROCPRIM_400000_NS6detail17trampoline_kernelINS0_14default_configENS1_22reduce_config_selectorIbEEZNS1_11reduce_implILb1ES3_N6hipcub16HIPCUB_304000_NS22TransformInputIteratorIbN2at6native12_GLOBAL__N_19NonZeroOpIhEEPKhlEEPiiNS8_6detail34convert_binary_result_type_wrapperINS8_3SumESH_iEEEE10hipError_tPvRmT1_T2_T3_mT4_P12ihipStream_tbEUlT_E0_NS1_11comp_targetILNS1_3genE8ELNS1_11target_archE1030ELNS1_3gpuE2ELNS1_3repE0EEENS1_30default_config_static_selectorELNS0_4arch9wavefront6targetE0EEEvSQ_.uses_flat_scratch, 0
	.set _ZN7rocprim17ROCPRIM_400000_NS6detail17trampoline_kernelINS0_14default_configENS1_22reduce_config_selectorIbEEZNS1_11reduce_implILb1ES3_N6hipcub16HIPCUB_304000_NS22TransformInputIteratorIbN2at6native12_GLOBAL__N_19NonZeroOpIhEEPKhlEEPiiNS8_6detail34convert_binary_result_type_wrapperINS8_3SumESH_iEEEE10hipError_tPvRmT1_T2_T3_mT4_P12ihipStream_tbEUlT_E0_NS1_11comp_targetILNS1_3genE8ELNS1_11target_archE1030ELNS1_3gpuE2ELNS1_3repE0EEENS1_30default_config_static_selectorELNS0_4arch9wavefront6targetE0EEEvSQ_.has_dyn_sized_stack, 0
	.set _ZN7rocprim17ROCPRIM_400000_NS6detail17trampoline_kernelINS0_14default_configENS1_22reduce_config_selectorIbEEZNS1_11reduce_implILb1ES3_N6hipcub16HIPCUB_304000_NS22TransformInputIteratorIbN2at6native12_GLOBAL__N_19NonZeroOpIhEEPKhlEEPiiNS8_6detail34convert_binary_result_type_wrapperINS8_3SumESH_iEEEE10hipError_tPvRmT1_T2_T3_mT4_P12ihipStream_tbEUlT_E0_NS1_11comp_targetILNS1_3genE8ELNS1_11target_archE1030ELNS1_3gpuE2ELNS1_3repE0EEENS1_30default_config_static_selectorELNS0_4arch9wavefront6targetE0EEEvSQ_.has_recursion, 0
	.set _ZN7rocprim17ROCPRIM_400000_NS6detail17trampoline_kernelINS0_14default_configENS1_22reduce_config_selectorIbEEZNS1_11reduce_implILb1ES3_N6hipcub16HIPCUB_304000_NS22TransformInputIteratorIbN2at6native12_GLOBAL__N_19NonZeroOpIhEEPKhlEEPiiNS8_6detail34convert_binary_result_type_wrapperINS8_3SumESH_iEEEE10hipError_tPvRmT1_T2_T3_mT4_P12ihipStream_tbEUlT_E0_NS1_11comp_targetILNS1_3genE8ELNS1_11target_archE1030ELNS1_3gpuE2ELNS1_3repE0EEENS1_30default_config_static_selectorELNS0_4arch9wavefront6targetE0EEEvSQ_.has_indirect_call, 0
	.section	.AMDGPU.csdata,"",@progbits
; Kernel info:
; codeLenInByte = 0
; TotalNumSgprs: 0
; NumVgprs: 0
; ScratchSize: 0
; MemoryBound: 0
; FloatMode: 240
; IeeeMode: 1
; LDSByteSize: 0 bytes/workgroup (compile time only)
; SGPRBlocks: 0
; VGPRBlocks: 0
; NumSGPRsForWavesPerEU: 1
; NumVGPRsForWavesPerEU: 1
; Occupancy: 16
; WaveLimiterHint : 0
; COMPUTE_PGM_RSRC2:SCRATCH_EN: 0
; COMPUTE_PGM_RSRC2:USER_SGPR: 2
; COMPUTE_PGM_RSRC2:TRAP_HANDLER: 0
; COMPUTE_PGM_RSRC2:TGID_X_EN: 1
; COMPUTE_PGM_RSRC2:TGID_Y_EN: 0
; COMPUTE_PGM_RSRC2:TGID_Z_EN: 0
; COMPUTE_PGM_RSRC2:TIDIG_COMP_CNT: 0
	.section	.text._ZN7rocprim17ROCPRIM_400000_NS6detail17trampoline_kernelINS0_14default_configENS1_22reduce_config_selectorIbEEZNS1_11reduce_implILb1ES3_N6hipcub16HIPCUB_304000_NS22TransformInputIteratorIbN2at6native12_GLOBAL__N_19NonZeroOpIhEEPKhlEEPiiNS8_6detail34convert_binary_result_type_wrapperINS8_3SumESH_iEEEE10hipError_tPvRmT1_T2_T3_mT4_P12ihipStream_tbEUlT_E1_NS1_11comp_targetILNS1_3genE0ELNS1_11target_archE4294967295ELNS1_3gpuE0ELNS1_3repE0EEENS1_30default_config_static_selectorELNS0_4arch9wavefront6targetE0EEEvSQ_,"axG",@progbits,_ZN7rocprim17ROCPRIM_400000_NS6detail17trampoline_kernelINS0_14default_configENS1_22reduce_config_selectorIbEEZNS1_11reduce_implILb1ES3_N6hipcub16HIPCUB_304000_NS22TransformInputIteratorIbN2at6native12_GLOBAL__N_19NonZeroOpIhEEPKhlEEPiiNS8_6detail34convert_binary_result_type_wrapperINS8_3SumESH_iEEEE10hipError_tPvRmT1_T2_T3_mT4_P12ihipStream_tbEUlT_E1_NS1_11comp_targetILNS1_3genE0ELNS1_11target_archE4294967295ELNS1_3gpuE0ELNS1_3repE0EEENS1_30default_config_static_selectorELNS0_4arch9wavefront6targetE0EEEvSQ_,comdat
	.globl	_ZN7rocprim17ROCPRIM_400000_NS6detail17trampoline_kernelINS0_14default_configENS1_22reduce_config_selectorIbEEZNS1_11reduce_implILb1ES3_N6hipcub16HIPCUB_304000_NS22TransformInputIteratorIbN2at6native12_GLOBAL__N_19NonZeroOpIhEEPKhlEEPiiNS8_6detail34convert_binary_result_type_wrapperINS8_3SumESH_iEEEE10hipError_tPvRmT1_T2_T3_mT4_P12ihipStream_tbEUlT_E1_NS1_11comp_targetILNS1_3genE0ELNS1_11target_archE4294967295ELNS1_3gpuE0ELNS1_3repE0EEENS1_30default_config_static_selectorELNS0_4arch9wavefront6targetE0EEEvSQ_ ; -- Begin function _ZN7rocprim17ROCPRIM_400000_NS6detail17trampoline_kernelINS0_14default_configENS1_22reduce_config_selectorIbEEZNS1_11reduce_implILb1ES3_N6hipcub16HIPCUB_304000_NS22TransformInputIteratorIbN2at6native12_GLOBAL__N_19NonZeroOpIhEEPKhlEEPiiNS8_6detail34convert_binary_result_type_wrapperINS8_3SumESH_iEEEE10hipError_tPvRmT1_T2_T3_mT4_P12ihipStream_tbEUlT_E1_NS1_11comp_targetILNS1_3genE0ELNS1_11target_archE4294967295ELNS1_3gpuE0ELNS1_3repE0EEENS1_30default_config_static_selectorELNS0_4arch9wavefront6targetE0EEEvSQ_
	.p2align	8
	.type	_ZN7rocprim17ROCPRIM_400000_NS6detail17trampoline_kernelINS0_14default_configENS1_22reduce_config_selectorIbEEZNS1_11reduce_implILb1ES3_N6hipcub16HIPCUB_304000_NS22TransformInputIteratorIbN2at6native12_GLOBAL__N_19NonZeroOpIhEEPKhlEEPiiNS8_6detail34convert_binary_result_type_wrapperINS8_3SumESH_iEEEE10hipError_tPvRmT1_T2_T3_mT4_P12ihipStream_tbEUlT_E1_NS1_11comp_targetILNS1_3genE0ELNS1_11target_archE4294967295ELNS1_3gpuE0ELNS1_3repE0EEENS1_30default_config_static_selectorELNS0_4arch9wavefront6targetE0EEEvSQ_,@function
_ZN7rocprim17ROCPRIM_400000_NS6detail17trampoline_kernelINS0_14default_configENS1_22reduce_config_selectorIbEEZNS1_11reduce_implILb1ES3_N6hipcub16HIPCUB_304000_NS22TransformInputIteratorIbN2at6native12_GLOBAL__N_19NonZeroOpIhEEPKhlEEPiiNS8_6detail34convert_binary_result_type_wrapperINS8_3SumESH_iEEEE10hipError_tPvRmT1_T2_T3_mT4_P12ihipStream_tbEUlT_E1_NS1_11comp_targetILNS1_3genE0ELNS1_11target_archE4294967295ELNS1_3gpuE0ELNS1_3repE0EEENS1_30default_config_static_selectorELNS0_4arch9wavefront6targetE0EEEvSQ_: ; @_ZN7rocprim17ROCPRIM_400000_NS6detail17trampoline_kernelINS0_14default_configENS1_22reduce_config_selectorIbEEZNS1_11reduce_implILb1ES3_N6hipcub16HIPCUB_304000_NS22TransformInputIteratorIbN2at6native12_GLOBAL__N_19NonZeroOpIhEEPKhlEEPiiNS8_6detail34convert_binary_result_type_wrapperINS8_3SumESH_iEEEE10hipError_tPvRmT1_T2_T3_mT4_P12ihipStream_tbEUlT_E1_NS1_11comp_targetILNS1_3genE0ELNS1_11target_archE4294967295ELNS1_3gpuE0ELNS1_3repE0EEENS1_30default_config_static_selectorELNS0_4arch9wavefront6targetE0EEEvSQ_
; %bb.0:
	.section	.rodata,"a",@progbits
	.p2align	6, 0x0
	.amdhsa_kernel _ZN7rocprim17ROCPRIM_400000_NS6detail17trampoline_kernelINS0_14default_configENS1_22reduce_config_selectorIbEEZNS1_11reduce_implILb1ES3_N6hipcub16HIPCUB_304000_NS22TransformInputIteratorIbN2at6native12_GLOBAL__N_19NonZeroOpIhEEPKhlEEPiiNS8_6detail34convert_binary_result_type_wrapperINS8_3SumESH_iEEEE10hipError_tPvRmT1_T2_T3_mT4_P12ihipStream_tbEUlT_E1_NS1_11comp_targetILNS1_3genE0ELNS1_11target_archE4294967295ELNS1_3gpuE0ELNS1_3repE0EEENS1_30default_config_static_selectorELNS0_4arch9wavefront6targetE0EEEvSQ_
		.amdhsa_group_segment_fixed_size 0
		.amdhsa_private_segment_fixed_size 0
		.amdhsa_kernarg_size 48
		.amdhsa_user_sgpr_count 2
		.amdhsa_user_sgpr_dispatch_ptr 0
		.amdhsa_user_sgpr_queue_ptr 0
		.amdhsa_user_sgpr_kernarg_segment_ptr 1
		.amdhsa_user_sgpr_dispatch_id 0
		.amdhsa_user_sgpr_private_segment_size 0
		.amdhsa_wavefront_size32 1
		.amdhsa_uses_dynamic_stack 0
		.amdhsa_enable_private_segment 0
		.amdhsa_system_sgpr_workgroup_id_x 1
		.amdhsa_system_sgpr_workgroup_id_y 0
		.amdhsa_system_sgpr_workgroup_id_z 0
		.amdhsa_system_sgpr_workgroup_info 0
		.amdhsa_system_vgpr_workitem_id 0
		.amdhsa_next_free_vgpr 1
		.amdhsa_next_free_sgpr 1
		.amdhsa_reserve_vcc 0
		.amdhsa_float_round_mode_32 0
		.amdhsa_float_round_mode_16_64 0
		.amdhsa_float_denorm_mode_32 3
		.amdhsa_float_denorm_mode_16_64 3
		.amdhsa_fp16_overflow 0
		.amdhsa_workgroup_processor_mode 1
		.amdhsa_memory_ordered 1
		.amdhsa_forward_progress 1
		.amdhsa_inst_pref_size 0
		.amdhsa_round_robin_scheduling 0
		.amdhsa_exception_fp_ieee_invalid_op 0
		.amdhsa_exception_fp_denorm_src 0
		.amdhsa_exception_fp_ieee_div_zero 0
		.amdhsa_exception_fp_ieee_overflow 0
		.amdhsa_exception_fp_ieee_underflow 0
		.amdhsa_exception_fp_ieee_inexact 0
		.amdhsa_exception_int_div_zero 0
	.end_amdhsa_kernel
	.section	.text._ZN7rocprim17ROCPRIM_400000_NS6detail17trampoline_kernelINS0_14default_configENS1_22reduce_config_selectorIbEEZNS1_11reduce_implILb1ES3_N6hipcub16HIPCUB_304000_NS22TransformInputIteratorIbN2at6native12_GLOBAL__N_19NonZeroOpIhEEPKhlEEPiiNS8_6detail34convert_binary_result_type_wrapperINS8_3SumESH_iEEEE10hipError_tPvRmT1_T2_T3_mT4_P12ihipStream_tbEUlT_E1_NS1_11comp_targetILNS1_3genE0ELNS1_11target_archE4294967295ELNS1_3gpuE0ELNS1_3repE0EEENS1_30default_config_static_selectorELNS0_4arch9wavefront6targetE0EEEvSQ_,"axG",@progbits,_ZN7rocprim17ROCPRIM_400000_NS6detail17trampoline_kernelINS0_14default_configENS1_22reduce_config_selectorIbEEZNS1_11reduce_implILb1ES3_N6hipcub16HIPCUB_304000_NS22TransformInputIteratorIbN2at6native12_GLOBAL__N_19NonZeroOpIhEEPKhlEEPiiNS8_6detail34convert_binary_result_type_wrapperINS8_3SumESH_iEEEE10hipError_tPvRmT1_T2_T3_mT4_P12ihipStream_tbEUlT_E1_NS1_11comp_targetILNS1_3genE0ELNS1_11target_archE4294967295ELNS1_3gpuE0ELNS1_3repE0EEENS1_30default_config_static_selectorELNS0_4arch9wavefront6targetE0EEEvSQ_,comdat
.Lfunc_end28:
	.size	_ZN7rocprim17ROCPRIM_400000_NS6detail17trampoline_kernelINS0_14default_configENS1_22reduce_config_selectorIbEEZNS1_11reduce_implILb1ES3_N6hipcub16HIPCUB_304000_NS22TransformInputIteratorIbN2at6native12_GLOBAL__N_19NonZeroOpIhEEPKhlEEPiiNS8_6detail34convert_binary_result_type_wrapperINS8_3SumESH_iEEEE10hipError_tPvRmT1_T2_T3_mT4_P12ihipStream_tbEUlT_E1_NS1_11comp_targetILNS1_3genE0ELNS1_11target_archE4294967295ELNS1_3gpuE0ELNS1_3repE0EEENS1_30default_config_static_selectorELNS0_4arch9wavefront6targetE0EEEvSQ_, .Lfunc_end28-_ZN7rocprim17ROCPRIM_400000_NS6detail17trampoline_kernelINS0_14default_configENS1_22reduce_config_selectorIbEEZNS1_11reduce_implILb1ES3_N6hipcub16HIPCUB_304000_NS22TransformInputIteratorIbN2at6native12_GLOBAL__N_19NonZeroOpIhEEPKhlEEPiiNS8_6detail34convert_binary_result_type_wrapperINS8_3SumESH_iEEEE10hipError_tPvRmT1_T2_T3_mT4_P12ihipStream_tbEUlT_E1_NS1_11comp_targetILNS1_3genE0ELNS1_11target_archE4294967295ELNS1_3gpuE0ELNS1_3repE0EEENS1_30default_config_static_selectorELNS0_4arch9wavefront6targetE0EEEvSQ_
                                        ; -- End function
	.set _ZN7rocprim17ROCPRIM_400000_NS6detail17trampoline_kernelINS0_14default_configENS1_22reduce_config_selectorIbEEZNS1_11reduce_implILb1ES3_N6hipcub16HIPCUB_304000_NS22TransformInputIteratorIbN2at6native12_GLOBAL__N_19NonZeroOpIhEEPKhlEEPiiNS8_6detail34convert_binary_result_type_wrapperINS8_3SumESH_iEEEE10hipError_tPvRmT1_T2_T3_mT4_P12ihipStream_tbEUlT_E1_NS1_11comp_targetILNS1_3genE0ELNS1_11target_archE4294967295ELNS1_3gpuE0ELNS1_3repE0EEENS1_30default_config_static_selectorELNS0_4arch9wavefront6targetE0EEEvSQ_.num_vgpr, 0
	.set _ZN7rocprim17ROCPRIM_400000_NS6detail17trampoline_kernelINS0_14default_configENS1_22reduce_config_selectorIbEEZNS1_11reduce_implILb1ES3_N6hipcub16HIPCUB_304000_NS22TransformInputIteratorIbN2at6native12_GLOBAL__N_19NonZeroOpIhEEPKhlEEPiiNS8_6detail34convert_binary_result_type_wrapperINS8_3SumESH_iEEEE10hipError_tPvRmT1_T2_T3_mT4_P12ihipStream_tbEUlT_E1_NS1_11comp_targetILNS1_3genE0ELNS1_11target_archE4294967295ELNS1_3gpuE0ELNS1_3repE0EEENS1_30default_config_static_selectorELNS0_4arch9wavefront6targetE0EEEvSQ_.num_agpr, 0
	.set _ZN7rocprim17ROCPRIM_400000_NS6detail17trampoline_kernelINS0_14default_configENS1_22reduce_config_selectorIbEEZNS1_11reduce_implILb1ES3_N6hipcub16HIPCUB_304000_NS22TransformInputIteratorIbN2at6native12_GLOBAL__N_19NonZeroOpIhEEPKhlEEPiiNS8_6detail34convert_binary_result_type_wrapperINS8_3SumESH_iEEEE10hipError_tPvRmT1_T2_T3_mT4_P12ihipStream_tbEUlT_E1_NS1_11comp_targetILNS1_3genE0ELNS1_11target_archE4294967295ELNS1_3gpuE0ELNS1_3repE0EEENS1_30default_config_static_selectorELNS0_4arch9wavefront6targetE0EEEvSQ_.numbered_sgpr, 0
	.set _ZN7rocprim17ROCPRIM_400000_NS6detail17trampoline_kernelINS0_14default_configENS1_22reduce_config_selectorIbEEZNS1_11reduce_implILb1ES3_N6hipcub16HIPCUB_304000_NS22TransformInputIteratorIbN2at6native12_GLOBAL__N_19NonZeroOpIhEEPKhlEEPiiNS8_6detail34convert_binary_result_type_wrapperINS8_3SumESH_iEEEE10hipError_tPvRmT1_T2_T3_mT4_P12ihipStream_tbEUlT_E1_NS1_11comp_targetILNS1_3genE0ELNS1_11target_archE4294967295ELNS1_3gpuE0ELNS1_3repE0EEENS1_30default_config_static_selectorELNS0_4arch9wavefront6targetE0EEEvSQ_.num_named_barrier, 0
	.set _ZN7rocprim17ROCPRIM_400000_NS6detail17trampoline_kernelINS0_14default_configENS1_22reduce_config_selectorIbEEZNS1_11reduce_implILb1ES3_N6hipcub16HIPCUB_304000_NS22TransformInputIteratorIbN2at6native12_GLOBAL__N_19NonZeroOpIhEEPKhlEEPiiNS8_6detail34convert_binary_result_type_wrapperINS8_3SumESH_iEEEE10hipError_tPvRmT1_T2_T3_mT4_P12ihipStream_tbEUlT_E1_NS1_11comp_targetILNS1_3genE0ELNS1_11target_archE4294967295ELNS1_3gpuE0ELNS1_3repE0EEENS1_30default_config_static_selectorELNS0_4arch9wavefront6targetE0EEEvSQ_.private_seg_size, 0
	.set _ZN7rocprim17ROCPRIM_400000_NS6detail17trampoline_kernelINS0_14default_configENS1_22reduce_config_selectorIbEEZNS1_11reduce_implILb1ES3_N6hipcub16HIPCUB_304000_NS22TransformInputIteratorIbN2at6native12_GLOBAL__N_19NonZeroOpIhEEPKhlEEPiiNS8_6detail34convert_binary_result_type_wrapperINS8_3SumESH_iEEEE10hipError_tPvRmT1_T2_T3_mT4_P12ihipStream_tbEUlT_E1_NS1_11comp_targetILNS1_3genE0ELNS1_11target_archE4294967295ELNS1_3gpuE0ELNS1_3repE0EEENS1_30default_config_static_selectorELNS0_4arch9wavefront6targetE0EEEvSQ_.uses_vcc, 0
	.set _ZN7rocprim17ROCPRIM_400000_NS6detail17trampoline_kernelINS0_14default_configENS1_22reduce_config_selectorIbEEZNS1_11reduce_implILb1ES3_N6hipcub16HIPCUB_304000_NS22TransformInputIteratorIbN2at6native12_GLOBAL__N_19NonZeroOpIhEEPKhlEEPiiNS8_6detail34convert_binary_result_type_wrapperINS8_3SumESH_iEEEE10hipError_tPvRmT1_T2_T3_mT4_P12ihipStream_tbEUlT_E1_NS1_11comp_targetILNS1_3genE0ELNS1_11target_archE4294967295ELNS1_3gpuE0ELNS1_3repE0EEENS1_30default_config_static_selectorELNS0_4arch9wavefront6targetE0EEEvSQ_.uses_flat_scratch, 0
	.set _ZN7rocprim17ROCPRIM_400000_NS6detail17trampoline_kernelINS0_14default_configENS1_22reduce_config_selectorIbEEZNS1_11reduce_implILb1ES3_N6hipcub16HIPCUB_304000_NS22TransformInputIteratorIbN2at6native12_GLOBAL__N_19NonZeroOpIhEEPKhlEEPiiNS8_6detail34convert_binary_result_type_wrapperINS8_3SumESH_iEEEE10hipError_tPvRmT1_T2_T3_mT4_P12ihipStream_tbEUlT_E1_NS1_11comp_targetILNS1_3genE0ELNS1_11target_archE4294967295ELNS1_3gpuE0ELNS1_3repE0EEENS1_30default_config_static_selectorELNS0_4arch9wavefront6targetE0EEEvSQ_.has_dyn_sized_stack, 0
	.set _ZN7rocprim17ROCPRIM_400000_NS6detail17trampoline_kernelINS0_14default_configENS1_22reduce_config_selectorIbEEZNS1_11reduce_implILb1ES3_N6hipcub16HIPCUB_304000_NS22TransformInputIteratorIbN2at6native12_GLOBAL__N_19NonZeroOpIhEEPKhlEEPiiNS8_6detail34convert_binary_result_type_wrapperINS8_3SumESH_iEEEE10hipError_tPvRmT1_T2_T3_mT4_P12ihipStream_tbEUlT_E1_NS1_11comp_targetILNS1_3genE0ELNS1_11target_archE4294967295ELNS1_3gpuE0ELNS1_3repE0EEENS1_30default_config_static_selectorELNS0_4arch9wavefront6targetE0EEEvSQ_.has_recursion, 0
	.set _ZN7rocprim17ROCPRIM_400000_NS6detail17trampoline_kernelINS0_14default_configENS1_22reduce_config_selectorIbEEZNS1_11reduce_implILb1ES3_N6hipcub16HIPCUB_304000_NS22TransformInputIteratorIbN2at6native12_GLOBAL__N_19NonZeroOpIhEEPKhlEEPiiNS8_6detail34convert_binary_result_type_wrapperINS8_3SumESH_iEEEE10hipError_tPvRmT1_T2_T3_mT4_P12ihipStream_tbEUlT_E1_NS1_11comp_targetILNS1_3genE0ELNS1_11target_archE4294967295ELNS1_3gpuE0ELNS1_3repE0EEENS1_30default_config_static_selectorELNS0_4arch9wavefront6targetE0EEEvSQ_.has_indirect_call, 0
	.section	.AMDGPU.csdata,"",@progbits
; Kernel info:
; codeLenInByte = 0
; TotalNumSgprs: 0
; NumVgprs: 0
; ScratchSize: 0
; MemoryBound: 0
; FloatMode: 240
; IeeeMode: 1
; LDSByteSize: 0 bytes/workgroup (compile time only)
; SGPRBlocks: 0
; VGPRBlocks: 0
; NumSGPRsForWavesPerEU: 1
; NumVGPRsForWavesPerEU: 1
; Occupancy: 16
; WaveLimiterHint : 0
; COMPUTE_PGM_RSRC2:SCRATCH_EN: 0
; COMPUTE_PGM_RSRC2:USER_SGPR: 2
; COMPUTE_PGM_RSRC2:TRAP_HANDLER: 0
; COMPUTE_PGM_RSRC2:TGID_X_EN: 1
; COMPUTE_PGM_RSRC2:TGID_Y_EN: 0
; COMPUTE_PGM_RSRC2:TGID_Z_EN: 0
; COMPUTE_PGM_RSRC2:TIDIG_COMP_CNT: 0
	.section	.text._ZN7rocprim17ROCPRIM_400000_NS6detail17trampoline_kernelINS0_14default_configENS1_22reduce_config_selectorIbEEZNS1_11reduce_implILb1ES3_N6hipcub16HIPCUB_304000_NS22TransformInputIteratorIbN2at6native12_GLOBAL__N_19NonZeroOpIhEEPKhlEEPiiNS8_6detail34convert_binary_result_type_wrapperINS8_3SumESH_iEEEE10hipError_tPvRmT1_T2_T3_mT4_P12ihipStream_tbEUlT_E1_NS1_11comp_targetILNS1_3genE5ELNS1_11target_archE942ELNS1_3gpuE9ELNS1_3repE0EEENS1_30default_config_static_selectorELNS0_4arch9wavefront6targetE0EEEvSQ_,"axG",@progbits,_ZN7rocprim17ROCPRIM_400000_NS6detail17trampoline_kernelINS0_14default_configENS1_22reduce_config_selectorIbEEZNS1_11reduce_implILb1ES3_N6hipcub16HIPCUB_304000_NS22TransformInputIteratorIbN2at6native12_GLOBAL__N_19NonZeroOpIhEEPKhlEEPiiNS8_6detail34convert_binary_result_type_wrapperINS8_3SumESH_iEEEE10hipError_tPvRmT1_T2_T3_mT4_P12ihipStream_tbEUlT_E1_NS1_11comp_targetILNS1_3genE5ELNS1_11target_archE942ELNS1_3gpuE9ELNS1_3repE0EEENS1_30default_config_static_selectorELNS0_4arch9wavefront6targetE0EEEvSQ_,comdat
	.globl	_ZN7rocprim17ROCPRIM_400000_NS6detail17trampoline_kernelINS0_14default_configENS1_22reduce_config_selectorIbEEZNS1_11reduce_implILb1ES3_N6hipcub16HIPCUB_304000_NS22TransformInputIteratorIbN2at6native12_GLOBAL__N_19NonZeroOpIhEEPKhlEEPiiNS8_6detail34convert_binary_result_type_wrapperINS8_3SumESH_iEEEE10hipError_tPvRmT1_T2_T3_mT4_P12ihipStream_tbEUlT_E1_NS1_11comp_targetILNS1_3genE5ELNS1_11target_archE942ELNS1_3gpuE9ELNS1_3repE0EEENS1_30default_config_static_selectorELNS0_4arch9wavefront6targetE0EEEvSQ_ ; -- Begin function _ZN7rocprim17ROCPRIM_400000_NS6detail17trampoline_kernelINS0_14default_configENS1_22reduce_config_selectorIbEEZNS1_11reduce_implILb1ES3_N6hipcub16HIPCUB_304000_NS22TransformInputIteratorIbN2at6native12_GLOBAL__N_19NonZeroOpIhEEPKhlEEPiiNS8_6detail34convert_binary_result_type_wrapperINS8_3SumESH_iEEEE10hipError_tPvRmT1_T2_T3_mT4_P12ihipStream_tbEUlT_E1_NS1_11comp_targetILNS1_3genE5ELNS1_11target_archE942ELNS1_3gpuE9ELNS1_3repE0EEENS1_30default_config_static_selectorELNS0_4arch9wavefront6targetE0EEEvSQ_
	.p2align	8
	.type	_ZN7rocprim17ROCPRIM_400000_NS6detail17trampoline_kernelINS0_14default_configENS1_22reduce_config_selectorIbEEZNS1_11reduce_implILb1ES3_N6hipcub16HIPCUB_304000_NS22TransformInputIteratorIbN2at6native12_GLOBAL__N_19NonZeroOpIhEEPKhlEEPiiNS8_6detail34convert_binary_result_type_wrapperINS8_3SumESH_iEEEE10hipError_tPvRmT1_T2_T3_mT4_P12ihipStream_tbEUlT_E1_NS1_11comp_targetILNS1_3genE5ELNS1_11target_archE942ELNS1_3gpuE9ELNS1_3repE0EEENS1_30default_config_static_selectorELNS0_4arch9wavefront6targetE0EEEvSQ_,@function
_ZN7rocprim17ROCPRIM_400000_NS6detail17trampoline_kernelINS0_14default_configENS1_22reduce_config_selectorIbEEZNS1_11reduce_implILb1ES3_N6hipcub16HIPCUB_304000_NS22TransformInputIteratorIbN2at6native12_GLOBAL__N_19NonZeroOpIhEEPKhlEEPiiNS8_6detail34convert_binary_result_type_wrapperINS8_3SumESH_iEEEE10hipError_tPvRmT1_T2_T3_mT4_P12ihipStream_tbEUlT_E1_NS1_11comp_targetILNS1_3genE5ELNS1_11target_archE942ELNS1_3gpuE9ELNS1_3repE0EEENS1_30default_config_static_selectorELNS0_4arch9wavefront6targetE0EEEvSQ_: ; @_ZN7rocprim17ROCPRIM_400000_NS6detail17trampoline_kernelINS0_14default_configENS1_22reduce_config_selectorIbEEZNS1_11reduce_implILb1ES3_N6hipcub16HIPCUB_304000_NS22TransformInputIteratorIbN2at6native12_GLOBAL__N_19NonZeroOpIhEEPKhlEEPiiNS8_6detail34convert_binary_result_type_wrapperINS8_3SumESH_iEEEE10hipError_tPvRmT1_T2_T3_mT4_P12ihipStream_tbEUlT_E1_NS1_11comp_targetILNS1_3genE5ELNS1_11target_archE942ELNS1_3gpuE9ELNS1_3repE0EEENS1_30default_config_static_selectorELNS0_4arch9wavefront6targetE0EEEvSQ_
; %bb.0:
	.section	.rodata,"a",@progbits
	.p2align	6, 0x0
	.amdhsa_kernel _ZN7rocprim17ROCPRIM_400000_NS6detail17trampoline_kernelINS0_14default_configENS1_22reduce_config_selectorIbEEZNS1_11reduce_implILb1ES3_N6hipcub16HIPCUB_304000_NS22TransformInputIteratorIbN2at6native12_GLOBAL__N_19NonZeroOpIhEEPKhlEEPiiNS8_6detail34convert_binary_result_type_wrapperINS8_3SumESH_iEEEE10hipError_tPvRmT1_T2_T3_mT4_P12ihipStream_tbEUlT_E1_NS1_11comp_targetILNS1_3genE5ELNS1_11target_archE942ELNS1_3gpuE9ELNS1_3repE0EEENS1_30default_config_static_selectorELNS0_4arch9wavefront6targetE0EEEvSQ_
		.amdhsa_group_segment_fixed_size 0
		.amdhsa_private_segment_fixed_size 0
		.amdhsa_kernarg_size 48
		.amdhsa_user_sgpr_count 2
		.amdhsa_user_sgpr_dispatch_ptr 0
		.amdhsa_user_sgpr_queue_ptr 0
		.amdhsa_user_sgpr_kernarg_segment_ptr 1
		.amdhsa_user_sgpr_dispatch_id 0
		.amdhsa_user_sgpr_private_segment_size 0
		.amdhsa_wavefront_size32 1
		.amdhsa_uses_dynamic_stack 0
		.amdhsa_enable_private_segment 0
		.amdhsa_system_sgpr_workgroup_id_x 1
		.amdhsa_system_sgpr_workgroup_id_y 0
		.amdhsa_system_sgpr_workgroup_id_z 0
		.amdhsa_system_sgpr_workgroup_info 0
		.amdhsa_system_vgpr_workitem_id 0
		.amdhsa_next_free_vgpr 1
		.amdhsa_next_free_sgpr 1
		.amdhsa_reserve_vcc 0
		.amdhsa_float_round_mode_32 0
		.amdhsa_float_round_mode_16_64 0
		.amdhsa_float_denorm_mode_32 3
		.amdhsa_float_denorm_mode_16_64 3
		.amdhsa_fp16_overflow 0
		.amdhsa_workgroup_processor_mode 1
		.amdhsa_memory_ordered 1
		.amdhsa_forward_progress 1
		.amdhsa_inst_pref_size 0
		.amdhsa_round_robin_scheduling 0
		.amdhsa_exception_fp_ieee_invalid_op 0
		.amdhsa_exception_fp_denorm_src 0
		.amdhsa_exception_fp_ieee_div_zero 0
		.amdhsa_exception_fp_ieee_overflow 0
		.amdhsa_exception_fp_ieee_underflow 0
		.amdhsa_exception_fp_ieee_inexact 0
		.amdhsa_exception_int_div_zero 0
	.end_amdhsa_kernel
	.section	.text._ZN7rocprim17ROCPRIM_400000_NS6detail17trampoline_kernelINS0_14default_configENS1_22reduce_config_selectorIbEEZNS1_11reduce_implILb1ES3_N6hipcub16HIPCUB_304000_NS22TransformInputIteratorIbN2at6native12_GLOBAL__N_19NonZeroOpIhEEPKhlEEPiiNS8_6detail34convert_binary_result_type_wrapperINS8_3SumESH_iEEEE10hipError_tPvRmT1_T2_T3_mT4_P12ihipStream_tbEUlT_E1_NS1_11comp_targetILNS1_3genE5ELNS1_11target_archE942ELNS1_3gpuE9ELNS1_3repE0EEENS1_30default_config_static_selectorELNS0_4arch9wavefront6targetE0EEEvSQ_,"axG",@progbits,_ZN7rocprim17ROCPRIM_400000_NS6detail17trampoline_kernelINS0_14default_configENS1_22reduce_config_selectorIbEEZNS1_11reduce_implILb1ES3_N6hipcub16HIPCUB_304000_NS22TransformInputIteratorIbN2at6native12_GLOBAL__N_19NonZeroOpIhEEPKhlEEPiiNS8_6detail34convert_binary_result_type_wrapperINS8_3SumESH_iEEEE10hipError_tPvRmT1_T2_T3_mT4_P12ihipStream_tbEUlT_E1_NS1_11comp_targetILNS1_3genE5ELNS1_11target_archE942ELNS1_3gpuE9ELNS1_3repE0EEENS1_30default_config_static_selectorELNS0_4arch9wavefront6targetE0EEEvSQ_,comdat
.Lfunc_end29:
	.size	_ZN7rocprim17ROCPRIM_400000_NS6detail17trampoline_kernelINS0_14default_configENS1_22reduce_config_selectorIbEEZNS1_11reduce_implILb1ES3_N6hipcub16HIPCUB_304000_NS22TransformInputIteratorIbN2at6native12_GLOBAL__N_19NonZeroOpIhEEPKhlEEPiiNS8_6detail34convert_binary_result_type_wrapperINS8_3SumESH_iEEEE10hipError_tPvRmT1_T2_T3_mT4_P12ihipStream_tbEUlT_E1_NS1_11comp_targetILNS1_3genE5ELNS1_11target_archE942ELNS1_3gpuE9ELNS1_3repE0EEENS1_30default_config_static_selectorELNS0_4arch9wavefront6targetE0EEEvSQ_, .Lfunc_end29-_ZN7rocprim17ROCPRIM_400000_NS6detail17trampoline_kernelINS0_14default_configENS1_22reduce_config_selectorIbEEZNS1_11reduce_implILb1ES3_N6hipcub16HIPCUB_304000_NS22TransformInputIteratorIbN2at6native12_GLOBAL__N_19NonZeroOpIhEEPKhlEEPiiNS8_6detail34convert_binary_result_type_wrapperINS8_3SumESH_iEEEE10hipError_tPvRmT1_T2_T3_mT4_P12ihipStream_tbEUlT_E1_NS1_11comp_targetILNS1_3genE5ELNS1_11target_archE942ELNS1_3gpuE9ELNS1_3repE0EEENS1_30default_config_static_selectorELNS0_4arch9wavefront6targetE0EEEvSQ_
                                        ; -- End function
	.set _ZN7rocprim17ROCPRIM_400000_NS6detail17trampoline_kernelINS0_14default_configENS1_22reduce_config_selectorIbEEZNS1_11reduce_implILb1ES3_N6hipcub16HIPCUB_304000_NS22TransformInputIteratorIbN2at6native12_GLOBAL__N_19NonZeroOpIhEEPKhlEEPiiNS8_6detail34convert_binary_result_type_wrapperINS8_3SumESH_iEEEE10hipError_tPvRmT1_T2_T3_mT4_P12ihipStream_tbEUlT_E1_NS1_11comp_targetILNS1_3genE5ELNS1_11target_archE942ELNS1_3gpuE9ELNS1_3repE0EEENS1_30default_config_static_selectorELNS0_4arch9wavefront6targetE0EEEvSQ_.num_vgpr, 0
	.set _ZN7rocprim17ROCPRIM_400000_NS6detail17trampoline_kernelINS0_14default_configENS1_22reduce_config_selectorIbEEZNS1_11reduce_implILb1ES3_N6hipcub16HIPCUB_304000_NS22TransformInputIteratorIbN2at6native12_GLOBAL__N_19NonZeroOpIhEEPKhlEEPiiNS8_6detail34convert_binary_result_type_wrapperINS8_3SumESH_iEEEE10hipError_tPvRmT1_T2_T3_mT4_P12ihipStream_tbEUlT_E1_NS1_11comp_targetILNS1_3genE5ELNS1_11target_archE942ELNS1_3gpuE9ELNS1_3repE0EEENS1_30default_config_static_selectorELNS0_4arch9wavefront6targetE0EEEvSQ_.num_agpr, 0
	.set _ZN7rocprim17ROCPRIM_400000_NS6detail17trampoline_kernelINS0_14default_configENS1_22reduce_config_selectorIbEEZNS1_11reduce_implILb1ES3_N6hipcub16HIPCUB_304000_NS22TransformInputIteratorIbN2at6native12_GLOBAL__N_19NonZeroOpIhEEPKhlEEPiiNS8_6detail34convert_binary_result_type_wrapperINS8_3SumESH_iEEEE10hipError_tPvRmT1_T2_T3_mT4_P12ihipStream_tbEUlT_E1_NS1_11comp_targetILNS1_3genE5ELNS1_11target_archE942ELNS1_3gpuE9ELNS1_3repE0EEENS1_30default_config_static_selectorELNS0_4arch9wavefront6targetE0EEEvSQ_.numbered_sgpr, 0
	.set _ZN7rocprim17ROCPRIM_400000_NS6detail17trampoline_kernelINS0_14default_configENS1_22reduce_config_selectorIbEEZNS1_11reduce_implILb1ES3_N6hipcub16HIPCUB_304000_NS22TransformInputIteratorIbN2at6native12_GLOBAL__N_19NonZeroOpIhEEPKhlEEPiiNS8_6detail34convert_binary_result_type_wrapperINS8_3SumESH_iEEEE10hipError_tPvRmT1_T2_T3_mT4_P12ihipStream_tbEUlT_E1_NS1_11comp_targetILNS1_3genE5ELNS1_11target_archE942ELNS1_3gpuE9ELNS1_3repE0EEENS1_30default_config_static_selectorELNS0_4arch9wavefront6targetE0EEEvSQ_.num_named_barrier, 0
	.set _ZN7rocprim17ROCPRIM_400000_NS6detail17trampoline_kernelINS0_14default_configENS1_22reduce_config_selectorIbEEZNS1_11reduce_implILb1ES3_N6hipcub16HIPCUB_304000_NS22TransformInputIteratorIbN2at6native12_GLOBAL__N_19NonZeroOpIhEEPKhlEEPiiNS8_6detail34convert_binary_result_type_wrapperINS8_3SumESH_iEEEE10hipError_tPvRmT1_T2_T3_mT4_P12ihipStream_tbEUlT_E1_NS1_11comp_targetILNS1_3genE5ELNS1_11target_archE942ELNS1_3gpuE9ELNS1_3repE0EEENS1_30default_config_static_selectorELNS0_4arch9wavefront6targetE0EEEvSQ_.private_seg_size, 0
	.set _ZN7rocprim17ROCPRIM_400000_NS6detail17trampoline_kernelINS0_14default_configENS1_22reduce_config_selectorIbEEZNS1_11reduce_implILb1ES3_N6hipcub16HIPCUB_304000_NS22TransformInputIteratorIbN2at6native12_GLOBAL__N_19NonZeroOpIhEEPKhlEEPiiNS8_6detail34convert_binary_result_type_wrapperINS8_3SumESH_iEEEE10hipError_tPvRmT1_T2_T3_mT4_P12ihipStream_tbEUlT_E1_NS1_11comp_targetILNS1_3genE5ELNS1_11target_archE942ELNS1_3gpuE9ELNS1_3repE0EEENS1_30default_config_static_selectorELNS0_4arch9wavefront6targetE0EEEvSQ_.uses_vcc, 0
	.set _ZN7rocprim17ROCPRIM_400000_NS6detail17trampoline_kernelINS0_14default_configENS1_22reduce_config_selectorIbEEZNS1_11reduce_implILb1ES3_N6hipcub16HIPCUB_304000_NS22TransformInputIteratorIbN2at6native12_GLOBAL__N_19NonZeroOpIhEEPKhlEEPiiNS8_6detail34convert_binary_result_type_wrapperINS8_3SumESH_iEEEE10hipError_tPvRmT1_T2_T3_mT4_P12ihipStream_tbEUlT_E1_NS1_11comp_targetILNS1_3genE5ELNS1_11target_archE942ELNS1_3gpuE9ELNS1_3repE0EEENS1_30default_config_static_selectorELNS0_4arch9wavefront6targetE0EEEvSQ_.uses_flat_scratch, 0
	.set _ZN7rocprim17ROCPRIM_400000_NS6detail17trampoline_kernelINS0_14default_configENS1_22reduce_config_selectorIbEEZNS1_11reduce_implILb1ES3_N6hipcub16HIPCUB_304000_NS22TransformInputIteratorIbN2at6native12_GLOBAL__N_19NonZeroOpIhEEPKhlEEPiiNS8_6detail34convert_binary_result_type_wrapperINS8_3SumESH_iEEEE10hipError_tPvRmT1_T2_T3_mT4_P12ihipStream_tbEUlT_E1_NS1_11comp_targetILNS1_3genE5ELNS1_11target_archE942ELNS1_3gpuE9ELNS1_3repE0EEENS1_30default_config_static_selectorELNS0_4arch9wavefront6targetE0EEEvSQ_.has_dyn_sized_stack, 0
	.set _ZN7rocprim17ROCPRIM_400000_NS6detail17trampoline_kernelINS0_14default_configENS1_22reduce_config_selectorIbEEZNS1_11reduce_implILb1ES3_N6hipcub16HIPCUB_304000_NS22TransformInputIteratorIbN2at6native12_GLOBAL__N_19NonZeroOpIhEEPKhlEEPiiNS8_6detail34convert_binary_result_type_wrapperINS8_3SumESH_iEEEE10hipError_tPvRmT1_T2_T3_mT4_P12ihipStream_tbEUlT_E1_NS1_11comp_targetILNS1_3genE5ELNS1_11target_archE942ELNS1_3gpuE9ELNS1_3repE0EEENS1_30default_config_static_selectorELNS0_4arch9wavefront6targetE0EEEvSQ_.has_recursion, 0
	.set _ZN7rocprim17ROCPRIM_400000_NS6detail17trampoline_kernelINS0_14default_configENS1_22reduce_config_selectorIbEEZNS1_11reduce_implILb1ES3_N6hipcub16HIPCUB_304000_NS22TransformInputIteratorIbN2at6native12_GLOBAL__N_19NonZeroOpIhEEPKhlEEPiiNS8_6detail34convert_binary_result_type_wrapperINS8_3SumESH_iEEEE10hipError_tPvRmT1_T2_T3_mT4_P12ihipStream_tbEUlT_E1_NS1_11comp_targetILNS1_3genE5ELNS1_11target_archE942ELNS1_3gpuE9ELNS1_3repE0EEENS1_30default_config_static_selectorELNS0_4arch9wavefront6targetE0EEEvSQ_.has_indirect_call, 0
	.section	.AMDGPU.csdata,"",@progbits
; Kernel info:
; codeLenInByte = 0
; TotalNumSgprs: 0
; NumVgprs: 0
; ScratchSize: 0
; MemoryBound: 0
; FloatMode: 240
; IeeeMode: 1
; LDSByteSize: 0 bytes/workgroup (compile time only)
; SGPRBlocks: 0
; VGPRBlocks: 0
; NumSGPRsForWavesPerEU: 1
; NumVGPRsForWavesPerEU: 1
; Occupancy: 16
; WaveLimiterHint : 0
; COMPUTE_PGM_RSRC2:SCRATCH_EN: 0
; COMPUTE_PGM_RSRC2:USER_SGPR: 2
; COMPUTE_PGM_RSRC2:TRAP_HANDLER: 0
; COMPUTE_PGM_RSRC2:TGID_X_EN: 1
; COMPUTE_PGM_RSRC2:TGID_Y_EN: 0
; COMPUTE_PGM_RSRC2:TGID_Z_EN: 0
; COMPUTE_PGM_RSRC2:TIDIG_COMP_CNT: 0
	.section	.text._ZN7rocprim17ROCPRIM_400000_NS6detail17trampoline_kernelINS0_14default_configENS1_22reduce_config_selectorIbEEZNS1_11reduce_implILb1ES3_N6hipcub16HIPCUB_304000_NS22TransformInputIteratorIbN2at6native12_GLOBAL__N_19NonZeroOpIhEEPKhlEEPiiNS8_6detail34convert_binary_result_type_wrapperINS8_3SumESH_iEEEE10hipError_tPvRmT1_T2_T3_mT4_P12ihipStream_tbEUlT_E1_NS1_11comp_targetILNS1_3genE4ELNS1_11target_archE910ELNS1_3gpuE8ELNS1_3repE0EEENS1_30default_config_static_selectorELNS0_4arch9wavefront6targetE0EEEvSQ_,"axG",@progbits,_ZN7rocprim17ROCPRIM_400000_NS6detail17trampoline_kernelINS0_14default_configENS1_22reduce_config_selectorIbEEZNS1_11reduce_implILb1ES3_N6hipcub16HIPCUB_304000_NS22TransformInputIteratorIbN2at6native12_GLOBAL__N_19NonZeroOpIhEEPKhlEEPiiNS8_6detail34convert_binary_result_type_wrapperINS8_3SumESH_iEEEE10hipError_tPvRmT1_T2_T3_mT4_P12ihipStream_tbEUlT_E1_NS1_11comp_targetILNS1_3genE4ELNS1_11target_archE910ELNS1_3gpuE8ELNS1_3repE0EEENS1_30default_config_static_selectorELNS0_4arch9wavefront6targetE0EEEvSQ_,comdat
	.globl	_ZN7rocprim17ROCPRIM_400000_NS6detail17trampoline_kernelINS0_14default_configENS1_22reduce_config_selectorIbEEZNS1_11reduce_implILb1ES3_N6hipcub16HIPCUB_304000_NS22TransformInputIteratorIbN2at6native12_GLOBAL__N_19NonZeroOpIhEEPKhlEEPiiNS8_6detail34convert_binary_result_type_wrapperINS8_3SumESH_iEEEE10hipError_tPvRmT1_T2_T3_mT4_P12ihipStream_tbEUlT_E1_NS1_11comp_targetILNS1_3genE4ELNS1_11target_archE910ELNS1_3gpuE8ELNS1_3repE0EEENS1_30default_config_static_selectorELNS0_4arch9wavefront6targetE0EEEvSQ_ ; -- Begin function _ZN7rocprim17ROCPRIM_400000_NS6detail17trampoline_kernelINS0_14default_configENS1_22reduce_config_selectorIbEEZNS1_11reduce_implILb1ES3_N6hipcub16HIPCUB_304000_NS22TransformInputIteratorIbN2at6native12_GLOBAL__N_19NonZeroOpIhEEPKhlEEPiiNS8_6detail34convert_binary_result_type_wrapperINS8_3SumESH_iEEEE10hipError_tPvRmT1_T2_T3_mT4_P12ihipStream_tbEUlT_E1_NS1_11comp_targetILNS1_3genE4ELNS1_11target_archE910ELNS1_3gpuE8ELNS1_3repE0EEENS1_30default_config_static_selectorELNS0_4arch9wavefront6targetE0EEEvSQ_
	.p2align	8
	.type	_ZN7rocprim17ROCPRIM_400000_NS6detail17trampoline_kernelINS0_14default_configENS1_22reduce_config_selectorIbEEZNS1_11reduce_implILb1ES3_N6hipcub16HIPCUB_304000_NS22TransformInputIteratorIbN2at6native12_GLOBAL__N_19NonZeroOpIhEEPKhlEEPiiNS8_6detail34convert_binary_result_type_wrapperINS8_3SumESH_iEEEE10hipError_tPvRmT1_T2_T3_mT4_P12ihipStream_tbEUlT_E1_NS1_11comp_targetILNS1_3genE4ELNS1_11target_archE910ELNS1_3gpuE8ELNS1_3repE0EEENS1_30default_config_static_selectorELNS0_4arch9wavefront6targetE0EEEvSQ_,@function
_ZN7rocprim17ROCPRIM_400000_NS6detail17trampoline_kernelINS0_14default_configENS1_22reduce_config_selectorIbEEZNS1_11reduce_implILb1ES3_N6hipcub16HIPCUB_304000_NS22TransformInputIteratorIbN2at6native12_GLOBAL__N_19NonZeroOpIhEEPKhlEEPiiNS8_6detail34convert_binary_result_type_wrapperINS8_3SumESH_iEEEE10hipError_tPvRmT1_T2_T3_mT4_P12ihipStream_tbEUlT_E1_NS1_11comp_targetILNS1_3genE4ELNS1_11target_archE910ELNS1_3gpuE8ELNS1_3repE0EEENS1_30default_config_static_selectorELNS0_4arch9wavefront6targetE0EEEvSQ_: ; @_ZN7rocprim17ROCPRIM_400000_NS6detail17trampoline_kernelINS0_14default_configENS1_22reduce_config_selectorIbEEZNS1_11reduce_implILb1ES3_N6hipcub16HIPCUB_304000_NS22TransformInputIteratorIbN2at6native12_GLOBAL__N_19NonZeroOpIhEEPKhlEEPiiNS8_6detail34convert_binary_result_type_wrapperINS8_3SumESH_iEEEE10hipError_tPvRmT1_T2_T3_mT4_P12ihipStream_tbEUlT_E1_NS1_11comp_targetILNS1_3genE4ELNS1_11target_archE910ELNS1_3gpuE8ELNS1_3repE0EEENS1_30default_config_static_selectorELNS0_4arch9wavefront6targetE0EEEvSQ_
; %bb.0:
	.section	.rodata,"a",@progbits
	.p2align	6, 0x0
	.amdhsa_kernel _ZN7rocprim17ROCPRIM_400000_NS6detail17trampoline_kernelINS0_14default_configENS1_22reduce_config_selectorIbEEZNS1_11reduce_implILb1ES3_N6hipcub16HIPCUB_304000_NS22TransformInputIteratorIbN2at6native12_GLOBAL__N_19NonZeroOpIhEEPKhlEEPiiNS8_6detail34convert_binary_result_type_wrapperINS8_3SumESH_iEEEE10hipError_tPvRmT1_T2_T3_mT4_P12ihipStream_tbEUlT_E1_NS1_11comp_targetILNS1_3genE4ELNS1_11target_archE910ELNS1_3gpuE8ELNS1_3repE0EEENS1_30default_config_static_selectorELNS0_4arch9wavefront6targetE0EEEvSQ_
		.amdhsa_group_segment_fixed_size 0
		.amdhsa_private_segment_fixed_size 0
		.amdhsa_kernarg_size 48
		.amdhsa_user_sgpr_count 2
		.amdhsa_user_sgpr_dispatch_ptr 0
		.amdhsa_user_sgpr_queue_ptr 0
		.amdhsa_user_sgpr_kernarg_segment_ptr 1
		.amdhsa_user_sgpr_dispatch_id 0
		.amdhsa_user_sgpr_private_segment_size 0
		.amdhsa_wavefront_size32 1
		.amdhsa_uses_dynamic_stack 0
		.amdhsa_enable_private_segment 0
		.amdhsa_system_sgpr_workgroup_id_x 1
		.amdhsa_system_sgpr_workgroup_id_y 0
		.amdhsa_system_sgpr_workgroup_id_z 0
		.amdhsa_system_sgpr_workgroup_info 0
		.amdhsa_system_vgpr_workitem_id 0
		.amdhsa_next_free_vgpr 1
		.amdhsa_next_free_sgpr 1
		.amdhsa_reserve_vcc 0
		.amdhsa_float_round_mode_32 0
		.amdhsa_float_round_mode_16_64 0
		.amdhsa_float_denorm_mode_32 3
		.amdhsa_float_denorm_mode_16_64 3
		.amdhsa_fp16_overflow 0
		.amdhsa_workgroup_processor_mode 1
		.amdhsa_memory_ordered 1
		.amdhsa_forward_progress 1
		.amdhsa_inst_pref_size 0
		.amdhsa_round_robin_scheduling 0
		.amdhsa_exception_fp_ieee_invalid_op 0
		.amdhsa_exception_fp_denorm_src 0
		.amdhsa_exception_fp_ieee_div_zero 0
		.amdhsa_exception_fp_ieee_overflow 0
		.amdhsa_exception_fp_ieee_underflow 0
		.amdhsa_exception_fp_ieee_inexact 0
		.amdhsa_exception_int_div_zero 0
	.end_amdhsa_kernel
	.section	.text._ZN7rocprim17ROCPRIM_400000_NS6detail17trampoline_kernelINS0_14default_configENS1_22reduce_config_selectorIbEEZNS1_11reduce_implILb1ES3_N6hipcub16HIPCUB_304000_NS22TransformInputIteratorIbN2at6native12_GLOBAL__N_19NonZeroOpIhEEPKhlEEPiiNS8_6detail34convert_binary_result_type_wrapperINS8_3SumESH_iEEEE10hipError_tPvRmT1_T2_T3_mT4_P12ihipStream_tbEUlT_E1_NS1_11comp_targetILNS1_3genE4ELNS1_11target_archE910ELNS1_3gpuE8ELNS1_3repE0EEENS1_30default_config_static_selectorELNS0_4arch9wavefront6targetE0EEEvSQ_,"axG",@progbits,_ZN7rocprim17ROCPRIM_400000_NS6detail17trampoline_kernelINS0_14default_configENS1_22reduce_config_selectorIbEEZNS1_11reduce_implILb1ES3_N6hipcub16HIPCUB_304000_NS22TransformInputIteratorIbN2at6native12_GLOBAL__N_19NonZeroOpIhEEPKhlEEPiiNS8_6detail34convert_binary_result_type_wrapperINS8_3SumESH_iEEEE10hipError_tPvRmT1_T2_T3_mT4_P12ihipStream_tbEUlT_E1_NS1_11comp_targetILNS1_3genE4ELNS1_11target_archE910ELNS1_3gpuE8ELNS1_3repE0EEENS1_30default_config_static_selectorELNS0_4arch9wavefront6targetE0EEEvSQ_,comdat
.Lfunc_end30:
	.size	_ZN7rocprim17ROCPRIM_400000_NS6detail17trampoline_kernelINS0_14default_configENS1_22reduce_config_selectorIbEEZNS1_11reduce_implILb1ES3_N6hipcub16HIPCUB_304000_NS22TransformInputIteratorIbN2at6native12_GLOBAL__N_19NonZeroOpIhEEPKhlEEPiiNS8_6detail34convert_binary_result_type_wrapperINS8_3SumESH_iEEEE10hipError_tPvRmT1_T2_T3_mT4_P12ihipStream_tbEUlT_E1_NS1_11comp_targetILNS1_3genE4ELNS1_11target_archE910ELNS1_3gpuE8ELNS1_3repE0EEENS1_30default_config_static_selectorELNS0_4arch9wavefront6targetE0EEEvSQ_, .Lfunc_end30-_ZN7rocprim17ROCPRIM_400000_NS6detail17trampoline_kernelINS0_14default_configENS1_22reduce_config_selectorIbEEZNS1_11reduce_implILb1ES3_N6hipcub16HIPCUB_304000_NS22TransformInputIteratorIbN2at6native12_GLOBAL__N_19NonZeroOpIhEEPKhlEEPiiNS8_6detail34convert_binary_result_type_wrapperINS8_3SumESH_iEEEE10hipError_tPvRmT1_T2_T3_mT4_P12ihipStream_tbEUlT_E1_NS1_11comp_targetILNS1_3genE4ELNS1_11target_archE910ELNS1_3gpuE8ELNS1_3repE0EEENS1_30default_config_static_selectorELNS0_4arch9wavefront6targetE0EEEvSQ_
                                        ; -- End function
	.set _ZN7rocprim17ROCPRIM_400000_NS6detail17trampoline_kernelINS0_14default_configENS1_22reduce_config_selectorIbEEZNS1_11reduce_implILb1ES3_N6hipcub16HIPCUB_304000_NS22TransformInputIteratorIbN2at6native12_GLOBAL__N_19NonZeroOpIhEEPKhlEEPiiNS8_6detail34convert_binary_result_type_wrapperINS8_3SumESH_iEEEE10hipError_tPvRmT1_T2_T3_mT4_P12ihipStream_tbEUlT_E1_NS1_11comp_targetILNS1_3genE4ELNS1_11target_archE910ELNS1_3gpuE8ELNS1_3repE0EEENS1_30default_config_static_selectorELNS0_4arch9wavefront6targetE0EEEvSQ_.num_vgpr, 0
	.set _ZN7rocprim17ROCPRIM_400000_NS6detail17trampoline_kernelINS0_14default_configENS1_22reduce_config_selectorIbEEZNS1_11reduce_implILb1ES3_N6hipcub16HIPCUB_304000_NS22TransformInputIteratorIbN2at6native12_GLOBAL__N_19NonZeroOpIhEEPKhlEEPiiNS8_6detail34convert_binary_result_type_wrapperINS8_3SumESH_iEEEE10hipError_tPvRmT1_T2_T3_mT4_P12ihipStream_tbEUlT_E1_NS1_11comp_targetILNS1_3genE4ELNS1_11target_archE910ELNS1_3gpuE8ELNS1_3repE0EEENS1_30default_config_static_selectorELNS0_4arch9wavefront6targetE0EEEvSQ_.num_agpr, 0
	.set _ZN7rocprim17ROCPRIM_400000_NS6detail17trampoline_kernelINS0_14default_configENS1_22reduce_config_selectorIbEEZNS1_11reduce_implILb1ES3_N6hipcub16HIPCUB_304000_NS22TransformInputIteratorIbN2at6native12_GLOBAL__N_19NonZeroOpIhEEPKhlEEPiiNS8_6detail34convert_binary_result_type_wrapperINS8_3SumESH_iEEEE10hipError_tPvRmT1_T2_T3_mT4_P12ihipStream_tbEUlT_E1_NS1_11comp_targetILNS1_3genE4ELNS1_11target_archE910ELNS1_3gpuE8ELNS1_3repE0EEENS1_30default_config_static_selectorELNS0_4arch9wavefront6targetE0EEEvSQ_.numbered_sgpr, 0
	.set _ZN7rocprim17ROCPRIM_400000_NS6detail17trampoline_kernelINS0_14default_configENS1_22reduce_config_selectorIbEEZNS1_11reduce_implILb1ES3_N6hipcub16HIPCUB_304000_NS22TransformInputIteratorIbN2at6native12_GLOBAL__N_19NonZeroOpIhEEPKhlEEPiiNS8_6detail34convert_binary_result_type_wrapperINS8_3SumESH_iEEEE10hipError_tPvRmT1_T2_T3_mT4_P12ihipStream_tbEUlT_E1_NS1_11comp_targetILNS1_3genE4ELNS1_11target_archE910ELNS1_3gpuE8ELNS1_3repE0EEENS1_30default_config_static_selectorELNS0_4arch9wavefront6targetE0EEEvSQ_.num_named_barrier, 0
	.set _ZN7rocprim17ROCPRIM_400000_NS6detail17trampoline_kernelINS0_14default_configENS1_22reduce_config_selectorIbEEZNS1_11reduce_implILb1ES3_N6hipcub16HIPCUB_304000_NS22TransformInputIteratorIbN2at6native12_GLOBAL__N_19NonZeroOpIhEEPKhlEEPiiNS8_6detail34convert_binary_result_type_wrapperINS8_3SumESH_iEEEE10hipError_tPvRmT1_T2_T3_mT4_P12ihipStream_tbEUlT_E1_NS1_11comp_targetILNS1_3genE4ELNS1_11target_archE910ELNS1_3gpuE8ELNS1_3repE0EEENS1_30default_config_static_selectorELNS0_4arch9wavefront6targetE0EEEvSQ_.private_seg_size, 0
	.set _ZN7rocprim17ROCPRIM_400000_NS6detail17trampoline_kernelINS0_14default_configENS1_22reduce_config_selectorIbEEZNS1_11reduce_implILb1ES3_N6hipcub16HIPCUB_304000_NS22TransformInputIteratorIbN2at6native12_GLOBAL__N_19NonZeroOpIhEEPKhlEEPiiNS8_6detail34convert_binary_result_type_wrapperINS8_3SumESH_iEEEE10hipError_tPvRmT1_T2_T3_mT4_P12ihipStream_tbEUlT_E1_NS1_11comp_targetILNS1_3genE4ELNS1_11target_archE910ELNS1_3gpuE8ELNS1_3repE0EEENS1_30default_config_static_selectorELNS0_4arch9wavefront6targetE0EEEvSQ_.uses_vcc, 0
	.set _ZN7rocprim17ROCPRIM_400000_NS6detail17trampoline_kernelINS0_14default_configENS1_22reduce_config_selectorIbEEZNS1_11reduce_implILb1ES3_N6hipcub16HIPCUB_304000_NS22TransformInputIteratorIbN2at6native12_GLOBAL__N_19NonZeroOpIhEEPKhlEEPiiNS8_6detail34convert_binary_result_type_wrapperINS8_3SumESH_iEEEE10hipError_tPvRmT1_T2_T3_mT4_P12ihipStream_tbEUlT_E1_NS1_11comp_targetILNS1_3genE4ELNS1_11target_archE910ELNS1_3gpuE8ELNS1_3repE0EEENS1_30default_config_static_selectorELNS0_4arch9wavefront6targetE0EEEvSQ_.uses_flat_scratch, 0
	.set _ZN7rocprim17ROCPRIM_400000_NS6detail17trampoline_kernelINS0_14default_configENS1_22reduce_config_selectorIbEEZNS1_11reduce_implILb1ES3_N6hipcub16HIPCUB_304000_NS22TransformInputIteratorIbN2at6native12_GLOBAL__N_19NonZeroOpIhEEPKhlEEPiiNS8_6detail34convert_binary_result_type_wrapperINS8_3SumESH_iEEEE10hipError_tPvRmT1_T2_T3_mT4_P12ihipStream_tbEUlT_E1_NS1_11comp_targetILNS1_3genE4ELNS1_11target_archE910ELNS1_3gpuE8ELNS1_3repE0EEENS1_30default_config_static_selectorELNS0_4arch9wavefront6targetE0EEEvSQ_.has_dyn_sized_stack, 0
	.set _ZN7rocprim17ROCPRIM_400000_NS6detail17trampoline_kernelINS0_14default_configENS1_22reduce_config_selectorIbEEZNS1_11reduce_implILb1ES3_N6hipcub16HIPCUB_304000_NS22TransformInputIteratorIbN2at6native12_GLOBAL__N_19NonZeroOpIhEEPKhlEEPiiNS8_6detail34convert_binary_result_type_wrapperINS8_3SumESH_iEEEE10hipError_tPvRmT1_T2_T3_mT4_P12ihipStream_tbEUlT_E1_NS1_11comp_targetILNS1_3genE4ELNS1_11target_archE910ELNS1_3gpuE8ELNS1_3repE0EEENS1_30default_config_static_selectorELNS0_4arch9wavefront6targetE0EEEvSQ_.has_recursion, 0
	.set _ZN7rocprim17ROCPRIM_400000_NS6detail17trampoline_kernelINS0_14default_configENS1_22reduce_config_selectorIbEEZNS1_11reduce_implILb1ES3_N6hipcub16HIPCUB_304000_NS22TransformInputIteratorIbN2at6native12_GLOBAL__N_19NonZeroOpIhEEPKhlEEPiiNS8_6detail34convert_binary_result_type_wrapperINS8_3SumESH_iEEEE10hipError_tPvRmT1_T2_T3_mT4_P12ihipStream_tbEUlT_E1_NS1_11comp_targetILNS1_3genE4ELNS1_11target_archE910ELNS1_3gpuE8ELNS1_3repE0EEENS1_30default_config_static_selectorELNS0_4arch9wavefront6targetE0EEEvSQ_.has_indirect_call, 0
	.section	.AMDGPU.csdata,"",@progbits
; Kernel info:
; codeLenInByte = 0
; TotalNumSgprs: 0
; NumVgprs: 0
; ScratchSize: 0
; MemoryBound: 0
; FloatMode: 240
; IeeeMode: 1
; LDSByteSize: 0 bytes/workgroup (compile time only)
; SGPRBlocks: 0
; VGPRBlocks: 0
; NumSGPRsForWavesPerEU: 1
; NumVGPRsForWavesPerEU: 1
; Occupancy: 16
; WaveLimiterHint : 0
; COMPUTE_PGM_RSRC2:SCRATCH_EN: 0
; COMPUTE_PGM_RSRC2:USER_SGPR: 2
; COMPUTE_PGM_RSRC2:TRAP_HANDLER: 0
; COMPUTE_PGM_RSRC2:TGID_X_EN: 1
; COMPUTE_PGM_RSRC2:TGID_Y_EN: 0
; COMPUTE_PGM_RSRC2:TGID_Z_EN: 0
; COMPUTE_PGM_RSRC2:TIDIG_COMP_CNT: 0
	.section	.text._ZN7rocprim17ROCPRIM_400000_NS6detail17trampoline_kernelINS0_14default_configENS1_22reduce_config_selectorIbEEZNS1_11reduce_implILb1ES3_N6hipcub16HIPCUB_304000_NS22TransformInputIteratorIbN2at6native12_GLOBAL__N_19NonZeroOpIhEEPKhlEEPiiNS8_6detail34convert_binary_result_type_wrapperINS8_3SumESH_iEEEE10hipError_tPvRmT1_T2_T3_mT4_P12ihipStream_tbEUlT_E1_NS1_11comp_targetILNS1_3genE3ELNS1_11target_archE908ELNS1_3gpuE7ELNS1_3repE0EEENS1_30default_config_static_selectorELNS0_4arch9wavefront6targetE0EEEvSQ_,"axG",@progbits,_ZN7rocprim17ROCPRIM_400000_NS6detail17trampoline_kernelINS0_14default_configENS1_22reduce_config_selectorIbEEZNS1_11reduce_implILb1ES3_N6hipcub16HIPCUB_304000_NS22TransformInputIteratorIbN2at6native12_GLOBAL__N_19NonZeroOpIhEEPKhlEEPiiNS8_6detail34convert_binary_result_type_wrapperINS8_3SumESH_iEEEE10hipError_tPvRmT1_T2_T3_mT4_P12ihipStream_tbEUlT_E1_NS1_11comp_targetILNS1_3genE3ELNS1_11target_archE908ELNS1_3gpuE7ELNS1_3repE0EEENS1_30default_config_static_selectorELNS0_4arch9wavefront6targetE0EEEvSQ_,comdat
	.globl	_ZN7rocprim17ROCPRIM_400000_NS6detail17trampoline_kernelINS0_14default_configENS1_22reduce_config_selectorIbEEZNS1_11reduce_implILb1ES3_N6hipcub16HIPCUB_304000_NS22TransformInputIteratorIbN2at6native12_GLOBAL__N_19NonZeroOpIhEEPKhlEEPiiNS8_6detail34convert_binary_result_type_wrapperINS8_3SumESH_iEEEE10hipError_tPvRmT1_T2_T3_mT4_P12ihipStream_tbEUlT_E1_NS1_11comp_targetILNS1_3genE3ELNS1_11target_archE908ELNS1_3gpuE7ELNS1_3repE0EEENS1_30default_config_static_selectorELNS0_4arch9wavefront6targetE0EEEvSQ_ ; -- Begin function _ZN7rocprim17ROCPRIM_400000_NS6detail17trampoline_kernelINS0_14default_configENS1_22reduce_config_selectorIbEEZNS1_11reduce_implILb1ES3_N6hipcub16HIPCUB_304000_NS22TransformInputIteratorIbN2at6native12_GLOBAL__N_19NonZeroOpIhEEPKhlEEPiiNS8_6detail34convert_binary_result_type_wrapperINS8_3SumESH_iEEEE10hipError_tPvRmT1_T2_T3_mT4_P12ihipStream_tbEUlT_E1_NS1_11comp_targetILNS1_3genE3ELNS1_11target_archE908ELNS1_3gpuE7ELNS1_3repE0EEENS1_30default_config_static_selectorELNS0_4arch9wavefront6targetE0EEEvSQ_
	.p2align	8
	.type	_ZN7rocprim17ROCPRIM_400000_NS6detail17trampoline_kernelINS0_14default_configENS1_22reduce_config_selectorIbEEZNS1_11reduce_implILb1ES3_N6hipcub16HIPCUB_304000_NS22TransformInputIteratorIbN2at6native12_GLOBAL__N_19NonZeroOpIhEEPKhlEEPiiNS8_6detail34convert_binary_result_type_wrapperINS8_3SumESH_iEEEE10hipError_tPvRmT1_T2_T3_mT4_P12ihipStream_tbEUlT_E1_NS1_11comp_targetILNS1_3genE3ELNS1_11target_archE908ELNS1_3gpuE7ELNS1_3repE0EEENS1_30default_config_static_selectorELNS0_4arch9wavefront6targetE0EEEvSQ_,@function
_ZN7rocprim17ROCPRIM_400000_NS6detail17trampoline_kernelINS0_14default_configENS1_22reduce_config_selectorIbEEZNS1_11reduce_implILb1ES3_N6hipcub16HIPCUB_304000_NS22TransformInputIteratorIbN2at6native12_GLOBAL__N_19NonZeroOpIhEEPKhlEEPiiNS8_6detail34convert_binary_result_type_wrapperINS8_3SumESH_iEEEE10hipError_tPvRmT1_T2_T3_mT4_P12ihipStream_tbEUlT_E1_NS1_11comp_targetILNS1_3genE3ELNS1_11target_archE908ELNS1_3gpuE7ELNS1_3repE0EEENS1_30default_config_static_selectorELNS0_4arch9wavefront6targetE0EEEvSQ_: ; @_ZN7rocprim17ROCPRIM_400000_NS6detail17trampoline_kernelINS0_14default_configENS1_22reduce_config_selectorIbEEZNS1_11reduce_implILb1ES3_N6hipcub16HIPCUB_304000_NS22TransformInputIteratorIbN2at6native12_GLOBAL__N_19NonZeroOpIhEEPKhlEEPiiNS8_6detail34convert_binary_result_type_wrapperINS8_3SumESH_iEEEE10hipError_tPvRmT1_T2_T3_mT4_P12ihipStream_tbEUlT_E1_NS1_11comp_targetILNS1_3genE3ELNS1_11target_archE908ELNS1_3gpuE7ELNS1_3repE0EEENS1_30default_config_static_selectorELNS0_4arch9wavefront6targetE0EEEvSQ_
; %bb.0:
	.section	.rodata,"a",@progbits
	.p2align	6, 0x0
	.amdhsa_kernel _ZN7rocprim17ROCPRIM_400000_NS6detail17trampoline_kernelINS0_14default_configENS1_22reduce_config_selectorIbEEZNS1_11reduce_implILb1ES3_N6hipcub16HIPCUB_304000_NS22TransformInputIteratorIbN2at6native12_GLOBAL__N_19NonZeroOpIhEEPKhlEEPiiNS8_6detail34convert_binary_result_type_wrapperINS8_3SumESH_iEEEE10hipError_tPvRmT1_T2_T3_mT4_P12ihipStream_tbEUlT_E1_NS1_11comp_targetILNS1_3genE3ELNS1_11target_archE908ELNS1_3gpuE7ELNS1_3repE0EEENS1_30default_config_static_selectorELNS0_4arch9wavefront6targetE0EEEvSQ_
		.amdhsa_group_segment_fixed_size 0
		.amdhsa_private_segment_fixed_size 0
		.amdhsa_kernarg_size 48
		.amdhsa_user_sgpr_count 2
		.amdhsa_user_sgpr_dispatch_ptr 0
		.amdhsa_user_sgpr_queue_ptr 0
		.amdhsa_user_sgpr_kernarg_segment_ptr 1
		.amdhsa_user_sgpr_dispatch_id 0
		.amdhsa_user_sgpr_private_segment_size 0
		.amdhsa_wavefront_size32 1
		.amdhsa_uses_dynamic_stack 0
		.amdhsa_enable_private_segment 0
		.amdhsa_system_sgpr_workgroup_id_x 1
		.amdhsa_system_sgpr_workgroup_id_y 0
		.amdhsa_system_sgpr_workgroup_id_z 0
		.amdhsa_system_sgpr_workgroup_info 0
		.amdhsa_system_vgpr_workitem_id 0
		.amdhsa_next_free_vgpr 1
		.amdhsa_next_free_sgpr 1
		.amdhsa_reserve_vcc 0
		.amdhsa_float_round_mode_32 0
		.amdhsa_float_round_mode_16_64 0
		.amdhsa_float_denorm_mode_32 3
		.amdhsa_float_denorm_mode_16_64 3
		.amdhsa_fp16_overflow 0
		.amdhsa_workgroup_processor_mode 1
		.amdhsa_memory_ordered 1
		.amdhsa_forward_progress 1
		.amdhsa_inst_pref_size 0
		.amdhsa_round_robin_scheduling 0
		.amdhsa_exception_fp_ieee_invalid_op 0
		.amdhsa_exception_fp_denorm_src 0
		.amdhsa_exception_fp_ieee_div_zero 0
		.amdhsa_exception_fp_ieee_overflow 0
		.amdhsa_exception_fp_ieee_underflow 0
		.amdhsa_exception_fp_ieee_inexact 0
		.amdhsa_exception_int_div_zero 0
	.end_amdhsa_kernel
	.section	.text._ZN7rocprim17ROCPRIM_400000_NS6detail17trampoline_kernelINS0_14default_configENS1_22reduce_config_selectorIbEEZNS1_11reduce_implILb1ES3_N6hipcub16HIPCUB_304000_NS22TransformInputIteratorIbN2at6native12_GLOBAL__N_19NonZeroOpIhEEPKhlEEPiiNS8_6detail34convert_binary_result_type_wrapperINS8_3SumESH_iEEEE10hipError_tPvRmT1_T2_T3_mT4_P12ihipStream_tbEUlT_E1_NS1_11comp_targetILNS1_3genE3ELNS1_11target_archE908ELNS1_3gpuE7ELNS1_3repE0EEENS1_30default_config_static_selectorELNS0_4arch9wavefront6targetE0EEEvSQ_,"axG",@progbits,_ZN7rocprim17ROCPRIM_400000_NS6detail17trampoline_kernelINS0_14default_configENS1_22reduce_config_selectorIbEEZNS1_11reduce_implILb1ES3_N6hipcub16HIPCUB_304000_NS22TransformInputIteratorIbN2at6native12_GLOBAL__N_19NonZeroOpIhEEPKhlEEPiiNS8_6detail34convert_binary_result_type_wrapperINS8_3SumESH_iEEEE10hipError_tPvRmT1_T2_T3_mT4_P12ihipStream_tbEUlT_E1_NS1_11comp_targetILNS1_3genE3ELNS1_11target_archE908ELNS1_3gpuE7ELNS1_3repE0EEENS1_30default_config_static_selectorELNS0_4arch9wavefront6targetE0EEEvSQ_,comdat
.Lfunc_end31:
	.size	_ZN7rocprim17ROCPRIM_400000_NS6detail17trampoline_kernelINS0_14default_configENS1_22reduce_config_selectorIbEEZNS1_11reduce_implILb1ES3_N6hipcub16HIPCUB_304000_NS22TransformInputIteratorIbN2at6native12_GLOBAL__N_19NonZeroOpIhEEPKhlEEPiiNS8_6detail34convert_binary_result_type_wrapperINS8_3SumESH_iEEEE10hipError_tPvRmT1_T2_T3_mT4_P12ihipStream_tbEUlT_E1_NS1_11comp_targetILNS1_3genE3ELNS1_11target_archE908ELNS1_3gpuE7ELNS1_3repE0EEENS1_30default_config_static_selectorELNS0_4arch9wavefront6targetE0EEEvSQ_, .Lfunc_end31-_ZN7rocprim17ROCPRIM_400000_NS6detail17trampoline_kernelINS0_14default_configENS1_22reduce_config_selectorIbEEZNS1_11reduce_implILb1ES3_N6hipcub16HIPCUB_304000_NS22TransformInputIteratorIbN2at6native12_GLOBAL__N_19NonZeroOpIhEEPKhlEEPiiNS8_6detail34convert_binary_result_type_wrapperINS8_3SumESH_iEEEE10hipError_tPvRmT1_T2_T3_mT4_P12ihipStream_tbEUlT_E1_NS1_11comp_targetILNS1_3genE3ELNS1_11target_archE908ELNS1_3gpuE7ELNS1_3repE0EEENS1_30default_config_static_selectorELNS0_4arch9wavefront6targetE0EEEvSQ_
                                        ; -- End function
	.set _ZN7rocprim17ROCPRIM_400000_NS6detail17trampoline_kernelINS0_14default_configENS1_22reduce_config_selectorIbEEZNS1_11reduce_implILb1ES3_N6hipcub16HIPCUB_304000_NS22TransformInputIteratorIbN2at6native12_GLOBAL__N_19NonZeroOpIhEEPKhlEEPiiNS8_6detail34convert_binary_result_type_wrapperINS8_3SumESH_iEEEE10hipError_tPvRmT1_T2_T3_mT4_P12ihipStream_tbEUlT_E1_NS1_11comp_targetILNS1_3genE3ELNS1_11target_archE908ELNS1_3gpuE7ELNS1_3repE0EEENS1_30default_config_static_selectorELNS0_4arch9wavefront6targetE0EEEvSQ_.num_vgpr, 0
	.set _ZN7rocprim17ROCPRIM_400000_NS6detail17trampoline_kernelINS0_14default_configENS1_22reduce_config_selectorIbEEZNS1_11reduce_implILb1ES3_N6hipcub16HIPCUB_304000_NS22TransformInputIteratorIbN2at6native12_GLOBAL__N_19NonZeroOpIhEEPKhlEEPiiNS8_6detail34convert_binary_result_type_wrapperINS8_3SumESH_iEEEE10hipError_tPvRmT1_T2_T3_mT4_P12ihipStream_tbEUlT_E1_NS1_11comp_targetILNS1_3genE3ELNS1_11target_archE908ELNS1_3gpuE7ELNS1_3repE0EEENS1_30default_config_static_selectorELNS0_4arch9wavefront6targetE0EEEvSQ_.num_agpr, 0
	.set _ZN7rocprim17ROCPRIM_400000_NS6detail17trampoline_kernelINS0_14default_configENS1_22reduce_config_selectorIbEEZNS1_11reduce_implILb1ES3_N6hipcub16HIPCUB_304000_NS22TransformInputIteratorIbN2at6native12_GLOBAL__N_19NonZeroOpIhEEPKhlEEPiiNS8_6detail34convert_binary_result_type_wrapperINS8_3SumESH_iEEEE10hipError_tPvRmT1_T2_T3_mT4_P12ihipStream_tbEUlT_E1_NS1_11comp_targetILNS1_3genE3ELNS1_11target_archE908ELNS1_3gpuE7ELNS1_3repE0EEENS1_30default_config_static_selectorELNS0_4arch9wavefront6targetE0EEEvSQ_.numbered_sgpr, 0
	.set _ZN7rocprim17ROCPRIM_400000_NS6detail17trampoline_kernelINS0_14default_configENS1_22reduce_config_selectorIbEEZNS1_11reduce_implILb1ES3_N6hipcub16HIPCUB_304000_NS22TransformInputIteratorIbN2at6native12_GLOBAL__N_19NonZeroOpIhEEPKhlEEPiiNS8_6detail34convert_binary_result_type_wrapperINS8_3SumESH_iEEEE10hipError_tPvRmT1_T2_T3_mT4_P12ihipStream_tbEUlT_E1_NS1_11comp_targetILNS1_3genE3ELNS1_11target_archE908ELNS1_3gpuE7ELNS1_3repE0EEENS1_30default_config_static_selectorELNS0_4arch9wavefront6targetE0EEEvSQ_.num_named_barrier, 0
	.set _ZN7rocprim17ROCPRIM_400000_NS6detail17trampoline_kernelINS0_14default_configENS1_22reduce_config_selectorIbEEZNS1_11reduce_implILb1ES3_N6hipcub16HIPCUB_304000_NS22TransformInputIteratorIbN2at6native12_GLOBAL__N_19NonZeroOpIhEEPKhlEEPiiNS8_6detail34convert_binary_result_type_wrapperINS8_3SumESH_iEEEE10hipError_tPvRmT1_T2_T3_mT4_P12ihipStream_tbEUlT_E1_NS1_11comp_targetILNS1_3genE3ELNS1_11target_archE908ELNS1_3gpuE7ELNS1_3repE0EEENS1_30default_config_static_selectorELNS0_4arch9wavefront6targetE0EEEvSQ_.private_seg_size, 0
	.set _ZN7rocprim17ROCPRIM_400000_NS6detail17trampoline_kernelINS0_14default_configENS1_22reduce_config_selectorIbEEZNS1_11reduce_implILb1ES3_N6hipcub16HIPCUB_304000_NS22TransformInputIteratorIbN2at6native12_GLOBAL__N_19NonZeroOpIhEEPKhlEEPiiNS8_6detail34convert_binary_result_type_wrapperINS8_3SumESH_iEEEE10hipError_tPvRmT1_T2_T3_mT4_P12ihipStream_tbEUlT_E1_NS1_11comp_targetILNS1_3genE3ELNS1_11target_archE908ELNS1_3gpuE7ELNS1_3repE0EEENS1_30default_config_static_selectorELNS0_4arch9wavefront6targetE0EEEvSQ_.uses_vcc, 0
	.set _ZN7rocprim17ROCPRIM_400000_NS6detail17trampoline_kernelINS0_14default_configENS1_22reduce_config_selectorIbEEZNS1_11reduce_implILb1ES3_N6hipcub16HIPCUB_304000_NS22TransformInputIteratorIbN2at6native12_GLOBAL__N_19NonZeroOpIhEEPKhlEEPiiNS8_6detail34convert_binary_result_type_wrapperINS8_3SumESH_iEEEE10hipError_tPvRmT1_T2_T3_mT4_P12ihipStream_tbEUlT_E1_NS1_11comp_targetILNS1_3genE3ELNS1_11target_archE908ELNS1_3gpuE7ELNS1_3repE0EEENS1_30default_config_static_selectorELNS0_4arch9wavefront6targetE0EEEvSQ_.uses_flat_scratch, 0
	.set _ZN7rocprim17ROCPRIM_400000_NS6detail17trampoline_kernelINS0_14default_configENS1_22reduce_config_selectorIbEEZNS1_11reduce_implILb1ES3_N6hipcub16HIPCUB_304000_NS22TransformInputIteratorIbN2at6native12_GLOBAL__N_19NonZeroOpIhEEPKhlEEPiiNS8_6detail34convert_binary_result_type_wrapperINS8_3SumESH_iEEEE10hipError_tPvRmT1_T2_T3_mT4_P12ihipStream_tbEUlT_E1_NS1_11comp_targetILNS1_3genE3ELNS1_11target_archE908ELNS1_3gpuE7ELNS1_3repE0EEENS1_30default_config_static_selectorELNS0_4arch9wavefront6targetE0EEEvSQ_.has_dyn_sized_stack, 0
	.set _ZN7rocprim17ROCPRIM_400000_NS6detail17trampoline_kernelINS0_14default_configENS1_22reduce_config_selectorIbEEZNS1_11reduce_implILb1ES3_N6hipcub16HIPCUB_304000_NS22TransformInputIteratorIbN2at6native12_GLOBAL__N_19NonZeroOpIhEEPKhlEEPiiNS8_6detail34convert_binary_result_type_wrapperINS8_3SumESH_iEEEE10hipError_tPvRmT1_T2_T3_mT4_P12ihipStream_tbEUlT_E1_NS1_11comp_targetILNS1_3genE3ELNS1_11target_archE908ELNS1_3gpuE7ELNS1_3repE0EEENS1_30default_config_static_selectorELNS0_4arch9wavefront6targetE0EEEvSQ_.has_recursion, 0
	.set _ZN7rocprim17ROCPRIM_400000_NS6detail17trampoline_kernelINS0_14default_configENS1_22reduce_config_selectorIbEEZNS1_11reduce_implILb1ES3_N6hipcub16HIPCUB_304000_NS22TransformInputIteratorIbN2at6native12_GLOBAL__N_19NonZeroOpIhEEPKhlEEPiiNS8_6detail34convert_binary_result_type_wrapperINS8_3SumESH_iEEEE10hipError_tPvRmT1_T2_T3_mT4_P12ihipStream_tbEUlT_E1_NS1_11comp_targetILNS1_3genE3ELNS1_11target_archE908ELNS1_3gpuE7ELNS1_3repE0EEENS1_30default_config_static_selectorELNS0_4arch9wavefront6targetE0EEEvSQ_.has_indirect_call, 0
	.section	.AMDGPU.csdata,"",@progbits
; Kernel info:
; codeLenInByte = 0
; TotalNumSgprs: 0
; NumVgprs: 0
; ScratchSize: 0
; MemoryBound: 0
; FloatMode: 240
; IeeeMode: 1
; LDSByteSize: 0 bytes/workgroup (compile time only)
; SGPRBlocks: 0
; VGPRBlocks: 0
; NumSGPRsForWavesPerEU: 1
; NumVGPRsForWavesPerEU: 1
; Occupancy: 16
; WaveLimiterHint : 0
; COMPUTE_PGM_RSRC2:SCRATCH_EN: 0
; COMPUTE_PGM_RSRC2:USER_SGPR: 2
; COMPUTE_PGM_RSRC2:TRAP_HANDLER: 0
; COMPUTE_PGM_RSRC2:TGID_X_EN: 1
; COMPUTE_PGM_RSRC2:TGID_Y_EN: 0
; COMPUTE_PGM_RSRC2:TGID_Z_EN: 0
; COMPUTE_PGM_RSRC2:TIDIG_COMP_CNT: 0
	.section	.text._ZN7rocprim17ROCPRIM_400000_NS6detail17trampoline_kernelINS0_14default_configENS1_22reduce_config_selectorIbEEZNS1_11reduce_implILb1ES3_N6hipcub16HIPCUB_304000_NS22TransformInputIteratorIbN2at6native12_GLOBAL__N_19NonZeroOpIhEEPKhlEEPiiNS8_6detail34convert_binary_result_type_wrapperINS8_3SumESH_iEEEE10hipError_tPvRmT1_T2_T3_mT4_P12ihipStream_tbEUlT_E1_NS1_11comp_targetILNS1_3genE2ELNS1_11target_archE906ELNS1_3gpuE6ELNS1_3repE0EEENS1_30default_config_static_selectorELNS0_4arch9wavefront6targetE0EEEvSQ_,"axG",@progbits,_ZN7rocprim17ROCPRIM_400000_NS6detail17trampoline_kernelINS0_14default_configENS1_22reduce_config_selectorIbEEZNS1_11reduce_implILb1ES3_N6hipcub16HIPCUB_304000_NS22TransformInputIteratorIbN2at6native12_GLOBAL__N_19NonZeroOpIhEEPKhlEEPiiNS8_6detail34convert_binary_result_type_wrapperINS8_3SumESH_iEEEE10hipError_tPvRmT1_T2_T3_mT4_P12ihipStream_tbEUlT_E1_NS1_11comp_targetILNS1_3genE2ELNS1_11target_archE906ELNS1_3gpuE6ELNS1_3repE0EEENS1_30default_config_static_selectorELNS0_4arch9wavefront6targetE0EEEvSQ_,comdat
	.globl	_ZN7rocprim17ROCPRIM_400000_NS6detail17trampoline_kernelINS0_14default_configENS1_22reduce_config_selectorIbEEZNS1_11reduce_implILb1ES3_N6hipcub16HIPCUB_304000_NS22TransformInputIteratorIbN2at6native12_GLOBAL__N_19NonZeroOpIhEEPKhlEEPiiNS8_6detail34convert_binary_result_type_wrapperINS8_3SumESH_iEEEE10hipError_tPvRmT1_T2_T3_mT4_P12ihipStream_tbEUlT_E1_NS1_11comp_targetILNS1_3genE2ELNS1_11target_archE906ELNS1_3gpuE6ELNS1_3repE0EEENS1_30default_config_static_selectorELNS0_4arch9wavefront6targetE0EEEvSQ_ ; -- Begin function _ZN7rocprim17ROCPRIM_400000_NS6detail17trampoline_kernelINS0_14default_configENS1_22reduce_config_selectorIbEEZNS1_11reduce_implILb1ES3_N6hipcub16HIPCUB_304000_NS22TransformInputIteratorIbN2at6native12_GLOBAL__N_19NonZeroOpIhEEPKhlEEPiiNS8_6detail34convert_binary_result_type_wrapperINS8_3SumESH_iEEEE10hipError_tPvRmT1_T2_T3_mT4_P12ihipStream_tbEUlT_E1_NS1_11comp_targetILNS1_3genE2ELNS1_11target_archE906ELNS1_3gpuE6ELNS1_3repE0EEENS1_30default_config_static_selectorELNS0_4arch9wavefront6targetE0EEEvSQ_
	.p2align	8
	.type	_ZN7rocprim17ROCPRIM_400000_NS6detail17trampoline_kernelINS0_14default_configENS1_22reduce_config_selectorIbEEZNS1_11reduce_implILb1ES3_N6hipcub16HIPCUB_304000_NS22TransformInputIteratorIbN2at6native12_GLOBAL__N_19NonZeroOpIhEEPKhlEEPiiNS8_6detail34convert_binary_result_type_wrapperINS8_3SumESH_iEEEE10hipError_tPvRmT1_T2_T3_mT4_P12ihipStream_tbEUlT_E1_NS1_11comp_targetILNS1_3genE2ELNS1_11target_archE906ELNS1_3gpuE6ELNS1_3repE0EEENS1_30default_config_static_selectorELNS0_4arch9wavefront6targetE0EEEvSQ_,@function
_ZN7rocprim17ROCPRIM_400000_NS6detail17trampoline_kernelINS0_14default_configENS1_22reduce_config_selectorIbEEZNS1_11reduce_implILb1ES3_N6hipcub16HIPCUB_304000_NS22TransformInputIteratorIbN2at6native12_GLOBAL__N_19NonZeroOpIhEEPKhlEEPiiNS8_6detail34convert_binary_result_type_wrapperINS8_3SumESH_iEEEE10hipError_tPvRmT1_T2_T3_mT4_P12ihipStream_tbEUlT_E1_NS1_11comp_targetILNS1_3genE2ELNS1_11target_archE906ELNS1_3gpuE6ELNS1_3repE0EEENS1_30default_config_static_selectorELNS0_4arch9wavefront6targetE0EEEvSQ_: ; @_ZN7rocprim17ROCPRIM_400000_NS6detail17trampoline_kernelINS0_14default_configENS1_22reduce_config_selectorIbEEZNS1_11reduce_implILb1ES3_N6hipcub16HIPCUB_304000_NS22TransformInputIteratorIbN2at6native12_GLOBAL__N_19NonZeroOpIhEEPKhlEEPiiNS8_6detail34convert_binary_result_type_wrapperINS8_3SumESH_iEEEE10hipError_tPvRmT1_T2_T3_mT4_P12ihipStream_tbEUlT_E1_NS1_11comp_targetILNS1_3genE2ELNS1_11target_archE906ELNS1_3gpuE6ELNS1_3repE0EEENS1_30default_config_static_selectorELNS0_4arch9wavefront6targetE0EEEvSQ_
; %bb.0:
	.section	.rodata,"a",@progbits
	.p2align	6, 0x0
	.amdhsa_kernel _ZN7rocprim17ROCPRIM_400000_NS6detail17trampoline_kernelINS0_14default_configENS1_22reduce_config_selectorIbEEZNS1_11reduce_implILb1ES3_N6hipcub16HIPCUB_304000_NS22TransformInputIteratorIbN2at6native12_GLOBAL__N_19NonZeroOpIhEEPKhlEEPiiNS8_6detail34convert_binary_result_type_wrapperINS8_3SumESH_iEEEE10hipError_tPvRmT1_T2_T3_mT4_P12ihipStream_tbEUlT_E1_NS1_11comp_targetILNS1_3genE2ELNS1_11target_archE906ELNS1_3gpuE6ELNS1_3repE0EEENS1_30default_config_static_selectorELNS0_4arch9wavefront6targetE0EEEvSQ_
		.amdhsa_group_segment_fixed_size 0
		.amdhsa_private_segment_fixed_size 0
		.amdhsa_kernarg_size 48
		.amdhsa_user_sgpr_count 2
		.amdhsa_user_sgpr_dispatch_ptr 0
		.amdhsa_user_sgpr_queue_ptr 0
		.amdhsa_user_sgpr_kernarg_segment_ptr 1
		.amdhsa_user_sgpr_dispatch_id 0
		.amdhsa_user_sgpr_private_segment_size 0
		.amdhsa_wavefront_size32 1
		.amdhsa_uses_dynamic_stack 0
		.amdhsa_enable_private_segment 0
		.amdhsa_system_sgpr_workgroup_id_x 1
		.amdhsa_system_sgpr_workgroup_id_y 0
		.amdhsa_system_sgpr_workgroup_id_z 0
		.amdhsa_system_sgpr_workgroup_info 0
		.amdhsa_system_vgpr_workitem_id 0
		.amdhsa_next_free_vgpr 1
		.amdhsa_next_free_sgpr 1
		.amdhsa_reserve_vcc 0
		.amdhsa_float_round_mode_32 0
		.amdhsa_float_round_mode_16_64 0
		.amdhsa_float_denorm_mode_32 3
		.amdhsa_float_denorm_mode_16_64 3
		.amdhsa_fp16_overflow 0
		.amdhsa_workgroup_processor_mode 1
		.amdhsa_memory_ordered 1
		.amdhsa_forward_progress 1
		.amdhsa_inst_pref_size 0
		.amdhsa_round_robin_scheduling 0
		.amdhsa_exception_fp_ieee_invalid_op 0
		.amdhsa_exception_fp_denorm_src 0
		.amdhsa_exception_fp_ieee_div_zero 0
		.amdhsa_exception_fp_ieee_overflow 0
		.amdhsa_exception_fp_ieee_underflow 0
		.amdhsa_exception_fp_ieee_inexact 0
		.amdhsa_exception_int_div_zero 0
	.end_amdhsa_kernel
	.section	.text._ZN7rocprim17ROCPRIM_400000_NS6detail17trampoline_kernelINS0_14default_configENS1_22reduce_config_selectorIbEEZNS1_11reduce_implILb1ES3_N6hipcub16HIPCUB_304000_NS22TransformInputIteratorIbN2at6native12_GLOBAL__N_19NonZeroOpIhEEPKhlEEPiiNS8_6detail34convert_binary_result_type_wrapperINS8_3SumESH_iEEEE10hipError_tPvRmT1_T2_T3_mT4_P12ihipStream_tbEUlT_E1_NS1_11comp_targetILNS1_3genE2ELNS1_11target_archE906ELNS1_3gpuE6ELNS1_3repE0EEENS1_30default_config_static_selectorELNS0_4arch9wavefront6targetE0EEEvSQ_,"axG",@progbits,_ZN7rocprim17ROCPRIM_400000_NS6detail17trampoline_kernelINS0_14default_configENS1_22reduce_config_selectorIbEEZNS1_11reduce_implILb1ES3_N6hipcub16HIPCUB_304000_NS22TransformInputIteratorIbN2at6native12_GLOBAL__N_19NonZeroOpIhEEPKhlEEPiiNS8_6detail34convert_binary_result_type_wrapperINS8_3SumESH_iEEEE10hipError_tPvRmT1_T2_T3_mT4_P12ihipStream_tbEUlT_E1_NS1_11comp_targetILNS1_3genE2ELNS1_11target_archE906ELNS1_3gpuE6ELNS1_3repE0EEENS1_30default_config_static_selectorELNS0_4arch9wavefront6targetE0EEEvSQ_,comdat
.Lfunc_end32:
	.size	_ZN7rocprim17ROCPRIM_400000_NS6detail17trampoline_kernelINS0_14default_configENS1_22reduce_config_selectorIbEEZNS1_11reduce_implILb1ES3_N6hipcub16HIPCUB_304000_NS22TransformInputIteratorIbN2at6native12_GLOBAL__N_19NonZeroOpIhEEPKhlEEPiiNS8_6detail34convert_binary_result_type_wrapperINS8_3SumESH_iEEEE10hipError_tPvRmT1_T2_T3_mT4_P12ihipStream_tbEUlT_E1_NS1_11comp_targetILNS1_3genE2ELNS1_11target_archE906ELNS1_3gpuE6ELNS1_3repE0EEENS1_30default_config_static_selectorELNS0_4arch9wavefront6targetE0EEEvSQ_, .Lfunc_end32-_ZN7rocprim17ROCPRIM_400000_NS6detail17trampoline_kernelINS0_14default_configENS1_22reduce_config_selectorIbEEZNS1_11reduce_implILb1ES3_N6hipcub16HIPCUB_304000_NS22TransformInputIteratorIbN2at6native12_GLOBAL__N_19NonZeroOpIhEEPKhlEEPiiNS8_6detail34convert_binary_result_type_wrapperINS8_3SumESH_iEEEE10hipError_tPvRmT1_T2_T3_mT4_P12ihipStream_tbEUlT_E1_NS1_11comp_targetILNS1_3genE2ELNS1_11target_archE906ELNS1_3gpuE6ELNS1_3repE0EEENS1_30default_config_static_selectorELNS0_4arch9wavefront6targetE0EEEvSQ_
                                        ; -- End function
	.set _ZN7rocprim17ROCPRIM_400000_NS6detail17trampoline_kernelINS0_14default_configENS1_22reduce_config_selectorIbEEZNS1_11reduce_implILb1ES3_N6hipcub16HIPCUB_304000_NS22TransformInputIteratorIbN2at6native12_GLOBAL__N_19NonZeroOpIhEEPKhlEEPiiNS8_6detail34convert_binary_result_type_wrapperINS8_3SumESH_iEEEE10hipError_tPvRmT1_T2_T3_mT4_P12ihipStream_tbEUlT_E1_NS1_11comp_targetILNS1_3genE2ELNS1_11target_archE906ELNS1_3gpuE6ELNS1_3repE0EEENS1_30default_config_static_selectorELNS0_4arch9wavefront6targetE0EEEvSQ_.num_vgpr, 0
	.set _ZN7rocprim17ROCPRIM_400000_NS6detail17trampoline_kernelINS0_14default_configENS1_22reduce_config_selectorIbEEZNS1_11reduce_implILb1ES3_N6hipcub16HIPCUB_304000_NS22TransformInputIteratorIbN2at6native12_GLOBAL__N_19NonZeroOpIhEEPKhlEEPiiNS8_6detail34convert_binary_result_type_wrapperINS8_3SumESH_iEEEE10hipError_tPvRmT1_T2_T3_mT4_P12ihipStream_tbEUlT_E1_NS1_11comp_targetILNS1_3genE2ELNS1_11target_archE906ELNS1_3gpuE6ELNS1_3repE0EEENS1_30default_config_static_selectorELNS0_4arch9wavefront6targetE0EEEvSQ_.num_agpr, 0
	.set _ZN7rocprim17ROCPRIM_400000_NS6detail17trampoline_kernelINS0_14default_configENS1_22reduce_config_selectorIbEEZNS1_11reduce_implILb1ES3_N6hipcub16HIPCUB_304000_NS22TransformInputIteratorIbN2at6native12_GLOBAL__N_19NonZeroOpIhEEPKhlEEPiiNS8_6detail34convert_binary_result_type_wrapperINS8_3SumESH_iEEEE10hipError_tPvRmT1_T2_T3_mT4_P12ihipStream_tbEUlT_E1_NS1_11comp_targetILNS1_3genE2ELNS1_11target_archE906ELNS1_3gpuE6ELNS1_3repE0EEENS1_30default_config_static_selectorELNS0_4arch9wavefront6targetE0EEEvSQ_.numbered_sgpr, 0
	.set _ZN7rocprim17ROCPRIM_400000_NS6detail17trampoline_kernelINS0_14default_configENS1_22reduce_config_selectorIbEEZNS1_11reduce_implILb1ES3_N6hipcub16HIPCUB_304000_NS22TransformInputIteratorIbN2at6native12_GLOBAL__N_19NonZeroOpIhEEPKhlEEPiiNS8_6detail34convert_binary_result_type_wrapperINS8_3SumESH_iEEEE10hipError_tPvRmT1_T2_T3_mT4_P12ihipStream_tbEUlT_E1_NS1_11comp_targetILNS1_3genE2ELNS1_11target_archE906ELNS1_3gpuE6ELNS1_3repE0EEENS1_30default_config_static_selectorELNS0_4arch9wavefront6targetE0EEEvSQ_.num_named_barrier, 0
	.set _ZN7rocprim17ROCPRIM_400000_NS6detail17trampoline_kernelINS0_14default_configENS1_22reduce_config_selectorIbEEZNS1_11reduce_implILb1ES3_N6hipcub16HIPCUB_304000_NS22TransformInputIteratorIbN2at6native12_GLOBAL__N_19NonZeroOpIhEEPKhlEEPiiNS8_6detail34convert_binary_result_type_wrapperINS8_3SumESH_iEEEE10hipError_tPvRmT1_T2_T3_mT4_P12ihipStream_tbEUlT_E1_NS1_11comp_targetILNS1_3genE2ELNS1_11target_archE906ELNS1_3gpuE6ELNS1_3repE0EEENS1_30default_config_static_selectorELNS0_4arch9wavefront6targetE0EEEvSQ_.private_seg_size, 0
	.set _ZN7rocprim17ROCPRIM_400000_NS6detail17trampoline_kernelINS0_14default_configENS1_22reduce_config_selectorIbEEZNS1_11reduce_implILb1ES3_N6hipcub16HIPCUB_304000_NS22TransformInputIteratorIbN2at6native12_GLOBAL__N_19NonZeroOpIhEEPKhlEEPiiNS8_6detail34convert_binary_result_type_wrapperINS8_3SumESH_iEEEE10hipError_tPvRmT1_T2_T3_mT4_P12ihipStream_tbEUlT_E1_NS1_11comp_targetILNS1_3genE2ELNS1_11target_archE906ELNS1_3gpuE6ELNS1_3repE0EEENS1_30default_config_static_selectorELNS0_4arch9wavefront6targetE0EEEvSQ_.uses_vcc, 0
	.set _ZN7rocprim17ROCPRIM_400000_NS6detail17trampoline_kernelINS0_14default_configENS1_22reduce_config_selectorIbEEZNS1_11reduce_implILb1ES3_N6hipcub16HIPCUB_304000_NS22TransformInputIteratorIbN2at6native12_GLOBAL__N_19NonZeroOpIhEEPKhlEEPiiNS8_6detail34convert_binary_result_type_wrapperINS8_3SumESH_iEEEE10hipError_tPvRmT1_T2_T3_mT4_P12ihipStream_tbEUlT_E1_NS1_11comp_targetILNS1_3genE2ELNS1_11target_archE906ELNS1_3gpuE6ELNS1_3repE0EEENS1_30default_config_static_selectorELNS0_4arch9wavefront6targetE0EEEvSQ_.uses_flat_scratch, 0
	.set _ZN7rocprim17ROCPRIM_400000_NS6detail17trampoline_kernelINS0_14default_configENS1_22reduce_config_selectorIbEEZNS1_11reduce_implILb1ES3_N6hipcub16HIPCUB_304000_NS22TransformInputIteratorIbN2at6native12_GLOBAL__N_19NonZeroOpIhEEPKhlEEPiiNS8_6detail34convert_binary_result_type_wrapperINS8_3SumESH_iEEEE10hipError_tPvRmT1_T2_T3_mT4_P12ihipStream_tbEUlT_E1_NS1_11comp_targetILNS1_3genE2ELNS1_11target_archE906ELNS1_3gpuE6ELNS1_3repE0EEENS1_30default_config_static_selectorELNS0_4arch9wavefront6targetE0EEEvSQ_.has_dyn_sized_stack, 0
	.set _ZN7rocprim17ROCPRIM_400000_NS6detail17trampoline_kernelINS0_14default_configENS1_22reduce_config_selectorIbEEZNS1_11reduce_implILb1ES3_N6hipcub16HIPCUB_304000_NS22TransformInputIteratorIbN2at6native12_GLOBAL__N_19NonZeroOpIhEEPKhlEEPiiNS8_6detail34convert_binary_result_type_wrapperINS8_3SumESH_iEEEE10hipError_tPvRmT1_T2_T3_mT4_P12ihipStream_tbEUlT_E1_NS1_11comp_targetILNS1_3genE2ELNS1_11target_archE906ELNS1_3gpuE6ELNS1_3repE0EEENS1_30default_config_static_selectorELNS0_4arch9wavefront6targetE0EEEvSQ_.has_recursion, 0
	.set _ZN7rocprim17ROCPRIM_400000_NS6detail17trampoline_kernelINS0_14default_configENS1_22reduce_config_selectorIbEEZNS1_11reduce_implILb1ES3_N6hipcub16HIPCUB_304000_NS22TransformInputIteratorIbN2at6native12_GLOBAL__N_19NonZeroOpIhEEPKhlEEPiiNS8_6detail34convert_binary_result_type_wrapperINS8_3SumESH_iEEEE10hipError_tPvRmT1_T2_T3_mT4_P12ihipStream_tbEUlT_E1_NS1_11comp_targetILNS1_3genE2ELNS1_11target_archE906ELNS1_3gpuE6ELNS1_3repE0EEENS1_30default_config_static_selectorELNS0_4arch9wavefront6targetE0EEEvSQ_.has_indirect_call, 0
	.section	.AMDGPU.csdata,"",@progbits
; Kernel info:
; codeLenInByte = 0
; TotalNumSgprs: 0
; NumVgprs: 0
; ScratchSize: 0
; MemoryBound: 0
; FloatMode: 240
; IeeeMode: 1
; LDSByteSize: 0 bytes/workgroup (compile time only)
; SGPRBlocks: 0
; VGPRBlocks: 0
; NumSGPRsForWavesPerEU: 1
; NumVGPRsForWavesPerEU: 1
; Occupancy: 16
; WaveLimiterHint : 0
; COMPUTE_PGM_RSRC2:SCRATCH_EN: 0
; COMPUTE_PGM_RSRC2:USER_SGPR: 2
; COMPUTE_PGM_RSRC2:TRAP_HANDLER: 0
; COMPUTE_PGM_RSRC2:TGID_X_EN: 1
; COMPUTE_PGM_RSRC2:TGID_Y_EN: 0
; COMPUTE_PGM_RSRC2:TGID_Z_EN: 0
; COMPUTE_PGM_RSRC2:TIDIG_COMP_CNT: 0
	.section	.text._ZN7rocprim17ROCPRIM_400000_NS6detail17trampoline_kernelINS0_14default_configENS1_22reduce_config_selectorIbEEZNS1_11reduce_implILb1ES3_N6hipcub16HIPCUB_304000_NS22TransformInputIteratorIbN2at6native12_GLOBAL__N_19NonZeroOpIhEEPKhlEEPiiNS8_6detail34convert_binary_result_type_wrapperINS8_3SumESH_iEEEE10hipError_tPvRmT1_T2_T3_mT4_P12ihipStream_tbEUlT_E1_NS1_11comp_targetILNS1_3genE10ELNS1_11target_archE1201ELNS1_3gpuE5ELNS1_3repE0EEENS1_30default_config_static_selectorELNS0_4arch9wavefront6targetE0EEEvSQ_,"axG",@progbits,_ZN7rocprim17ROCPRIM_400000_NS6detail17trampoline_kernelINS0_14default_configENS1_22reduce_config_selectorIbEEZNS1_11reduce_implILb1ES3_N6hipcub16HIPCUB_304000_NS22TransformInputIteratorIbN2at6native12_GLOBAL__N_19NonZeroOpIhEEPKhlEEPiiNS8_6detail34convert_binary_result_type_wrapperINS8_3SumESH_iEEEE10hipError_tPvRmT1_T2_T3_mT4_P12ihipStream_tbEUlT_E1_NS1_11comp_targetILNS1_3genE10ELNS1_11target_archE1201ELNS1_3gpuE5ELNS1_3repE0EEENS1_30default_config_static_selectorELNS0_4arch9wavefront6targetE0EEEvSQ_,comdat
	.globl	_ZN7rocprim17ROCPRIM_400000_NS6detail17trampoline_kernelINS0_14default_configENS1_22reduce_config_selectorIbEEZNS1_11reduce_implILb1ES3_N6hipcub16HIPCUB_304000_NS22TransformInputIteratorIbN2at6native12_GLOBAL__N_19NonZeroOpIhEEPKhlEEPiiNS8_6detail34convert_binary_result_type_wrapperINS8_3SumESH_iEEEE10hipError_tPvRmT1_T2_T3_mT4_P12ihipStream_tbEUlT_E1_NS1_11comp_targetILNS1_3genE10ELNS1_11target_archE1201ELNS1_3gpuE5ELNS1_3repE0EEENS1_30default_config_static_selectorELNS0_4arch9wavefront6targetE0EEEvSQ_ ; -- Begin function _ZN7rocprim17ROCPRIM_400000_NS6detail17trampoline_kernelINS0_14default_configENS1_22reduce_config_selectorIbEEZNS1_11reduce_implILb1ES3_N6hipcub16HIPCUB_304000_NS22TransformInputIteratorIbN2at6native12_GLOBAL__N_19NonZeroOpIhEEPKhlEEPiiNS8_6detail34convert_binary_result_type_wrapperINS8_3SumESH_iEEEE10hipError_tPvRmT1_T2_T3_mT4_P12ihipStream_tbEUlT_E1_NS1_11comp_targetILNS1_3genE10ELNS1_11target_archE1201ELNS1_3gpuE5ELNS1_3repE0EEENS1_30default_config_static_selectorELNS0_4arch9wavefront6targetE0EEEvSQ_
	.p2align	8
	.type	_ZN7rocprim17ROCPRIM_400000_NS6detail17trampoline_kernelINS0_14default_configENS1_22reduce_config_selectorIbEEZNS1_11reduce_implILb1ES3_N6hipcub16HIPCUB_304000_NS22TransformInputIteratorIbN2at6native12_GLOBAL__N_19NonZeroOpIhEEPKhlEEPiiNS8_6detail34convert_binary_result_type_wrapperINS8_3SumESH_iEEEE10hipError_tPvRmT1_T2_T3_mT4_P12ihipStream_tbEUlT_E1_NS1_11comp_targetILNS1_3genE10ELNS1_11target_archE1201ELNS1_3gpuE5ELNS1_3repE0EEENS1_30default_config_static_selectorELNS0_4arch9wavefront6targetE0EEEvSQ_,@function
_ZN7rocprim17ROCPRIM_400000_NS6detail17trampoline_kernelINS0_14default_configENS1_22reduce_config_selectorIbEEZNS1_11reduce_implILb1ES3_N6hipcub16HIPCUB_304000_NS22TransformInputIteratorIbN2at6native12_GLOBAL__N_19NonZeroOpIhEEPKhlEEPiiNS8_6detail34convert_binary_result_type_wrapperINS8_3SumESH_iEEEE10hipError_tPvRmT1_T2_T3_mT4_P12ihipStream_tbEUlT_E1_NS1_11comp_targetILNS1_3genE10ELNS1_11target_archE1201ELNS1_3gpuE5ELNS1_3repE0EEENS1_30default_config_static_selectorELNS0_4arch9wavefront6targetE0EEEvSQ_: ; @_ZN7rocprim17ROCPRIM_400000_NS6detail17trampoline_kernelINS0_14default_configENS1_22reduce_config_selectorIbEEZNS1_11reduce_implILb1ES3_N6hipcub16HIPCUB_304000_NS22TransformInputIteratorIbN2at6native12_GLOBAL__N_19NonZeroOpIhEEPKhlEEPiiNS8_6detail34convert_binary_result_type_wrapperINS8_3SumESH_iEEEE10hipError_tPvRmT1_T2_T3_mT4_P12ihipStream_tbEUlT_E1_NS1_11comp_targetILNS1_3genE10ELNS1_11target_archE1201ELNS1_3gpuE5ELNS1_3repE0EEENS1_30default_config_static_selectorELNS0_4arch9wavefront6targetE0EEEvSQ_
; %bb.0:
	s_clause 0x2
	s_load_b32 s44, s[0:1], 0x4
	s_load_b64 s[40:41], s[0:1], 0x8
	s_load_b128 s[36:39], s[0:1], 0x18
	s_mov_b32 s34, ttmp9
	s_wait_kmcnt 0x0
	s_cmp_lt_i32 s44, 16
	s_cbranch_scc1 .LBB33_12
; %bb.1:
	s_cmp_gt_i32 s44, 63
	s_cbranch_scc0 .LBB33_13
; %bb.2:
	s_cmp_gt_i32 s44, 0x7f
	s_cbranch_scc0 .LBB33_22
; %bb.3:
	s_cmp_eq_u32 s44, 0x80
	s_mov_b32 s6, 0
	s_cbranch_scc0 .LBB33_23
; %bb.4:
	s_mov_b32 s35, 0
	s_lshl_b32 s4, s34, 15
	s_lshr_b64 s[2:3], s[36:37], 15
	s_mov_b32 s5, s35
	s_cmp_lg_u64 s[2:3], s[34:35]
	s_add_nc_u64 s[2:3], s[40:41], s[4:5]
	s_cbranch_scc0 .LBB33_34
; %bb.5:
	s_clause 0x1f
	global_load_u8 v1, v0, s[2:3]
	global_load_u8 v2, v0, s[2:3] offset:512
	global_load_u8 v3, v0, s[2:3] offset:256
	global_load_u8 v4, v0, s[2:3] offset:1024
	global_load_u8 v5, v0, s[2:3] offset:768
	global_load_u8 v6, v0, s[2:3] offset:1536
	global_load_u8 v7, v0, s[2:3] offset:1280
	global_load_u8 v8, v0, s[2:3] offset:2048
	global_load_u8 v9, v0, s[2:3] offset:1792
	global_load_u8 v10, v0, s[2:3] offset:2560
	global_load_u8 v11, v0, s[2:3] offset:2304
	global_load_u8 v12, v0, s[2:3] offset:3072
	global_load_u8 v13, v0, s[2:3] offset:2816
	global_load_u8 v14, v0, s[2:3] offset:3584
	global_load_u8 v15, v0, s[2:3] offset:3328
	global_load_u8 v16, v0, s[2:3] offset:4096
	global_load_u8 v17, v0, s[2:3] offset:3840
	global_load_u8 v18, v0, s[2:3] offset:4608
	global_load_u8 v19, v0, s[2:3] offset:4352
	global_load_u8 v20, v0, s[2:3] offset:5120
	global_load_u8 v21, v0, s[2:3] offset:4864
	global_load_u8 v22, v0, s[2:3] offset:5632
	global_load_u8 v23, v0, s[2:3] offset:5376
	global_load_u8 v24, v0, s[2:3] offset:6144
	global_load_u8 v25, v0, s[2:3] offset:5888
	global_load_u8 v26, v0, s[2:3] offset:6656
	global_load_u8 v27, v0, s[2:3] offset:6400
	global_load_u8 v28, v0, s[2:3] offset:7168
	global_load_u8 v29, v0, s[2:3] offset:6912
	global_load_u8 v30, v0, s[2:3] offset:7680
	global_load_u8 v31, v0, s[2:3] offset:7424
	global_load_u8 v32, v0, s[2:3] offset:8192
	s_clause 0x1f
	global_load_u8 v33, v0, s[2:3] offset:7936
	global_load_u8 v34, v0, s[2:3] offset:8704
	global_load_u8 v35, v0, s[2:3] offset:8448
	global_load_u8 v36, v0, s[2:3] offset:9216
	global_load_u8 v37, v0, s[2:3] offset:8960
	global_load_u8 v38, v0, s[2:3] offset:9728
	global_load_u8 v39, v0, s[2:3] offset:9472
	global_load_u8 v40, v0, s[2:3] offset:10240
	global_load_u8 v41, v0, s[2:3] offset:9984
	global_load_u8 v42, v0, s[2:3] offset:10752
	global_load_u8 v43, v0, s[2:3] offset:10496
	global_load_u8 v44, v0, s[2:3] offset:11264
	global_load_u8 v45, v0, s[2:3] offset:11008
	global_load_u8 v46, v0, s[2:3] offset:11776
	global_load_u8 v47, v0, s[2:3] offset:11520
	global_load_u8 v48, v0, s[2:3] offset:12288
	global_load_u8 v49, v0, s[2:3] offset:12032
	global_load_u8 v50, v0, s[2:3] offset:12800
	global_load_u8 v51, v0, s[2:3] offset:12544
	global_load_u8 v52, v0, s[2:3] offset:13312
	global_load_u8 v53, v0, s[2:3] offset:13056
	global_load_u8 v54, v0, s[2:3] offset:13824
	global_load_u8 v55, v0, s[2:3] offset:13568
	global_load_u8 v56, v0, s[2:3] offset:14336
	global_load_u8 v57, v0, s[2:3] offset:14080
	global_load_u8 v58, v0, s[2:3] offset:14848
	global_load_u8 v59, v0, s[2:3] offset:14592
	global_load_u8 v60, v0, s[2:3] offset:15360
	global_load_u8 v61, v0, s[2:3] offset:15104
	global_load_u8 v62, v0, s[2:3] offset:15872
	global_load_u8 v63, v0, s[2:3] offset:15616
	global_load_u8 v64, v0, s[2:3] offset:16384
	s_clause 0x1f
	global_load_u8 v65, v0, s[2:3] offset:16128
	;; [unrolled: 33-line block ×3, first 2 shown]
	global_load_u8 v98, v0, s[2:3] offset:25088
	global_load_u8 v99, v0, s[2:3] offset:24832
	;; [unrolled: 1-line block ×31, first 2 shown]
	s_mov_b32 s5, exec_lo
	s_wait_loadcnt 0x3e
	v_cmp_ne_u16_e32 vcc_lo, 0, v1
	v_cndmask_b32_e64 v1, 0, 1, vcc_lo
	v_cmp_ne_u16_e32 vcc_lo, 0, v2
	s_wait_alu 0xfffd
	v_cndmask_b32_e64 v2, 0, 1, vcc_lo
	v_cmp_ne_u16_e32 vcc_lo, 0, v3
	s_wait_alu 0xfffd
	v_add_co_ci_u32_e64 v1, null, 0, v1, vcc_lo
	v_cmp_ne_u16_e32 vcc_lo, 0, v4
	s_wait_alu 0xfffd
	v_cndmask_b32_e64 v3, 0, 1, vcc_lo
	v_cmp_ne_u16_e32 vcc_lo, 0, v5
	s_wait_alu 0xfffd
	v_add_co_ci_u32_e64 v1, null, v1, v2, vcc_lo
	v_cmp_ne_u16_e32 vcc_lo, 0, v6
	s_wait_alu 0xfffd
	v_cndmask_b32_e64 v2, 0, 1, vcc_lo
	v_cmp_ne_u16_e32 vcc_lo, 0, v7
	s_wait_alu 0xfffd
	v_add_co_ci_u32_e64 v1, null, v1, v3, vcc_lo
	v_cmp_ne_u16_e32 vcc_lo, 0, v8
	s_wait_alu 0xfffd
	v_cndmask_b32_e64 v3, 0, 1, vcc_lo
	v_cmp_ne_u16_e32 vcc_lo, 0, v9
	s_wait_alu 0xfffd
	v_add_co_ci_u32_e64 v1, null, v1, v2, vcc_lo
	v_cmp_ne_u16_e32 vcc_lo, 0, v10
	s_wait_alu 0xfffd
	v_cndmask_b32_e64 v2, 0, 1, vcc_lo
	v_cmp_ne_u16_e32 vcc_lo, 0, v11
	s_wait_alu 0xfffd
	v_add_co_ci_u32_e64 v1, null, v1, v3, vcc_lo
	v_cmp_ne_u16_e32 vcc_lo, 0, v12
	s_wait_alu 0xfffd
	v_cndmask_b32_e64 v3, 0, 1, vcc_lo
	v_cmp_ne_u16_e32 vcc_lo, 0, v13
	s_wait_alu 0xfffd
	v_add_co_ci_u32_e64 v1, null, v1, v2, vcc_lo
	v_cmp_ne_u16_e32 vcc_lo, 0, v14
	s_wait_alu 0xfffd
	v_cndmask_b32_e64 v2, 0, 1, vcc_lo
	v_cmp_ne_u16_e32 vcc_lo, 0, v15
	s_wait_alu 0xfffd
	v_add_co_ci_u32_e64 v1, null, v1, v3, vcc_lo
	v_cmp_ne_u16_e32 vcc_lo, 0, v16
	s_wait_alu 0xfffd
	v_cndmask_b32_e64 v3, 0, 1, vcc_lo
	v_cmp_ne_u16_e32 vcc_lo, 0, v17
	s_wait_alu 0xfffd
	v_add_co_ci_u32_e64 v1, null, v1, v2, vcc_lo
	v_cmp_ne_u16_e32 vcc_lo, 0, v18
	s_wait_alu 0xfffd
	v_cndmask_b32_e64 v2, 0, 1, vcc_lo
	v_cmp_ne_u16_e32 vcc_lo, 0, v19
	s_wait_alu 0xfffd
	v_add_co_ci_u32_e64 v1, null, v1, v3, vcc_lo
	v_cmp_ne_u16_e32 vcc_lo, 0, v20
	s_wait_alu 0xfffd
	v_cndmask_b32_e64 v3, 0, 1, vcc_lo
	v_cmp_ne_u16_e32 vcc_lo, 0, v21
	s_wait_alu 0xfffd
	v_add_co_ci_u32_e64 v1, null, v1, v2, vcc_lo
	v_cmp_ne_u16_e32 vcc_lo, 0, v22
	s_wait_alu 0xfffd
	v_cndmask_b32_e64 v2, 0, 1, vcc_lo
	v_cmp_ne_u16_e32 vcc_lo, 0, v23
	s_wait_alu 0xfffd
	v_add_co_ci_u32_e64 v1, null, v1, v3, vcc_lo
	v_cmp_ne_u16_e32 vcc_lo, 0, v24
	s_wait_alu 0xfffd
	v_cndmask_b32_e64 v3, 0, 1, vcc_lo
	v_cmp_ne_u16_e32 vcc_lo, 0, v25
	s_wait_alu 0xfffd
	v_add_co_ci_u32_e64 v1, null, v1, v2, vcc_lo
	v_cmp_ne_u16_e32 vcc_lo, 0, v26
	s_wait_alu 0xfffd
	v_cndmask_b32_e64 v2, 0, 1, vcc_lo
	v_cmp_ne_u16_e32 vcc_lo, 0, v27
	s_wait_alu 0xfffd
	v_add_co_ci_u32_e64 v1, null, v1, v3, vcc_lo
	v_cmp_ne_u16_e32 vcc_lo, 0, v28
	s_wait_alu 0xfffd
	v_cndmask_b32_e64 v3, 0, 1, vcc_lo
	v_cmp_ne_u16_e32 vcc_lo, 0, v29
	s_wait_alu 0xfffd
	v_add_co_ci_u32_e64 v1, null, v1, v2, vcc_lo
	v_cmp_ne_u16_e32 vcc_lo, 0, v30
	s_wait_alu 0xfffd
	v_cndmask_b32_e64 v2, 0, 1, vcc_lo
	v_cmp_ne_u16_e32 vcc_lo, 0, v31
	s_wait_alu 0xfffd
	v_add_co_ci_u32_e64 v1, null, v1, v3, vcc_lo
	v_cmp_ne_u16_e32 vcc_lo, 0, v32
	s_wait_alu 0xfffd
	v_cndmask_b32_e64 v3, 0, 1, vcc_lo
	v_cmp_ne_u16_e32 vcc_lo, 0, v33
	s_wait_alu 0xfffd
	v_add_co_ci_u32_e64 v1, null, v1, v2, vcc_lo
	v_cmp_ne_u16_e32 vcc_lo, 0, v34
	s_wait_alu 0xfffd
	v_cndmask_b32_e64 v2, 0, 1, vcc_lo
	v_cmp_ne_u16_e32 vcc_lo, 0, v35
	s_wait_alu 0xfffd
	v_add_co_ci_u32_e64 v1, null, v1, v3, vcc_lo
	v_cmp_ne_u16_e32 vcc_lo, 0, v36
	s_wait_alu 0xfffd
	v_cndmask_b32_e64 v3, 0, 1, vcc_lo
	v_cmp_ne_u16_e32 vcc_lo, 0, v37
	s_wait_alu 0xfffd
	v_add_co_ci_u32_e64 v1, null, v1, v2, vcc_lo
	v_cmp_ne_u16_e32 vcc_lo, 0, v38
	s_wait_alu 0xfffd
	v_cndmask_b32_e64 v2, 0, 1, vcc_lo
	v_cmp_ne_u16_e32 vcc_lo, 0, v39
	s_wait_alu 0xfffd
	v_add_co_ci_u32_e64 v1, null, v1, v3, vcc_lo
	v_cmp_ne_u16_e32 vcc_lo, 0, v40
	s_wait_alu 0xfffd
	v_cndmask_b32_e64 v3, 0, 1, vcc_lo
	v_cmp_ne_u16_e32 vcc_lo, 0, v41
	s_wait_alu 0xfffd
	v_add_co_ci_u32_e64 v1, null, v1, v2, vcc_lo
	v_cmp_ne_u16_e32 vcc_lo, 0, v42
	s_wait_alu 0xfffd
	v_cndmask_b32_e64 v2, 0, 1, vcc_lo
	v_cmp_ne_u16_e32 vcc_lo, 0, v43
	s_wait_alu 0xfffd
	v_add_co_ci_u32_e64 v1, null, v1, v3, vcc_lo
	v_cmp_ne_u16_e32 vcc_lo, 0, v44
	s_wait_alu 0xfffd
	v_cndmask_b32_e64 v3, 0, 1, vcc_lo
	v_cmp_ne_u16_e32 vcc_lo, 0, v45
	s_wait_alu 0xfffd
	v_add_co_ci_u32_e64 v1, null, v1, v2, vcc_lo
	v_cmp_ne_u16_e32 vcc_lo, 0, v46
	s_wait_alu 0xfffd
	v_cndmask_b32_e64 v2, 0, 1, vcc_lo
	v_cmp_ne_u16_e32 vcc_lo, 0, v47
	s_wait_alu 0xfffd
	v_add_co_ci_u32_e64 v1, null, v1, v3, vcc_lo
	v_cmp_ne_u16_e32 vcc_lo, 0, v48
	s_wait_alu 0xfffd
	v_cndmask_b32_e64 v3, 0, 1, vcc_lo
	v_cmp_ne_u16_e32 vcc_lo, 0, v49
	s_wait_alu 0xfffd
	v_add_co_ci_u32_e64 v1, null, v1, v2, vcc_lo
	v_cmp_ne_u16_e32 vcc_lo, 0, v50
	s_wait_alu 0xfffd
	v_cndmask_b32_e64 v2, 0, 1, vcc_lo
	v_cmp_ne_u16_e32 vcc_lo, 0, v51
	s_wait_alu 0xfffd
	v_add_co_ci_u32_e64 v1, null, v1, v3, vcc_lo
	v_cmp_ne_u16_e32 vcc_lo, 0, v52
	s_wait_alu 0xfffd
	v_cndmask_b32_e64 v3, 0, 1, vcc_lo
	v_cmp_ne_u16_e32 vcc_lo, 0, v53
	s_wait_alu 0xfffd
	v_add_co_ci_u32_e64 v1, null, v1, v2, vcc_lo
	v_cmp_ne_u16_e32 vcc_lo, 0, v54
	s_wait_alu 0xfffd
	v_cndmask_b32_e64 v2, 0, 1, vcc_lo
	v_cmp_ne_u16_e32 vcc_lo, 0, v55
	s_wait_alu 0xfffd
	v_add_co_ci_u32_e64 v1, null, v1, v3, vcc_lo
	v_cmp_ne_u16_e32 vcc_lo, 0, v56
	s_wait_alu 0xfffd
	v_cndmask_b32_e64 v3, 0, 1, vcc_lo
	v_cmp_ne_u16_e32 vcc_lo, 0, v57
	s_wait_alu 0xfffd
	v_add_co_ci_u32_e64 v1, null, v1, v2, vcc_lo
	v_cmp_ne_u16_e32 vcc_lo, 0, v58
	s_wait_alu 0xfffd
	v_cndmask_b32_e64 v2, 0, 1, vcc_lo
	v_cmp_ne_u16_e32 vcc_lo, 0, v59
	s_wait_alu 0xfffd
	v_add_co_ci_u32_e64 v1, null, v1, v3, vcc_lo
	v_cmp_ne_u16_e32 vcc_lo, 0, v60
	s_wait_alu 0xfffd
	v_cndmask_b32_e64 v3, 0, 1, vcc_lo
	v_cmp_ne_u16_e32 vcc_lo, 0, v61
	s_wait_alu 0xfffd
	v_add_co_ci_u32_e64 v1, null, v1, v2, vcc_lo
	v_cmp_ne_u16_e32 vcc_lo, 0, v62
	s_wait_alu 0xfffd
	v_cndmask_b32_e64 v2, 0, 1, vcc_lo
	v_cmp_ne_u16_e32 vcc_lo, 0, v63
	s_wait_alu 0xfffd
	v_add_co_ci_u32_e64 v1, null, v1, v3, vcc_lo
	v_cmp_ne_u16_e32 vcc_lo, 0, v64
	s_wait_alu 0xfffd
	v_cndmask_b32_e64 v3, 0, 1, vcc_lo
	v_cmp_ne_u16_e32 vcc_lo, 0, v65
	s_wait_alu 0xfffd
	v_add_co_ci_u32_e64 v1, null, v1, v2, vcc_lo
	v_cmp_ne_u16_e32 vcc_lo, 0, v66
	s_wait_alu 0xfffd
	v_cndmask_b32_e64 v2, 0, 1, vcc_lo
	s_wait_loadcnt 0x3d
	v_cmp_ne_u16_e32 vcc_lo, 0, v67
	s_wait_alu 0xfffd
	v_add_co_ci_u32_e64 v1, null, v1, v3, vcc_lo
	s_wait_loadcnt 0x3c
	v_cmp_ne_u16_e32 vcc_lo, 0, v68
	s_wait_alu 0xfffd
	v_cndmask_b32_e64 v3, 0, 1, vcc_lo
	s_wait_loadcnt 0x3b
	v_cmp_ne_u16_e32 vcc_lo, 0, v69
	s_wait_alu 0xfffd
	v_add_co_ci_u32_e64 v1, null, v1, v2, vcc_lo
	s_wait_loadcnt 0x3a
	;; [unrolled: 8-line block ×31, first 2 shown]
	v_cmp_ne_u16_e64 vcc_lo, 0, v128
	s_wait_alu 0xfffd
	s_delay_alu instid0(VALU_DEP_1) | instskip(NEXT) | instid1(VALU_DEP_1)
	v_add_co_ci_u32_e64 v1, null, v1, v2, vcc_lo
	v_mov_b32_dpp v2, v1 quad_perm:[1,0,3,2] row_mask:0xf bank_mask:0xf
	s_delay_alu instid0(VALU_DEP_1) | instskip(NEXT) | instid1(VALU_DEP_1)
	v_add_nc_u32_e32 v1, v1, v2
	v_mov_b32_dpp v2, v1 quad_perm:[2,3,0,1] row_mask:0xf bank_mask:0xf
	s_delay_alu instid0(VALU_DEP_1) | instskip(NEXT) | instid1(VALU_DEP_1)
	v_add_nc_u32_e32 v1, v1, v2
	v_mov_b32_dpp v2, v1 row_ror:4 row_mask:0xf bank_mask:0xf
	s_delay_alu instid0(VALU_DEP_1) | instskip(NEXT) | instid1(VALU_DEP_1)
	v_add_nc_u32_e32 v1, v1, v2
	v_mov_b32_dpp v2, v1 row_ror:8 row_mask:0xf bank_mask:0xf
	s_delay_alu instid0(VALU_DEP_1)
	v_add_nc_u32_e32 v1, v1, v2
	ds_swizzle_b32 v2, v1 offset:swizzle(BROADCAST,32,15)
	s_wait_dscnt 0x0
	v_dual_mov_b32 v2, 0 :: v_dual_add_nc_u32 v1, v1, v2
	ds_bpermute_b32 v1, v2, v1 offset:124
	v_mbcnt_lo_u32_b32 v2, -1, 0
	s_delay_alu instid0(VALU_DEP_1)
	v_cmpx_eq_u32_e32 0, v2
	s_cbranch_execz .LBB33_7
; %bb.6:
	v_lshrrev_b32_e32 v3, 3, v0
	s_delay_alu instid0(VALU_DEP_1)
	v_and_b32_e32 v3, 28, v3
	s_wait_dscnt 0x0
	ds_store_b32 v3, v1
.LBB33_7:
	s_or_b32 exec_lo, exec_lo, s5
	s_delay_alu instid0(SALU_CYCLE_1)
	s_mov_b32 s5, exec_lo
	s_wait_dscnt 0x0
	s_barrier_signal -1
	s_barrier_wait -1
	global_inv scope:SCOPE_SE
	v_cmpx_gt_u32_e32 32, v0
	s_cbranch_execz .LBB33_9
; %bb.8:
	v_and_b32_e32 v1, 7, v2
	s_delay_alu instid0(VALU_DEP_1)
	v_lshlrev_b32_e32 v3, 2, v1
	v_cmp_ne_u32_e32 vcc_lo, 7, v1
	ds_load_b32 v3, v3
	s_wait_alu 0xfffd
	v_add_co_ci_u32_e64 v4, null, 0, v2, vcc_lo
	v_cmp_gt_u32_e32 vcc_lo, 6, v1
	s_delay_alu instid0(VALU_DEP_2) | instskip(SKIP_2) | instid1(VALU_DEP_1)
	v_lshlrev_b32_e32 v4, 2, v4
	s_wait_alu 0xfffd
	v_cndmask_b32_e64 v1, 0, 2, vcc_lo
	v_add_lshl_u32 v1, v1, v2, 2
	v_lshlrev_b32_e32 v2, 2, v2
	s_delay_alu instid0(VALU_DEP_1)
	v_or_b32_e32 v2, 16, v2
	s_wait_dscnt 0x0
	ds_bpermute_b32 v4, v4, v3
	s_wait_dscnt 0x0
	v_add_nc_u32_e32 v3, v4, v3
	ds_bpermute_b32 v1, v1, v3
	s_wait_dscnt 0x0
	v_add_nc_u32_e32 v1, v1, v3
	;; [unrolled: 3-line block ×3, first 2 shown]
.LBB33_9:
	s_or_b32 exec_lo, exec_lo, s5
.LBB33_10:
	v_cmp_eq_u32_e64 s2, 0, v0
	s_and_b32 vcc_lo, exec_lo, s6
	s_wait_alu 0xfffe
	s_cbranch_vccnz .LBB33_24
.LBB33_11:
	s_branch .LBB33_512
.LBB33_12:
	s_mov_b32 s2, 0
                                        ; implicit-def: $vgpr1
	s_cbranch_execz .LBB33_623
	s_branch .LBB33_513
.LBB33_13:
	s_mov_b32 s2, 0
                                        ; implicit-def: $vgpr1
	s_cbranch_execz .LBB33_512
; %bb.14:
	s_cmp_gt_i32 s44, 31
	s_cbranch_scc0 .LBB33_31
; %bb.15:
	s_cmp_eq_u32 s44, 32
	s_cbranch_scc0 .LBB33_32
; %bb.16:
	s_mov_b32 s35, 0
	s_lshl_b32 s2, s34, 13
	s_lshr_b64 s[4:5], s[36:37], 13
	s_mov_b32 s3, s35
	s_cmp_lg_u64 s[4:5], s[34:35]
	s_add_nc_u64 s[42:43], s[40:41], s[2:3]
	s_cbranch_scc0 .LBB33_296
; %bb.17:
	s_clause 0x1f
	global_load_u8 v1, v0, s[42:43]
	global_load_u8 v2, v0, s[42:43] offset:512
	global_load_u8 v3, v0, s[42:43] offset:256
	;; [unrolled: 1-line block ×31, first 2 shown]
	s_mov_b32 s3, exec_lo
	s_wait_loadcnt 0x1f
	v_cmp_ne_u16_e32 vcc_lo, 0, v1
	v_cndmask_b32_e64 v1, 0, 1, vcc_lo
	s_wait_loadcnt 0x1e
	v_cmp_ne_u16_e32 vcc_lo, 0, v2
	s_wait_alu 0xfffd
	v_cndmask_b32_e64 v2, 0, 1, vcc_lo
	s_wait_loadcnt 0x1d
	v_cmp_ne_u16_e32 vcc_lo, 0, v3
	s_wait_alu 0xfffd
	v_add_co_ci_u32_e64 v1, null, 0, v1, vcc_lo
	s_wait_loadcnt 0x1c
	v_cmp_ne_u16_e32 vcc_lo, 0, v4
	s_wait_alu 0xfffd
	v_cndmask_b32_e64 v3, 0, 1, vcc_lo
	s_wait_loadcnt 0x1b
	v_cmp_ne_u16_e32 vcc_lo, 0, v5
	s_wait_alu 0xfffd
	v_add_co_ci_u32_e64 v1, null, v1, v2, vcc_lo
	;; [unrolled: 8-line block ×15, first 2 shown]
	s_wait_loadcnt 0x0
	v_cmp_ne_u16_e32 vcc_lo, 0, v32
	s_wait_alu 0xfffd
	s_delay_alu instid0(VALU_DEP_2) | instskip(NEXT) | instid1(VALU_DEP_1)
	v_add_co_ci_u32_e64 v1, null, v1, v2, vcc_lo
	v_mov_b32_dpp v2, v1 quad_perm:[1,0,3,2] row_mask:0xf bank_mask:0xf
	s_delay_alu instid0(VALU_DEP_1) | instskip(NEXT) | instid1(VALU_DEP_1)
	v_add_nc_u32_e32 v1, v1, v2
	v_mov_b32_dpp v2, v1 quad_perm:[2,3,0,1] row_mask:0xf bank_mask:0xf
	s_delay_alu instid0(VALU_DEP_1) | instskip(NEXT) | instid1(VALU_DEP_1)
	v_add_nc_u32_e32 v1, v1, v2
	v_mov_b32_dpp v2, v1 row_ror:4 row_mask:0xf bank_mask:0xf
	s_delay_alu instid0(VALU_DEP_1) | instskip(NEXT) | instid1(VALU_DEP_1)
	v_add_nc_u32_e32 v1, v1, v2
	v_mov_b32_dpp v2, v1 row_ror:8 row_mask:0xf bank_mask:0xf
	s_delay_alu instid0(VALU_DEP_1)
	v_add_nc_u32_e32 v1, v1, v2
	ds_swizzle_b32 v2, v1 offset:swizzle(BROADCAST,32,15)
	s_wait_dscnt 0x0
	v_dual_mov_b32 v2, 0 :: v_dual_add_nc_u32 v1, v1, v2
	ds_bpermute_b32 v1, v2, v1 offset:124
	v_mbcnt_lo_u32_b32 v2, -1, 0
	s_delay_alu instid0(VALU_DEP_1)
	v_cmpx_eq_u32_e32 0, v2
	s_cbranch_execz .LBB33_19
; %bb.18:
	v_lshrrev_b32_e32 v3, 3, v0
	s_delay_alu instid0(VALU_DEP_1)
	v_and_b32_e32 v3, 28, v3
	s_wait_dscnt 0x0
	ds_store_b32 v3, v1 offset:128
.LBB33_19:
	s_or_b32 exec_lo, exec_lo, s3
	s_delay_alu instid0(SALU_CYCLE_1)
	s_mov_b32 s3, exec_lo
	s_wait_dscnt 0x0
	s_barrier_signal -1
	s_barrier_wait -1
	global_inv scope:SCOPE_SE
	v_cmpx_gt_u32_e32 32, v0
	s_cbranch_execz .LBB33_21
; %bb.20:
	v_and_b32_e32 v1, 7, v2
	s_delay_alu instid0(VALU_DEP_1)
	v_lshlrev_b32_e32 v3, 2, v1
	v_cmp_ne_u32_e32 vcc_lo, 7, v1
	ds_load_b32 v3, v3 offset:128
	s_wait_alu 0xfffd
	v_add_co_ci_u32_e64 v4, null, 0, v2, vcc_lo
	v_cmp_gt_u32_e32 vcc_lo, 6, v1
	s_delay_alu instid0(VALU_DEP_2) | instskip(SKIP_2) | instid1(VALU_DEP_1)
	v_lshlrev_b32_e32 v4, 2, v4
	s_wait_alu 0xfffd
	v_cndmask_b32_e64 v1, 0, 2, vcc_lo
	v_add_lshl_u32 v1, v1, v2, 2
	v_lshlrev_b32_e32 v2, 2, v2
	s_delay_alu instid0(VALU_DEP_1)
	v_or_b32_e32 v2, 16, v2
	s_wait_dscnt 0x0
	ds_bpermute_b32 v4, v4, v3
	s_wait_dscnt 0x0
	v_add_nc_u32_e32 v3, v4, v3
	ds_bpermute_b32 v1, v1, v3
	s_wait_dscnt 0x0
	v_add_nc_u32_e32 v1, v1, v3
	;; [unrolled: 3-line block ×3, first 2 shown]
.LBB33_21:
	s_or_b32 exec_lo, exec_lo, s3
	s_mov_b32 s3, 0
	s_branch .LBB33_297
.LBB33_22:
	s_mov_b32 s6, -1
.LBB33_23:
	s_mov_b32 s2, 0
                                        ; implicit-def: $vgpr1
	s_and_b32 vcc_lo, exec_lo, s6
	s_cbranch_vccz .LBB33_11
.LBB33_24:
	s_cmp_eq_u32 s44, 64
	s_cbranch_scc0 .LBB33_33
; %bb.25:
	s_mov_b32 s35, 0
	s_lshl_b32 s4, s34, 14
	s_lshr_b64 s[2:3], s[36:37], 14
	s_mov_b32 s5, s35
	s_wait_alu 0xfffe
	s_cmp_lg_u64 s[2:3], s[34:35]
	s_add_nc_u64 s[2:3], s[40:41], s[4:5]
	s_cbranch_scc0 .LBB33_376
; %bb.26:
	s_clause 0x1f
	global_load_u8 v1, v0, s[2:3]
	global_load_u8 v2, v0, s[2:3] offset:512
	global_load_u8 v3, v0, s[2:3] offset:256
	;; [unrolled: 1-line block ×31, first 2 shown]
	s_clause 0x1f
	global_load_u8 v33, v0, s[2:3] offset:7936
	global_load_u8 v34, v0, s[2:3] offset:8704
	;; [unrolled: 1-line block ×32, first 2 shown]
	s_mov_b32 s5, exec_lo
	s_wait_loadcnt 0x3e
	v_cmp_ne_u16_e32 vcc_lo, 0, v1
	s_wait_alu 0xfffd
	v_cndmask_b32_e64 v1, 0, 1, vcc_lo
	v_cmp_ne_u16_e32 vcc_lo, 0, v2
	s_wait_alu 0xfffd
	v_cndmask_b32_e64 v2, 0, 1, vcc_lo
	s_wait_loadcnt 0x3d
	v_cmp_ne_u16_e32 vcc_lo, 0, v3
	s_wait_alu 0xfffd
	v_add_co_ci_u32_e64 v1, null, 0, v1, vcc_lo
	s_wait_loadcnt 0x3c
	v_cmp_ne_u16_e32 vcc_lo, 0, v4
	s_wait_alu 0xfffd
	v_cndmask_b32_e64 v3, 0, 1, vcc_lo
	s_wait_loadcnt 0x3b
	v_cmp_ne_u16_e32 vcc_lo, 0, v5
	s_wait_alu 0xfffd
	v_add_co_ci_u32_e64 v1, null, v1, v2, vcc_lo
	s_wait_loadcnt 0x3a
	;; [unrolled: 8-line block ×31, first 2 shown]
	v_cmp_ne_u16_e32 vcc_lo, 0, v64
	s_wait_alu 0xfffd
	s_delay_alu instid0(VALU_DEP_2) | instskip(NEXT) | instid1(VALU_DEP_1)
	v_add_co_ci_u32_e64 v1, null, v1, v2, vcc_lo
	v_mov_b32_dpp v2, v1 quad_perm:[1,0,3,2] row_mask:0xf bank_mask:0xf
	s_delay_alu instid0(VALU_DEP_1) | instskip(NEXT) | instid1(VALU_DEP_1)
	v_add_nc_u32_e32 v1, v1, v2
	v_mov_b32_dpp v2, v1 quad_perm:[2,3,0,1] row_mask:0xf bank_mask:0xf
	s_delay_alu instid0(VALU_DEP_1) | instskip(NEXT) | instid1(VALU_DEP_1)
	v_add_nc_u32_e32 v1, v1, v2
	v_mov_b32_dpp v2, v1 row_ror:4 row_mask:0xf bank_mask:0xf
	s_delay_alu instid0(VALU_DEP_1) | instskip(NEXT) | instid1(VALU_DEP_1)
	v_add_nc_u32_e32 v1, v1, v2
	v_mov_b32_dpp v2, v1 row_ror:8 row_mask:0xf bank_mask:0xf
	s_delay_alu instid0(VALU_DEP_1)
	v_add_nc_u32_e32 v1, v1, v2
	ds_swizzle_b32 v2, v1 offset:swizzle(BROADCAST,32,15)
	s_wait_dscnt 0x0
	v_dual_mov_b32 v2, 0 :: v_dual_add_nc_u32 v1, v1, v2
	ds_bpermute_b32 v1, v2, v1 offset:124
	v_mbcnt_lo_u32_b32 v2, -1, 0
	s_delay_alu instid0(VALU_DEP_1)
	v_cmpx_eq_u32_e32 0, v2
	s_cbranch_execz .LBB33_28
; %bb.27:
	v_lshrrev_b32_e32 v3, 3, v0
	s_delay_alu instid0(VALU_DEP_1)
	v_and_b32_e32 v3, 28, v3
	s_wait_dscnt 0x0
	ds_store_b32 v3, v1 offset:192
.LBB33_28:
	s_wait_alu 0xfffe
	s_or_b32 exec_lo, exec_lo, s5
	s_delay_alu instid0(SALU_CYCLE_1)
	s_mov_b32 s5, exec_lo
	s_wait_dscnt 0x0
	s_barrier_signal -1
	s_barrier_wait -1
	global_inv scope:SCOPE_SE
	v_cmpx_gt_u32_e32 32, v0
	s_cbranch_execz .LBB33_30
; %bb.29:
	v_and_b32_e32 v1, 7, v2
	s_delay_alu instid0(VALU_DEP_1)
	v_lshlrev_b32_e32 v3, 2, v1
	v_cmp_ne_u32_e32 vcc_lo, 7, v1
	ds_load_b32 v3, v3 offset:192
	s_wait_alu 0xfffd
	v_add_co_ci_u32_e64 v4, null, 0, v2, vcc_lo
	v_cmp_gt_u32_e32 vcc_lo, 6, v1
	s_delay_alu instid0(VALU_DEP_2) | instskip(SKIP_2) | instid1(VALU_DEP_1)
	v_lshlrev_b32_e32 v4, 2, v4
	s_wait_alu 0xfffd
	v_cndmask_b32_e64 v1, 0, 2, vcc_lo
	v_add_lshl_u32 v1, v1, v2, 2
	v_lshlrev_b32_e32 v2, 2, v2
	s_delay_alu instid0(VALU_DEP_1)
	v_or_b32_e32 v2, 16, v2
	s_wait_dscnt 0x0
	ds_bpermute_b32 v4, v4, v3
	s_wait_dscnt 0x0
	v_add_nc_u32_e32 v3, v4, v3
	ds_bpermute_b32 v1, v1, v3
	s_wait_dscnt 0x0
	v_add_nc_u32_e32 v1, v1, v3
	;; [unrolled: 3-line block ×3, first 2 shown]
.LBB33_30:
	s_wait_alu 0xfffe
	s_or_b32 exec_lo, exec_lo, s5
	s_mov_b32 s5, 0
	s_branch .LBB33_377
.LBB33_31:
                                        ; implicit-def: $vgpr1
	s_cbranch_execz .LBB33_512
	s_branch .LBB33_368
.LBB33_32:
                                        ; implicit-def: $vgpr1
	s_branch .LBB33_512
.LBB33_33:
                                        ; implicit-def: $vgpr1
	s_branch .LBB33_512
.LBB33_34:
                                        ; implicit-def: $vgpr1
	s_cbranch_execz .LBB33_10
; %bb.35:
	s_sub_co_i32 s4, s36, s4
	s_mov_b32 s5, exec_lo
                                        ; implicit-def: $vgpr1
	v_cmpx_gt_u32_e64 s4, v0
	s_cbranch_execz .LBB33_37
; %bb.36:
	global_load_u8 v1, v0, s[2:3]
	s_wait_loadcnt 0x0
	v_cmp_ne_u16_e32 vcc_lo, 0, v1
	v_cndmask_b32_e64 v1, 0, 1, vcc_lo
.LBB33_37:
	s_or_b32 exec_lo, exec_lo, s5
	v_or_b32_e32 v3, 0x100, v0
	v_mov_b32_e32 v2, 0
	s_delay_alu instid0(VALU_DEP_2)
	v_cmp_gt_u32_e32 vcc_lo, s4, v3
	v_mov_b32_e32 v3, 0
	s_and_saveexec_b32 s5, vcc_lo
	s_cbranch_execz .LBB33_39
; %bb.38:
	global_load_u8 v3, v0, s[2:3] offset:256
	s_wait_loadcnt 0x0
	v_cmp_ne_u16_e32 vcc_lo, 0, v3
	s_wait_alu 0xfffd
	v_cndmask_b32_e64 v3, 0, 1, vcc_lo
.LBB33_39:
	s_wait_alu 0xfffe
	s_or_b32 exec_lo, exec_lo, s5
	v_or_b32_e32 v4, 0x200, v0
	s_mov_b32 s5, exec_lo
	s_delay_alu instid0(VALU_DEP_1)
	v_cmpx_gt_u32_e64 s4, v4
	s_cbranch_execz .LBB33_41
; %bb.40:
	global_load_u8 v2, v0, s[2:3] offset:512
	s_wait_loadcnt 0x0
	v_cmp_ne_u16_e32 vcc_lo, 0, v2
	s_wait_alu 0xfffd
	v_cndmask_b32_e64 v2, 0, 1, vcc_lo
.LBB33_41:
	s_wait_alu 0xfffe
	s_or_b32 exec_lo, exec_lo, s5
	v_or_b32_e32 v5, 0x300, v0
	v_mov_b32_e32 v4, 0
	s_delay_alu instid0(VALU_DEP_2)
	v_cmp_gt_u32_e32 vcc_lo, s4, v5
	v_mov_b32_e32 v5, 0
	s_and_saveexec_b32 s5, vcc_lo
	s_cbranch_execz .LBB33_43
; %bb.42:
	global_load_u8 v5, v0, s[2:3] offset:768
	s_wait_loadcnt 0x0
	v_cmp_ne_u16_e32 vcc_lo, 0, v5
	s_wait_alu 0xfffd
	v_cndmask_b32_e64 v5, 0, 1, vcc_lo
.LBB33_43:
	s_wait_alu 0xfffe
	s_or_b32 exec_lo, exec_lo, s5
	v_or_b32_e32 v6, 0x400, v0
	s_mov_b32 s5, exec_lo
	s_delay_alu instid0(VALU_DEP_1)
	v_cmpx_gt_u32_e64 s4, v6
	s_cbranch_execz .LBB33_45
; %bb.44:
	global_load_u8 v4, v0, s[2:3] offset:1024
	s_wait_loadcnt 0x0
	v_cmp_ne_u16_e32 vcc_lo, 0, v4
	s_wait_alu 0xfffd
	v_cndmask_b32_e64 v4, 0, 1, vcc_lo
.LBB33_45:
	s_wait_alu 0xfffe
	;; [unrolled: 30-line block ×63, first 2 shown]
	s_or_b32 exec_lo, exec_lo, s5
	v_or_b32_e32 v128, 0x7f00, v0
	s_delay_alu instid0(VALU_DEP_1)
	v_cmp_gt_u32_e32 vcc_lo, s4, v128
	v_mov_b32_e32 v128, 0
	s_and_saveexec_b32 s5, vcc_lo
	s_cbranch_execz .LBB33_291
; %bb.290:
	global_load_u8 v128, v0, s[2:3] offset:32512
	s_wait_loadcnt 0x0
	v_cmp_ne_u16_e64 vcc_lo, 0, v128
	s_wait_alu 0xfffd
	s_delay_alu instid0(VALU_DEP_1)
	v_cndmask_b32_e64 v128, 0, 1, vcc_lo
.LBB33_291:
	s_wait_alu 0xfffe
	s_or_b32 exec_lo, exec_lo, s5
	v_add_nc_u32_e32 v1, v3, v1
	s_min_u32 s2, s4, 0x100
	s_mov_b32 s3, exec_lo
	s_delay_alu instid0(VALU_DEP_1) | instskip(SKIP_1) | instid1(VALU_DEP_2)
	v_add3_u32 v1, v1, v2, v5
	v_mbcnt_lo_u32_b32 v2, -1, 0
	v_add3_u32 v1, v1, v4, v7
	s_delay_alu instid0(VALU_DEP_2) | instskip(SKIP_1) | instid1(VALU_DEP_3)
	v_cmp_ne_u32_e32 vcc_lo, 31, v2
	v_add_nc_u32_e32 v5, 1, v2
	v_add3_u32 v1, v1, v6, v9
	s_wait_alu 0xfffd
	v_add_co_ci_u32_e64 v3, null, 0, v2, vcc_lo
	v_cmp_gt_u32_e32 vcc_lo, 30, v2
	s_delay_alu instid0(VALU_DEP_3) | instskip(NEXT) | instid1(VALU_DEP_3)
	v_add3_u32 v1, v1, v8, v11
	v_lshlrev_b32_e32 v3, 2, v3
	s_wait_alu 0xfffd
	v_cndmask_b32_e64 v6, 0, 2, vcc_lo
	s_delay_alu instid0(VALU_DEP_3) | instskip(NEXT) | instid1(VALU_DEP_1)
	v_add3_u32 v1, v1, v10, v13
	v_add3_u32 v1, v1, v12, v15
	s_delay_alu instid0(VALU_DEP_1) | instskip(NEXT) | instid1(VALU_DEP_1)
	v_add3_u32 v1, v1, v14, v17
	v_add3_u32 v1, v1, v16, v19
	s_delay_alu instid0(VALU_DEP_1) | instskip(NEXT) | instid1(VALU_DEP_1)
	;; [unrolled: 3-line block ×28, first 2 shown]
	v_add3_u32 v1, v1, v122, v125
	v_add3_u32 v1, v1, v124, v127
	s_delay_alu instid0(VALU_DEP_1) | instskip(SKIP_2) | instid1(VALU_DEP_1)
	v_add3_u32 v1, v1, v126, v128
	ds_bpermute_b32 v3, v3, v1
	v_and_b32_e32 v4, 0xe0, v0
	v_sub_nc_u32_e64 v4, s2, v4 clamp
	s_delay_alu instid0(VALU_DEP_1)
	v_cmp_lt_u32_e32 vcc_lo, v5, v4
	v_add_lshl_u32 v5, v6, v2, 2
	s_wait_dscnt 0x0
	s_wait_alu 0xfffd
	v_cndmask_b32_e32 v3, 0, v3, vcc_lo
	v_cmp_gt_u32_e32 vcc_lo, 28, v2
	s_delay_alu instid0(VALU_DEP_2) | instskip(SKIP_4) | instid1(VALU_DEP_1)
	v_add_nc_u32_e32 v1, v3, v1
	s_wait_alu 0xfffd
	v_cndmask_b32_e64 v6, 0, 4, vcc_lo
	ds_bpermute_b32 v3, v5, v1
	v_add_nc_u32_e32 v5, 2, v2
	v_cmp_lt_u32_e32 vcc_lo, v5, v4
	v_add_lshl_u32 v5, v6, v2, 2
	s_wait_dscnt 0x0
	s_wait_alu 0xfffd
	v_cndmask_b32_e32 v3, 0, v3, vcc_lo
	v_cmp_gt_u32_e32 vcc_lo, 24, v2
	s_delay_alu instid0(VALU_DEP_2) | instskip(SKIP_4) | instid1(VALU_DEP_1)
	v_add_nc_u32_e32 v1, v1, v3
	s_wait_alu 0xfffd
	v_cndmask_b32_e64 v6, 0, 8, vcc_lo
	ds_bpermute_b32 v3, v5, v1
	v_add_nc_u32_e32 v5, 4, v2
	v_cmp_lt_u32_e32 vcc_lo, v5, v4
	v_add_lshl_u32 v5, v6, v2, 2
	s_wait_dscnt 0x0
	s_wait_alu 0xfffd
	v_dual_cndmask_b32 v3, 0, v3 :: v_dual_add_nc_u32 v6, 8, v2
	s_delay_alu instid0(VALU_DEP_1) | instskip(NEXT) | instid1(VALU_DEP_2)
	v_cmp_lt_u32_e32 vcc_lo, v6, v4
	v_add_nc_u32_e32 v1, v1, v3
	v_lshlrev_b32_e32 v3, 2, v2
	ds_bpermute_b32 v5, v5, v1
	v_or_b32_e32 v6, 64, v3
	s_wait_dscnt 0x0
	s_wait_alu 0xfffd
	v_cndmask_b32_e32 v5, 0, v5, vcc_lo
	s_delay_alu instid0(VALU_DEP_1) | instskip(SKIP_2) | instid1(VALU_DEP_1)
	v_add_nc_u32_e32 v1, v1, v5
	ds_bpermute_b32 v5, v6, v1
	v_add_nc_u32_e32 v6, 16, v2
	v_cmp_lt_u32_e32 vcc_lo, v6, v4
	s_wait_dscnt 0x0
	s_wait_alu 0xfffd
	v_cndmask_b32_e32 v4, 0, v5, vcc_lo
	s_delay_alu instid0(VALU_DEP_1)
	v_add_nc_u32_e32 v1, v1, v4
	v_cmpx_eq_u32_e32 0, v2
; %bb.292:
	v_lshrrev_b32_e32 v4, 3, v0
	s_delay_alu instid0(VALU_DEP_1)
	v_and_b32_e32 v4, 28, v4
	ds_store_b32 v4, v1 offset:256
; %bb.293:
	s_or_b32 exec_lo, exec_lo, s3
	s_delay_alu instid0(SALU_CYCLE_1)
	s_mov_b32 s3, exec_lo
	s_wait_loadcnt_dscnt 0x0
	s_barrier_signal -1
	s_barrier_wait -1
	global_inv scope:SCOPE_SE
	v_cmpx_gt_u32_e32 8, v0
	s_cbranch_execz .LBB33_295
; %bb.294:
	ds_load_b32 v1, v3 offset:256
	v_and_b32_e32 v4, 7, v2
	s_add_co_i32 s2, s2, 31
	s_wait_alu 0xfffe
	s_lshr_b32 s2, s2, 5
	s_delay_alu instid0(VALU_DEP_1) | instskip(SKIP_4) | instid1(VALU_DEP_2)
	v_cmp_ne_u32_e32 vcc_lo, 7, v4
	v_add_nc_u32_e32 v6, 1, v4
	s_wait_alu 0xfffd
	v_add_co_ci_u32_e64 v5, null, 0, v2, vcc_lo
	v_cmp_gt_u32_e32 vcc_lo, 6, v4
	v_lshlrev_b32_e32 v5, 2, v5
	s_wait_alu 0xfffd
	v_cndmask_b32_e64 v7, 0, 2, vcc_lo
	s_wait_alu 0xfffe
	v_cmp_gt_u32_e32 vcc_lo, s2, v6
	s_wait_dscnt 0x0
	ds_bpermute_b32 v5, v5, v1
	v_add_lshl_u32 v2, v7, v2, 2
	s_wait_dscnt 0x0
	s_wait_alu 0xfffd
	v_cndmask_b32_e32 v5, 0, v5, vcc_lo
	s_delay_alu instid0(VALU_DEP_1)
	v_add_nc_u32_e32 v1, v5, v1
	v_add_nc_u32_e32 v5, 2, v4
	ds_bpermute_b32 v2, v2, v1
	v_cmp_gt_u32_e32 vcc_lo, s2, v5
	s_wait_dscnt 0x0
	s_wait_alu 0xfffd
	v_cndmask_b32_e32 v2, 0, v2, vcc_lo
	s_delay_alu instid0(VALU_DEP_1)
	v_add_nc_u32_e32 v1, v1, v2
	v_or_b32_e32 v2, 16, v3
	v_add_nc_u32_e32 v3, 4, v4
	ds_bpermute_b32 v2, v2, v1
	v_cmp_gt_u32_e32 vcc_lo, s2, v3
	s_wait_dscnt 0x0
	s_wait_alu 0xfffd
	v_cndmask_b32_e32 v2, 0, v2, vcc_lo
	s_delay_alu instid0(VALU_DEP_1)
	v_add_nc_u32_e32 v1, v1, v2
.LBB33_295:
	s_wait_alu 0xfffe
	s_or_b32 exec_lo, exec_lo, s3
	v_cmp_eq_u32_e64 s2, 0, v0
	s_and_b32 vcc_lo, exec_lo, s6
	s_wait_alu 0xfffe
	s_cbranch_vccnz .LBB33_24
	s_branch .LBB33_11
.LBB33_296:
	s_mov_b32 s3, -1
                                        ; implicit-def: $vgpr1
.LBB33_297:
	s_delay_alu instid0(SALU_CYCLE_1)
	s_and_b32 vcc_lo, exec_lo, s3
	s_wait_alu 0xfffe
	s_cbranch_vccz .LBB33_367
; %bb.298:
	v_mov_b32_e32 v1, 0
	s_sub_co_i32 s45, s36, s2
	s_delay_alu instid0(SALU_CYCLE_1) | instskip(NEXT) | instid1(VALU_DEP_2)
	v_cmp_gt_u32_e32 vcc_lo, s45, v0
	v_dual_mov_b32 v2, v1 :: v_dual_mov_b32 v3, v1
	v_dual_mov_b32 v4, v1 :: v_dual_mov_b32 v5, v1
	;; [unrolled: 1-line block ×15, first 2 shown]
	v_mov_b32_e32 v32, v1
	s_and_saveexec_b32 s2, vcc_lo
	s_cbranch_execz .LBB33_300
; %bb.299:
	global_load_u8 v2, v0, s[42:43]
	v_mov_b32_e32 v33, v1
	v_dual_mov_b32 v3, v1 :: v_dual_mov_b32 v4, v1
	v_dual_mov_b32 v5, v1 :: v_dual_mov_b32 v6, v1
	;; [unrolled: 1-line block ×15, first 2 shown]
	s_wait_loadcnt 0x0
	v_cmp_ne_u16_e32 vcc_lo, 0, v2
	s_wait_alu 0xfffd
	v_cndmask_b32_e64 v2, 0, 1, vcc_lo
	s_delay_alu instid0(VALU_DEP_1)
	v_mov_b32_e32 v1, v2
	v_mov_b32_e32 v2, v3
	;; [unrolled: 1-line block ×32, first 2 shown]
.LBB33_300:
	s_or_b32 exec_lo, exec_lo, s2
	v_or_b32_e32 v33, 0x100, v0
	s_delay_alu instid0(VALU_DEP_1)
	v_cmp_gt_u32_e32 vcc_lo, s45, v33
	s_and_saveexec_b32 s3, vcc_lo
	s_cbranch_execz .LBB33_302
; %bb.301:
	global_load_u8 v2, v0, s[42:43] offset:256
	s_wait_loadcnt 0x0
	v_cmp_ne_u16_e64 s2, 0, v2
	s_delay_alu instid0(VALU_DEP_1)
	v_cndmask_b32_e64 v2, 0, 1, s2
.LBB33_302:
	s_or_b32 exec_lo, exec_lo, s3
	v_or_b32_e32 v33, 0x200, v0
	s_delay_alu instid0(VALU_DEP_1)
	v_cmp_gt_u32_e64 s2, s45, v33
	s_and_saveexec_b32 s4, s2
	s_cbranch_execz .LBB33_304
; %bb.303:
	global_load_u8 v3, v0, s[42:43] offset:512
	s_wait_loadcnt 0x0
	v_cmp_ne_u16_e64 s3, 0, v3
	s_wait_alu 0xf1ff
	s_delay_alu instid0(VALU_DEP_1)
	v_cndmask_b32_e64 v3, 0, 1, s3
.LBB33_304:
	s_or_b32 exec_lo, exec_lo, s4
	v_or_b32_e32 v33, 0x300, v0
	s_delay_alu instid0(VALU_DEP_1)
	v_cmp_gt_u32_e64 s3, s45, v33
	s_and_saveexec_b32 s5, s3
	s_cbranch_execz .LBB33_306
; %bb.305:
	global_load_u8 v4, v0, s[42:43] offset:768
	s_wait_loadcnt 0x0
	v_cmp_ne_u16_e64 s4, 0, v4
	s_delay_alu instid0(VALU_DEP_1)
	v_cndmask_b32_e64 v4, 0, 1, s4
.LBB33_306:
	s_or_b32 exec_lo, exec_lo, s5
	v_or_b32_e32 v33, 0x400, v0
	s_delay_alu instid0(VALU_DEP_1)
	v_cmp_gt_u32_e64 s4, s45, v33
	s_and_saveexec_b32 s6, s4
	s_cbranch_execz .LBB33_308
; %bb.307:
	global_load_u8 v5, v0, s[42:43] offset:1024
	s_wait_loadcnt 0x0
	v_cmp_ne_u16_e64 s5, 0, v5
	s_wait_alu 0xf1ff
	s_delay_alu instid0(VALU_DEP_1)
	v_cndmask_b32_e64 v5, 0, 1, s5
.LBB33_308:
	s_or_b32 exec_lo, exec_lo, s6
	v_or_b32_e32 v33, 0x500, v0
	s_delay_alu instid0(VALU_DEP_1)
	v_cmp_gt_u32_e64 s5, s45, v33
	s_and_saveexec_b32 s7, s5
	;; [unrolled: 27-line block ×15, first 2 shown]
	s_cbranch_execz .LBB33_362
; %bb.361:
	global_load_u8 v32, v0, s[42:43] offset:7936
	s_wait_loadcnt 0x0
	v_cmp_ne_u16_e64 s33, 0, v32
	s_delay_alu instid0(VALU_DEP_1)
	v_cndmask_b32_e64 v32, 0, 1, s33
.LBB33_362:
	s_or_b32 exec_lo, exec_lo, s46
	v_cndmask_b32_e32 v2, 0, v2, vcc_lo
	v_cndmask_b32_e64 v3, 0, v3, s2
	v_cndmask_b32_e64 v4, 0, v4, s3
	s_min_u32 s2, s45, 0x100
	s_mov_b32 s3, exec_lo
	v_add_nc_u32_e32 v1, v2, v1
	v_cndmask_b32_e64 v2, 0, v5, s4
	v_cndmask_b32_e64 v5, 0, v6, s5
	;; [unrolled: 1-line block ×3, first 2 shown]
	s_delay_alu instid0(VALU_DEP_4) | instskip(SKIP_3) | instid1(VALU_DEP_4)
	v_add3_u32 v1, v1, v3, v4
	v_cndmask_b32_e64 v3, 0, v7, s6
	v_cndmask_b32_e64 v4, 0, v8, s7
	;; [unrolled: 1-line block ×3, first 2 shown]
	v_add3_u32 v1, v1, v2, v5
	v_cndmask_b32_e64 v2, 0, v9, s8
	v_cndmask_b32_e64 v5, 0, v10, s9
	s_delay_alu instid0(VALU_DEP_3) | instskip(SKIP_2) | instid1(VALU_DEP_3)
	v_add3_u32 v1, v1, v3, v4
	v_cndmask_b32_e64 v3, 0, v11, s10
	v_cndmask_b32_e64 v4, 0, v12, s11
	v_add3_u32 v1, v1, v2, v5
	v_cndmask_b32_e64 v2, 0, v13, s12
	v_cndmask_b32_e64 v5, 0, v14, s13
	s_delay_alu instid0(VALU_DEP_3) | instskip(SKIP_2) | instid1(VALU_DEP_3)
	v_add3_u32 v1, v1, v3, v4
	v_cndmask_b32_e64 v3, 0, v15, s14
	v_cndmask_b32_e64 v4, 0, v16, s15
	;; [unrolled: 7-line block ×5, first 2 shown]
	v_add3_u32 v1, v1, v2, v5
	v_mbcnt_lo_u32_b32 v2, -1, 0
	v_cndmask_b32_e64 v5, 0, v29, s28
	s_delay_alu instid0(VALU_DEP_3) | instskip(NEXT) | instid1(VALU_DEP_3)
	v_add3_u32 v1, v1, v3, v4
	v_cmp_ne_u32_e32 vcc_lo, 31, v2
	v_cndmask_b32_e64 v3, 0, v32, s31
	s_delay_alu instid0(VALU_DEP_3)
	v_add3_u32 v1, v1, v5, v6
	s_wait_alu 0xfffd
	v_add_co_ci_u32_e64 v4, null, 0, v2, vcc_lo
	v_add_nc_u32_e32 v5, 1, v2
	v_cmp_gt_u32_e32 vcc_lo, 30, v2
	v_add3_u32 v1, v1, v7, v3
	s_delay_alu instid0(VALU_DEP_4)
	v_lshlrev_b32_e32 v4, 2, v4
	s_wait_alu 0xfffd
	v_cndmask_b32_e64 v6, 0, 2, vcc_lo
	ds_bpermute_b32 v3, v4, v1
	v_and_b32_e32 v4, 0xe0, v0
	s_wait_alu 0xfffe
	s_delay_alu instid0(VALU_DEP_1) | instskip(NEXT) | instid1(VALU_DEP_1)
	v_sub_nc_u32_e64 v4, s2, v4 clamp
	v_cmp_lt_u32_e32 vcc_lo, v5, v4
	v_add_lshl_u32 v5, v6, v2, 2
	s_wait_dscnt 0x0
	s_wait_alu 0xfffd
	v_cndmask_b32_e32 v3, 0, v3, vcc_lo
	v_cmp_gt_u32_e32 vcc_lo, 28, v2
	s_delay_alu instid0(VALU_DEP_2) | instskip(SKIP_4) | instid1(VALU_DEP_1)
	v_add_nc_u32_e32 v1, v1, v3
	s_wait_alu 0xfffd
	v_cndmask_b32_e64 v6, 0, 4, vcc_lo
	ds_bpermute_b32 v3, v5, v1
	v_add_nc_u32_e32 v5, 2, v2
	v_cmp_lt_u32_e32 vcc_lo, v5, v4
	v_add_lshl_u32 v5, v6, v2, 2
	s_wait_dscnt 0x0
	s_wait_alu 0xfffd
	v_cndmask_b32_e32 v3, 0, v3, vcc_lo
	v_cmp_gt_u32_e32 vcc_lo, 24, v2
	s_delay_alu instid0(VALU_DEP_2) | instskip(SKIP_4) | instid1(VALU_DEP_1)
	v_add_nc_u32_e32 v1, v1, v3
	s_wait_alu 0xfffd
	v_cndmask_b32_e64 v6, 0, 8, vcc_lo
	ds_bpermute_b32 v3, v5, v1
	v_add_nc_u32_e32 v5, 4, v2
	v_cmp_lt_u32_e32 vcc_lo, v5, v4
	v_add_lshl_u32 v5, v6, v2, 2
	s_wait_dscnt 0x0
	s_wait_alu 0xfffd
	v_cndmask_b32_e32 v3, 0, v3, vcc_lo
	s_delay_alu instid0(VALU_DEP_1) | instskip(SKIP_3) | instid1(VALU_DEP_1)
	v_add_nc_u32_e32 v1, v1, v3
	v_lshlrev_b32_e32 v3, 2, v2
	ds_bpermute_b32 v5, v5, v1
	v_add_nc_u32_e32 v6, 8, v2
	v_cmp_lt_u32_e32 vcc_lo, v6, v4
	v_or_b32_e32 v6, 64, v3
	s_wait_dscnt 0x0
	s_wait_alu 0xfffd
	v_cndmask_b32_e32 v5, 0, v5, vcc_lo
	s_delay_alu instid0(VALU_DEP_1) | instskip(SKIP_2) | instid1(VALU_DEP_1)
	v_add_nc_u32_e32 v1, v1, v5
	ds_bpermute_b32 v5, v6, v1
	v_add_nc_u32_e32 v6, 16, v2
	v_cmp_lt_u32_e32 vcc_lo, v6, v4
	s_wait_dscnt 0x0
	s_wait_alu 0xfffd
	v_cndmask_b32_e32 v4, 0, v5, vcc_lo
	s_delay_alu instid0(VALU_DEP_1)
	v_add_nc_u32_e32 v1, v1, v4
	v_cmpx_eq_u32_e32 0, v2
; %bb.363:
	v_lshrrev_b32_e32 v4, 3, v0
	s_delay_alu instid0(VALU_DEP_1)
	v_and_b32_e32 v4, 28, v4
	ds_store_b32 v4, v1 offset:256
; %bb.364:
	s_or_b32 exec_lo, exec_lo, s3
	s_delay_alu instid0(SALU_CYCLE_1)
	s_mov_b32 s3, exec_lo
	s_wait_loadcnt_dscnt 0x0
	s_barrier_signal -1
	s_barrier_wait -1
	global_inv scope:SCOPE_SE
	v_cmpx_gt_u32_e32 8, v0
	s_cbranch_execz .LBB33_366
; %bb.365:
	ds_load_b32 v1, v3 offset:256
	v_and_b32_e32 v4, 7, v2
	s_add_co_i32 s2, s2, 31
	s_wait_alu 0xfffe
	s_lshr_b32 s2, s2, 5
	s_delay_alu instid0(VALU_DEP_1) | instskip(SKIP_4) | instid1(VALU_DEP_2)
	v_cmp_ne_u32_e32 vcc_lo, 7, v4
	v_add_nc_u32_e32 v6, 1, v4
	s_wait_alu 0xfffd
	v_add_co_ci_u32_e64 v5, null, 0, v2, vcc_lo
	v_cmp_gt_u32_e32 vcc_lo, 6, v4
	v_lshlrev_b32_e32 v5, 2, v5
	s_wait_alu 0xfffd
	v_cndmask_b32_e64 v7, 0, 2, vcc_lo
	s_wait_alu 0xfffe
	v_cmp_gt_u32_e32 vcc_lo, s2, v6
	s_wait_dscnt 0x0
	ds_bpermute_b32 v5, v5, v1
	v_add_lshl_u32 v2, v7, v2, 2
	s_wait_dscnt 0x0
	s_wait_alu 0xfffd
	v_cndmask_b32_e32 v5, 0, v5, vcc_lo
	s_delay_alu instid0(VALU_DEP_1)
	v_add_nc_u32_e32 v1, v5, v1
	v_add_nc_u32_e32 v5, 2, v4
	ds_bpermute_b32 v2, v2, v1
	v_cmp_gt_u32_e32 vcc_lo, s2, v5
	s_wait_dscnt 0x0
	s_wait_alu 0xfffd
	v_cndmask_b32_e32 v2, 0, v2, vcc_lo
	s_delay_alu instid0(VALU_DEP_1)
	v_add_nc_u32_e32 v1, v1, v2
	v_or_b32_e32 v2, 16, v3
	v_add_nc_u32_e32 v3, 4, v4
	ds_bpermute_b32 v2, v2, v1
	v_cmp_gt_u32_e32 vcc_lo, s2, v3
	s_wait_dscnt 0x0
	s_wait_alu 0xfffd
	v_cndmask_b32_e32 v2, 0, v2, vcc_lo
	s_delay_alu instid0(VALU_DEP_1)
	v_add_nc_u32_e32 v1, v1, v2
.LBB33_366:
	s_wait_alu 0xfffe
	s_or_b32 exec_lo, exec_lo, s3
.LBB33_367:
	v_cmp_eq_u32_e64 s2, 0, v0
	s_branch .LBB33_512
.LBB33_368:
	s_cmp_eq_u32 s44, 16
	s_cbranch_scc0 .LBB33_375
; %bb.369:
	s_mov_b32 s35, 0
	s_lshl_b32 s2, s34, 12
	s_lshr_b64 s[4:5], s[36:37], 12
	s_mov_b32 s3, s35
	s_cmp_lg_u64 s[4:5], s[34:35]
	s_add_nc_u64 s[16:17], s[40:41], s[2:3]
	s_cbranch_scc0 .LBB33_533
; %bb.370:
	s_clause 0xf
	global_load_u8 v1, v0, s[16:17]
	global_load_u8 v2, v0, s[16:17] offset:512
	global_load_u8 v3, v0, s[16:17] offset:256
	;; [unrolled: 1-line block ×15, first 2 shown]
	s_mov_b32 s3, exec_lo
	s_wait_loadcnt 0xf
	v_cmp_ne_u16_e32 vcc_lo, 0, v1
	v_cndmask_b32_e64 v1, 0, 1, vcc_lo
	s_wait_loadcnt 0xe
	v_cmp_ne_u16_e32 vcc_lo, 0, v2
	s_wait_alu 0xfffd
	v_cndmask_b32_e64 v2, 0, 1, vcc_lo
	s_wait_loadcnt 0xd
	v_cmp_ne_u16_e32 vcc_lo, 0, v3
	s_wait_alu 0xfffd
	v_add_co_ci_u32_e64 v1, null, 0, v1, vcc_lo
	s_wait_loadcnt 0xc
	v_cmp_ne_u16_e32 vcc_lo, 0, v4
	s_wait_alu 0xfffd
	v_cndmask_b32_e64 v3, 0, 1, vcc_lo
	s_wait_loadcnt 0xb
	v_cmp_ne_u16_e32 vcc_lo, 0, v5
	s_wait_alu 0xfffd
	v_add_co_ci_u32_e64 v1, null, v1, v2, vcc_lo
	;; [unrolled: 8-line block ×7, first 2 shown]
	s_wait_loadcnt 0x0
	v_cmp_ne_u16_e32 vcc_lo, 0, v16
	s_wait_alu 0xfffd
	s_delay_alu instid0(VALU_DEP_2) | instskip(NEXT) | instid1(VALU_DEP_1)
	v_add_co_ci_u32_e64 v1, null, v1, v2, vcc_lo
	v_mov_b32_dpp v2, v1 quad_perm:[1,0,3,2] row_mask:0xf bank_mask:0xf
	s_delay_alu instid0(VALU_DEP_1) | instskip(NEXT) | instid1(VALU_DEP_1)
	v_add_nc_u32_e32 v1, v1, v2
	v_mov_b32_dpp v2, v1 quad_perm:[2,3,0,1] row_mask:0xf bank_mask:0xf
	s_delay_alu instid0(VALU_DEP_1) | instskip(NEXT) | instid1(VALU_DEP_1)
	v_add_nc_u32_e32 v1, v1, v2
	v_mov_b32_dpp v2, v1 row_ror:4 row_mask:0xf bank_mask:0xf
	s_delay_alu instid0(VALU_DEP_1) | instskip(NEXT) | instid1(VALU_DEP_1)
	v_add_nc_u32_e32 v1, v1, v2
	v_mov_b32_dpp v2, v1 row_ror:8 row_mask:0xf bank_mask:0xf
	s_delay_alu instid0(VALU_DEP_1)
	v_add_nc_u32_e32 v1, v1, v2
	ds_swizzle_b32 v2, v1 offset:swizzle(BROADCAST,32,15)
	s_wait_dscnt 0x0
	v_dual_mov_b32 v2, 0 :: v_dual_add_nc_u32 v1, v1, v2
	ds_bpermute_b32 v1, v2, v1 offset:124
	v_mbcnt_lo_u32_b32 v2, -1, 0
	s_delay_alu instid0(VALU_DEP_1)
	v_cmpx_eq_u32_e32 0, v2
	s_cbranch_execz .LBB33_372
; %bb.371:
	v_lshrrev_b32_e32 v3, 3, v0
	s_delay_alu instid0(VALU_DEP_1)
	v_and_b32_e32 v3, 28, v3
	s_wait_dscnt 0x0
	ds_store_b32 v3, v1 offset:32
.LBB33_372:
	s_or_b32 exec_lo, exec_lo, s3
	s_delay_alu instid0(SALU_CYCLE_1)
	s_mov_b32 s3, exec_lo
	s_wait_dscnt 0x0
	s_barrier_signal -1
	s_barrier_wait -1
	global_inv scope:SCOPE_SE
	v_cmpx_gt_u32_e32 32, v0
	s_cbranch_execz .LBB33_374
; %bb.373:
	v_and_b32_e32 v1, 7, v2
	s_delay_alu instid0(VALU_DEP_1)
	v_lshlrev_b32_e32 v3, 2, v1
	v_cmp_ne_u32_e32 vcc_lo, 7, v1
	ds_load_b32 v3, v3 offset:32
	s_wait_alu 0xfffd
	v_add_co_ci_u32_e64 v4, null, 0, v2, vcc_lo
	v_cmp_gt_u32_e32 vcc_lo, 6, v1
	s_delay_alu instid0(VALU_DEP_2) | instskip(SKIP_2) | instid1(VALU_DEP_1)
	v_lshlrev_b32_e32 v4, 2, v4
	s_wait_alu 0xfffd
	v_cndmask_b32_e64 v1, 0, 2, vcc_lo
	v_add_lshl_u32 v1, v1, v2, 2
	v_lshlrev_b32_e32 v2, 2, v2
	s_delay_alu instid0(VALU_DEP_1)
	v_or_b32_e32 v2, 16, v2
	s_wait_dscnt 0x0
	ds_bpermute_b32 v4, v4, v3
	s_wait_dscnt 0x0
	v_add_nc_u32_e32 v3, v4, v3
	ds_bpermute_b32 v1, v1, v3
	s_wait_dscnt 0x0
	v_add_nc_u32_e32 v1, v1, v3
	;; [unrolled: 3-line block ×3, first 2 shown]
.LBB33_374:
	s_or_b32 exec_lo, exec_lo, s3
	s_mov_b32 s3, 0
	s_branch .LBB33_534
.LBB33_375:
                                        ; implicit-def: $vgpr1
	s_branch .LBB33_623
.LBB33_376:
	s_mov_b32 s5, -1
                                        ; implicit-def: $vgpr1
.LBB33_377:
	s_wait_alu 0xfffe
	s_and_b32 vcc_lo, exec_lo, s5
	s_wait_alu 0xfffe
	s_cbranch_vccz .LBB33_511
; %bb.378:
	s_sub_co_i32 s4, s36, s4
	s_mov_b32 s5, exec_lo
                                        ; implicit-def: $vgpr1
	s_wait_alu 0xfffe
	v_cmpx_gt_u32_e64 s4, v0
	s_cbranch_execz .LBB33_380
; %bb.379:
	global_load_u8 v1, v0, s[2:3]
	s_wait_loadcnt 0x0
	v_cmp_ne_u16_e32 vcc_lo, 0, v1
	s_wait_alu 0xfffd
	v_cndmask_b32_e64 v1, 0, 1, vcc_lo
.LBB33_380:
	s_or_b32 exec_lo, exec_lo, s5
	v_or_b32_e32 v3, 0x100, v0
	v_mov_b32_e32 v2, 0
	s_delay_alu instid0(VALU_DEP_2)
	v_cmp_gt_u32_e32 vcc_lo, s4, v3
	v_mov_b32_e32 v3, 0
	s_and_saveexec_b32 s5, vcc_lo
	s_cbranch_execz .LBB33_382
; %bb.381:
	global_load_u8 v3, v0, s[2:3] offset:256
	s_wait_loadcnt 0x0
	v_cmp_ne_u16_e32 vcc_lo, 0, v3
	s_wait_alu 0xfffd
	v_cndmask_b32_e64 v3, 0, 1, vcc_lo
.LBB33_382:
	s_wait_alu 0xfffe
	s_or_b32 exec_lo, exec_lo, s5
	v_or_b32_e32 v4, 0x200, v0
	s_mov_b32 s5, exec_lo
	s_delay_alu instid0(VALU_DEP_1)
	v_cmpx_gt_u32_e64 s4, v4
	s_cbranch_execz .LBB33_384
; %bb.383:
	global_load_u8 v2, v0, s[2:3] offset:512
	s_wait_loadcnt 0x0
	v_cmp_ne_u16_e32 vcc_lo, 0, v2
	s_wait_alu 0xfffd
	v_cndmask_b32_e64 v2, 0, 1, vcc_lo
.LBB33_384:
	s_wait_alu 0xfffe
	s_or_b32 exec_lo, exec_lo, s5
	v_or_b32_e32 v5, 0x300, v0
	v_mov_b32_e32 v4, 0
	s_delay_alu instid0(VALU_DEP_2)
	v_cmp_gt_u32_e32 vcc_lo, s4, v5
	v_mov_b32_e32 v5, 0
	s_and_saveexec_b32 s5, vcc_lo
	s_cbranch_execz .LBB33_386
; %bb.385:
	global_load_u8 v5, v0, s[2:3] offset:768
	s_wait_loadcnt 0x0
	v_cmp_ne_u16_e32 vcc_lo, 0, v5
	s_wait_alu 0xfffd
	v_cndmask_b32_e64 v5, 0, 1, vcc_lo
.LBB33_386:
	s_wait_alu 0xfffe
	s_or_b32 exec_lo, exec_lo, s5
	v_or_b32_e32 v6, 0x400, v0
	s_mov_b32 s5, exec_lo
	s_delay_alu instid0(VALU_DEP_1)
	v_cmpx_gt_u32_e64 s4, v6
	s_cbranch_execz .LBB33_388
; %bb.387:
	global_load_u8 v4, v0, s[2:3] offset:1024
	s_wait_loadcnt 0x0
	v_cmp_ne_u16_e32 vcc_lo, 0, v4
	s_wait_alu 0xfffd
	v_cndmask_b32_e64 v4, 0, 1, vcc_lo
.LBB33_388:
	s_wait_alu 0xfffe
	;; [unrolled: 30-line block ×31, first 2 shown]
	s_or_b32 exec_lo, exec_lo, s5
	v_or_b32_e32 v64, 0x3f00, v0
	s_delay_alu instid0(VALU_DEP_1)
	v_cmp_gt_u32_e32 vcc_lo, s4, v64
	v_mov_b32_e32 v64, 0
	s_and_saveexec_b32 s5, vcc_lo
	s_cbranch_execz .LBB33_506
; %bb.505:
	global_load_u8 v64, v0, s[2:3] offset:16128
	s_wait_loadcnt 0x0
	v_cmp_ne_u16_e32 vcc_lo, 0, v64
	s_wait_alu 0xfffd
	v_cndmask_b32_e64 v64, 0, 1, vcc_lo
.LBB33_506:
	s_wait_alu 0xfffe
	s_or_b32 exec_lo, exec_lo, s5
	v_add_nc_u32_e32 v1, v3, v1
	s_min_u32 s2, s4, 0x100
	s_mov_b32 s3, exec_lo
	s_delay_alu instid0(VALU_DEP_1) | instskip(SKIP_1) | instid1(VALU_DEP_2)
	v_add3_u32 v1, v1, v2, v5
	v_mbcnt_lo_u32_b32 v2, -1, 0
	v_add3_u32 v1, v1, v4, v7
	s_delay_alu instid0(VALU_DEP_2) | instskip(SKIP_1) | instid1(VALU_DEP_3)
	v_cmp_ne_u32_e32 vcc_lo, 31, v2
	v_add_nc_u32_e32 v5, 1, v2
	v_add3_u32 v1, v1, v6, v9
	s_wait_alu 0xfffd
	v_add_co_ci_u32_e64 v3, null, 0, v2, vcc_lo
	v_cmp_gt_u32_e32 vcc_lo, 30, v2
	s_delay_alu instid0(VALU_DEP_3) | instskip(NEXT) | instid1(VALU_DEP_3)
	v_add3_u32 v1, v1, v8, v11
	v_lshlrev_b32_e32 v3, 2, v3
	s_wait_alu 0xfffd
	v_cndmask_b32_e64 v6, 0, 2, vcc_lo
	s_delay_alu instid0(VALU_DEP_3) | instskip(NEXT) | instid1(VALU_DEP_1)
	v_add3_u32 v1, v1, v10, v13
	v_add3_u32 v1, v1, v12, v15
	s_delay_alu instid0(VALU_DEP_1) | instskip(NEXT) | instid1(VALU_DEP_1)
	v_add3_u32 v1, v1, v14, v17
	v_add3_u32 v1, v1, v16, v19
	s_delay_alu instid0(VALU_DEP_1) | instskip(NEXT) | instid1(VALU_DEP_1)
	v_add3_u32 v1, v1, v18, v21
	v_add3_u32 v1, v1, v20, v23
	s_delay_alu instid0(VALU_DEP_1) | instskip(NEXT) | instid1(VALU_DEP_1)
	v_add3_u32 v1, v1, v22, v25
	v_add3_u32 v1, v1, v24, v27
	s_delay_alu instid0(VALU_DEP_1) | instskip(NEXT) | instid1(VALU_DEP_1)
	v_add3_u32 v1, v1, v26, v29
	v_add3_u32 v1, v1, v28, v31
	s_delay_alu instid0(VALU_DEP_1) | instskip(NEXT) | instid1(VALU_DEP_1)
	v_add3_u32 v1, v1, v30, v33
	v_add3_u32 v1, v1, v32, v35
	s_delay_alu instid0(VALU_DEP_1) | instskip(NEXT) | instid1(VALU_DEP_1)
	v_add3_u32 v1, v1, v34, v37
	v_add3_u32 v1, v1, v36, v39
	s_delay_alu instid0(VALU_DEP_1) | instskip(NEXT) | instid1(VALU_DEP_1)
	v_add3_u32 v1, v1, v38, v41
	v_add3_u32 v1, v1, v40, v43
	s_delay_alu instid0(VALU_DEP_1) | instskip(NEXT) | instid1(VALU_DEP_1)
	v_add3_u32 v1, v1, v42, v45
	v_add3_u32 v1, v1, v44, v47
	s_delay_alu instid0(VALU_DEP_1) | instskip(NEXT) | instid1(VALU_DEP_1)
	v_add3_u32 v1, v1, v46, v49
	v_add3_u32 v1, v1, v48, v51
	s_delay_alu instid0(VALU_DEP_1) | instskip(NEXT) | instid1(VALU_DEP_1)
	v_add3_u32 v1, v1, v50, v53
	v_add3_u32 v1, v1, v52, v55
	s_delay_alu instid0(VALU_DEP_1) | instskip(NEXT) | instid1(VALU_DEP_1)
	v_add3_u32 v1, v1, v54, v57
	v_add3_u32 v1, v1, v56, v59
	s_delay_alu instid0(VALU_DEP_1) | instskip(NEXT) | instid1(VALU_DEP_1)
	v_add3_u32 v1, v1, v58, v61
	v_add3_u32 v1, v1, v60, v63
	s_delay_alu instid0(VALU_DEP_1) | instskip(SKIP_3) | instid1(VALU_DEP_1)
	v_add3_u32 v1, v1, v62, v64
	ds_bpermute_b32 v3, v3, v1
	v_and_b32_e32 v4, 0xe0, v0
	s_wait_alu 0xfffe
	v_sub_nc_u32_e64 v4, s2, v4 clamp
	s_delay_alu instid0(VALU_DEP_1)
	v_cmp_lt_u32_e32 vcc_lo, v5, v4
	v_add_lshl_u32 v5, v6, v2, 2
	s_wait_dscnt 0x0
	s_wait_alu 0xfffd
	v_cndmask_b32_e32 v3, 0, v3, vcc_lo
	v_cmp_gt_u32_e32 vcc_lo, 28, v2
	s_delay_alu instid0(VALU_DEP_2) | instskip(SKIP_4) | instid1(VALU_DEP_1)
	v_add_nc_u32_e32 v1, v3, v1
	s_wait_alu 0xfffd
	v_cndmask_b32_e64 v6, 0, 4, vcc_lo
	ds_bpermute_b32 v3, v5, v1
	v_add_nc_u32_e32 v5, 2, v2
	v_cmp_lt_u32_e32 vcc_lo, v5, v4
	v_add_lshl_u32 v5, v6, v2, 2
	s_wait_dscnt 0x0
	s_wait_alu 0xfffd
	v_cndmask_b32_e32 v3, 0, v3, vcc_lo
	v_cmp_gt_u32_e32 vcc_lo, 24, v2
	s_delay_alu instid0(VALU_DEP_2) | instskip(SKIP_4) | instid1(VALU_DEP_1)
	v_add_nc_u32_e32 v1, v1, v3
	s_wait_alu 0xfffd
	v_cndmask_b32_e64 v6, 0, 8, vcc_lo
	ds_bpermute_b32 v3, v5, v1
	v_add_nc_u32_e32 v5, 4, v2
	v_cmp_lt_u32_e32 vcc_lo, v5, v4
	v_add_lshl_u32 v5, v6, v2, 2
	s_wait_dscnt 0x0
	s_wait_alu 0xfffd
	v_dual_cndmask_b32 v3, 0, v3 :: v_dual_add_nc_u32 v6, 8, v2
	s_delay_alu instid0(VALU_DEP_1) | instskip(NEXT) | instid1(VALU_DEP_2)
	v_cmp_lt_u32_e32 vcc_lo, v6, v4
	v_add_nc_u32_e32 v1, v1, v3
	v_lshlrev_b32_e32 v3, 2, v2
	ds_bpermute_b32 v5, v5, v1
	v_or_b32_e32 v6, 64, v3
	s_wait_dscnt 0x0
	s_wait_alu 0xfffd
	v_cndmask_b32_e32 v5, 0, v5, vcc_lo
	s_delay_alu instid0(VALU_DEP_1) | instskip(SKIP_2) | instid1(VALU_DEP_1)
	v_add_nc_u32_e32 v1, v1, v5
	ds_bpermute_b32 v5, v6, v1
	v_add_nc_u32_e32 v6, 16, v2
	v_cmp_lt_u32_e32 vcc_lo, v6, v4
	s_wait_dscnt 0x0
	s_wait_alu 0xfffd
	v_cndmask_b32_e32 v4, 0, v5, vcc_lo
	s_delay_alu instid0(VALU_DEP_1)
	v_add_nc_u32_e32 v1, v1, v4
	v_cmpx_eq_u32_e32 0, v2
; %bb.507:
	v_lshrrev_b32_e32 v4, 3, v0
	s_delay_alu instid0(VALU_DEP_1)
	v_and_b32_e32 v4, 28, v4
	ds_store_b32 v4, v1 offset:256
; %bb.508:
	s_or_b32 exec_lo, exec_lo, s3
	s_delay_alu instid0(SALU_CYCLE_1)
	s_mov_b32 s3, exec_lo
	s_wait_loadcnt_dscnt 0x0
	s_barrier_signal -1
	s_barrier_wait -1
	global_inv scope:SCOPE_SE
	v_cmpx_gt_u32_e32 8, v0
	s_cbranch_execz .LBB33_510
; %bb.509:
	ds_load_b32 v1, v3 offset:256
	v_and_b32_e32 v4, 7, v2
	s_add_co_i32 s2, s2, 31
	s_wait_alu 0xfffe
	s_lshr_b32 s2, s2, 5
	s_delay_alu instid0(VALU_DEP_1) | instskip(SKIP_4) | instid1(VALU_DEP_2)
	v_cmp_ne_u32_e32 vcc_lo, 7, v4
	v_add_nc_u32_e32 v6, 1, v4
	s_wait_alu 0xfffd
	v_add_co_ci_u32_e64 v5, null, 0, v2, vcc_lo
	v_cmp_gt_u32_e32 vcc_lo, 6, v4
	v_lshlrev_b32_e32 v5, 2, v5
	s_wait_alu 0xfffd
	v_cndmask_b32_e64 v7, 0, 2, vcc_lo
	s_wait_alu 0xfffe
	v_cmp_gt_u32_e32 vcc_lo, s2, v6
	s_wait_dscnt 0x0
	ds_bpermute_b32 v5, v5, v1
	v_add_lshl_u32 v2, v7, v2, 2
	s_wait_dscnt 0x0
	s_wait_alu 0xfffd
	v_cndmask_b32_e32 v5, 0, v5, vcc_lo
	s_delay_alu instid0(VALU_DEP_1)
	v_add_nc_u32_e32 v1, v5, v1
	v_add_nc_u32_e32 v5, 2, v4
	ds_bpermute_b32 v2, v2, v1
	v_cmp_gt_u32_e32 vcc_lo, s2, v5
	s_wait_dscnt 0x0
	s_wait_alu 0xfffd
	v_cndmask_b32_e32 v2, 0, v2, vcc_lo
	s_delay_alu instid0(VALU_DEP_1)
	v_add_nc_u32_e32 v1, v1, v2
	v_or_b32_e32 v2, 16, v3
	v_add_nc_u32_e32 v3, 4, v4
	ds_bpermute_b32 v2, v2, v1
	v_cmp_gt_u32_e32 vcc_lo, s2, v3
	s_wait_dscnt 0x0
	s_wait_alu 0xfffd
	v_cndmask_b32_e32 v2, 0, v2, vcc_lo
	s_delay_alu instid0(VALU_DEP_1)
	v_add_nc_u32_e32 v1, v1, v2
.LBB33_510:
	s_wait_alu 0xfffe
	s_or_b32 exec_lo, exec_lo, s3
.LBB33_511:
	v_cmp_eq_u32_e64 s2, 0, v0
.LBB33_512:
	s_branch .LBB33_623
.LBB33_513:
	s_cmp_gt_i32 s44, 3
	s_cbranch_scc0 .LBB33_522
; %bb.514:
	s_cmp_gt_i32 s44, 7
	s_cbranch_scc0 .LBB33_523
; %bb.515:
	s_cmp_eq_u32 s44, 8
	s_cbranch_scc0 .LBB33_531
; %bb.516:
	s_mov_b32 s35, 0
	s_lshl_b32 s2, s34, 11
	s_lshr_b64 s[4:5], s[36:37], 11
	s_mov_b32 s3, s35
	s_cmp_lg_u64 s[4:5], s[34:35]
	s_add_nc_u64 s[8:9], s[40:41], s[2:3]
	s_cbranch_scc0 .LBB33_573
; %bb.517:
	s_clause 0x7
	global_load_u8 v1, v0, s[8:9]
	global_load_u8 v2, v0, s[8:9] offset:512
	global_load_u8 v3, v0, s[8:9] offset:256
	;; [unrolled: 1-line block ×7, first 2 shown]
	s_mov_b32 s3, exec_lo
	s_wait_loadcnt 0x7
	v_cmp_ne_u16_e32 vcc_lo, 0, v1
	v_cndmask_b32_e64 v1, 0, 1, vcc_lo
	s_wait_loadcnt 0x6
	v_cmp_ne_u16_e32 vcc_lo, 0, v2
	s_wait_alu 0xfffd
	v_cndmask_b32_e64 v2, 0, 1, vcc_lo
	s_wait_loadcnt 0x5
	v_cmp_ne_u16_e32 vcc_lo, 0, v3
	s_wait_alu 0xfffd
	v_add_co_ci_u32_e64 v1, null, 0, v1, vcc_lo
	s_wait_loadcnt 0x4
	v_cmp_ne_u16_e32 vcc_lo, 0, v4
	s_wait_alu 0xfffd
	v_cndmask_b32_e64 v3, 0, 1, vcc_lo
	s_wait_loadcnt 0x3
	v_cmp_ne_u16_e32 vcc_lo, 0, v5
	s_wait_alu 0xfffd
	v_add_co_ci_u32_e64 v1, null, v1, v2, vcc_lo
	;; [unrolled: 8-line block ×3, first 2 shown]
	s_wait_loadcnt 0x0
	v_cmp_ne_u16_e32 vcc_lo, 0, v8
	s_wait_alu 0xfffd
	s_delay_alu instid0(VALU_DEP_2) | instskip(NEXT) | instid1(VALU_DEP_1)
	v_add_co_ci_u32_e64 v1, null, v1, v2, vcc_lo
	v_mov_b32_dpp v2, v1 quad_perm:[1,0,3,2] row_mask:0xf bank_mask:0xf
	s_delay_alu instid0(VALU_DEP_1) | instskip(NEXT) | instid1(VALU_DEP_1)
	v_add_nc_u32_e32 v1, v1, v2
	v_mov_b32_dpp v2, v1 quad_perm:[2,3,0,1] row_mask:0xf bank_mask:0xf
	s_delay_alu instid0(VALU_DEP_1) | instskip(NEXT) | instid1(VALU_DEP_1)
	v_add_nc_u32_e32 v1, v1, v2
	v_mov_b32_dpp v2, v1 row_ror:4 row_mask:0xf bank_mask:0xf
	s_delay_alu instid0(VALU_DEP_1) | instskip(NEXT) | instid1(VALU_DEP_1)
	v_add_nc_u32_e32 v1, v1, v2
	v_mov_b32_dpp v2, v1 row_ror:8 row_mask:0xf bank_mask:0xf
	s_delay_alu instid0(VALU_DEP_1)
	v_add_nc_u32_e32 v1, v1, v2
	ds_swizzle_b32 v2, v1 offset:swizzle(BROADCAST,32,15)
	s_wait_dscnt 0x0
	v_dual_mov_b32 v2, 0 :: v_dual_add_nc_u32 v1, v1, v2
	ds_bpermute_b32 v1, v2, v1 offset:124
	v_mbcnt_lo_u32_b32 v2, -1, 0
	s_delay_alu instid0(VALU_DEP_1)
	v_cmpx_eq_u32_e32 0, v2
	s_cbranch_execz .LBB33_519
; %bb.518:
	v_lshrrev_b32_e32 v3, 3, v0
	s_delay_alu instid0(VALU_DEP_1)
	v_and_b32_e32 v3, 28, v3
	s_wait_dscnt 0x0
	ds_store_b32 v3, v1 offset:224
.LBB33_519:
	s_or_b32 exec_lo, exec_lo, s3
	s_delay_alu instid0(SALU_CYCLE_1)
	s_mov_b32 s3, exec_lo
	s_wait_dscnt 0x0
	s_barrier_signal -1
	s_barrier_wait -1
	global_inv scope:SCOPE_SE
	v_cmpx_gt_u32_e32 32, v0
	s_cbranch_execz .LBB33_521
; %bb.520:
	v_lshl_or_b32 v1, v2, 2, 0xe0
	v_and_b32_e32 v3, 7, v2
	ds_load_b32 v1, v1
	v_cmp_ne_u32_e32 vcc_lo, 7, v3
	s_wait_alu 0xfffd
	v_add_co_ci_u32_e64 v4, null, 0, v2, vcc_lo
	v_cmp_gt_u32_e32 vcc_lo, 6, v3
	s_delay_alu instid0(VALU_DEP_2) | instskip(SKIP_2) | instid1(VALU_DEP_1)
	v_lshlrev_b32_e32 v4, 2, v4
	s_wait_alu 0xfffd
	v_cndmask_b32_e64 v3, 0, 2, vcc_lo
	v_add_lshl_u32 v3, v3, v2, 2
	v_lshlrev_b32_e32 v2, 2, v2
	s_wait_dscnt 0x0
	ds_bpermute_b32 v4, v4, v1
	v_or_b32_e32 v2, 16, v2
	s_wait_dscnt 0x0
	v_add_nc_u32_e32 v1, v4, v1
	ds_bpermute_b32 v3, v3, v1
	s_wait_dscnt 0x0
	v_add_nc_u32_e32 v1, v3, v1
	ds_bpermute_b32 v2, v2, v1
	s_wait_dscnt 0x0
	v_add_nc_u32_e32 v1, v2, v1
.LBB33_521:
	s_or_b32 exec_lo, exec_lo, s3
	s_mov_b32 s3, 0
	s_branch .LBB33_574
.LBB33_522:
                                        ; implicit-def: $vgpr1
	s_cbranch_execnz .LBB33_614
	s_branch .LBB33_623
.LBB33_523:
                                        ; implicit-def: $vgpr1
	s_cbranch_execz .LBB33_597
; %bb.524:
	s_cmp_eq_u32 s44, 4
	s_cbranch_scc0 .LBB33_532
; %bb.525:
	s_mov_b32 s35, 0
	s_lshl_b32 s2, s34, 10
	s_lshr_b64 s[4:5], s[36:37], 10
	s_mov_b32 s3, s35
	s_cmp_lg_u64 s[4:5], s[34:35]
	s_add_nc_u64 s[4:5], s[40:41], s[2:3]
	s_cbranch_scc0 .LBB33_598
; %bb.526:
	s_clause 0x3
	global_load_u8 v1, v0, s[4:5]
	global_load_u8 v2, v0, s[4:5] offset:512
	global_load_u8 v3, v0, s[4:5] offset:256
	;; [unrolled: 1-line block ×3, first 2 shown]
	s_mov_b32 s3, exec_lo
	s_wait_loadcnt 0x3
	v_cmp_ne_u16_e32 vcc_lo, 0, v1
	v_cndmask_b32_e64 v1, 0, 1, vcc_lo
	s_wait_loadcnt 0x2
	v_cmp_ne_u16_e32 vcc_lo, 0, v2
	s_wait_alu 0xfffd
	v_cndmask_b32_e64 v2, 0, 1, vcc_lo
	s_wait_loadcnt 0x1
	v_cmp_ne_u16_e32 vcc_lo, 0, v3
	s_wait_alu 0xfffd
	v_add_co_ci_u32_e64 v1, null, 0, v1, vcc_lo
	s_wait_loadcnt 0x0
	v_cmp_ne_u16_e32 vcc_lo, 0, v4
	s_wait_alu 0xfffd
	s_delay_alu instid0(VALU_DEP_2) | instskip(NEXT) | instid1(VALU_DEP_1)
	v_add_co_ci_u32_e64 v1, null, v1, v2, vcc_lo
	v_mov_b32_dpp v2, v1 quad_perm:[1,0,3,2] row_mask:0xf bank_mask:0xf
	s_delay_alu instid0(VALU_DEP_1) | instskip(NEXT) | instid1(VALU_DEP_1)
	v_add_nc_u32_e32 v1, v1, v2
	v_mov_b32_dpp v2, v1 quad_perm:[2,3,0,1] row_mask:0xf bank_mask:0xf
	s_delay_alu instid0(VALU_DEP_1) | instskip(NEXT) | instid1(VALU_DEP_1)
	v_add_nc_u32_e32 v1, v1, v2
	v_mov_b32_dpp v2, v1 row_ror:4 row_mask:0xf bank_mask:0xf
	s_delay_alu instid0(VALU_DEP_1) | instskip(NEXT) | instid1(VALU_DEP_1)
	v_add_nc_u32_e32 v1, v1, v2
	v_mov_b32_dpp v2, v1 row_ror:8 row_mask:0xf bank_mask:0xf
	s_delay_alu instid0(VALU_DEP_1)
	v_add_nc_u32_e32 v1, v1, v2
	ds_swizzle_b32 v2, v1 offset:swizzle(BROADCAST,32,15)
	s_wait_dscnt 0x0
	v_dual_mov_b32 v2, 0 :: v_dual_add_nc_u32 v1, v1, v2
	ds_bpermute_b32 v1, v2, v1 offset:124
	v_mbcnt_lo_u32_b32 v2, -1, 0
	s_delay_alu instid0(VALU_DEP_1)
	v_cmpx_eq_u32_e32 0, v2
	s_cbranch_execz .LBB33_528
; %bb.527:
	v_lshrrev_b32_e32 v3, 3, v0
	s_delay_alu instid0(VALU_DEP_1)
	v_and_b32_e32 v3, 28, v3
	s_wait_dscnt 0x0
	ds_store_b32 v3, v1 offset:160
.LBB33_528:
	s_or_b32 exec_lo, exec_lo, s3
	s_delay_alu instid0(SALU_CYCLE_1)
	s_mov_b32 s3, exec_lo
	s_wait_dscnt 0x0
	s_barrier_signal -1
	s_barrier_wait -1
	global_inv scope:SCOPE_SE
	v_cmpx_gt_u32_e32 32, v0
	s_cbranch_execz .LBB33_530
; %bb.529:
	v_and_b32_e32 v1, 7, v2
	s_delay_alu instid0(VALU_DEP_1)
	v_lshlrev_b32_e32 v3, 2, v1
	v_cmp_ne_u32_e32 vcc_lo, 7, v1
	ds_load_b32 v3, v3 offset:160
	s_wait_alu 0xfffd
	v_add_co_ci_u32_e64 v4, null, 0, v2, vcc_lo
	v_cmp_gt_u32_e32 vcc_lo, 6, v1
	s_delay_alu instid0(VALU_DEP_2) | instskip(SKIP_2) | instid1(VALU_DEP_1)
	v_lshlrev_b32_e32 v4, 2, v4
	s_wait_alu 0xfffd
	v_cndmask_b32_e64 v1, 0, 2, vcc_lo
	v_add_lshl_u32 v1, v1, v2, 2
	v_lshlrev_b32_e32 v2, 2, v2
	s_delay_alu instid0(VALU_DEP_1)
	v_or_b32_e32 v2, 16, v2
	s_wait_dscnt 0x0
	ds_bpermute_b32 v4, v4, v3
	s_wait_dscnt 0x0
	v_add_nc_u32_e32 v3, v4, v3
	ds_bpermute_b32 v1, v1, v3
	s_wait_dscnt 0x0
	v_add_nc_u32_e32 v1, v1, v3
	ds_bpermute_b32 v2, v2, v1
	s_wait_dscnt 0x0
	v_add_nc_u32_e32 v1, v2, v1
.LBB33_530:
	s_or_b32 exec_lo, exec_lo, s3
	s_mov_b32 s3, 0
	s_branch .LBB33_599
.LBB33_531:
                                        ; implicit-def: $vgpr1
	s_branch .LBB33_597
.LBB33_532:
                                        ; implicit-def: $vgpr1
	s_branch .LBB33_623
.LBB33_533:
	s_mov_b32 s3, -1
                                        ; implicit-def: $vgpr1
.LBB33_534:
	s_delay_alu instid0(SALU_CYCLE_1)
	s_and_b32 vcc_lo, exec_lo, s3
	s_wait_alu 0xfffe
	s_cbranch_vccz .LBB33_572
; %bb.535:
	v_mov_b32_e32 v1, 0
	s_sub_co_i32 s18, s36, s2
	s_mov_b32 s2, exec_lo
	s_delay_alu instid0(VALU_DEP_1)
	v_dual_mov_b32 v2, v1 :: v_dual_mov_b32 v3, v1
	v_dual_mov_b32 v4, v1 :: v_dual_mov_b32 v5, v1
	v_dual_mov_b32 v6, v1 :: v_dual_mov_b32 v7, v1
	v_dual_mov_b32 v8, v1 :: v_dual_mov_b32 v9, v1
	v_dual_mov_b32 v10, v1 :: v_dual_mov_b32 v11, v1
	v_dual_mov_b32 v12, v1 :: v_dual_mov_b32 v13, v1
	v_dual_mov_b32 v14, v1 :: v_dual_mov_b32 v15, v1
	v_mov_b32_e32 v16, v1
	v_cmpx_gt_u32_e64 s18, v0
	s_cbranch_execz .LBB33_537
; %bb.536:
	global_load_u8 v2, v0, s[16:17]
	v_dual_mov_b32 v3, v1 :: v_dual_mov_b32 v4, v1
	v_dual_mov_b32 v5, v1 :: v_dual_mov_b32 v6, v1
	;; [unrolled: 1-line block ×7, first 2 shown]
	v_mov_b32_e32 v17, v1
	s_wait_loadcnt 0x0
	v_cmp_ne_u16_e32 vcc_lo, 0, v2
	s_wait_alu 0xfffd
	v_cndmask_b32_e64 v2, 0, 1, vcc_lo
	s_delay_alu instid0(VALU_DEP_1) | instskip(NEXT) | instid1(VALU_DEP_1)
	v_and_b32_e32 v2, 0xffff, v2
	v_mov_b32_e32 v1, v2
	v_mov_b32_e32 v2, v3
	;; [unrolled: 1-line block ×16, first 2 shown]
.LBB33_537:
	s_or_b32 exec_lo, exec_lo, s2
	v_or_b32_e32 v17, 0x100, v0
	s_delay_alu instid0(VALU_DEP_1)
	v_cmp_gt_u32_e32 vcc_lo, s18, v17
	s_and_saveexec_b32 s3, vcc_lo
	s_cbranch_execz .LBB33_539
; %bb.538:
	global_load_u8 v2, v0, s[16:17] offset:256
	s_wait_loadcnt 0x0
	v_cmp_ne_u16_e64 s2, 0, v2
	s_delay_alu instid0(VALU_DEP_1)
	v_cndmask_b32_e64 v2, 0, 1, s2
.LBB33_539:
	s_or_b32 exec_lo, exec_lo, s3
	v_or_b32_e32 v17, 0x200, v0
	s_delay_alu instid0(VALU_DEP_1)
	v_cmp_gt_u32_e64 s2, s18, v17
	s_and_saveexec_b32 s4, s2
	s_cbranch_execz .LBB33_541
; %bb.540:
	global_load_u8 v3, v0, s[16:17] offset:512
	s_wait_loadcnt 0x0
	v_cmp_ne_u16_e64 s3, 0, v3
	s_wait_alu 0xf1ff
	s_delay_alu instid0(VALU_DEP_1)
	v_cndmask_b32_e64 v3, 0, 1, s3
.LBB33_541:
	s_or_b32 exec_lo, exec_lo, s4
	v_or_b32_e32 v17, 0x300, v0
	s_delay_alu instid0(VALU_DEP_1)
	v_cmp_gt_u32_e64 s3, s18, v17
	s_and_saveexec_b32 s5, s3
	s_cbranch_execz .LBB33_543
; %bb.542:
	global_load_u8 v4, v0, s[16:17] offset:768
	s_wait_loadcnt 0x0
	v_cmp_ne_u16_e64 s4, 0, v4
	s_delay_alu instid0(VALU_DEP_1)
	v_cndmask_b32_e64 v4, 0, 1, s4
.LBB33_543:
	s_or_b32 exec_lo, exec_lo, s5
	v_or_b32_e32 v17, 0x400, v0
	s_delay_alu instid0(VALU_DEP_1)
	v_cmp_gt_u32_e64 s4, s18, v17
	s_and_saveexec_b32 s6, s4
	s_cbranch_execz .LBB33_545
; %bb.544:
	global_load_u8 v5, v0, s[16:17] offset:1024
	s_wait_loadcnt 0x0
	v_cmp_ne_u16_e64 s5, 0, v5
	s_wait_alu 0xf1ff
	s_delay_alu instid0(VALU_DEP_1)
	v_cndmask_b32_e64 v5, 0, 1, s5
.LBB33_545:
	s_or_b32 exec_lo, exec_lo, s6
	v_or_b32_e32 v17, 0x500, v0
	s_delay_alu instid0(VALU_DEP_1)
	v_cmp_gt_u32_e64 s5, s18, v17
	s_and_saveexec_b32 s7, s5
	;; [unrolled: 27-line block ×6, first 2 shown]
	s_cbranch_execz .LBB33_563
; %bb.562:
	global_load_u8 v14, v0, s[16:17] offset:3328
	s_wait_loadcnt 0x0
	v_cmp_ne_u16_e64 s14, 0, v14
	s_delay_alu instid0(VALU_DEP_1)
	v_cndmask_b32_e64 v14, 0, 1, s14
.LBB33_563:
	s_or_b32 exec_lo, exec_lo, s15
	v_or_b32_e32 v17, 0xe00, v0
	s_delay_alu instid0(VALU_DEP_1)
	v_cmp_gt_u32_e64 s14, s18, v17
	s_and_saveexec_b32 s19, s14
	s_cbranch_execz .LBB33_565
; %bb.564:
	global_load_u8 v15, v0, s[16:17] offset:3584
	s_wait_loadcnt 0x0
	v_cmp_ne_u16_e64 s15, 0, v15
	s_wait_alu 0xf1ff
	s_delay_alu instid0(VALU_DEP_1)
	v_cndmask_b32_e64 v15, 0, 1, s15
.LBB33_565:
	s_wait_alu 0xfffe
	s_or_b32 exec_lo, exec_lo, s19
	v_or_b32_e32 v17, 0xf00, v0
	s_delay_alu instid0(VALU_DEP_1)
	v_cmp_gt_u32_e64 s15, s18, v17
	s_and_saveexec_b32 s19, s15
	s_cbranch_execz .LBB33_567
; %bb.566:
	global_load_u8 v16, v0, s[16:17] offset:3840
	s_wait_loadcnt 0x0
	v_cmp_ne_u16_e64 s16, 0, v16
	s_delay_alu instid0(VALU_DEP_1)
	v_cndmask_b32_e64 v16, 0, 1, s16
.LBB33_567:
	s_wait_alu 0xfffe
	s_or_b32 exec_lo, exec_lo, s19
	v_cndmask_b32_e32 v2, 0, v2, vcc_lo
	v_cndmask_b32_e64 v3, 0, v3, s2
	v_cndmask_b32_e64 v4, 0, v4, s3
	s_min_u32 s2, s18, 0x100
	s_mov_b32 s3, exec_lo
	v_add_nc_u32_e32 v1, v2, v1
	v_cndmask_b32_e64 v2, 0, v5, s4
	v_cndmask_b32_e64 v5, 0, v6, s5
	;; [unrolled: 1-line block ×3, first 2 shown]
	s_delay_alu instid0(VALU_DEP_4) | instskip(SKIP_3) | instid1(VALU_DEP_4)
	v_add3_u32 v1, v1, v3, v4
	v_cndmask_b32_e64 v3, 0, v7, s6
	v_cndmask_b32_e64 v4, 0, v8, s7
	;; [unrolled: 1-line block ×3, first 2 shown]
	v_add3_u32 v1, v1, v2, v5
	v_cndmask_b32_e64 v2, 0, v9, s8
	v_cndmask_b32_e64 v5, 0, v10, s9
	s_delay_alu instid0(VALU_DEP_3) | instskip(SKIP_2) | instid1(VALU_DEP_3)
	v_add3_u32 v1, v1, v3, v4
	v_cndmask_b32_e64 v3, 0, v11, s10
	v_cndmask_b32_e64 v4, 0, v12, s11
	v_add3_u32 v1, v1, v2, v5
	v_mbcnt_lo_u32_b32 v2, -1, 0
	v_cndmask_b32_e64 v5, 0, v13, s12
	s_delay_alu instid0(VALU_DEP_3) | instskip(NEXT) | instid1(VALU_DEP_3)
	v_add3_u32 v1, v1, v3, v4
	v_cmp_ne_u32_e32 vcc_lo, 31, v2
	v_cndmask_b32_e64 v3, 0, v16, s15
	s_delay_alu instid0(VALU_DEP_3)
	v_add3_u32 v1, v1, v5, v6
	s_wait_alu 0xfffd
	v_add_co_ci_u32_e64 v4, null, 0, v2, vcc_lo
	v_add_nc_u32_e32 v5, 1, v2
	v_cmp_gt_u32_e32 vcc_lo, 30, v2
	v_add3_u32 v1, v1, v7, v3
	s_delay_alu instid0(VALU_DEP_4)
	v_lshlrev_b32_e32 v4, 2, v4
	s_wait_alu 0xfffd
	v_cndmask_b32_e64 v6, 0, 2, vcc_lo
	ds_bpermute_b32 v3, v4, v1
	v_and_b32_e32 v4, 0xe0, v0
	s_wait_alu 0xfffe
	s_delay_alu instid0(VALU_DEP_1) | instskip(NEXT) | instid1(VALU_DEP_1)
	v_sub_nc_u32_e64 v4, s2, v4 clamp
	v_cmp_lt_u32_e32 vcc_lo, v5, v4
	v_add_lshl_u32 v5, v6, v2, 2
	s_wait_dscnt 0x0
	s_wait_alu 0xfffd
	v_cndmask_b32_e32 v3, 0, v3, vcc_lo
	v_cmp_gt_u32_e32 vcc_lo, 28, v2
	s_delay_alu instid0(VALU_DEP_2) | instskip(SKIP_4) | instid1(VALU_DEP_1)
	v_add_nc_u32_e32 v1, v1, v3
	s_wait_alu 0xfffd
	v_cndmask_b32_e64 v6, 0, 4, vcc_lo
	ds_bpermute_b32 v3, v5, v1
	v_add_nc_u32_e32 v5, 2, v2
	v_cmp_lt_u32_e32 vcc_lo, v5, v4
	v_add_lshl_u32 v5, v6, v2, 2
	s_wait_dscnt 0x0
	s_wait_alu 0xfffd
	v_cndmask_b32_e32 v3, 0, v3, vcc_lo
	v_cmp_gt_u32_e32 vcc_lo, 24, v2
	s_delay_alu instid0(VALU_DEP_2) | instskip(SKIP_4) | instid1(VALU_DEP_1)
	v_add_nc_u32_e32 v1, v1, v3
	s_wait_alu 0xfffd
	v_cndmask_b32_e64 v6, 0, 8, vcc_lo
	ds_bpermute_b32 v3, v5, v1
	v_add_nc_u32_e32 v5, 4, v2
	v_cmp_lt_u32_e32 vcc_lo, v5, v4
	v_add_lshl_u32 v5, v6, v2, 2
	s_wait_dscnt 0x0
	s_wait_alu 0xfffd
	v_cndmask_b32_e32 v3, 0, v3, vcc_lo
	s_delay_alu instid0(VALU_DEP_1) | instskip(SKIP_3) | instid1(VALU_DEP_1)
	v_add_nc_u32_e32 v1, v1, v3
	v_lshlrev_b32_e32 v3, 2, v2
	ds_bpermute_b32 v5, v5, v1
	v_add_nc_u32_e32 v6, 8, v2
	v_cmp_lt_u32_e32 vcc_lo, v6, v4
	v_or_b32_e32 v6, 64, v3
	s_wait_dscnt 0x0
	s_wait_alu 0xfffd
	v_cndmask_b32_e32 v5, 0, v5, vcc_lo
	s_delay_alu instid0(VALU_DEP_1) | instskip(SKIP_2) | instid1(VALU_DEP_1)
	v_add_nc_u32_e32 v1, v1, v5
	ds_bpermute_b32 v5, v6, v1
	v_add_nc_u32_e32 v6, 16, v2
	v_cmp_lt_u32_e32 vcc_lo, v6, v4
	s_wait_dscnt 0x0
	s_wait_alu 0xfffd
	v_cndmask_b32_e32 v4, 0, v5, vcc_lo
	s_delay_alu instid0(VALU_DEP_1)
	v_add_nc_u32_e32 v1, v1, v4
	v_cmpx_eq_u32_e32 0, v2
; %bb.568:
	v_lshrrev_b32_e32 v4, 3, v0
	s_delay_alu instid0(VALU_DEP_1)
	v_and_b32_e32 v4, 28, v4
	ds_store_b32 v4, v1 offset:256
; %bb.569:
	s_or_b32 exec_lo, exec_lo, s3
	s_delay_alu instid0(SALU_CYCLE_1)
	s_mov_b32 s3, exec_lo
	s_wait_loadcnt_dscnt 0x0
	s_barrier_signal -1
	s_barrier_wait -1
	global_inv scope:SCOPE_SE
	v_cmpx_gt_u32_e32 8, v0
	s_cbranch_execz .LBB33_571
; %bb.570:
	ds_load_b32 v1, v3 offset:256
	v_and_b32_e32 v4, 7, v2
	s_add_co_i32 s2, s2, 31
	s_wait_alu 0xfffe
	s_lshr_b32 s2, s2, 5
	s_delay_alu instid0(VALU_DEP_1) | instskip(SKIP_4) | instid1(VALU_DEP_2)
	v_cmp_ne_u32_e32 vcc_lo, 7, v4
	v_add_nc_u32_e32 v6, 1, v4
	s_wait_alu 0xfffd
	v_add_co_ci_u32_e64 v5, null, 0, v2, vcc_lo
	v_cmp_gt_u32_e32 vcc_lo, 6, v4
	v_lshlrev_b32_e32 v5, 2, v5
	s_wait_alu 0xfffd
	v_cndmask_b32_e64 v7, 0, 2, vcc_lo
	s_wait_alu 0xfffe
	v_cmp_gt_u32_e32 vcc_lo, s2, v6
	s_wait_dscnt 0x0
	ds_bpermute_b32 v5, v5, v1
	v_add_lshl_u32 v2, v7, v2, 2
	s_wait_dscnt 0x0
	s_wait_alu 0xfffd
	v_cndmask_b32_e32 v5, 0, v5, vcc_lo
	s_delay_alu instid0(VALU_DEP_1)
	v_add_nc_u32_e32 v1, v5, v1
	v_add_nc_u32_e32 v5, 2, v4
	ds_bpermute_b32 v2, v2, v1
	v_cmp_gt_u32_e32 vcc_lo, s2, v5
	s_wait_dscnt 0x0
	s_wait_alu 0xfffd
	v_cndmask_b32_e32 v2, 0, v2, vcc_lo
	s_delay_alu instid0(VALU_DEP_1)
	v_add_nc_u32_e32 v1, v1, v2
	v_or_b32_e32 v2, 16, v3
	v_add_nc_u32_e32 v3, 4, v4
	ds_bpermute_b32 v2, v2, v1
	v_cmp_gt_u32_e32 vcc_lo, s2, v3
	s_wait_dscnt 0x0
	s_wait_alu 0xfffd
	v_cndmask_b32_e32 v2, 0, v2, vcc_lo
	s_delay_alu instid0(VALU_DEP_1)
	v_add_nc_u32_e32 v1, v1, v2
.LBB33_571:
	s_wait_alu 0xfffe
	s_or_b32 exec_lo, exec_lo, s3
.LBB33_572:
	v_cmp_eq_u32_e64 s2, 0, v0
	s_branch .LBB33_623
.LBB33_573:
	s_mov_b32 s3, -1
                                        ; implicit-def: $vgpr1
.LBB33_574:
	s_delay_alu instid0(SALU_CYCLE_1)
	s_and_b32 vcc_lo, exec_lo, s3
	s_wait_alu 0xfffe
	s_cbranch_vccz .LBB33_596
; %bb.575:
	v_mov_b32_e32 v1, 0
	s_sub_co_i32 s10, s36, s2
	s_mov_b32 s2, exec_lo
	s_delay_alu instid0(VALU_DEP_1)
	v_dual_mov_b32 v2, v1 :: v_dual_mov_b32 v3, v1
	v_dual_mov_b32 v4, v1 :: v_dual_mov_b32 v5, v1
	;; [unrolled: 1-line block ×3, first 2 shown]
	v_mov_b32_e32 v8, v1
	v_cmpx_gt_u32_e64 s10, v0
	s_cbranch_execz .LBB33_577
; %bb.576:
	global_load_u8 v2, v0, s[8:9]
	v_dual_mov_b32 v3, v1 :: v_dual_mov_b32 v4, v1
	v_dual_mov_b32 v5, v1 :: v_dual_mov_b32 v6, v1
	;; [unrolled: 1-line block ×3, first 2 shown]
	v_mov_b32_e32 v9, v1
	s_wait_loadcnt 0x0
	v_cmp_ne_u16_e32 vcc_lo, 0, v2
	s_wait_alu 0xfffd
	v_cndmask_b32_e64 v2, 0, 1, vcc_lo
	s_delay_alu instid0(VALU_DEP_1) | instskip(NEXT) | instid1(VALU_DEP_1)
	v_and_b32_e32 v2, 0xffff, v2
	v_mov_b32_e32 v1, v2
	v_mov_b32_e32 v2, v3
	;; [unrolled: 1-line block ×8, first 2 shown]
.LBB33_577:
	s_or_b32 exec_lo, exec_lo, s2
	v_or_b32_e32 v9, 0x100, v0
	s_delay_alu instid0(VALU_DEP_1)
	v_cmp_gt_u32_e32 vcc_lo, s10, v9
	s_and_saveexec_b32 s3, vcc_lo
	s_cbranch_execz .LBB33_579
; %bb.578:
	global_load_u8 v2, v0, s[8:9] offset:256
	s_wait_loadcnt 0x0
	v_cmp_ne_u16_e64 s2, 0, v2
	s_delay_alu instid0(VALU_DEP_1)
	v_cndmask_b32_e64 v2, 0, 1, s2
.LBB33_579:
	s_or_b32 exec_lo, exec_lo, s3
	v_or_b32_e32 v9, 0x200, v0
	s_delay_alu instid0(VALU_DEP_1)
	v_cmp_gt_u32_e64 s2, s10, v9
	s_and_saveexec_b32 s4, s2
	s_cbranch_execz .LBB33_581
; %bb.580:
	global_load_u8 v3, v0, s[8:9] offset:512
	s_wait_loadcnt 0x0
	v_cmp_ne_u16_e64 s3, 0, v3
	s_wait_alu 0xf1ff
	s_delay_alu instid0(VALU_DEP_1)
	v_cndmask_b32_e64 v3, 0, 1, s3
.LBB33_581:
	s_or_b32 exec_lo, exec_lo, s4
	v_or_b32_e32 v9, 0x300, v0
	s_delay_alu instid0(VALU_DEP_1)
	v_cmp_gt_u32_e64 s3, s10, v9
	s_and_saveexec_b32 s5, s3
	s_cbranch_execz .LBB33_583
; %bb.582:
	global_load_u8 v4, v0, s[8:9] offset:768
	s_wait_loadcnt 0x0
	v_cmp_ne_u16_e64 s4, 0, v4
	s_delay_alu instid0(VALU_DEP_1)
	v_cndmask_b32_e64 v4, 0, 1, s4
.LBB33_583:
	s_or_b32 exec_lo, exec_lo, s5
	v_or_b32_e32 v9, 0x400, v0
	s_delay_alu instid0(VALU_DEP_1)
	v_cmp_gt_u32_e64 s4, s10, v9
	s_and_saveexec_b32 s6, s4
	s_cbranch_execz .LBB33_585
; %bb.584:
	global_load_u8 v5, v0, s[8:9] offset:1024
	s_wait_loadcnt 0x0
	v_cmp_ne_u16_e64 s5, 0, v5
	s_wait_alu 0xf1ff
	s_delay_alu instid0(VALU_DEP_1)
	v_cndmask_b32_e64 v5, 0, 1, s5
.LBB33_585:
	s_or_b32 exec_lo, exec_lo, s6
	v_or_b32_e32 v9, 0x500, v0
	s_delay_alu instid0(VALU_DEP_1)
	v_cmp_gt_u32_e64 s5, s10, v9
	s_and_saveexec_b32 s7, s5
	s_cbranch_execz .LBB33_587
; %bb.586:
	global_load_u8 v6, v0, s[8:9] offset:1280
	s_wait_loadcnt 0x0
	v_cmp_ne_u16_e64 s6, 0, v6
	s_delay_alu instid0(VALU_DEP_1)
	v_cndmask_b32_e64 v6, 0, 1, s6
.LBB33_587:
	s_or_b32 exec_lo, exec_lo, s7
	v_or_b32_e32 v9, 0x600, v0
	s_delay_alu instid0(VALU_DEP_1)
	v_cmp_gt_u32_e64 s6, s10, v9
	s_and_saveexec_b32 s11, s6
	s_cbranch_execz .LBB33_589
; %bb.588:
	global_load_u8 v7, v0, s[8:9] offset:1536
	s_wait_loadcnt 0x0
	v_cmp_ne_u16_e64 s7, 0, v7
	s_wait_alu 0xf1ff
	s_delay_alu instid0(VALU_DEP_1)
	v_cndmask_b32_e64 v7, 0, 1, s7
.LBB33_589:
	s_wait_alu 0xfffe
	s_or_b32 exec_lo, exec_lo, s11
	v_or_b32_e32 v9, 0x700, v0
	s_delay_alu instid0(VALU_DEP_1)
	v_cmp_gt_u32_e64 s7, s10, v9
	s_and_saveexec_b32 s11, s7
	s_cbranch_execz .LBB33_591
; %bb.590:
	global_load_u8 v8, v0, s[8:9] offset:1792
	s_wait_loadcnt 0x0
	v_cmp_ne_u16_e64 s8, 0, v8
	s_delay_alu instid0(VALU_DEP_1)
	v_cndmask_b32_e64 v8, 0, 1, s8
.LBB33_591:
	s_wait_alu 0xfffe
	s_or_b32 exec_lo, exec_lo, s11
	v_cndmask_b32_e32 v2, 0, v2, vcc_lo
	v_cndmask_b32_e64 v3, 0, v3, s2
	v_cndmask_b32_e64 v4, 0, v4, s3
	;; [unrolled: 1-line block ×4, first 2 shown]
	v_add_nc_u32_e32 v1, v2, v1
	v_mbcnt_lo_u32_b32 v2, -1, 0
	v_cndmask_b32_e64 v7, 0, v7, s6
	s_min_u32 s2, s10, 0x100
	s_mov_b32 s3, exec_lo
	v_add3_u32 v1, v1, v3, v4
	v_cmp_ne_u32_e32 vcc_lo, 31, v2
	v_cndmask_b32_e64 v3, 0, v8, s7
	s_delay_alu instid0(VALU_DEP_3)
	v_add3_u32 v1, v1, v5, v6
	s_wait_alu 0xfffd
	v_add_co_ci_u32_e64 v4, null, 0, v2, vcc_lo
	v_add_nc_u32_e32 v5, 1, v2
	v_cmp_gt_u32_e32 vcc_lo, 30, v2
	v_add3_u32 v1, v1, v7, v3
	s_delay_alu instid0(VALU_DEP_4)
	v_lshlrev_b32_e32 v4, 2, v4
	s_wait_alu 0xfffd
	v_cndmask_b32_e64 v6, 0, 2, vcc_lo
	ds_bpermute_b32 v3, v4, v1
	v_and_b32_e32 v4, 0xe0, v0
	s_wait_alu 0xfffe
	s_delay_alu instid0(VALU_DEP_1) | instskip(NEXT) | instid1(VALU_DEP_1)
	v_sub_nc_u32_e64 v4, s2, v4 clamp
	v_cmp_lt_u32_e32 vcc_lo, v5, v4
	v_add_lshl_u32 v5, v6, v2, 2
	s_wait_dscnt 0x0
	s_wait_alu 0xfffd
	v_cndmask_b32_e32 v3, 0, v3, vcc_lo
	v_cmp_gt_u32_e32 vcc_lo, 28, v2
	s_delay_alu instid0(VALU_DEP_2) | instskip(SKIP_4) | instid1(VALU_DEP_1)
	v_add_nc_u32_e32 v1, v1, v3
	s_wait_alu 0xfffd
	v_cndmask_b32_e64 v6, 0, 4, vcc_lo
	ds_bpermute_b32 v3, v5, v1
	v_add_nc_u32_e32 v5, 2, v2
	v_cmp_lt_u32_e32 vcc_lo, v5, v4
	v_add_lshl_u32 v5, v6, v2, 2
	s_wait_dscnt 0x0
	s_wait_alu 0xfffd
	v_cndmask_b32_e32 v3, 0, v3, vcc_lo
	v_cmp_gt_u32_e32 vcc_lo, 24, v2
	s_delay_alu instid0(VALU_DEP_2) | instskip(SKIP_4) | instid1(VALU_DEP_1)
	v_add_nc_u32_e32 v1, v1, v3
	s_wait_alu 0xfffd
	v_cndmask_b32_e64 v6, 0, 8, vcc_lo
	ds_bpermute_b32 v3, v5, v1
	v_add_nc_u32_e32 v5, 4, v2
	v_cmp_lt_u32_e32 vcc_lo, v5, v4
	v_add_lshl_u32 v5, v6, v2, 2
	s_wait_dscnt 0x0
	s_wait_alu 0xfffd
	v_cndmask_b32_e32 v3, 0, v3, vcc_lo
	s_delay_alu instid0(VALU_DEP_1) | instskip(SKIP_3) | instid1(VALU_DEP_1)
	v_add_nc_u32_e32 v1, v1, v3
	v_lshlrev_b32_e32 v3, 2, v2
	ds_bpermute_b32 v5, v5, v1
	v_add_nc_u32_e32 v6, 8, v2
	v_cmp_lt_u32_e32 vcc_lo, v6, v4
	v_or_b32_e32 v6, 64, v3
	s_wait_dscnt 0x0
	s_wait_alu 0xfffd
	v_cndmask_b32_e32 v5, 0, v5, vcc_lo
	s_delay_alu instid0(VALU_DEP_1) | instskip(SKIP_2) | instid1(VALU_DEP_1)
	v_add_nc_u32_e32 v1, v1, v5
	ds_bpermute_b32 v5, v6, v1
	v_add_nc_u32_e32 v6, 16, v2
	v_cmp_lt_u32_e32 vcc_lo, v6, v4
	s_wait_dscnt 0x0
	s_wait_alu 0xfffd
	v_cndmask_b32_e32 v4, 0, v5, vcc_lo
	s_delay_alu instid0(VALU_DEP_1)
	v_add_nc_u32_e32 v1, v1, v4
	v_cmpx_eq_u32_e32 0, v2
; %bb.592:
	v_lshrrev_b32_e32 v4, 3, v0
	s_delay_alu instid0(VALU_DEP_1)
	v_and_b32_e32 v4, 28, v4
	ds_store_b32 v4, v1 offset:256
; %bb.593:
	s_or_b32 exec_lo, exec_lo, s3
	s_delay_alu instid0(SALU_CYCLE_1)
	s_mov_b32 s3, exec_lo
	s_wait_loadcnt_dscnt 0x0
	s_barrier_signal -1
	s_barrier_wait -1
	global_inv scope:SCOPE_SE
	v_cmpx_gt_u32_e32 8, v0
	s_cbranch_execz .LBB33_595
; %bb.594:
	ds_load_b32 v1, v3 offset:256
	v_and_b32_e32 v4, 7, v2
	s_add_co_i32 s2, s2, 31
	s_wait_alu 0xfffe
	s_lshr_b32 s2, s2, 5
	s_delay_alu instid0(VALU_DEP_1) | instskip(SKIP_4) | instid1(VALU_DEP_2)
	v_cmp_ne_u32_e32 vcc_lo, 7, v4
	v_add_nc_u32_e32 v6, 1, v4
	s_wait_alu 0xfffd
	v_add_co_ci_u32_e64 v5, null, 0, v2, vcc_lo
	v_cmp_gt_u32_e32 vcc_lo, 6, v4
	v_lshlrev_b32_e32 v5, 2, v5
	s_wait_alu 0xfffd
	v_cndmask_b32_e64 v7, 0, 2, vcc_lo
	s_wait_alu 0xfffe
	v_cmp_gt_u32_e32 vcc_lo, s2, v6
	s_wait_dscnt 0x0
	ds_bpermute_b32 v5, v5, v1
	v_add_lshl_u32 v2, v7, v2, 2
	s_wait_dscnt 0x0
	s_wait_alu 0xfffd
	v_cndmask_b32_e32 v5, 0, v5, vcc_lo
	s_delay_alu instid0(VALU_DEP_1)
	v_add_nc_u32_e32 v1, v5, v1
	v_add_nc_u32_e32 v5, 2, v4
	ds_bpermute_b32 v2, v2, v1
	v_cmp_gt_u32_e32 vcc_lo, s2, v5
	s_wait_dscnt 0x0
	s_wait_alu 0xfffd
	v_cndmask_b32_e32 v2, 0, v2, vcc_lo
	s_delay_alu instid0(VALU_DEP_1)
	v_add_nc_u32_e32 v1, v1, v2
	v_or_b32_e32 v2, 16, v3
	v_add_nc_u32_e32 v3, 4, v4
	ds_bpermute_b32 v2, v2, v1
	v_cmp_gt_u32_e32 vcc_lo, s2, v3
	s_wait_dscnt 0x0
	s_wait_alu 0xfffd
	v_cndmask_b32_e32 v2, 0, v2, vcc_lo
	s_delay_alu instid0(VALU_DEP_1)
	v_add_nc_u32_e32 v1, v1, v2
.LBB33_595:
	s_wait_alu 0xfffe
	s_or_b32 exec_lo, exec_lo, s3
.LBB33_596:
	v_cmp_eq_u32_e64 s2, 0, v0
.LBB33_597:
	s_branch .LBB33_623
.LBB33_598:
	s_mov_b32 s3, -1
                                        ; implicit-def: $vgpr1
.LBB33_599:
	s_delay_alu instid0(SALU_CYCLE_1)
	s_and_b32 vcc_lo, exec_lo, s3
	s_wait_alu 0xfffe
	s_cbranch_vccz .LBB33_613
; %bb.600:
	v_mov_b32_e32 v1, 0
	s_sub_co_i32 s6, s36, s2
	s_mov_b32 s2, exec_lo
	s_delay_alu instid0(VALU_DEP_1)
	v_dual_mov_b32 v2, v1 :: v_dual_mov_b32 v3, v1
	v_mov_b32_e32 v4, v1
	v_cmpx_gt_u32_e64 s6, v0
	s_cbranch_execz .LBB33_602
; %bb.601:
	global_load_u8 v2, v0, s[4:5]
	v_dual_mov_b32 v3, v1 :: v_dual_mov_b32 v4, v1
	v_mov_b32_e32 v5, v1
	s_wait_loadcnt 0x0
	v_cmp_ne_u16_e32 vcc_lo, 0, v2
	s_wait_alu 0xfffd
	v_cndmask_b32_e64 v2, 0, 1, vcc_lo
	s_delay_alu instid0(VALU_DEP_1) | instskip(NEXT) | instid1(VALU_DEP_1)
	v_and_b32_e32 v2, 0xffff, v2
	v_mov_b32_e32 v1, v2
	v_mov_b32_e32 v2, v3
	;; [unrolled: 1-line block ×4, first 2 shown]
.LBB33_602:
	s_or_b32 exec_lo, exec_lo, s2
	v_or_b32_e32 v5, 0x100, v0
	s_delay_alu instid0(VALU_DEP_1)
	v_cmp_gt_u32_e32 vcc_lo, s6, v5
	s_and_saveexec_b32 s3, vcc_lo
	s_cbranch_execz .LBB33_604
; %bb.603:
	global_load_u8 v2, v0, s[4:5] offset:256
	s_wait_loadcnt 0x0
	v_cmp_ne_u16_e64 s2, 0, v2
	s_delay_alu instid0(VALU_DEP_1)
	v_cndmask_b32_e64 v2, 0, 1, s2
.LBB33_604:
	s_or_b32 exec_lo, exec_lo, s3
	v_or_b32_e32 v5, 0x200, v0
	s_delay_alu instid0(VALU_DEP_1)
	v_cmp_gt_u32_e64 s2, s6, v5
	s_and_saveexec_b32 s7, s2
	s_cbranch_execz .LBB33_606
; %bb.605:
	global_load_u8 v3, v0, s[4:5] offset:512
	s_wait_loadcnt 0x0
	v_cmp_ne_u16_e64 s3, 0, v3
	s_wait_alu 0xf1ff
	s_delay_alu instid0(VALU_DEP_1)
	v_cndmask_b32_e64 v3, 0, 1, s3
.LBB33_606:
	s_wait_alu 0xfffe
	s_or_b32 exec_lo, exec_lo, s7
	v_or_b32_e32 v5, 0x300, v0
	s_delay_alu instid0(VALU_DEP_1)
	v_cmp_gt_u32_e64 s3, s6, v5
	s_and_saveexec_b32 s7, s3
	s_cbranch_execz .LBB33_608
; %bb.607:
	global_load_u8 v4, v0, s[4:5] offset:768
	s_wait_loadcnt 0x0
	v_cmp_ne_u16_e64 s4, 0, v4
	s_delay_alu instid0(VALU_DEP_1)
	v_cndmask_b32_e64 v4, 0, 1, s4
.LBB33_608:
	s_wait_alu 0xfffe
	s_or_b32 exec_lo, exec_lo, s7
	v_cndmask_b32_e32 v5, 0, v2, vcc_lo
	v_mbcnt_lo_u32_b32 v2, -1, 0
	v_cndmask_b32_e64 v3, 0, v3, s2
	v_cndmask_b32_e64 v4, 0, v4, s3
	s_min_u32 s2, s6, 0x100
	v_add_nc_u32_e32 v1, v5, v1
	v_cmp_ne_u32_e32 vcc_lo, 31, v2
	s_mov_b32 s3, exec_lo
	s_delay_alu instid0(VALU_DEP_2) | instskip(SKIP_4) | instid1(VALU_DEP_3)
	v_add3_u32 v1, v1, v3, v4
	s_wait_alu 0xfffd
	v_add_co_ci_u32_e64 v5, null, 0, v2, vcc_lo
	v_and_b32_e32 v4, 0xe0, v0
	v_cmp_gt_u32_e32 vcc_lo, 30, v2
	v_lshlrev_b32_e32 v3, 2, v5
	v_add_nc_u32_e32 v5, 1, v2
	s_wait_alu 0xfffe
	v_sub_nc_u32_e64 v4, s2, v4 clamp
	s_wait_alu 0xfffd
	v_cndmask_b32_e64 v6, 0, 2, vcc_lo
	ds_bpermute_b32 v3, v3, v1
	v_cmp_lt_u32_e32 vcc_lo, v5, v4
	v_add_lshl_u32 v5, v6, v2, 2
	s_wait_dscnt 0x0
	s_wait_alu 0xfffd
	v_cndmask_b32_e32 v3, 0, v3, vcc_lo
	v_cmp_gt_u32_e32 vcc_lo, 28, v2
	s_delay_alu instid0(VALU_DEP_2) | instskip(SKIP_4) | instid1(VALU_DEP_1)
	v_add_nc_u32_e32 v1, v3, v1
	s_wait_alu 0xfffd
	v_cndmask_b32_e64 v6, 0, 4, vcc_lo
	ds_bpermute_b32 v3, v5, v1
	v_add_nc_u32_e32 v5, 2, v2
	v_cmp_lt_u32_e32 vcc_lo, v5, v4
	v_add_lshl_u32 v5, v6, v2, 2
	s_wait_dscnt 0x0
	s_wait_alu 0xfffd
	v_cndmask_b32_e32 v3, 0, v3, vcc_lo
	v_cmp_gt_u32_e32 vcc_lo, 24, v2
	s_delay_alu instid0(VALU_DEP_2) | instskip(SKIP_4) | instid1(VALU_DEP_1)
	v_add_nc_u32_e32 v1, v1, v3
	s_wait_alu 0xfffd
	v_cndmask_b32_e64 v6, 0, 8, vcc_lo
	ds_bpermute_b32 v3, v5, v1
	v_add_nc_u32_e32 v5, 4, v2
	v_cmp_lt_u32_e32 vcc_lo, v5, v4
	v_add_lshl_u32 v5, v6, v2, 2
	s_wait_dscnt 0x0
	s_wait_alu 0xfffd
	v_dual_cndmask_b32 v3, 0, v3 :: v_dual_add_nc_u32 v6, 8, v2
	s_delay_alu instid0(VALU_DEP_1) | instskip(NEXT) | instid1(VALU_DEP_2)
	v_cmp_lt_u32_e32 vcc_lo, v6, v4
	v_add_nc_u32_e32 v1, v1, v3
	v_lshlrev_b32_e32 v3, 2, v2
	ds_bpermute_b32 v5, v5, v1
	v_or_b32_e32 v6, 64, v3
	s_wait_dscnt 0x0
	s_wait_alu 0xfffd
	v_cndmask_b32_e32 v5, 0, v5, vcc_lo
	s_delay_alu instid0(VALU_DEP_1) | instskip(SKIP_2) | instid1(VALU_DEP_1)
	v_add_nc_u32_e32 v1, v1, v5
	ds_bpermute_b32 v5, v6, v1
	v_add_nc_u32_e32 v6, 16, v2
	v_cmp_lt_u32_e32 vcc_lo, v6, v4
	s_wait_dscnt 0x0
	s_wait_alu 0xfffd
	v_cndmask_b32_e32 v4, 0, v5, vcc_lo
	s_delay_alu instid0(VALU_DEP_1)
	v_add_nc_u32_e32 v1, v1, v4
	v_cmpx_eq_u32_e32 0, v2
; %bb.609:
	v_lshrrev_b32_e32 v4, 3, v0
	s_delay_alu instid0(VALU_DEP_1)
	v_and_b32_e32 v4, 28, v4
	ds_store_b32 v4, v1 offset:256
; %bb.610:
	s_or_b32 exec_lo, exec_lo, s3
	s_delay_alu instid0(SALU_CYCLE_1)
	s_mov_b32 s3, exec_lo
	s_wait_loadcnt_dscnt 0x0
	s_barrier_signal -1
	s_barrier_wait -1
	global_inv scope:SCOPE_SE
	v_cmpx_gt_u32_e32 8, v0
	s_cbranch_execz .LBB33_612
; %bb.611:
	ds_load_b32 v1, v3 offset:256
	v_and_b32_e32 v4, 7, v2
	s_add_co_i32 s2, s2, 31
	s_wait_alu 0xfffe
	s_lshr_b32 s2, s2, 5
	s_delay_alu instid0(VALU_DEP_1) | instskip(SKIP_4) | instid1(VALU_DEP_2)
	v_cmp_ne_u32_e32 vcc_lo, 7, v4
	v_add_nc_u32_e32 v6, 1, v4
	s_wait_alu 0xfffd
	v_add_co_ci_u32_e64 v5, null, 0, v2, vcc_lo
	v_cmp_gt_u32_e32 vcc_lo, 6, v4
	v_lshlrev_b32_e32 v5, 2, v5
	s_wait_alu 0xfffd
	v_cndmask_b32_e64 v7, 0, 2, vcc_lo
	s_wait_alu 0xfffe
	v_cmp_gt_u32_e32 vcc_lo, s2, v6
	s_wait_dscnt 0x0
	ds_bpermute_b32 v5, v5, v1
	v_add_lshl_u32 v2, v7, v2, 2
	s_wait_dscnt 0x0
	s_wait_alu 0xfffd
	v_cndmask_b32_e32 v5, 0, v5, vcc_lo
	s_delay_alu instid0(VALU_DEP_1)
	v_add_nc_u32_e32 v1, v5, v1
	v_add_nc_u32_e32 v5, 2, v4
	ds_bpermute_b32 v2, v2, v1
	v_cmp_gt_u32_e32 vcc_lo, s2, v5
	s_wait_dscnt 0x0
	s_wait_alu 0xfffd
	v_cndmask_b32_e32 v2, 0, v2, vcc_lo
	s_delay_alu instid0(VALU_DEP_1)
	v_add_nc_u32_e32 v1, v1, v2
	v_or_b32_e32 v2, 16, v3
	v_add_nc_u32_e32 v3, 4, v4
	ds_bpermute_b32 v2, v2, v1
	v_cmp_gt_u32_e32 vcc_lo, s2, v3
	s_wait_dscnt 0x0
	s_wait_alu 0xfffd
	v_cndmask_b32_e32 v2, 0, v2, vcc_lo
	s_delay_alu instid0(VALU_DEP_1)
	v_add_nc_u32_e32 v1, v1, v2
.LBB33_612:
	s_wait_alu 0xfffe
	s_or_b32 exec_lo, exec_lo, s3
.LBB33_613:
	v_cmp_eq_u32_e64 s2, 0, v0
	s_branch .LBB33_623
.LBB33_614:
	s_cmp_gt_i32 s44, 1
	s_cbranch_scc0 .LBB33_622
; %bb.615:
	s_cmp_eq_u32 s44, 2
	s_cbranch_scc0 .LBB33_626
; %bb.616:
	s_mov_b32 s35, 0
	s_lshl_b32 s4, s34, 9
	s_lshr_b64 s[2:3], s[36:37], 9
	s_mov_b32 s5, s35
	s_cmp_lg_u64 s[2:3], s[34:35]
	s_add_nc_u64 s[2:3], s[40:41], s[4:5]
	s_cbranch_scc0 .LBB33_627
; %bb.617:
	s_clause 0x1
	global_load_u8 v1, v0, s[2:3]
	global_load_u8 v2, v0, s[2:3] offset:256
	s_mov_b32 s5, exec_lo
	s_wait_loadcnt 0x1
	v_cmp_ne_u16_e32 vcc_lo, 0, v1
	v_cndmask_b32_e64 v1, 0, 1, vcc_lo
	s_wait_loadcnt 0x0
	v_cmp_ne_u16_e32 vcc_lo, 0, v2
	s_wait_alu 0xfffd
	s_delay_alu instid0(VALU_DEP_2) | instskip(NEXT) | instid1(VALU_DEP_1)
	v_add_co_ci_u32_e64 v2, null, 0, v1, vcc_lo
	v_mov_b32_dpp v2, v2 quad_perm:[1,0,3,2] row_mask:0xf bank_mask:0xf
	s_delay_alu instid0(VALU_DEP_1) | instskip(NEXT) | instid1(VALU_DEP_1)
	v_add_co_ci_u32_e64 v1, null, v2, v1, vcc_lo
	v_mov_b32_dpp v2, v1 quad_perm:[2,3,0,1] row_mask:0xf bank_mask:0xf
	s_delay_alu instid0(VALU_DEP_1) | instskip(NEXT) | instid1(VALU_DEP_1)
	v_add_nc_u32_e32 v1, v1, v2
	v_mov_b32_dpp v2, v1 row_ror:4 row_mask:0xf bank_mask:0xf
	s_delay_alu instid0(VALU_DEP_1) | instskip(NEXT) | instid1(VALU_DEP_1)
	v_add_nc_u32_e32 v1, v1, v2
	v_mov_b32_dpp v2, v1 row_ror:8 row_mask:0xf bank_mask:0xf
	s_delay_alu instid0(VALU_DEP_1)
	v_add_nc_u32_e32 v1, v1, v2
	ds_swizzle_b32 v2, v1 offset:swizzle(BROADCAST,32,15)
	s_wait_dscnt 0x0
	v_dual_mov_b32 v2, 0 :: v_dual_add_nc_u32 v1, v1, v2
	ds_bpermute_b32 v1, v2, v1 offset:124
	v_mbcnt_lo_u32_b32 v2, -1, 0
	s_delay_alu instid0(VALU_DEP_1)
	v_cmpx_eq_u32_e32 0, v2
	s_cbranch_execz .LBB33_619
; %bb.618:
	v_lshrrev_b32_e32 v3, 3, v0
	s_delay_alu instid0(VALU_DEP_1)
	v_and_b32_e32 v3, 28, v3
	s_wait_dscnt 0x0
	ds_store_b32 v3, v1 offset:96
.LBB33_619:
	s_or_b32 exec_lo, exec_lo, s5
	s_delay_alu instid0(SALU_CYCLE_1)
	s_mov_b32 s5, exec_lo
	s_wait_dscnt 0x0
	s_barrier_signal -1
	s_barrier_wait -1
	global_inv scope:SCOPE_SE
	v_cmpx_gt_u32_e32 32, v0
	s_cbranch_execz .LBB33_621
; %bb.620:
	v_lshl_or_b32 v1, v2, 2, 0x60
	v_and_b32_e32 v3, 7, v2
	ds_load_b32 v1, v1
	v_cmp_ne_u32_e32 vcc_lo, 7, v3
	s_wait_alu 0xfffd
	v_add_co_ci_u32_e64 v4, null, 0, v2, vcc_lo
	v_cmp_gt_u32_e32 vcc_lo, 6, v3
	s_delay_alu instid0(VALU_DEP_2) | instskip(SKIP_2) | instid1(VALU_DEP_1)
	v_lshlrev_b32_e32 v4, 2, v4
	s_wait_alu 0xfffd
	v_cndmask_b32_e64 v3, 0, 2, vcc_lo
	v_add_lshl_u32 v3, v3, v2, 2
	v_lshlrev_b32_e32 v2, 2, v2
	s_wait_dscnt 0x0
	ds_bpermute_b32 v4, v4, v1
	v_or_b32_e32 v2, 16, v2
	s_wait_dscnt 0x0
	v_add_nc_u32_e32 v1, v4, v1
	ds_bpermute_b32 v3, v3, v1
	s_wait_dscnt 0x0
	v_add_nc_u32_e32 v1, v3, v1
	ds_bpermute_b32 v2, v2, v1
	s_wait_dscnt 0x0
	v_add_nc_u32_e32 v1, v2, v1
.LBB33_621:
	s_or_b32 exec_lo, exec_lo, s5
	s_mov_b32 s5, 0
	s_branch .LBB33_628
.LBB33_622:
                                        ; implicit-def: $vgpr1
	s_cbranch_execnz .LBB33_639
.LBB33_623:
	s_delay_alu instid0(VALU_DEP_1)
	s_and_saveexec_b32 s3, s2
	s_cbranch_execz .LBB33_625
.LBB33_624:
	s_load_b32 s2, s[0:1], 0x28
	s_lshl_b64 s[0:1], s[34:35], 2
	s_cmp_lg_u64 s[36:37], 0
	s_add_nc_u64 s[0:1], s[38:39], s[0:1]
	s_cselect_b32 vcc_lo, -1, 0
	s_wait_alu 0xfffe
	v_dual_cndmask_b32 v0, 0, v1 :: v_dual_mov_b32 v1, 0
	s_wait_kmcnt 0x0
	s_delay_alu instid0(VALU_DEP_1)
	v_add_nc_u32_e32 v0, s2, v0
	global_store_b32 v1, v0, s[0:1]
.LBB33_625:
	s_nop 0
	s_sendmsg sendmsg(MSG_DEALLOC_VGPRS)
	s_endpgm
.LBB33_626:
                                        ; implicit-def: $vgpr1
	s_branch .LBB33_623
.LBB33_627:
	s_mov_b32 s5, -1
                                        ; implicit-def: $vgpr1
.LBB33_628:
	s_delay_alu instid0(SALU_CYCLE_1)
	s_and_b32 vcc_lo, exec_lo, s5
	s_wait_alu 0xfffe
	s_cbranch_vccz .LBB33_638
; %bb.629:
	v_mov_b32_e32 v1, 0
	s_sub_co_i32 s4, s36, s4
	s_mov_b32 s5, exec_lo
	s_delay_alu instid0(VALU_DEP_1)
	v_mov_b32_e32 v2, v1
	v_cmpx_gt_u32_e64 s4, v0
	s_cbranch_execz .LBB33_631
; %bb.630:
	global_load_u8 v2, v0, s[2:3]
	v_mov_b32_e32 v3, v1
	s_wait_loadcnt 0x0
	v_cmp_ne_u16_e32 vcc_lo, 0, v2
	s_wait_alu 0xfffd
	v_cndmask_b32_e64 v2, 0, 1, vcc_lo
	s_delay_alu instid0(VALU_DEP_1) | instskip(NEXT) | instid1(VALU_DEP_1)
	v_and_b32_e32 v2, 0xffff, v2
	v_mov_b32_e32 v1, v2
	v_mov_b32_e32 v2, v3
.LBB33_631:
	s_or_b32 exec_lo, exec_lo, s5
	v_or_b32_e32 v3, 0x100, v0
	s_delay_alu instid0(VALU_DEP_1)
	v_cmp_gt_u32_e32 vcc_lo, s4, v3
	s_and_saveexec_b32 s5, vcc_lo
	s_cbranch_execz .LBB33_633
; %bb.632:
	global_load_u8 v2, v0, s[2:3] offset:256
	s_wait_loadcnt 0x0
	v_cmp_ne_u16_e64 s2, 0, v2
	s_delay_alu instid0(VALU_DEP_1)
	v_cndmask_b32_e64 v2, 0, 1, s2
.LBB33_633:
	s_wait_alu 0xfffe
	s_or_b32 exec_lo, exec_lo, s5
	v_mbcnt_lo_u32_b32 v3, -1, 0
	s_delay_alu instid0(VALU_DEP_2) | instskip(SKIP_2) | instid1(VALU_DEP_2)
	v_cndmask_b32_e32 v2, 0, v2, vcc_lo
	s_min_u32 s2, s4, 0x100
	s_mov_b32 s3, exec_lo
	v_cmp_ne_u32_e32 vcc_lo, 31, v3
	v_add_nc_u32_e32 v5, 1, v3
	v_add_nc_u32_e32 v1, v2, v1
	s_wait_alu 0xfffd
	v_add_co_ci_u32_e64 v4, null, 0, v3, vcc_lo
	v_cmp_gt_u32_e32 vcc_lo, 30, v3
	s_delay_alu instid0(VALU_DEP_2)
	v_lshlrev_b32_e32 v2, 2, v4
	v_and_b32_e32 v4, 0xe0, v0
	s_wait_alu 0xfffd
	v_cndmask_b32_e64 v6, 0, 2, vcc_lo
	ds_bpermute_b32 v2, v2, v1
	s_wait_alu 0xfffe
	v_sub_nc_u32_e64 v4, s2, v4 clamp
	s_delay_alu instid0(VALU_DEP_1)
	v_cmp_lt_u32_e32 vcc_lo, v5, v4
	v_add_lshl_u32 v5, v6, v3, 2
	s_wait_dscnt 0x0
	s_wait_alu 0xfffd
	v_cndmask_b32_e32 v2, 0, v2, vcc_lo
	v_cmp_gt_u32_e32 vcc_lo, 28, v3
	s_delay_alu instid0(VALU_DEP_2) | instskip(SKIP_4) | instid1(VALU_DEP_1)
	v_add_nc_u32_e32 v1, v2, v1
	s_wait_alu 0xfffd
	v_cndmask_b32_e64 v6, 0, 4, vcc_lo
	ds_bpermute_b32 v2, v5, v1
	v_add_nc_u32_e32 v5, 2, v3
	v_cmp_lt_u32_e32 vcc_lo, v5, v4
	v_add_lshl_u32 v5, v6, v3, 2
	s_wait_dscnt 0x0
	s_wait_alu 0xfffd
	v_cndmask_b32_e32 v2, 0, v2, vcc_lo
	v_cmp_gt_u32_e32 vcc_lo, 24, v3
	s_delay_alu instid0(VALU_DEP_2) | instskip(SKIP_4) | instid1(VALU_DEP_1)
	v_add_nc_u32_e32 v1, v1, v2
	s_wait_alu 0xfffd
	v_cndmask_b32_e64 v6, 0, 8, vcc_lo
	ds_bpermute_b32 v2, v5, v1
	v_add_nc_u32_e32 v5, 4, v3
	v_cmp_lt_u32_e32 vcc_lo, v5, v4
	v_add_lshl_u32 v5, v6, v3, 2
	v_add_nc_u32_e32 v6, 8, v3
	s_wait_dscnt 0x0
	s_wait_alu 0xfffd
	v_cndmask_b32_e32 v2, 0, v2, vcc_lo
	s_delay_alu instid0(VALU_DEP_2) | instskip(NEXT) | instid1(VALU_DEP_2)
	v_cmp_lt_u32_e32 vcc_lo, v6, v4
	v_add_nc_u32_e32 v1, v1, v2
	v_lshlrev_b32_e32 v2, 2, v3
	ds_bpermute_b32 v5, v5, v1
	v_or_b32_e32 v6, 64, v2
	s_wait_dscnt 0x0
	s_wait_alu 0xfffd
	v_cndmask_b32_e32 v5, 0, v5, vcc_lo
	s_delay_alu instid0(VALU_DEP_1) | instskip(SKIP_2) | instid1(VALU_DEP_1)
	v_add_nc_u32_e32 v1, v1, v5
	ds_bpermute_b32 v5, v6, v1
	v_add_nc_u32_e32 v6, 16, v3
	v_cmp_lt_u32_e32 vcc_lo, v6, v4
	s_wait_dscnt 0x0
	s_wait_alu 0xfffd
	v_cndmask_b32_e32 v4, 0, v5, vcc_lo
	s_delay_alu instid0(VALU_DEP_1)
	v_add_nc_u32_e32 v1, v1, v4
	v_cmpx_eq_u32_e32 0, v3
; %bb.634:
	v_lshrrev_b32_e32 v4, 3, v0
	s_delay_alu instid0(VALU_DEP_1)
	v_and_b32_e32 v4, 28, v4
	ds_store_b32 v4, v1 offset:256
; %bb.635:
	s_or_b32 exec_lo, exec_lo, s3
	s_delay_alu instid0(SALU_CYCLE_1)
	s_mov_b32 s3, exec_lo
	s_wait_loadcnt_dscnt 0x0
	s_barrier_signal -1
	s_barrier_wait -1
	global_inv scope:SCOPE_SE
	v_cmpx_gt_u32_e32 8, v0
	s_cbranch_execz .LBB33_637
; %bb.636:
	ds_load_b32 v1, v2 offset:256
	v_and_b32_e32 v4, 7, v3
	s_add_co_i32 s2, s2, 31
	v_or_b32_e32 v2, 16, v2
	s_wait_alu 0xfffe
	s_lshr_b32 s2, s2, 5
	v_cmp_ne_u32_e32 vcc_lo, 7, v4
	v_add_nc_u32_e32 v6, 1, v4
	s_wait_alu 0xfffd
	v_add_co_ci_u32_e64 v5, null, 0, v3, vcc_lo
	v_cmp_gt_u32_e32 vcc_lo, 6, v4
	s_delay_alu instid0(VALU_DEP_2)
	v_lshlrev_b32_e32 v5, 2, v5
	s_wait_alu 0xfffd
	v_cndmask_b32_e64 v7, 0, 2, vcc_lo
	s_wait_alu 0xfffe
	v_cmp_gt_u32_e32 vcc_lo, s2, v6
	s_wait_dscnt 0x0
	ds_bpermute_b32 v5, v5, v1
	v_add_lshl_u32 v3, v7, v3, 2
	s_wait_dscnt 0x0
	s_wait_alu 0xfffd
	v_cndmask_b32_e32 v5, 0, v5, vcc_lo
	s_delay_alu instid0(VALU_DEP_1)
	v_add_nc_u32_e32 v1, v5, v1
	v_add_nc_u32_e32 v5, 2, v4
	ds_bpermute_b32 v3, v3, v1
	v_cmp_gt_u32_e32 vcc_lo, s2, v5
	s_wait_dscnt 0x0
	s_wait_alu 0xfffd
	v_cndmask_b32_e32 v3, 0, v3, vcc_lo
	s_delay_alu instid0(VALU_DEP_1)
	v_add_nc_u32_e32 v1, v1, v3
	v_add_nc_u32_e32 v3, 4, v4
	ds_bpermute_b32 v2, v2, v1
	v_cmp_gt_u32_e32 vcc_lo, s2, v3
	s_wait_dscnt 0x0
	s_wait_alu 0xfffd
	v_cndmask_b32_e32 v2, 0, v2, vcc_lo
	s_delay_alu instid0(VALU_DEP_1)
	v_add_nc_u32_e32 v1, v1, v2
.LBB33_637:
	s_wait_alu 0xfffe
	s_or_b32 exec_lo, exec_lo, s3
.LBB33_638:
	v_cmp_eq_u32_e64 s2, 0, v0
	s_branch .LBB33_623
.LBB33_639:
	s_cmp_eq_u32 s44, 1
	s_cbranch_scc0 .LBB33_647
; %bb.640:
	s_mov_b32 s3, 0
	v_mbcnt_lo_u32_b32 v2, -1, 0
	s_lshr_b64 s[4:5], s[36:37], 8
	s_mov_b32 s35, s3
	s_lshl_b32 s2, s34, 8
	s_cmp_lg_u64 s[4:5], s[34:35]
	s_cbranch_scc0 .LBB33_648
; %bb.641:
	s_add_nc_u64 s[4:5], s[40:41], s[2:3]
	global_load_u8 v1, v0, s[4:5]
	s_mov_b32 s4, exec_lo
	s_wait_loadcnt 0x0
	v_cmp_ne_u16_e32 vcc_lo, 0, v1
	v_cndmask_b32_e64 v1, 0, 1, vcc_lo
	s_delay_alu instid0(VALU_DEP_1) | instskip(NEXT) | instid1(VALU_DEP_1)
	v_mov_b32_dpp v1, v1 quad_perm:[1,0,3,2] row_mask:0xf bank_mask:0xf
	v_add_co_ci_u32_e64 v3, null, 0, v1, vcc_lo
	s_delay_alu instid0(VALU_DEP_1) | instskip(NEXT) | instid1(VALU_DEP_1)
	v_mov_b32_dpp v3, v3 quad_perm:[2,3,0,1] row_mask:0xf bank_mask:0xf
	v_add_co_ci_u32_e64 v1, null, v3, v1, vcc_lo
	s_delay_alu instid0(VALU_DEP_1) | instskip(NEXT) | instid1(VALU_DEP_1)
	v_mov_b32_dpp v3, v1 row_ror:4 row_mask:0xf bank_mask:0xf
	v_add_nc_u32_e32 v1, v1, v3
	s_delay_alu instid0(VALU_DEP_1) | instskip(NEXT) | instid1(VALU_DEP_1)
	v_mov_b32_dpp v3, v1 row_ror:8 row_mask:0xf bank_mask:0xf
	v_add_nc_u32_e32 v1, v1, v3
	ds_swizzle_b32 v3, v1 offset:swizzle(BROADCAST,32,15)
	s_wait_dscnt 0x0
	v_add_nc_u32_e32 v1, v1, v3
	v_mov_b32_e32 v3, 0
	ds_bpermute_b32 v1, v3, v1 offset:124
	v_cmpx_eq_u32_e32 0, v2
	s_cbranch_execz .LBB33_643
; %bb.642:
	v_lshrrev_b32_e32 v3, 3, v0
	s_delay_alu instid0(VALU_DEP_1)
	v_and_b32_e32 v3, 28, v3
	s_wait_dscnt 0x0
	ds_store_b32 v3, v1 offset:64
.LBB33_643:
	s_or_b32 exec_lo, exec_lo, s4
	s_delay_alu instid0(SALU_CYCLE_1)
	s_mov_b32 s4, exec_lo
	s_wait_dscnt 0x0
	s_barrier_signal -1
	s_barrier_wait -1
	global_inv scope:SCOPE_SE
	v_cmpx_gt_u32_e32 32, v0
	s_cbranch_execz .LBB33_645
; %bb.644:
	v_and_b32_e32 v1, 7, v2
	s_delay_alu instid0(VALU_DEP_1)
	v_lshlrev_b32_e32 v3, 2, v1
	v_cmp_ne_u32_e32 vcc_lo, 7, v1
	ds_load_b32 v3, v3 offset:64
	s_wait_alu 0xfffd
	v_add_co_ci_u32_e64 v4, null, 0, v2, vcc_lo
	v_cmp_gt_u32_e32 vcc_lo, 6, v1
	s_delay_alu instid0(VALU_DEP_2) | instskip(SKIP_2) | instid1(VALU_DEP_1)
	v_lshlrev_b32_e32 v4, 2, v4
	s_wait_alu 0xfffd
	v_cndmask_b32_e64 v1, 0, 2, vcc_lo
	v_add_lshl_u32 v1, v1, v2, 2
	s_wait_dscnt 0x0
	ds_bpermute_b32 v4, v4, v3
	s_wait_dscnt 0x0
	v_add_nc_u32_e32 v3, v4, v3
	v_lshlrev_b32_e32 v4, 2, v2
	ds_bpermute_b32 v1, v1, v3
	s_wait_dscnt 0x0
	v_add_nc_u32_e32 v1, v1, v3
	v_or_b32_e32 v3, 16, v4
	ds_bpermute_b32 v3, v3, v1
	s_wait_dscnt 0x0
	v_add_nc_u32_e32 v1, v3, v1
.LBB33_645:
	s_or_b32 exec_lo, exec_lo, s4
.LBB33_646:
	v_cmp_eq_u32_e64 s2, 0, v0
	s_and_saveexec_b32 s3, s2
	s_cbranch_execnz .LBB33_624
	s_branch .LBB33_625
.LBB33_647:
                                        ; implicit-def: $vgpr1
                                        ; implicit-def: $sgpr34_sgpr35
	s_and_saveexec_b32 s3, s2
	s_cbranch_execz .LBB33_625
	s_branch .LBB33_624
.LBB33_648:
                                        ; implicit-def: $vgpr1
	s_cbranch_execz .LBB33_646
; %bb.649:
	s_sub_co_i32 s4, s36, s2
	s_mov_b32 s5, exec_lo
                                        ; implicit-def: $vgpr1
	v_cmpx_gt_u32_e64 s4, v0
	s_cbranch_execz .LBB33_651
; %bb.650:
	s_add_nc_u64 s[2:3], s[40:41], s[2:3]
	global_load_u8 v1, v0, s[2:3]
	s_wait_loadcnt 0x0
	v_cmp_ne_u16_e32 vcc_lo, 0, v1
	v_cndmask_b32_e64 v1, 0, 1, vcc_lo
.LBB33_651:
	s_or_b32 exec_lo, exec_lo, s5
	v_cmp_ne_u32_e32 vcc_lo, 31, v2
	s_min_u32 s2, s4, 0x100
	v_add_nc_u32_e32 v5, 1, v2
	s_mov_b32 s3, exec_lo
	s_wait_alu 0xfffd
	v_add_co_ci_u32_e64 v3, null, 0, v2, vcc_lo
	v_cmp_gt_u32_e32 vcc_lo, 30, v2
	s_delay_alu instid0(VALU_DEP_2) | instskip(SKIP_4) | instid1(VALU_DEP_1)
	v_lshlrev_b32_e32 v3, 2, v3
	s_wait_alu 0xfffd
	v_cndmask_b32_e64 v6, 0, 2, vcc_lo
	ds_bpermute_b32 v3, v3, v1
	v_and_b32_e32 v4, 0xe0, v0
	v_sub_nc_u32_e64 v4, s2, v4 clamp
	s_delay_alu instid0(VALU_DEP_1)
	v_cmp_lt_u32_e32 vcc_lo, v5, v4
	v_add_lshl_u32 v5, v6, v2, 2
	s_wait_dscnt 0x0
	s_wait_alu 0xfffd
	v_cndmask_b32_e32 v3, 0, v3, vcc_lo
	v_cmp_gt_u32_e32 vcc_lo, 28, v2
	s_delay_alu instid0(VALU_DEP_2) | instskip(SKIP_4) | instid1(VALU_DEP_1)
	v_add_nc_u32_e32 v1, v3, v1
	s_wait_alu 0xfffd
	v_cndmask_b32_e64 v6, 0, 4, vcc_lo
	ds_bpermute_b32 v3, v5, v1
	v_add_nc_u32_e32 v5, 2, v2
	v_cmp_lt_u32_e32 vcc_lo, v5, v4
	v_add_lshl_u32 v5, v6, v2, 2
	s_wait_dscnt 0x0
	s_wait_alu 0xfffd
	v_cndmask_b32_e32 v3, 0, v3, vcc_lo
	v_cmp_gt_u32_e32 vcc_lo, 24, v2
	s_delay_alu instid0(VALU_DEP_2) | instskip(SKIP_4) | instid1(VALU_DEP_1)
	v_add_nc_u32_e32 v1, v1, v3
	s_wait_alu 0xfffd
	v_cndmask_b32_e64 v6, 0, 8, vcc_lo
	ds_bpermute_b32 v3, v5, v1
	v_add_nc_u32_e32 v5, 4, v2
	v_cmp_lt_u32_e32 vcc_lo, v5, v4
	v_add_lshl_u32 v5, v6, v2, 2
	s_wait_dscnt 0x0
	s_wait_alu 0xfffd
	v_dual_cndmask_b32 v3, 0, v3 :: v_dual_add_nc_u32 v6, 8, v2
	s_delay_alu instid0(VALU_DEP_1) | instskip(NEXT) | instid1(VALU_DEP_2)
	v_cmp_lt_u32_e32 vcc_lo, v6, v4
	v_add_nc_u32_e32 v1, v1, v3
	v_lshlrev_b32_e32 v3, 2, v2
	ds_bpermute_b32 v5, v5, v1
	v_or_b32_e32 v6, 64, v3
	s_wait_dscnt 0x0
	s_wait_alu 0xfffd
	v_cndmask_b32_e32 v5, 0, v5, vcc_lo
	s_delay_alu instid0(VALU_DEP_1) | instskip(SKIP_2) | instid1(VALU_DEP_1)
	v_add_nc_u32_e32 v1, v1, v5
	ds_bpermute_b32 v5, v6, v1
	v_add_nc_u32_e32 v6, 16, v2
	v_cmp_lt_u32_e32 vcc_lo, v6, v4
	s_wait_dscnt 0x0
	s_wait_alu 0xfffd
	v_cndmask_b32_e32 v4, 0, v5, vcc_lo
	s_delay_alu instid0(VALU_DEP_1)
	v_add_nc_u32_e32 v1, v1, v4
	v_cmpx_eq_u32_e32 0, v2
; %bb.652:
	v_lshrrev_b32_e32 v4, 3, v0
	s_delay_alu instid0(VALU_DEP_1)
	v_and_b32_e32 v4, 28, v4
	ds_store_b32 v4, v1 offset:256
; %bb.653:
	s_or_b32 exec_lo, exec_lo, s3
	s_delay_alu instid0(SALU_CYCLE_1)
	s_mov_b32 s3, exec_lo
	s_wait_loadcnt_dscnt 0x0
	s_barrier_signal -1
	s_barrier_wait -1
	global_inv scope:SCOPE_SE
	v_cmpx_gt_u32_e32 8, v0
	s_cbranch_execz .LBB33_655
; %bb.654:
	ds_load_b32 v1, v3 offset:256
	v_and_b32_e32 v4, 7, v2
	s_add_co_i32 s2, s2, 31
	s_wait_alu 0xfffe
	s_lshr_b32 s2, s2, 5
	s_delay_alu instid0(VALU_DEP_1) | instskip(SKIP_4) | instid1(VALU_DEP_2)
	v_cmp_ne_u32_e32 vcc_lo, 7, v4
	v_add_nc_u32_e32 v6, 1, v4
	s_wait_alu 0xfffd
	v_add_co_ci_u32_e64 v5, null, 0, v2, vcc_lo
	v_cmp_gt_u32_e32 vcc_lo, 6, v4
	v_lshlrev_b32_e32 v5, 2, v5
	s_wait_alu 0xfffd
	v_cndmask_b32_e64 v7, 0, 2, vcc_lo
	s_wait_alu 0xfffe
	v_cmp_gt_u32_e32 vcc_lo, s2, v6
	s_wait_dscnt 0x0
	ds_bpermute_b32 v5, v5, v1
	v_add_lshl_u32 v2, v7, v2, 2
	s_wait_dscnt 0x0
	s_wait_alu 0xfffd
	v_cndmask_b32_e32 v5, 0, v5, vcc_lo
	s_delay_alu instid0(VALU_DEP_1)
	v_add_nc_u32_e32 v1, v5, v1
	v_add_nc_u32_e32 v5, 2, v4
	ds_bpermute_b32 v2, v2, v1
	v_cmp_gt_u32_e32 vcc_lo, s2, v5
	s_wait_dscnt 0x0
	s_wait_alu 0xfffd
	v_cndmask_b32_e32 v2, 0, v2, vcc_lo
	s_delay_alu instid0(VALU_DEP_1)
	v_add_nc_u32_e32 v1, v1, v2
	v_or_b32_e32 v2, 16, v3
	v_add_nc_u32_e32 v3, 4, v4
	ds_bpermute_b32 v2, v2, v1
	v_cmp_gt_u32_e32 vcc_lo, s2, v3
	s_wait_dscnt 0x0
	s_wait_alu 0xfffd
	v_cndmask_b32_e32 v2, 0, v2, vcc_lo
	s_delay_alu instid0(VALU_DEP_1)
	v_add_nc_u32_e32 v1, v1, v2
.LBB33_655:
	s_wait_alu 0xfffe
	s_or_b32 exec_lo, exec_lo, s3
	v_cmp_eq_u32_e64 s2, 0, v0
	s_and_saveexec_b32 s3, s2
	s_cbranch_execnz .LBB33_624
	s_branch .LBB33_625
	.section	.rodata,"a",@progbits
	.p2align	6, 0x0
	.amdhsa_kernel _ZN7rocprim17ROCPRIM_400000_NS6detail17trampoline_kernelINS0_14default_configENS1_22reduce_config_selectorIbEEZNS1_11reduce_implILb1ES3_N6hipcub16HIPCUB_304000_NS22TransformInputIteratorIbN2at6native12_GLOBAL__N_19NonZeroOpIhEEPKhlEEPiiNS8_6detail34convert_binary_result_type_wrapperINS8_3SumESH_iEEEE10hipError_tPvRmT1_T2_T3_mT4_P12ihipStream_tbEUlT_E1_NS1_11comp_targetILNS1_3genE10ELNS1_11target_archE1201ELNS1_3gpuE5ELNS1_3repE0EEENS1_30default_config_static_selectorELNS0_4arch9wavefront6targetE0EEEvSQ_
		.amdhsa_group_segment_fixed_size 288
		.amdhsa_private_segment_fixed_size 0
		.amdhsa_kernarg_size 48
		.amdhsa_user_sgpr_count 2
		.amdhsa_user_sgpr_dispatch_ptr 0
		.amdhsa_user_sgpr_queue_ptr 0
		.amdhsa_user_sgpr_kernarg_segment_ptr 1
		.amdhsa_user_sgpr_dispatch_id 0
		.amdhsa_user_sgpr_private_segment_size 0
		.amdhsa_wavefront_size32 1
		.amdhsa_uses_dynamic_stack 0
		.amdhsa_enable_private_segment 0
		.amdhsa_system_sgpr_workgroup_id_x 1
		.amdhsa_system_sgpr_workgroup_id_y 0
		.amdhsa_system_sgpr_workgroup_id_z 0
		.amdhsa_system_sgpr_workgroup_info 0
		.amdhsa_system_vgpr_workitem_id 0
		.amdhsa_next_free_vgpr 129
		.amdhsa_next_free_sgpr 47
		.amdhsa_reserve_vcc 1
		.amdhsa_float_round_mode_32 0
		.amdhsa_float_round_mode_16_64 0
		.amdhsa_float_denorm_mode_32 3
		.amdhsa_float_denorm_mode_16_64 3
		.amdhsa_fp16_overflow 0
		.amdhsa_workgroup_processor_mode 1
		.amdhsa_memory_ordered 1
		.amdhsa_forward_progress 1
		.amdhsa_inst_pref_size 255
		.amdhsa_round_robin_scheduling 0
		.amdhsa_exception_fp_ieee_invalid_op 0
		.amdhsa_exception_fp_denorm_src 0
		.amdhsa_exception_fp_ieee_div_zero 0
		.amdhsa_exception_fp_ieee_overflow 0
		.amdhsa_exception_fp_ieee_underflow 0
		.amdhsa_exception_fp_ieee_inexact 0
		.amdhsa_exception_int_div_zero 0
	.end_amdhsa_kernel
	.section	.text._ZN7rocprim17ROCPRIM_400000_NS6detail17trampoline_kernelINS0_14default_configENS1_22reduce_config_selectorIbEEZNS1_11reduce_implILb1ES3_N6hipcub16HIPCUB_304000_NS22TransformInputIteratorIbN2at6native12_GLOBAL__N_19NonZeroOpIhEEPKhlEEPiiNS8_6detail34convert_binary_result_type_wrapperINS8_3SumESH_iEEEE10hipError_tPvRmT1_T2_T3_mT4_P12ihipStream_tbEUlT_E1_NS1_11comp_targetILNS1_3genE10ELNS1_11target_archE1201ELNS1_3gpuE5ELNS1_3repE0EEENS1_30default_config_static_selectorELNS0_4arch9wavefront6targetE0EEEvSQ_,"axG",@progbits,_ZN7rocprim17ROCPRIM_400000_NS6detail17trampoline_kernelINS0_14default_configENS1_22reduce_config_selectorIbEEZNS1_11reduce_implILb1ES3_N6hipcub16HIPCUB_304000_NS22TransformInputIteratorIbN2at6native12_GLOBAL__N_19NonZeroOpIhEEPKhlEEPiiNS8_6detail34convert_binary_result_type_wrapperINS8_3SumESH_iEEEE10hipError_tPvRmT1_T2_T3_mT4_P12ihipStream_tbEUlT_E1_NS1_11comp_targetILNS1_3genE10ELNS1_11target_archE1201ELNS1_3gpuE5ELNS1_3repE0EEENS1_30default_config_static_selectorELNS0_4arch9wavefront6targetE0EEEvSQ_,comdat
.Lfunc_end33:
	.size	_ZN7rocprim17ROCPRIM_400000_NS6detail17trampoline_kernelINS0_14default_configENS1_22reduce_config_selectorIbEEZNS1_11reduce_implILb1ES3_N6hipcub16HIPCUB_304000_NS22TransformInputIteratorIbN2at6native12_GLOBAL__N_19NonZeroOpIhEEPKhlEEPiiNS8_6detail34convert_binary_result_type_wrapperINS8_3SumESH_iEEEE10hipError_tPvRmT1_T2_T3_mT4_P12ihipStream_tbEUlT_E1_NS1_11comp_targetILNS1_3genE10ELNS1_11target_archE1201ELNS1_3gpuE5ELNS1_3repE0EEENS1_30default_config_static_selectorELNS0_4arch9wavefront6targetE0EEEvSQ_, .Lfunc_end33-_ZN7rocprim17ROCPRIM_400000_NS6detail17trampoline_kernelINS0_14default_configENS1_22reduce_config_selectorIbEEZNS1_11reduce_implILb1ES3_N6hipcub16HIPCUB_304000_NS22TransformInputIteratorIbN2at6native12_GLOBAL__N_19NonZeroOpIhEEPKhlEEPiiNS8_6detail34convert_binary_result_type_wrapperINS8_3SumESH_iEEEE10hipError_tPvRmT1_T2_T3_mT4_P12ihipStream_tbEUlT_E1_NS1_11comp_targetILNS1_3genE10ELNS1_11target_archE1201ELNS1_3gpuE5ELNS1_3repE0EEENS1_30default_config_static_selectorELNS0_4arch9wavefront6targetE0EEEvSQ_
                                        ; -- End function
	.set _ZN7rocprim17ROCPRIM_400000_NS6detail17trampoline_kernelINS0_14default_configENS1_22reduce_config_selectorIbEEZNS1_11reduce_implILb1ES3_N6hipcub16HIPCUB_304000_NS22TransformInputIteratorIbN2at6native12_GLOBAL__N_19NonZeroOpIhEEPKhlEEPiiNS8_6detail34convert_binary_result_type_wrapperINS8_3SumESH_iEEEE10hipError_tPvRmT1_T2_T3_mT4_P12ihipStream_tbEUlT_E1_NS1_11comp_targetILNS1_3genE10ELNS1_11target_archE1201ELNS1_3gpuE5ELNS1_3repE0EEENS1_30default_config_static_selectorELNS0_4arch9wavefront6targetE0EEEvSQ_.num_vgpr, 129
	.set _ZN7rocprim17ROCPRIM_400000_NS6detail17trampoline_kernelINS0_14default_configENS1_22reduce_config_selectorIbEEZNS1_11reduce_implILb1ES3_N6hipcub16HIPCUB_304000_NS22TransformInputIteratorIbN2at6native12_GLOBAL__N_19NonZeroOpIhEEPKhlEEPiiNS8_6detail34convert_binary_result_type_wrapperINS8_3SumESH_iEEEE10hipError_tPvRmT1_T2_T3_mT4_P12ihipStream_tbEUlT_E1_NS1_11comp_targetILNS1_3genE10ELNS1_11target_archE1201ELNS1_3gpuE5ELNS1_3repE0EEENS1_30default_config_static_selectorELNS0_4arch9wavefront6targetE0EEEvSQ_.num_agpr, 0
	.set _ZN7rocprim17ROCPRIM_400000_NS6detail17trampoline_kernelINS0_14default_configENS1_22reduce_config_selectorIbEEZNS1_11reduce_implILb1ES3_N6hipcub16HIPCUB_304000_NS22TransformInputIteratorIbN2at6native12_GLOBAL__N_19NonZeroOpIhEEPKhlEEPiiNS8_6detail34convert_binary_result_type_wrapperINS8_3SumESH_iEEEE10hipError_tPvRmT1_T2_T3_mT4_P12ihipStream_tbEUlT_E1_NS1_11comp_targetILNS1_3genE10ELNS1_11target_archE1201ELNS1_3gpuE5ELNS1_3repE0EEENS1_30default_config_static_selectorELNS0_4arch9wavefront6targetE0EEEvSQ_.numbered_sgpr, 47
	.set _ZN7rocprim17ROCPRIM_400000_NS6detail17trampoline_kernelINS0_14default_configENS1_22reduce_config_selectorIbEEZNS1_11reduce_implILb1ES3_N6hipcub16HIPCUB_304000_NS22TransformInputIteratorIbN2at6native12_GLOBAL__N_19NonZeroOpIhEEPKhlEEPiiNS8_6detail34convert_binary_result_type_wrapperINS8_3SumESH_iEEEE10hipError_tPvRmT1_T2_T3_mT4_P12ihipStream_tbEUlT_E1_NS1_11comp_targetILNS1_3genE10ELNS1_11target_archE1201ELNS1_3gpuE5ELNS1_3repE0EEENS1_30default_config_static_selectorELNS0_4arch9wavefront6targetE0EEEvSQ_.num_named_barrier, 0
	.set _ZN7rocprim17ROCPRIM_400000_NS6detail17trampoline_kernelINS0_14default_configENS1_22reduce_config_selectorIbEEZNS1_11reduce_implILb1ES3_N6hipcub16HIPCUB_304000_NS22TransformInputIteratorIbN2at6native12_GLOBAL__N_19NonZeroOpIhEEPKhlEEPiiNS8_6detail34convert_binary_result_type_wrapperINS8_3SumESH_iEEEE10hipError_tPvRmT1_T2_T3_mT4_P12ihipStream_tbEUlT_E1_NS1_11comp_targetILNS1_3genE10ELNS1_11target_archE1201ELNS1_3gpuE5ELNS1_3repE0EEENS1_30default_config_static_selectorELNS0_4arch9wavefront6targetE0EEEvSQ_.private_seg_size, 0
	.set _ZN7rocprim17ROCPRIM_400000_NS6detail17trampoline_kernelINS0_14default_configENS1_22reduce_config_selectorIbEEZNS1_11reduce_implILb1ES3_N6hipcub16HIPCUB_304000_NS22TransformInputIteratorIbN2at6native12_GLOBAL__N_19NonZeroOpIhEEPKhlEEPiiNS8_6detail34convert_binary_result_type_wrapperINS8_3SumESH_iEEEE10hipError_tPvRmT1_T2_T3_mT4_P12ihipStream_tbEUlT_E1_NS1_11comp_targetILNS1_3genE10ELNS1_11target_archE1201ELNS1_3gpuE5ELNS1_3repE0EEENS1_30default_config_static_selectorELNS0_4arch9wavefront6targetE0EEEvSQ_.uses_vcc, 1
	.set _ZN7rocprim17ROCPRIM_400000_NS6detail17trampoline_kernelINS0_14default_configENS1_22reduce_config_selectorIbEEZNS1_11reduce_implILb1ES3_N6hipcub16HIPCUB_304000_NS22TransformInputIteratorIbN2at6native12_GLOBAL__N_19NonZeroOpIhEEPKhlEEPiiNS8_6detail34convert_binary_result_type_wrapperINS8_3SumESH_iEEEE10hipError_tPvRmT1_T2_T3_mT4_P12ihipStream_tbEUlT_E1_NS1_11comp_targetILNS1_3genE10ELNS1_11target_archE1201ELNS1_3gpuE5ELNS1_3repE0EEENS1_30default_config_static_selectorELNS0_4arch9wavefront6targetE0EEEvSQ_.uses_flat_scratch, 0
	.set _ZN7rocprim17ROCPRIM_400000_NS6detail17trampoline_kernelINS0_14default_configENS1_22reduce_config_selectorIbEEZNS1_11reduce_implILb1ES3_N6hipcub16HIPCUB_304000_NS22TransformInputIteratorIbN2at6native12_GLOBAL__N_19NonZeroOpIhEEPKhlEEPiiNS8_6detail34convert_binary_result_type_wrapperINS8_3SumESH_iEEEE10hipError_tPvRmT1_T2_T3_mT4_P12ihipStream_tbEUlT_E1_NS1_11comp_targetILNS1_3genE10ELNS1_11target_archE1201ELNS1_3gpuE5ELNS1_3repE0EEENS1_30default_config_static_selectorELNS0_4arch9wavefront6targetE0EEEvSQ_.has_dyn_sized_stack, 0
	.set _ZN7rocprim17ROCPRIM_400000_NS6detail17trampoline_kernelINS0_14default_configENS1_22reduce_config_selectorIbEEZNS1_11reduce_implILb1ES3_N6hipcub16HIPCUB_304000_NS22TransformInputIteratorIbN2at6native12_GLOBAL__N_19NonZeroOpIhEEPKhlEEPiiNS8_6detail34convert_binary_result_type_wrapperINS8_3SumESH_iEEEE10hipError_tPvRmT1_T2_T3_mT4_P12ihipStream_tbEUlT_E1_NS1_11comp_targetILNS1_3genE10ELNS1_11target_archE1201ELNS1_3gpuE5ELNS1_3repE0EEENS1_30default_config_static_selectorELNS0_4arch9wavefront6targetE0EEEvSQ_.has_recursion, 0
	.set _ZN7rocprim17ROCPRIM_400000_NS6detail17trampoline_kernelINS0_14default_configENS1_22reduce_config_selectorIbEEZNS1_11reduce_implILb1ES3_N6hipcub16HIPCUB_304000_NS22TransformInputIteratorIbN2at6native12_GLOBAL__N_19NonZeroOpIhEEPKhlEEPiiNS8_6detail34convert_binary_result_type_wrapperINS8_3SumESH_iEEEE10hipError_tPvRmT1_T2_T3_mT4_P12ihipStream_tbEUlT_E1_NS1_11comp_targetILNS1_3genE10ELNS1_11target_archE1201ELNS1_3gpuE5ELNS1_3repE0EEENS1_30default_config_static_selectorELNS0_4arch9wavefront6targetE0EEEvSQ_.has_indirect_call, 0
	.section	.AMDGPU.csdata,"",@progbits
; Kernel info:
; codeLenInByte = 36380
; TotalNumSgprs: 49
; NumVgprs: 129
; ScratchSize: 0
; MemoryBound: 0
; FloatMode: 240
; IeeeMode: 1
; LDSByteSize: 288 bytes/workgroup (compile time only)
; SGPRBlocks: 0
; VGPRBlocks: 16
; NumSGPRsForWavesPerEU: 49
; NumVGPRsForWavesPerEU: 129
; Occupancy: 10
; WaveLimiterHint : 1
; COMPUTE_PGM_RSRC2:SCRATCH_EN: 0
; COMPUTE_PGM_RSRC2:USER_SGPR: 2
; COMPUTE_PGM_RSRC2:TRAP_HANDLER: 0
; COMPUTE_PGM_RSRC2:TGID_X_EN: 1
; COMPUTE_PGM_RSRC2:TGID_Y_EN: 0
; COMPUTE_PGM_RSRC2:TGID_Z_EN: 0
; COMPUTE_PGM_RSRC2:TIDIG_COMP_CNT: 0
	.section	.text._ZN7rocprim17ROCPRIM_400000_NS6detail17trampoline_kernelINS0_14default_configENS1_22reduce_config_selectorIbEEZNS1_11reduce_implILb1ES3_N6hipcub16HIPCUB_304000_NS22TransformInputIteratorIbN2at6native12_GLOBAL__N_19NonZeroOpIhEEPKhlEEPiiNS8_6detail34convert_binary_result_type_wrapperINS8_3SumESH_iEEEE10hipError_tPvRmT1_T2_T3_mT4_P12ihipStream_tbEUlT_E1_NS1_11comp_targetILNS1_3genE10ELNS1_11target_archE1200ELNS1_3gpuE4ELNS1_3repE0EEENS1_30default_config_static_selectorELNS0_4arch9wavefront6targetE0EEEvSQ_,"axG",@progbits,_ZN7rocprim17ROCPRIM_400000_NS6detail17trampoline_kernelINS0_14default_configENS1_22reduce_config_selectorIbEEZNS1_11reduce_implILb1ES3_N6hipcub16HIPCUB_304000_NS22TransformInputIteratorIbN2at6native12_GLOBAL__N_19NonZeroOpIhEEPKhlEEPiiNS8_6detail34convert_binary_result_type_wrapperINS8_3SumESH_iEEEE10hipError_tPvRmT1_T2_T3_mT4_P12ihipStream_tbEUlT_E1_NS1_11comp_targetILNS1_3genE10ELNS1_11target_archE1200ELNS1_3gpuE4ELNS1_3repE0EEENS1_30default_config_static_selectorELNS0_4arch9wavefront6targetE0EEEvSQ_,comdat
	.globl	_ZN7rocprim17ROCPRIM_400000_NS6detail17trampoline_kernelINS0_14default_configENS1_22reduce_config_selectorIbEEZNS1_11reduce_implILb1ES3_N6hipcub16HIPCUB_304000_NS22TransformInputIteratorIbN2at6native12_GLOBAL__N_19NonZeroOpIhEEPKhlEEPiiNS8_6detail34convert_binary_result_type_wrapperINS8_3SumESH_iEEEE10hipError_tPvRmT1_T2_T3_mT4_P12ihipStream_tbEUlT_E1_NS1_11comp_targetILNS1_3genE10ELNS1_11target_archE1200ELNS1_3gpuE4ELNS1_3repE0EEENS1_30default_config_static_selectorELNS0_4arch9wavefront6targetE0EEEvSQ_ ; -- Begin function _ZN7rocprim17ROCPRIM_400000_NS6detail17trampoline_kernelINS0_14default_configENS1_22reduce_config_selectorIbEEZNS1_11reduce_implILb1ES3_N6hipcub16HIPCUB_304000_NS22TransformInputIteratorIbN2at6native12_GLOBAL__N_19NonZeroOpIhEEPKhlEEPiiNS8_6detail34convert_binary_result_type_wrapperINS8_3SumESH_iEEEE10hipError_tPvRmT1_T2_T3_mT4_P12ihipStream_tbEUlT_E1_NS1_11comp_targetILNS1_3genE10ELNS1_11target_archE1200ELNS1_3gpuE4ELNS1_3repE0EEENS1_30default_config_static_selectorELNS0_4arch9wavefront6targetE0EEEvSQ_
	.p2align	8
	.type	_ZN7rocprim17ROCPRIM_400000_NS6detail17trampoline_kernelINS0_14default_configENS1_22reduce_config_selectorIbEEZNS1_11reduce_implILb1ES3_N6hipcub16HIPCUB_304000_NS22TransformInputIteratorIbN2at6native12_GLOBAL__N_19NonZeroOpIhEEPKhlEEPiiNS8_6detail34convert_binary_result_type_wrapperINS8_3SumESH_iEEEE10hipError_tPvRmT1_T2_T3_mT4_P12ihipStream_tbEUlT_E1_NS1_11comp_targetILNS1_3genE10ELNS1_11target_archE1200ELNS1_3gpuE4ELNS1_3repE0EEENS1_30default_config_static_selectorELNS0_4arch9wavefront6targetE0EEEvSQ_,@function
_ZN7rocprim17ROCPRIM_400000_NS6detail17trampoline_kernelINS0_14default_configENS1_22reduce_config_selectorIbEEZNS1_11reduce_implILb1ES3_N6hipcub16HIPCUB_304000_NS22TransformInputIteratorIbN2at6native12_GLOBAL__N_19NonZeroOpIhEEPKhlEEPiiNS8_6detail34convert_binary_result_type_wrapperINS8_3SumESH_iEEEE10hipError_tPvRmT1_T2_T3_mT4_P12ihipStream_tbEUlT_E1_NS1_11comp_targetILNS1_3genE10ELNS1_11target_archE1200ELNS1_3gpuE4ELNS1_3repE0EEENS1_30default_config_static_selectorELNS0_4arch9wavefront6targetE0EEEvSQ_: ; @_ZN7rocprim17ROCPRIM_400000_NS6detail17trampoline_kernelINS0_14default_configENS1_22reduce_config_selectorIbEEZNS1_11reduce_implILb1ES3_N6hipcub16HIPCUB_304000_NS22TransformInputIteratorIbN2at6native12_GLOBAL__N_19NonZeroOpIhEEPKhlEEPiiNS8_6detail34convert_binary_result_type_wrapperINS8_3SumESH_iEEEE10hipError_tPvRmT1_T2_T3_mT4_P12ihipStream_tbEUlT_E1_NS1_11comp_targetILNS1_3genE10ELNS1_11target_archE1200ELNS1_3gpuE4ELNS1_3repE0EEENS1_30default_config_static_selectorELNS0_4arch9wavefront6targetE0EEEvSQ_
; %bb.0:
	.section	.rodata,"a",@progbits
	.p2align	6, 0x0
	.amdhsa_kernel _ZN7rocprim17ROCPRIM_400000_NS6detail17trampoline_kernelINS0_14default_configENS1_22reduce_config_selectorIbEEZNS1_11reduce_implILb1ES3_N6hipcub16HIPCUB_304000_NS22TransformInputIteratorIbN2at6native12_GLOBAL__N_19NonZeroOpIhEEPKhlEEPiiNS8_6detail34convert_binary_result_type_wrapperINS8_3SumESH_iEEEE10hipError_tPvRmT1_T2_T3_mT4_P12ihipStream_tbEUlT_E1_NS1_11comp_targetILNS1_3genE10ELNS1_11target_archE1200ELNS1_3gpuE4ELNS1_3repE0EEENS1_30default_config_static_selectorELNS0_4arch9wavefront6targetE0EEEvSQ_
		.amdhsa_group_segment_fixed_size 0
		.amdhsa_private_segment_fixed_size 0
		.amdhsa_kernarg_size 48
		.amdhsa_user_sgpr_count 2
		.amdhsa_user_sgpr_dispatch_ptr 0
		.amdhsa_user_sgpr_queue_ptr 0
		.amdhsa_user_sgpr_kernarg_segment_ptr 1
		.amdhsa_user_sgpr_dispatch_id 0
		.amdhsa_user_sgpr_private_segment_size 0
		.amdhsa_wavefront_size32 1
		.amdhsa_uses_dynamic_stack 0
		.amdhsa_enable_private_segment 0
		.amdhsa_system_sgpr_workgroup_id_x 1
		.amdhsa_system_sgpr_workgroup_id_y 0
		.amdhsa_system_sgpr_workgroup_id_z 0
		.amdhsa_system_sgpr_workgroup_info 0
		.amdhsa_system_vgpr_workitem_id 0
		.amdhsa_next_free_vgpr 1
		.amdhsa_next_free_sgpr 1
		.amdhsa_reserve_vcc 0
		.amdhsa_float_round_mode_32 0
		.amdhsa_float_round_mode_16_64 0
		.amdhsa_float_denorm_mode_32 3
		.amdhsa_float_denorm_mode_16_64 3
		.amdhsa_fp16_overflow 0
		.amdhsa_workgroup_processor_mode 1
		.amdhsa_memory_ordered 1
		.amdhsa_forward_progress 1
		.amdhsa_inst_pref_size 0
		.amdhsa_round_robin_scheduling 0
		.amdhsa_exception_fp_ieee_invalid_op 0
		.amdhsa_exception_fp_denorm_src 0
		.amdhsa_exception_fp_ieee_div_zero 0
		.amdhsa_exception_fp_ieee_overflow 0
		.amdhsa_exception_fp_ieee_underflow 0
		.amdhsa_exception_fp_ieee_inexact 0
		.amdhsa_exception_int_div_zero 0
	.end_amdhsa_kernel
	.section	.text._ZN7rocprim17ROCPRIM_400000_NS6detail17trampoline_kernelINS0_14default_configENS1_22reduce_config_selectorIbEEZNS1_11reduce_implILb1ES3_N6hipcub16HIPCUB_304000_NS22TransformInputIteratorIbN2at6native12_GLOBAL__N_19NonZeroOpIhEEPKhlEEPiiNS8_6detail34convert_binary_result_type_wrapperINS8_3SumESH_iEEEE10hipError_tPvRmT1_T2_T3_mT4_P12ihipStream_tbEUlT_E1_NS1_11comp_targetILNS1_3genE10ELNS1_11target_archE1200ELNS1_3gpuE4ELNS1_3repE0EEENS1_30default_config_static_selectorELNS0_4arch9wavefront6targetE0EEEvSQ_,"axG",@progbits,_ZN7rocprim17ROCPRIM_400000_NS6detail17trampoline_kernelINS0_14default_configENS1_22reduce_config_selectorIbEEZNS1_11reduce_implILb1ES3_N6hipcub16HIPCUB_304000_NS22TransformInputIteratorIbN2at6native12_GLOBAL__N_19NonZeroOpIhEEPKhlEEPiiNS8_6detail34convert_binary_result_type_wrapperINS8_3SumESH_iEEEE10hipError_tPvRmT1_T2_T3_mT4_P12ihipStream_tbEUlT_E1_NS1_11comp_targetILNS1_3genE10ELNS1_11target_archE1200ELNS1_3gpuE4ELNS1_3repE0EEENS1_30default_config_static_selectorELNS0_4arch9wavefront6targetE0EEEvSQ_,comdat
.Lfunc_end34:
	.size	_ZN7rocprim17ROCPRIM_400000_NS6detail17trampoline_kernelINS0_14default_configENS1_22reduce_config_selectorIbEEZNS1_11reduce_implILb1ES3_N6hipcub16HIPCUB_304000_NS22TransformInputIteratorIbN2at6native12_GLOBAL__N_19NonZeroOpIhEEPKhlEEPiiNS8_6detail34convert_binary_result_type_wrapperINS8_3SumESH_iEEEE10hipError_tPvRmT1_T2_T3_mT4_P12ihipStream_tbEUlT_E1_NS1_11comp_targetILNS1_3genE10ELNS1_11target_archE1200ELNS1_3gpuE4ELNS1_3repE0EEENS1_30default_config_static_selectorELNS0_4arch9wavefront6targetE0EEEvSQ_, .Lfunc_end34-_ZN7rocprim17ROCPRIM_400000_NS6detail17trampoline_kernelINS0_14default_configENS1_22reduce_config_selectorIbEEZNS1_11reduce_implILb1ES3_N6hipcub16HIPCUB_304000_NS22TransformInputIteratorIbN2at6native12_GLOBAL__N_19NonZeroOpIhEEPKhlEEPiiNS8_6detail34convert_binary_result_type_wrapperINS8_3SumESH_iEEEE10hipError_tPvRmT1_T2_T3_mT4_P12ihipStream_tbEUlT_E1_NS1_11comp_targetILNS1_3genE10ELNS1_11target_archE1200ELNS1_3gpuE4ELNS1_3repE0EEENS1_30default_config_static_selectorELNS0_4arch9wavefront6targetE0EEEvSQ_
                                        ; -- End function
	.set _ZN7rocprim17ROCPRIM_400000_NS6detail17trampoline_kernelINS0_14default_configENS1_22reduce_config_selectorIbEEZNS1_11reduce_implILb1ES3_N6hipcub16HIPCUB_304000_NS22TransformInputIteratorIbN2at6native12_GLOBAL__N_19NonZeroOpIhEEPKhlEEPiiNS8_6detail34convert_binary_result_type_wrapperINS8_3SumESH_iEEEE10hipError_tPvRmT1_T2_T3_mT4_P12ihipStream_tbEUlT_E1_NS1_11comp_targetILNS1_3genE10ELNS1_11target_archE1200ELNS1_3gpuE4ELNS1_3repE0EEENS1_30default_config_static_selectorELNS0_4arch9wavefront6targetE0EEEvSQ_.num_vgpr, 0
	.set _ZN7rocprim17ROCPRIM_400000_NS6detail17trampoline_kernelINS0_14default_configENS1_22reduce_config_selectorIbEEZNS1_11reduce_implILb1ES3_N6hipcub16HIPCUB_304000_NS22TransformInputIteratorIbN2at6native12_GLOBAL__N_19NonZeroOpIhEEPKhlEEPiiNS8_6detail34convert_binary_result_type_wrapperINS8_3SumESH_iEEEE10hipError_tPvRmT1_T2_T3_mT4_P12ihipStream_tbEUlT_E1_NS1_11comp_targetILNS1_3genE10ELNS1_11target_archE1200ELNS1_3gpuE4ELNS1_3repE0EEENS1_30default_config_static_selectorELNS0_4arch9wavefront6targetE0EEEvSQ_.num_agpr, 0
	.set _ZN7rocprim17ROCPRIM_400000_NS6detail17trampoline_kernelINS0_14default_configENS1_22reduce_config_selectorIbEEZNS1_11reduce_implILb1ES3_N6hipcub16HIPCUB_304000_NS22TransformInputIteratorIbN2at6native12_GLOBAL__N_19NonZeroOpIhEEPKhlEEPiiNS8_6detail34convert_binary_result_type_wrapperINS8_3SumESH_iEEEE10hipError_tPvRmT1_T2_T3_mT4_P12ihipStream_tbEUlT_E1_NS1_11comp_targetILNS1_3genE10ELNS1_11target_archE1200ELNS1_3gpuE4ELNS1_3repE0EEENS1_30default_config_static_selectorELNS0_4arch9wavefront6targetE0EEEvSQ_.numbered_sgpr, 0
	.set _ZN7rocprim17ROCPRIM_400000_NS6detail17trampoline_kernelINS0_14default_configENS1_22reduce_config_selectorIbEEZNS1_11reduce_implILb1ES3_N6hipcub16HIPCUB_304000_NS22TransformInputIteratorIbN2at6native12_GLOBAL__N_19NonZeroOpIhEEPKhlEEPiiNS8_6detail34convert_binary_result_type_wrapperINS8_3SumESH_iEEEE10hipError_tPvRmT1_T2_T3_mT4_P12ihipStream_tbEUlT_E1_NS1_11comp_targetILNS1_3genE10ELNS1_11target_archE1200ELNS1_3gpuE4ELNS1_3repE0EEENS1_30default_config_static_selectorELNS0_4arch9wavefront6targetE0EEEvSQ_.num_named_barrier, 0
	.set _ZN7rocprim17ROCPRIM_400000_NS6detail17trampoline_kernelINS0_14default_configENS1_22reduce_config_selectorIbEEZNS1_11reduce_implILb1ES3_N6hipcub16HIPCUB_304000_NS22TransformInputIteratorIbN2at6native12_GLOBAL__N_19NonZeroOpIhEEPKhlEEPiiNS8_6detail34convert_binary_result_type_wrapperINS8_3SumESH_iEEEE10hipError_tPvRmT1_T2_T3_mT4_P12ihipStream_tbEUlT_E1_NS1_11comp_targetILNS1_3genE10ELNS1_11target_archE1200ELNS1_3gpuE4ELNS1_3repE0EEENS1_30default_config_static_selectorELNS0_4arch9wavefront6targetE0EEEvSQ_.private_seg_size, 0
	.set _ZN7rocprim17ROCPRIM_400000_NS6detail17trampoline_kernelINS0_14default_configENS1_22reduce_config_selectorIbEEZNS1_11reduce_implILb1ES3_N6hipcub16HIPCUB_304000_NS22TransformInputIteratorIbN2at6native12_GLOBAL__N_19NonZeroOpIhEEPKhlEEPiiNS8_6detail34convert_binary_result_type_wrapperINS8_3SumESH_iEEEE10hipError_tPvRmT1_T2_T3_mT4_P12ihipStream_tbEUlT_E1_NS1_11comp_targetILNS1_3genE10ELNS1_11target_archE1200ELNS1_3gpuE4ELNS1_3repE0EEENS1_30default_config_static_selectorELNS0_4arch9wavefront6targetE0EEEvSQ_.uses_vcc, 0
	.set _ZN7rocprim17ROCPRIM_400000_NS6detail17trampoline_kernelINS0_14default_configENS1_22reduce_config_selectorIbEEZNS1_11reduce_implILb1ES3_N6hipcub16HIPCUB_304000_NS22TransformInputIteratorIbN2at6native12_GLOBAL__N_19NonZeroOpIhEEPKhlEEPiiNS8_6detail34convert_binary_result_type_wrapperINS8_3SumESH_iEEEE10hipError_tPvRmT1_T2_T3_mT4_P12ihipStream_tbEUlT_E1_NS1_11comp_targetILNS1_3genE10ELNS1_11target_archE1200ELNS1_3gpuE4ELNS1_3repE0EEENS1_30default_config_static_selectorELNS0_4arch9wavefront6targetE0EEEvSQ_.uses_flat_scratch, 0
	.set _ZN7rocprim17ROCPRIM_400000_NS6detail17trampoline_kernelINS0_14default_configENS1_22reduce_config_selectorIbEEZNS1_11reduce_implILb1ES3_N6hipcub16HIPCUB_304000_NS22TransformInputIteratorIbN2at6native12_GLOBAL__N_19NonZeroOpIhEEPKhlEEPiiNS8_6detail34convert_binary_result_type_wrapperINS8_3SumESH_iEEEE10hipError_tPvRmT1_T2_T3_mT4_P12ihipStream_tbEUlT_E1_NS1_11comp_targetILNS1_3genE10ELNS1_11target_archE1200ELNS1_3gpuE4ELNS1_3repE0EEENS1_30default_config_static_selectorELNS0_4arch9wavefront6targetE0EEEvSQ_.has_dyn_sized_stack, 0
	.set _ZN7rocprim17ROCPRIM_400000_NS6detail17trampoline_kernelINS0_14default_configENS1_22reduce_config_selectorIbEEZNS1_11reduce_implILb1ES3_N6hipcub16HIPCUB_304000_NS22TransformInputIteratorIbN2at6native12_GLOBAL__N_19NonZeroOpIhEEPKhlEEPiiNS8_6detail34convert_binary_result_type_wrapperINS8_3SumESH_iEEEE10hipError_tPvRmT1_T2_T3_mT4_P12ihipStream_tbEUlT_E1_NS1_11comp_targetILNS1_3genE10ELNS1_11target_archE1200ELNS1_3gpuE4ELNS1_3repE0EEENS1_30default_config_static_selectorELNS0_4arch9wavefront6targetE0EEEvSQ_.has_recursion, 0
	.set _ZN7rocprim17ROCPRIM_400000_NS6detail17trampoline_kernelINS0_14default_configENS1_22reduce_config_selectorIbEEZNS1_11reduce_implILb1ES3_N6hipcub16HIPCUB_304000_NS22TransformInputIteratorIbN2at6native12_GLOBAL__N_19NonZeroOpIhEEPKhlEEPiiNS8_6detail34convert_binary_result_type_wrapperINS8_3SumESH_iEEEE10hipError_tPvRmT1_T2_T3_mT4_P12ihipStream_tbEUlT_E1_NS1_11comp_targetILNS1_3genE10ELNS1_11target_archE1200ELNS1_3gpuE4ELNS1_3repE0EEENS1_30default_config_static_selectorELNS0_4arch9wavefront6targetE0EEEvSQ_.has_indirect_call, 0
	.section	.AMDGPU.csdata,"",@progbits
; Kernel info:
; codeLenInByte = 0
; TotalNumSgprs: 0
; NumVgprs: 0
; ScratchSize: 0
; MemoryBound: 0
; FloatMode: 240
; IeeeMode: 1
; LDSByteSize: 0 bytes/workgroup (compile time only)
; SGPRBlocks: 0
; VGPRBlocks: 0
; NumSGPRsForWavesPerEU: 1
; NumVGPRsForWavesPerEU: 1
; Occupancy: 16
; WaveLimiterHint : 0
; COMPUTE_PGM_RSRC2:SCRATCH_EN: 0
; COMPUTE_PGM_RSRC2:USER_SGPR: 2
; COMPUTE_PGM_RSRC2:TRAP_HANDLER: 0
; COMPUTE_PGM_RSRC2:TGID_X_EN: 1
; COMPUTE_PGM_RSRC2:TGID_Y_EN: 0
; COMPUTE_PGM_RSRC2:TGID_Z_EN: 0
; COMPUTE_PGM_RSRC2:TIDIG_COMP_CNT: 0
	.section	.text._ZN7rocprim17ROCPRIM_400000_NS6detail17trampoline_kernelINS0_14default_configENS1_22reduce_config_selectorIbEEZNS1_11reduce_implILb1ES3_N6hipcub16HIPCUB_304000_NS22TransformInputIteratorIbN2at6native12_GLOBAL__N_19NonZeroOpIhEEPKhlEEPiiNS8_6detail34convert_binary_result_type_wrapperINS8_3SumESH_iEEEE10hipError_tPvRmT1_T2_T3_mT4_P12ihipStream_tbEUlT_E1_NS1_11comp_targetILNS1_3genE9ELNS1_11target_archE1100ELNS1_3gpuE3ELNS1_3repE0EEENS1_30default_config_static_selectorELNS0_4arch9wavefront6targetE0EEEvSQ_,"axG",@progbits,_ZN7rocprim17ROCPRIM_400000_NS6detail17trampoline_kernelINS0_14default_configENS1_22reduce_config_selectorIbEEZNS1_11reduce_implILb1ES3_N6hipcub16HIPCUB_304000_NS22TransformInputIteratorIbN2at6native12_GLOBAL__N_19NonZeroOpIhEEPKhlEEPiiNS8_6detail34convert_binary_result_type_wrapperINS8_3SumESH_iEEEE10hipError_tPvRmT1_T2_T3_mT4_P12ihipStream_tbEUlT_E1_NS1_11comp_targetILNS1_3genE9ELNS1_11target_archE1100ELNS1_3gpuE3ELNS1_3repE0EEENS1_30default_config_static_selectorELNS0_4arch9wavefront6targetE0EEEvSQ_,comdat
	.globl	_ZN7rocprim17ROCPRIM_400000_NS6detail17trampoline_kernelINS0_14default_configENS1_22reduce_config_selectorIbEEZNS1_11reduce_implILb1ES3_N6hipcub16HIPCUB_304000_NS22TransformInputIteratorIbN2at6native12_GLOBAL__N_19NonZeroOpIhEEPKhlEEPiiNS8_6detail34convert_binary_result_type_wrapperINS8_3SumESH_iEEEE10hipError_tPvRmT1_T2_T3_mT4_P12ihipStream_tbEUlT_E1_NS1_11comp_targetILNS1_3genE9ELNS1_11target_archE1100ELNS1_3gpuE3ELNS1_3repE0EEENS1_30default_config_static_selectorELNS0_4arch9wavefront6targetE0EEEvSQ_ ; -- Begin function _ZN7rocprim17ROCPRIM_400000_NS6detail17trampoline_kernelINS0_14default_configENS1_22reduce_config_selectorIbEEZNS1_11reduce_implILb1ES3_N6hipcub16HIPCUB_304000_NS22TransformInputIteratorIbN2at6native12_GLOBAL__N_19NonZeroOpIhEEPKhlEEPiiNS8_6detail34convert_binary_result_type_wrapperINS8_3SumESH_iEEEE10hipError_tPvRmT1_T2_T3_mT4_P12ihipStream_tbEUlT_E1_NS1_11comp_targetILNS1_3genE9ELNS1_11target_archE1100ELNS1_3gpuE3ELNS1_3repE0EEENS1_30default_config_static_selectorELNS0_4arch9wavefront6targetE0EEEvSQ_
	.p2align	8
	.type	_ZN7rocprim17ROCPRIM_400000_NS6detail17trampoline_kernelINS0_14default_configENS1_22reduce_config_selectorIbEEZNS1_11reduce_implILb1ES3_N6hipcub16HIPCUB_304000_NS22TransformInputIteratorIbN2at6native12_GLOBAL__N_19NonZeroOpIhEEPKhlEEPiiNS8_6detail34convert_binary_result_type_wrapperINS8_3SumESH_iEEEE10hipError_tPvRmT1_T2_T3_mT4_P12ihipStream_tbEUlT_E1_NS1_11comp_targetILNS1_3genE9ELNS1_11target_archE1100ELNS1_3gpuE3ELNS1_3repE0EEENS1_30default_config_static_selectorELNS0_4arch9wavefront6targetE0EEEvSQ_,@function
_ZN7rocprim17ROCPRIM_400000_NS6detail17trampoline_kernelINS0_14default_configENS1_22reduce_config_selectorIbEEZNS1_11reduce_implILb1ES3_N6hipcub16HIPCUB_304000_NS22TransformInputIteratorIbN2at6native12_GLOBAL__N_19NonZeroOpIhEEPKhlEEPiiNS8_6detail34convert_binary_result_type_wrapperINS8_3SumESH_iEEEE10hipError_tPvRmT1_T2_T3_mT4_P12ihipStream_tbEUlT_E1_NS1_11comp_targetILNS1_3genE9ELNS1_11target_archE1100ELNS1_3gpuE3ELNS1_3repE0EEENS1_30default_config_static_selectorELNS0_4arch9wavefront6targetE0EEEvSQ_: ; @_ZN7rocprim17ROCPRIM_400000_NS6detail17trampoline_kernelINS0_14default_configENS1_22reduce_config_selectorIbEEZNS1_11reduce_implILb1ES3_N6hipcub16HIPCUB_304000_NS22TransformInputIteratorIbN2at6native12_GLOBAL__N_19NonZeroOpIhEEPKhlEEPiiNS8_6detail34convert_binary_result_type_wrapperINS8_3SumESH_iEEEE10hipError_tPvRmT1_T2_T3_mT4_P12ihipStream_tbEUlT_E1_NS1_11comp_targetILNS1_3genE9ELNS1_11target_archE1100ELNS1_3gpuE3ELNS1_3repE0EEENS1_30default_config_static_selectorELNS0_4arch9wavefront6targetE0EEEvSQ_
; %bb.0:
	.section	.rodata,"a",@progbits
	.p2align	6, 0x0
	.amdhsa_kernel _ZN7rocprim17ROCPRIM_400000_NS6detail17trampoline_kernelINS0_14default_configENS1_22reduce_config_selectorIbEEZNS1_11reduce_implILb1ES3_N6hipcub16HIPCUB_304000_NS22TransformInputIteratorIbN2at6native12_GLOBAL__N_19NonZeroOpIhEEPKhlEEPiiNS8_6detail34convert_binary_result_type_wrapperINS8_3SumESH_iEEEE10hipError_tPvRmT1_T2_T3_mT4_P12ihipStream_tbEUlT_E1_NS1_11comp_targetILNS1_3genE9ELNS1_11target_archE1100ELNS1_3gpuE3ELNS1_3repE0EEENS1_30default_config_static_selectorELNS0_4arch9wavefront6targetE0EEEvSQ_
		.amdhsa_group_segment_fixed_size 0
		.amdhsa_private_segment_fixed_size 0
		.amdhsa_kernarg_size 48
		.amdhsa_user_sgpr_count 2
		.amdhsa_user_sgpr_dispatch_ptr 0
		.amdhsa_user_sgpr_queue_ptr 0
		.amdhsa_user_sgpr_kernarg_segment_ptr 1
		.amdhsa_user_sgpr_dispatch_id 0
		.amdhsa_user_sgpr_private_segment_size 0
		.amdhsa_wavefront_size32 1
		.amdhsa_uses_dynamic_stack 0
		.amdhsa_enable_private_segment 0
		.amdhsa_system_sgpr_workgroup_id_x 1
		.amdhsa_system_sgpr_workgroup_id_y 0
		.amdhsa_system_sgpr_workgroup_id_z 0
		.amdhsa_system_sgpr_workgroup_info 0
		.amdhsa_system_vgpr_workitem_id 0
		.amdhsa_next_free_vgpr 1
		.amdhsa_next_free_sgpr 1
		.amdhsa_reserve_vcc 0
		.amdhsa_float_round_mode_32 0
		.amdhsa_float_round_mode_16_64 0
		.amdhsa_float_denorm_mode_32 3
		.amdhsa_float_denorm_mode_16_64 3
		.amdhsa_fp16_overflow 0
		.amdhsa_workgroup_processor_mode 1
		.amdhsa_memory_ordered 1
		.amdhsa_forward_progress 1
		.amdhsa_inst_pref_size 0
		.amdhsa_round_robin_scheduling 0
		.amdhsa_exception_fp_ieee_invalid_op 0
		.amdhsa_exception_fp_denorm_src 0
		.amdhsa_exception_fp_ieee_div_zero 0
		.amdhsa_exception_fp_ieee_overflow 0
		.amdhsa_exception_fp_ieee_underflow 0
		.amdhsa_exception_fp_ieee_inexact 0
		.amdhsa_exception_int_div_zero 0
	.end_amdhsa_kernel
	.section	.text._ZN7rocprim17ROCPRIM_400000_NS6detail17trampoline_kernelINS0_14default_configENS1_22reduce_config_selectorIbEEZNS1_11reduce_implILb1ES3_N6hipcub16HIPCUB_304000_NS22TransformInputIteratorIbN2at6native12_GLOBAL__N_19NonZeroOpIhEEPKhlEEPiiNS8_6detail34convert_binary_result_type_wrapperINS8_3SumESH_iEEEE10hipError_tPvRmT1_T2_T3_mT4_P12ihipStream_tbEUlT_E1_NS1_11comp_targetILNS1_3genE9ELNS1_11target_archE1100ELNS1_3gpuE3ELNS1_3repE0EEENS1_30default_config_static_selectorELNS0_4arch9wavefront6targetE0EEEvSQ_,"axG",@progbits,_ZN7rocprim17ROCPRIM_400000_NS6detail17trampoline_kernelINS0_14default_configENS1_22reduce_config_selectorIbEEZNS1_11reduce_implILb1ES3_N6hipcub16HIPCUB_304000_NS22TransformInputIteratorIbN2at6native12_GLOBAL__N_19NonZeroOpIhEEPKhlEEPiiNS8_6detail34convert_binary_result_type_wrapperINS8_3SumESH_iEEEE10hipError_tPvRmT1_T2_T3_mT4_P12ihipStream_tbEUlT_E1_NS1_11comp_targetILNS1_3genE9ELNS1_11target_archE1100ELNS1_3gpuE3ELNS1_3repE0EEENS1_30default_config_static_selectorELNS0_4arch9wavefront6targetE0EEEvSQ_,comdat
.Lfunc_end35:
	.size	_ZN7rocprim17ROCPRIM_400000_NS6detail17trampoline_kernelINS0_14default_configENS1_22reduce_config_selectorIbEEZNS1_11reduce_implILb1ES3_N6hipcub16HIPCUB_304000_NS22TransformInputIteratorIbN2at6native12_GLOBAL__N_19NonZeroOpIhEEPKhlEEPiiNS8_6detail34convert_binary_result_type_wrapperINS8_3SumESH_iEEEE10hipError_tPvRmT1_T2_T3_mT4_P12ihipStream_tbEUlT_E1_NS1_11comp_targetILNS1_3genE9ELNS1_11target_archE1100ELNS1_3gpuE3ELNS1_3repE0EEENS1_30default_config_static_selectorELNS0_4arch9wavefront6targetE0EEEvSQ_, .Lfunc_end35-_ZN7rocprim17ROCPRIM_400000_NS6detail17trampoline_kernelINS0_14default_configENS1_22reduce_config_selectorIbEEZNS1_11reduce_implILb1ES3_N6hipcub16HIPCUB_304000_NS22TransformInputIteratorIbN2at6native12_GLOBAL__N_19NonZeroOpIhEEPKhlEEPiiNS8_6detail34convert_binary_result_type_wrapperINS8_3SumESH_iEEEE10hipError_tPvRmT1_T2_T3_mT4_P12ihipStream_tbEUlT_E1_NS1_11comp_targetILNS1_3genE9ELNS1_11target_archE1100ELNS1_3gpuE3ELNS1_3repE0EEENS1_30default_config_static_selectorELNS0_4arch9wavefront6targetE0EEEvSQ_
                                        ; -- End function
	.set _ZN7rocprim17ROCPRIM_400000_NS6detail17trampoline_kernelINS0_14default_configENS1_22reduce_config_selectorIbEEZNS1_11reduce_implILb1ES3_N6hipcub16HIPCUB_304000_NS22TransformInputIteratorIbN2at6native12_GLOBAL__N_19NonZeroOpIhEEPKhlEEPiiNS8_6detail34convert_binary_result_type_wrapperINS8_3SumESH_iEEEE10hipError_tPvRmT1_T2_T3_mT4_P12ihipStream_tbEUlT_E1_NS1_11comp_targetILNS1_3genE9ELNS1_11target_archE1100ELNS1_3gpuE3ELNS1_3repE0EEENS1_30default_config_static_selectorELNS0_4arch9wavefront6targetE0EEEvSQ_.num_vgpr, 0
	.set _ZN7rocprim17ROCPRIM_400000_NS6detail17trampoline_kernelINS0_14default_configENS1_22reduce_config_selectorIbEEZNS1_11reduce_implILb1ES3_N6hipcub16HIPCUB_304000_NS22TransformInputIteratorIbN2at6native12_GLOBAL__N_19NonZeroOpIhEEPKhlEEPiiNS8_6detail34convert_binary_result_type_wrapperINS8_3SumESH_iEEEE10hipError_tPvRmT1_T2_T3_mT4_P12ihipStream_tbEUlT_E1_NS1_11comp_targetILNS1_3genE9ELNS1_11target_archE1100ELNS1_3gpuE3ELNS1_3repE0EEENS1_30default_config_static_selectorELNS0_4arch9wavefront6targetE0EEEvSQ_.num_agpr, 0
	.set _ZN7rocprim17ROCPRIM_400000_NS6detail17trampoline_kernelINS0_14default_configENS1_22reduce_config_selectorIbEEZNS1_11reduce_implILb1ES3_N6hipcub16HIPCUB_304000_NS22TransformInputIteratorIbN2at6native12_GLOBAL__N_19NonZeroOpIhEEPKhlEEPiiNS8_6detail34convert_binary_result_type_wrapperINS8_3SumESH_iEEEE10hipError_tPvRmT1_T2_T3_mT4_P12ihipStream_tbEUlT_E1_NS1_11comp_targetILNS1_3genE9ELNS1_11target_archE1100ELNS1_3gpuE3ELNS1_3repE0EEENS1_30default_config_static_selectorELNS0_4arch9wavefront6targetE0EEEvSQ_.numbered_sgpr, 0
	.set _ZN7rocprim17ROCPRIM_400000_NS6detail17trampoline_kernelINS0_14default_configENS1_22reduce_config_selectorIbEEZNS1_11reduce_implILb1ES3_N6hipcub16HIPCUB_304000_NS22TransformInputIteratorIbN2at6native12_GLOBAL__N_19NonZeroOpIhEEPKhlEEPiiNS8_6detail34convert_binary_result_type_wrapperINS8_3SumESH_iEEEE10hipError_tPvRmT1_T2_T3_mT4_P12ihipStream_tbEUlT_E1_NS1_11comp_targetILNS1_3genE9ELNS1_11target_archE1100ELNS1_3gpuE3ELNS1_3repE0EEENS1_30default_config_static_selectorELNS0_4arch9wavefront6targetE0EEEvSQ_.num_named_barrier, 0
	.set _ZN7rocprim17ROCPRIM_400000_NS6detail17trampoline_kernelINS0_14default_configENS1_22reduce_config_selectorIbEEZNS1_11reduce_implILb1ES3_N6hipcub16HIPCUB_304000_NS22TransformInputIteratorIbN2at6native12_GLOBAL__N_19NonZeroOpIhEEPKhlEEPiiNS8_6detail34convert_binary_result_type_wrapperINS8_3SumESH_iEEEE10hipError_tPvRmT1_T2_T3_mT4_P12ihipStream_tbEUlT_E1_NS1_11comp_targetILNS1_3genE9ELNS1_11target_archE1100ELNS1_3gpuE3ELNS1_3repE0EEENS1_30default_config_static_selectorELNS0_4arch9wavefront6targetE0EEEvSQ_.private_seg_size, 0
	.set _ZN7rocprim17ROCPRIM_400000_NS6detail17trampoline_kernelINS0_14default_configENS1_22reduce_config_selectorIbEEZNS1_11reduce_implILb1ES3_N6hipcub16HIPCUB_304000_NS22TransformInputIteratorIbN2at6native12_GLOBAL__N_19NonZeroOpIhEEPKhlEEPiiNS8_6detail34convert_binary_result_type_wrapperINS8_3SumESH_iEEEE10hipError_tPvRmT1_T2_T3_mT4_P12ihipStream_tbEUlT_E1_NS1_11comp_targetILNS1_3genE9ELNS1_11target_archE1100ELNS1_3gpuE3ELNS1_3repE0EEENS1_30default_config_static_selectorELNS0_4arch9wavefront6targetE0EEEvSQ_.uses_vcc, 0
	.set _ZN7rocprim17ROCPRIM_400000_NS6detail17trampoline_kernelINS0_14default_configENS1_22reduce_config_selectorIbEEZNS1_11reduce_implILb1ES3_N6hipcub16HIPCUB_304000_NS22TransformInputIteratorIbN2at6native12_GLOBAL__N_19NonZeroOpIhEEPKhlEEPiiNS8_6detail34convert_binary_result_type_wrapperINS8_3SumESH_iEEEE10hipError_tPvRmT1_T2_T3_mT4_P12ihipStream_tbEUlT_E1_NS1_11comp_targetILNS1_3genE9ELNS1_11target_archE1100ELNS1_3gpuE3ELNS1_3repE0EEENS1_30default_config_static_selectorELNS0_4arch9wavefront6targetE0EEEvSQ_.uses_flat_scratch, 0
	.set _ZN7rocprim17ROCPRIM_400000_NS6detail17trampoline_kernelINS0_14default_configENS1_22reduce_config_selectorIbEEZNS1_11reduce_implILb1ES3_N6hipcub16HIPCUB_304000_NS22TransformInputIteratorIbN2at6native12_GLOBAL__N_19NonZeroOpIhEEPKhlEEPiiNS8_6detail34convert_binary_result_type_wrapperINS8_3SumESH_iEEEE10hipError_tPvRmT1_T2_T3_mT4_P12ihipStream_tbEUlT_E1_NS1_11comp_targetILNS1_3genE9ELNS1_11target_archE1100ELNS1_3gpuE3ELNS1_3repE0EEENS1_30default_config_static_selectorELNS0_4arch9wavefront6targetE0EEEvSQ_.has_dyn_sized_stack, 0
	.set _ZN7rocprim17ROCPRIM_400000_NS6detail17trampoline_kernelINS0_14default_configENS1_22reduce_config_selectorIbEEZNS1_11reduce_implILb1ES3_N6hipcub16HIPCUB_304000_NS22TransformInputIteratorIbN2at6native12_GLOBAL__N_19NonZeroOpIhEEPKhlEEPiiNS8_6detail34convert_binary_result_type_wrapperINS8_3SumESH_iEEEE10hipError_tPvRmT1_T2_T3_mT4_P12ihipStream_tbEUlT_E1_NS1_11comp_targetILNS1_3genE9ELNS1_11target_archE1100ELNS1_3gpuE3ELNS1_3repE0EEENS1_30default_config_static_selectorELNS0_4arch9wavefront6targetE0EEEvSQ_.has_recursion, 0
	.set _ZN7rocprim17ROCPRIM_400000_NS6detail17trampoline_kernelINS0_14default_configENS1_22reduce_config_selectorIbEEZNS1_11reduce_implILb1ES3_N6hipcub16HIPCUB_304000_NS22TransformInputIteratorIbN2at6native12_GLOBAL__N_19NonZeroOpIhEEPKhlEEPiiNS8_6detail34convert_binary_result_type_wrapperINS8_3SumESH_iEEEE10hipError_tPvRmT1_T2_T3_mT4_P12ihipStream_tbEUlT_E1_NS1_11comp_targetILNS1_3genE9ELNS1_11target_archE1100ELNS1_3gpuE3ELNS1_3repE0EEENS1_30default_config_static_selectorELNS0_4arch9wavefront6targetE0EEEvSQ_.has_indirect_call, 0
	.section	.AMDGPU.csdata,"",@progbits
; Kernel info:
; codeLenInByte = 0
; TotalNumSgprs: 0
; NumVgprs: 0
; ScratchSize: 0
; MemoryBound: 0
; FloatMode: 240
; IeeeMode: 1
; LDSByteSize: 0 bytes/workgroup (compile time only)
; SGPRBlocks: 0
; VGPRBlocks: 0
; NumSGPRsForWavesPerEU: 1
; NumVGPRsForWavesPerEU: 1
; Occupancy: 16
; WaveLimiterHint : 0
; COMPUTE_PGM_RSRC2:SCRATCH_EN: 0
; COMPUTE_PGM_RSRC2:USER_SGPR: 2
; COMPUTE_PGM_RSRC2:TRAP_HANDLER: 0
; COMPUTE_PGM_RSRC2:TGID_X_EN: 1
; COMPUTE_PGM_RSRC2:TGID_Y_EN: 0
; COMPUTE_PGM_RSRC2:TGID_Z_EN: 0
; COMPUTE_PGM_RSRC2:TIDIG_COMP_CNT: 0
	.section	.text._ZN7rocprim17ROCPRIM_400000_NS6detail17trampoline_kernelINS0_14default_configENS1_22reduce_config_selectorIbEEZNS1_11reduce_implILb1ES3_N6hipcub16HIPCUB_304000_NS22TransformInputIteratorIbN2at6native12_GLOBAL__N_19NonZeroOpIhEEPKhlEEPiiNS8_6detail34convert_binary_result_type_wrapperINS8_3SumESH_iEEEE10hipError_tPvRmT1_T2_T3_mT4_P12ihipStream_tbEUlT_E1_NS1_11comp_targetILNS1_3genE8ELNS1_11target_archE1030ELNS1_3gpuE2ELNS1_3repE0EEENS1_30default_config_static_selectorELNS0_4arch9wavefront6targetE0EEEvSQ_,"axG",@progbits,_ZN7rocprim17ROCPRIM_400000_NS6detail17trampoline_kernelINS0_14default_configENS1_22reduce_config_selectorIbEEZNS1_11reduce_implILb1ES3_N6hipcub16HIPCUB_304000_NS22TransformInputIteratorIbN2at6native12_GLOBAL__N_19NonZeroOpIhEEPKhlEEPiiNS8_6detail34convert_binary_result_type_wrapperINS8_3SumESH_iEEEE10hipError_tPvRmT1_T2_T3_mT4_P12ihipStream_tbEUlT_E1_NS1_11comp_targetILNS1_3genE8ELNS1_11target_archE1030ELNS1_3gpuE2ELNS1_3repE0EEENS1_30default_config_static_selectorELNS0_4arch9wavefront6targetE0EEEvSQ_,comdat
	.globl	_ZN7rocprim17ROCPRIM_400000_NS6detail17trampoline_kernelINS0_14default_configENS1_22reduce_config_selectorIbEEZNS1_11reduce_implILb1ES3_N6hipcub16HIPCUB_304000_NS22TransformInputIteratorIbN2at6native12_GLOBAL__N_19NonZeroOpIhEEPKhlEEPiiNS8_6detail34convert_binary_result_type_wrapperINS8_3SumESH_iEEEE10hipError_tPvRmT1_T2_T3_mT4_P12ihipStream_tbEUlT_E1_NS1_11comp_targetILNS1_3genE8ELNS1_11target_archE1030ELNS1_3gpuE2ELNS1_3repE0EEENS1_30default_config_static_selectorELNS0_4arch9wavefront6targetE0EEEvSQ_ ; -- Begin function _ZN7rocprim17ROCPRIM_400000_NS6detail17trampoline_kernelINS0_14default_configENS1_22reduce_config_selectorIbEEZNS1_11reduce_implILb1ES3_N6hipcub16HIPCUB_304000_NS22TransformInputIteratorIbN2at6native12_GLOBAL__N_19NonZeroOpIhEEPKhlEEPiiNS8_6detail34convert_binary_result_type_wrapperINS8_3SumESH_iEEEE10hipError_tPvRmT1_T2_T3_mT4_P12ihipStream_tbEUlT_E1_NS1_11comp_targetILNS1_3genE8ELNS1_11target_archE1030ELNS1_3gpuE2ELNS1_3repE0EEENS1_30default_config_static_selectorELNS0_4arch9wavefront6targetE0EEEvSQ_
	.p2align	8
	.type	_ZN7rocprim17ROCPRIM_400000_NS6detail17trampoline_kernelINS0_14default_configENS1_22reduce_config_selectorIbEEZNS1_11reduce_implILb1ES3_N6hipcub16HIPCUB_304000_NS22TransformInputIteratorIbN2at6native12_GLOBAL__N_19NonZeroOpIhEEPKhlEEPiiNS8_6detail34convert_binary_result_type_wrapperINS8_3SumESH_iEEEE10hipError_tPvRmT1_T2_T3_mT4_P12ihipStream_tbEUlT_E1_NS1_11comp_targetILNS1_3genE8ELNS1_11target_archE1030ELNS1_3gpuE2ELNS1_3repE0EEENS1_30default_config_static_selectorELNS0_4arch9wavefront6targetE0EEEvSQ_,@function
_ZN7rocprim17ROCPRIM_400000_NS6detail17trampoline_kernelINS0_14default_configENS1_22reduce_config_selectorIbEEZNS1_11reduce_implILb1ES3_N6hipcub16HIPCUB_304000_NS22TransformInputIteratorIbN2at6native12_GLOBAL__N_19NonZeroOpIhEEPKhlEEPiiNS8_6detail34convert_binary_result_type_wrapperINS8_3SumESH_iEEEE10hipError_tPvRmT1_T2_T3_mT4_P12ihipStream_tbEUlT_E1_NS1_11comp_targetILNS1_3genE8ELNS1_11target_archE1030ELNS1_3gpuE2ELNS1_3repE0EEENS1_30default_config_static_selectorELNS0_4arch9wavefront6targetE0EEEvSQ_: ; @_ZN7rocprim17ROCPRIM_400000_NS6detail17trampoline_kernelINS0_14default_configENS1_22reduce_config_selectorIbEEZNS1_11reduce_implILb1ES3_N6hipcub16HIPCUB_304000_NS22TransformInputIteratorIbN2at6native12_GLOBAL__N_19NonZeroOpIhEEPKhlEEPiiNS8_6detail34convert_binary_result_type_wrapperINS8_3SumESH_iEEEE10hipError_tPvRmT1_T2_T3_mT4_P12ihipStream_tbEUlT_E1_NS1_11comp_targetILNS1_3genE8ELNS1_11target_archE1030ELNS1_3gpuE2ELNS1_3repE0EEENS1_30default_config_static_selectorELNS0_4arch9wavefront6targetE0EEEvSQ_
; %bb.0:
	.section	.rodata,"a",@progbits
	.p2align	6, 0x0
	.amdhsa_kernel _ZN7rocprim17ROCPRIM_400000_NS6detail17trampoline_kernelINS0_14default_configENS1_22reduce_config_selectorIbEEZNS1_11reduce_implILb1ES3_N6hipcub16HIPCUB_304000_NS22TransformInputIteratorIbN2at6native12_GLOBAL__N_19NonZeroOpIhEEPKhlEEPiiNS8_6detail34convert_binary_result_type_wrapperINS8_3SumESH_iEEEE10hipError_tPvRmT1_T2_T3_mT4_P12ihipStream_tbEUlT_E1_NS1_11comp_targetILNS1_3genE8ELNS1_11target_archE1030ELNS1_3gpuE2ELNS1_3repE0EEENS1_30default_config_static_selectorELNS0_4arch9wavefront6targetE0EEEvSQ_
		.amdhsa_group_segment_fixed_size 0
		.amdhsa_private_segment_fixed_size 0
		.amdhsa_kernarg_size 48
		.amdhsa_user_sgpr_count 2
		.amdhsa_user_sgpr_dispatch_ptr 0
		.amdhsa_user_sgpr_queue_ptr 0
		.amdhsa_user_sgpr_kernarg_segment_ptr 1
		.amdhsa_user_sgpr_dispatch_id 0
		.amdhsa_user_sgpr_private_segment_size 0
		.amdhsa_wavefront_size32 1
		.amdhsa_uses_dynamic_stack 0
		.amdhsa_enable_private_segment 0
		.amdhsa_system_sgpr_workgroup_id_x 1
		.amdhsa_system_sgpr_workgroup_id_y 0
		.amdhsa_system_sgpr_workgroup_id_z 0
		.amdhsa_system_sgpr_workgroup_info 0
		.amdhsa_system_vgpr_workitem_id 0
		.amdhsa_next_free_vgpr 1
		.amdhsa_next_free_sgpr 1
		.amdhsa_reserve_vcc 0
		.amdhsa_float_round_mode_32 0
		.amdhsa_float_round_mode_16_64 0
		.amdhsa_float_denorm_mode_32 3
		.amdhsa_float_denorm_mode_16_64 3
		.amdhsa_fp16_overflow 0
		.amdhsa_workgroup_processor_mode 1
		.amdhsa_memory_ordered 1
		.amdhsa_forward_progress 1
		.amdhsa_inst_pref_size 0
		.amdhsa_round_robin_scheduling 0
		.amdhsa_exception_fp_ieee_invalid_op 0
		.amdhsa_exception_fp_denorm_src 0
		.amdhsa_exception_fp_ieee_div_zero 0
		.amdhsa_exception_fp_ieee_overflow 0
		.amdhsa_exception_fp_ieee_underflow 0
		.amdhsa_exception_fp_ieee_inexact 0
		.amdhsa_exception_int_div_zero 0
	.end_amdhsa_kernel
	.section	.text._ZN7rocprim17ROCPRIM_400000_NS6detail17trampoline_kernelINS0_14default_configENS1_22reduce_config_selectorIbEEZNS1_11reduce_implILb1ES3_N6hipcub16HIPCUB_304000_NS22TransformInputIteratorIbN2at6native12_GLOBAL__N_19NonZeroOpIhEEPKhlEEPiiNS8_6detail34convert_binary_result_type_wrapperINS8_3SumESH_iEEEE10hipError_tPvRmT1_T2_T3_mT4_P12ihipStream_tbEUlT_E1_NS1_11comp_targetILNS1_3genE8ELNS1_11target_archE1030ELNS1_3gpuE2ELNS1_3repE0EEENS1_30default_config_static_selectorELNS0_4arch9wavefront6targetE0EEEvSQ_,"axG",@progbits,_ZN7rocprim17ROCPRIM_400000_NS6detail17trampoline_kernelINS0_14default_configENS1_22reduce_config_selectorIbEEZNS1_11reduce_implILb1ES3_N6hipcub16HIPCUB_304000_NS22TransformInputIteratorIbN2at6native12_GLOBAL__N_19NonZeroOpIhEEPKhlEEPiiNS8_6detail34convert_binary_result_type_wrapperINS8_3SumESH_iEEEE10hipError_tPvRmT1_T2_T3_mT4_P12ihipStream_tbEUlT_E1_NS1_11comp_targetILNS1_3genE8ELNS1_11target_archE1030ELNS1_3gpuE2ELNS1_3repE0EEENS1_30default_config_static_selectorELNS0_4arch9wavefront6targetE0EEEvSQ_,comdat
.Lfunc_end36:
	.size	_ZN7rocprim17ROCPRIM_400000_NS6detail17trampoline_kernelINS0_14default_configENS1_22reduce_config_selectorIbEEZNS1_11reduce_implILb1ES3_N6hipcub16HIPCUB_304000_NS22TransformInputIteratorIbN2at6native12_GLOBAL__N_19NonZeroOpIhEEPKhlEEPiiNS8_6detail34convert_binary_result_type_wrapperINS8_3SumESH_iEEEE10hipError_tPvRmT1_T2_T3_mT4_P12ihipStream_tbEUlT_E1_NS1_11comp_targetILNS1_3genE8ELNS1_11target_archE1030ELNS1_3gpuE2ELNS1_3repE0EEENS1_30default_config_static_selectorELNS0_4arch9wavefront6targetE0EEEvSQ_, .Lfunc_end36-_ZN7rocprim17ROCPRIM_400000_NS6detail17trampoline_kernelINS0_14default_configENS1_22reduce_config_selectorIbEEZNS1_11reduce_implILb1ES3_N6hipcub16HIPCUB_304000_NS22TransformInputIteratorIbN2at6native12_GLOBAL__N_19NonZeroOpIhEEPKhlEEPiiNS8_6detail34convert_binary_result_type_wrapperINS8_3SumESH_iEEEE10hipError_tPvRmT1_T2_T3_mT4_P12ihipStream_tbEUlT_E1_NS1_11comp_targetILNS1_3genE8ELNS1_11target_archE1030ELNS1_3gpuE2ELNS1_3repE0EEENS1_30default_config_static_selectorELNS0_4arch9wavefront6targetE0EEEvSQ_
                                        ; -- End function
	.set _ZN7rocprim17ROCPRIM_400000_NS6detail17trampoline_kernelINS0_14default_configENS1_22reduce_config_selectorIbEEZNS1_11reduce_implILb1ES3_N6hipcub16HIPCUB_304000_NS22TransformInputIteratorIbN2at6native12_GLOBAL__N_19NonZeroOpIhEEPKhlEEPiiNS8_6detail34convert_binary_result_type_wrapperINS8_3SumESH_iEEEE10hipError_tPvRmT1_T2_T3_mT4_P12ihipStream_tbEUlT_E1_NS1_11comp_targetILNS1_3genE8ELNS1_11target_archE1030ELNS1_3gpuE2ELNS1_3repE0EEENS1_30default_config_static_selectorELNS0_4arch9wavefront6targetE0EEEvSQ_.num_vgpr, 0
	.set _ZN7rocprim17ROCPRIM_400000_NS6detail17trampoline_kernelINS0_14default_configENS1_22reduce_config_selectorIbEEZNS1_11reduce_implILb1ES3_N6hipcub16HIPCUB_304000_NS22TransformInputIteratorIbN2at6native12_GLOBAL__N_19NonZeroOpIhEEPKhlEEPiiNS8_6detail34convert_binary_result_type_wrapperINS8_3SumESH_iEEEE10hipError_tPvRmT1_T2_T3_mT4_P12ihipStream_tbEUlT_E1_NS1_11comp_targetILNS1_3genE8ELNS1_11target_archE1030ELNS1_3gpuE2ELNS1_3repE0EEENS1_30default_config_static_selectorELNS0_4arch9wavefront6targetE0EEEvSQ_.num_agpr, 0
	.set _ZN7rocprim17ROCPRIM_400000_NS6detail17trampoline_kernelINS0_14default_configENS1_22reduce_config_selectorIbEEZNS1_11reduce_implILb1ES3_N6hipcub16HIPCUB_304000_NS22TransformInputIteratorIbN2at6native12_GLOBAL__N_19NonZeroOpIhEEPKhlEEPiiNS8_6detail34convert_binary_result_type_wrapperINS8_3SumESH_iEEEE10hipError_tPvRmT1_T2_T3_mT4_P12ihipStream_tbEUlT_E1_NS1_11comp_targetILNS1_3genE8ELNS1_11target_archE1030ELNS1_3gpuE2ELNS1_3repE0EEENS1_30default_config_static_selectorELNS0_4arch9wavefront6targetE0EEEvSQ_.numbered_sgpr, 0
	.set _ZN7rocprim17ROCPRIM_400000_NS6detail17trampoline_kernelINS0_14default_configENS1_22reduce_config_selectorIbEEZNS1_11reduce_implILb1ES3_N6hipcub16HIPCUB_304000_NS22TransformInputIteratorIbN2at6native12_GLOBAL__N_19NonZeroOpIhEEPKhlEEPiiNS8_6detail34convert_binary_result_type_wrapperINS8_3SumESH_iEEEE10hipError_tPvRmT1_T2_T3_mT4_P12ihipStream_tbEUlT_E1_NS1_11comp_targetILNS1_3genE8ELNS1_11target_archE1030ELNS1_3gpuE2ELNS1_3repE0EEENS1_30default_config_static_selectorELNS0_4arch9wavefront6targetE0EEEvSQ_.num_named_barrier, 0
	.set _ZN7rocprim17ROCPRIM_400000_NS6detail17trampoline_kernelINS0_14default_configENS1_22reduce_config_selectorIbEEZNS1_11reduce_implILb1ES3_N6hipcub16HIPCUB_304000_NS22TransformInputIteratorIbN2at6native12_GLOBAL__N_19NonZeroOpIhEEPKhlEEPiiNS8_6detail34convert_binary_result_type_wrapperINS8_3SumESH_iEEEE10hipError_tPvRmT1_T2_T3_mT4_P12ihipStream_tbEUlT_E1_NS1_11comp_targetILNS1_3genE8ELNS1_11target_archE1030ELNS1_3gpuE2ELNS1_3repE0EEENS1_30default_config_static_selectorELNS0_4arch9wavefront6targetE0EEEvSQ_.private_seg_size, 0
	.set _ZN7rocprim17ROCPRIM_400000_NS6detail17trampoline_kernelINS0_14default_configENS1_22reduce_config_selectorIbEEZNS1_11reduce_implILb1ES3_N6hipcub16HIPCUB_304000_NS22TransformInputIteratorIbN2at6native12_GLOBAL__N_19NonZeroOpIhEEPKhlEEPiiNS8_6detail34convert_binary_result_type_wrapperINS8_3SumESH_iEEEE10hipError_tPvRmT1_T2_T3_mT4_P12ihipStream_tbEUlT_E1_NS1_11comp_targetILNS1_3genE8ELNS1_11target_archE1030ELNS1_3gpuE2ELNS1_3repE0EEENS1_30default_config_static_selectorELNS0_4arch9wavefront6targetE0EEEvSQ_.uses_vcc, 0
	.set _ZN7rocprim17ROCPRIM_400000_NS6detail17trampoline_kernelINS0_14default_configENS1_22reduce_config_selectorIbEEZNS1_11reduce_implILb1ES3_N6hipcub16HIPCUB_304000_NS22TransformInputIteratorIbN2at6native12_GLOBAL__N_19NonZeroOpIhEEPKhlEEPiiNS8_6detail34convert_binary_result_type_wrapperINS8_3SumESH_iEEEE10hipError_tPvRmT1_T2_T3_mT4_P12ihipStream_tbEUlT_E1_NS1_11comp_targetILNS1_3genE8ELNS1_11target_archE1030ELNS1_3gpuE2ELNS1_3repE0EEENS1_30default_config_static_selectorELNS0_4arch9wavefront6targetE0EEEvSQ_.uses_flat_scratch, 0
	.set _ZN7rocprim17ROCPRIM_400000_NS6detail17trampoline_kernelINS0_14default_configENS1_22reduce_config_selectorIbEEZNS1_11reduce_implILb1ES3_N6hipcub16HIPCUB_304000_NS22TransformInputIteratorIbN2at6native12_GLOBAL__N_19NonZeroOpIhEEPKhlEEPiiNS8_6detail34convert_binary_result_type_wrapperINS8_3SumESH_iEEEE10hipError_tPvRmT1_T2_T3_mT4_P12ihipStream_tbEUlT_E1_NS1_11comp_targetILNS1_3genE8ELNS1_11target_archE1030ELNS1_3gpuE2ELNS1_3repE0EEENS1_30default_config_static_selectorELNS0_4arch9wavefront6targetE0EEEvSQ_.has_dyn_sized_stack, 0
	.set _ZN7rocprim17ROCPRIM_400000_NS6detail17trampoline_kernelINS0_14default_configENS1_22reduce_config_selectorIbEEZNS1_11reduce_implILb1ES3_N6hipcub16HIPCUB_304000_NS22TransformInputIteratorIbN2at6native12_GLOBAL__N_19NonZeroOpIhEEPKhlEEPiiNS8_6detail34convert_binary_result_type_wrapperINS8_3SumESH_iEEEE10hipError_tPvRmT1_T2_T3_mT4_P12ihipStream_tbEUlT_E1_NS1_11comp_targetILNS1_3genE8ELNS1_11target_archE1030ELNS1_3gpuE2ELNS1_3repE0EEENS1_30default_config_static_selectorELNS0_4arch9wavefront6targetE0EEEvSQ_.has_recursion, 0
	.set _ZN7rocprim17ROCPRIM_400000_NS6detail17trampoline_kernelINS0_14default_configENS1_22reduce_config_selectorIbEEZNS1_11reduce_implILb1ES3_N6hipcub16HIPCUB_304000_NS22TransformInputIteratorIbN2at6native12_GLOBAL__N_19NonZeroOpIhEEPKhlEEPiiNS8_6detail34convert_binary_result_type_wrapperINS8_3SumESH_iEEEE10hipError_tPvRmT1_T2_T3_mT4_P12ihipStream_tbEUlT_E1_NS1_11comp_targetILNS1_3genE8ELNS1_11target_archE1030ELNS1_3gpuE2ELNS1_3repE0EEENS1_30default_config_static_selectorELNS0_4arch9wavefront6targetE0EEEvSQ_.has_indirect_call, 0
	.section	.AMDGPU.csdata,"",@progbits
; Kernel info:
; codeLenInByte = 0
; TotalNumSgprs: 0
; NumVgprs: 0
; ScratchSize: 0
; MemoryBound: 0
; FloatMode: 240
; IeeeMode: 1
; LDSByteSize: 0 bytes/workgroup (compile time only)
; SGPRBlocks: 0
; VGPRBlocks: 0
; NumSGPRsForWavesPerEU: 1
; NumVGPRsForWavesPerEU: 1
; Occupancy: 16
; WaveLimiterHint : 0
; COMPUTE_PGM_RSRC2:SCRATCH_EN: 0
; COMPUTE_PGM_RSRC2:USER_SGPR: 2
; COMPUTE_PGM_RSRC2:TRAP_HANDLER: 0
; COMPUTE_PGM_RSRC2:TGID_X_EN: 1
; COMPUTE_PGM_RSRC2:TGID_Y_EN: 0
; COMPUTE_PGM_RSRC2:TGID_Z_EN: 0
; COMPUTE_PGM_RSRC2:TIDIG_COMP_CNT: 0
	.section	.text._ZN7rocprim17ROCPRIM_400000_NS6detail31init_lookback_scan_state_kernelINS1_19lookback_scan_stateImLb0ELb1EEENS1_16block_id_wrapperIjLb0EEEEEvT_jT0_jPNS7_10value_typeE,"axG",@progbits,_ZN7rocprim17ROCPRIM_400000_NS6detail31init_lookback_scan_state_kernelINS1_19lookback_scan_stateImLb0ELb1EEENS1_16block_id_wrapperIjLb0EEEEEvT_jT0_jPNS7_10value_typeE,comdat
	.protected	_ZN7rocprim17ROCPRIM_400000_NS6detail31init_lookback_scan_state_kernelINS1_19lookback_scan_stateImLb0ELb1EEENS1_16block_id_wrapperIjLb0EEEEEvT_jT0_jPNS7_10value_typeE ; -- Begin function _ZN7rocprim17ROCPRIM_400000_NS6detail31init_lookback_scan_state_kernelINS1_19lookback_scan_stateImLb0ELb1EEENS1_16block_id_wrapperIjLb0EEEEEvT_jT0_jPNS7_10value_typeE
	.globl	_ZN7rocprim17ROCPRIM_400000_NS6detail31init_lookback_scan_state_kernelINS1_19lookback_scan_stateImLb0ELb1EEENS1_16block_id_wrapperIjLb0EEEEEvT_jT0_jPNS7_10value_typeE
	.p2align	8
	.type	_ZN7rocprim17ROCPRIM_400000_NS6detail31init_lookback_scan_state_kernelINS1_19lookback_scan_stateImLb0ELb1EEENS1_16block_id_wrapperIjLb0EEEEEvT_jT0_jPNS7_10value_typeE,@function
_ZN7rocprim17ROCPRIM_400000_NS6detail31init_lookback_scan_state_kernelINS1_19lookback_scan_stateImLb0ELb1EEENS1_16block_id_wrapperIjLb0EEEEEvT_jT0_jPNS7_10value_typeE: ; @_ZN7rocprim17ROCPRIM_400000_NS6detail31init_lookback_scan_state_kernelINS1_19lookback_scan_stateImLb0ELb1EEENS1_16block_id_wrapperIjLb0EEEEEvT_jT0_jPNS7_10value_typeE
; %bb.0:
	s_clause 0x2
	s_load_b32 s7, s[0:1], 0x2c
	s_load_b64 s[2:3], s[0:1], 0x18
	s_load_b96 s[4:6], s[0:1], 0x0
	s_wait_kmcnt 0x0
	s_and_b32 s7, s7, 0xffff
	s_cmp_eq_u64 s[2:3], 0
	v_mad_co_u64_u32 v[0:1], null, ttmp9, s7, v[0:1]
	s_cbranch_scc1 .LBB37_8
; %bb.1:
	s_load_b32 s0, s[0:1], 0x10
	s_wait_kmcnt 0x0
	s_cmp_lt_u32 s0, s6
	s_cselect_b32 s1, s0, 0
	s_wait_alu 0xfffe
	v_cmp_eq_u32_e32 vcc_lo, s1, v0
	s_mov_b32 s1, 0
	s_and_saveexec_b32 s7, vcc_lo
	s_cbranch_execz .LBB37_7
; %bb.2:
	s_add_co_i32 s0, s0, 32
	s_mov_b32 s8, exec_lo
	s_wait_alu 0xfffe
	s_lshl_b64 s[0:1], s[0:1], 4
	v_mov_b32_e32 v5, 0
	s_wait_alu 0xfffe
	s_add_nc_u64 s[0:1], s[4:5], s[0:1]
	s_wait_alu 0xfffe
	v_dual_mov_b32 v2, s1 :: v_dual_mov_b32 v1, s0
	;;#ASMSTART
	global_load_b128 v[1:4], v[1:2] off scope:SCOPE_DEV	
s_wait_loadcnt 0x0
	;;#ASMEND
	v_and_b32_e32 v4, 0xff, v3
	s_delay_alu instid0(VALU_DEP_1)
	v_cmpx_eq_u64_e32 0, v[4:5]
	s_cbranch_execz .LBB37_6
; %bb.3:
	v_dual_mov_b32 v7, s1 :: v_dual_mov_b32 v6, s0
	s_mov_b32 s0, 0
.LBB37_4:                               ; =>This Inner Loop Header: Depth=1
	;;#ASMSTART
	global_load_b128 v[1:4], v[6:7] off scope:SCOPE_DEV	
s_wait_loadcnt 0x0
	;;#ASMEND
	v_and_b32_e32 v4, 0xff, v3
	s_delay_alu instid0(VALU_DEP_1)
	v_cmp_ne_u64_e32 vcc_lo, 0, v[4:5]
	s_wait_alu 0xfffe
	s_or_b32 s0, vcc_lo, s0
	s_wait_alu 0xfffe
	s_and_not1_b32 exec_lo, exec_lo, s0
	s_cbranch_execnz .LBB37_4
; %bb.5:
	s_or_b32 exec_lo, exec_lo, s0
.LBB37_6:
	s_delay_alu instid0(SALU_CYCLE_1)
	s_or_b32 exec_lo, exec_lo, s8
	v_mov_b32_e32 v3, 0
	global_store_b64 v3, v[1:2], s[2:3]
.LBB37_7:
	s_wait_alu 0xfffe
	s_or_b32 exec_lo, exec_lo, s7
.LBB37_8:
	s_delay_alu instid0(SALU_CYCLE_1)
	s_mov_b32 s0, exec_lo
	v_cmpx_gt_u32_e64 s6, v0
	s_cbranch_execz .LBB37_10
; %bb.9:
	v_dual_mov_b32 v2, 0 :: v_dual_add_nc_u32 v1, 32, v0
	s_delay_alu instid0(VALU_DEP_1) | instskip(SKIP_2) | instid1(VALU_DEP_3)
	v_lshlrev_b64_e32 v[4:5], 4, v[1:2]
	v_mov_b32_e32 v1, v2
	v_mov_b32_e32 v3, v2
	v_add_co_u32 v6, vcc_lo, s4, v4
	s_delay_alu instid0(VALU_DEP_1)
	v_add_co_ci_u32_e64 v7, null, s5, v5, vcc_lo
	v_mov_b32_e32 v4, v2
	global_store_b128 v[6:7], v[1:4], off
.LBB37_10:
	s_wait_alu 0xfffe
	s_or_b32 exec_lo, exec_lo, s0
	s_delay_alu instid0(SALU_CYCLE_1)
	s_mov_b32 s0, exec_lo
	v_cmpx_gt_u32_e32 32, v0
	s_cbranch_execz .LBB37_12
; %bb.11:
	v_dual_mov_b32 v1, 0 :: v_dual_mov_b32 v2, 0xff
	s_delay_alu instid0(VALU_DEP_1) | instskip(SKIP_1) | instid1(VALU_DEP_2)
	v_lshlrev_b64_e32 v[3:4], 4, v[0:1]
	v_mov_b32_e32 v0, v1
	v_add_co_u32 v5, vcc_lo, s4, v3
	s_wait_alu 0xfffd
	s_delay_alu instid0(VALU_DEP_3)
	v_add_co_ci_u32_e64 v6, null, s5, v4, vcc_lo
	v_mov_b32_e32 v3, v1
	global_store_b128 v[5:6], v[0:3], off
.LBB37_12:
	s_endpgm
	.section	.rodata,"a",@progbits
	.p2align	6, 0x0
	.amdhsa_kernel _ZN7rocprim17ROCPRIM_400000_NS6detail31init_lookback_scan_state_kernelINS1_19lookback_scan_stateImLb0ELb1EEENS1_16block_id_wrapperIjLb0EEEEEvT_jT0_jPNS7_10value_typeE
		.amdhsa_group_segment_fixed_size 0
		.amdhsa_private_segment_fixed_size 0
		.amdhsa_kernarg_size 288
		.amdhsa_user_sgpr_count 2
		.amdhsa_user_sgpr_dispatch_ptr 0
		.amdhsa_user_sgpr_queue_ptr 0
		.amdhsa_user_sgpr_kernarg_segment_ptr 1
		.amdhsa_user_sgpr_dispatch_id 0
		.amdhsa_user_sgpr_private_segment_size 0
		.amdhsa_wavefront_size32 1
		.amdhsa_uses_dynamic_stack 0
		.amdhsa_enable_private_segment 0
		.amdhsa_system_sgpr_workgroup_id_x 1
		.amdhsa_system_sgpr_workgroup_id_y 0
		.amdhsa_system_sgpr_workgroup_id_z 0
		.amdhsa_system_sgpr_workgroup_info 0
		.amdhsa_system_vgpr_workitem_id 0
		.amdhsa_next_free_vgpr 8
		.amdhsa_next_free_sgpr 9
		.amdhsa_reserve_vcc 1
		.amdhsa_float_round_mode_32 0
		.amdhsa_float_round_mode_16_64 0
		.amdhsa_float_denorm_mode_32 3
		.amdhsa_float_denorm_mode_16_64 3
		.amdhsa_fp16_overflow 0
		.amdhsa_workgroup_processor_mode 1
		.amdhsa_memory_ordered 1
		.amdhsa_forward_progress 1
		.amdhsa_inst_pref_size 4
		.amdhsa_round_robin_scheduling 0
		.amdhsa_exception_fp_ieee_invalid_op 0
		.amdhsa_exception_fp_denorm_src 0
		.amdhsa_exception_fp_ieee_div_zero 0
		.amdhsa_exception_fp_ieee_overflow 0
		.amdhsa_exception_fp_ieee_underflow 0
		.amdhsa_exception_fp_ieee_inexact 0
		.amdhsa_exception_int_div_zero 0
	.end_amdhsa_kernel
	.section	.text._ZN7rocprim17ROCPRIM_400000_NS6detail31init_lookback_scan_state_kernelINS1_19lookback_scan_stateImLb0ELb1EEENS1_16block_id_wrapperIjLb0EEEEEvT_jT0_jPNS7_10value_typeE,"axG",@progbits,_ZN7rocprim17ROCPRIM_400000_NS6detail31init_lookback_scan_state_kernelINS1_19lookback_scan_stateImLb0ELb1EEENS1_16block_id_wrapperIjLb0EEEEEvT_jT0_jPNS7_10value_typeE,comdat
.Lfunc_end37:
	.size	_ZN7rocprim17ROCPRIM_400000_NS6detail31init_lookback_scan_state_kernelINS1_19lookback_scan_stateImLb0ELb1EEENS1_16block_id_wrapperIjLb0EEEEEvT_jT0_jPNS7_10value_typeE, .Lfunc_end37-_ZN7rocprim17ROCPRIM_400000_NS6detail31init_lookback_scan_state_kernelINS1_19lookback_scan_stateImLb0ELb1EEENS1_16block_id_wrapperIjLb0EEEEEvT_jT0_jPNS7_10value_typeE
                                        ; -- End function
	.set _ZN7rocprim17ROCPRIM_400000_NS6detail31init_lookback_scan_state_kernelINS1_19lookback_scan_stateImLb0ELb1EEENS1_16block_id_wrapperIjLb0EEEEEvT_jT0_jPNS7_10value_typeE.num_vgpr, 8
	.set _ZN7rocprim17ROCPRIM_400000_NS6detail31init_lookback_scan_state_kernelINS1_19lookback_scan_stateImLb0ELb1EEENS1_16block_id_wrapperIjLb0EEEEEvT_jT0_jPNS7_10value_typeE.num_agpr, 0
	.set _ZN7rocprim17ROCPRIM_400000_NS6detail31init_lookback_scan_state_kernelINS1_19lookback_scan_stateImLb0ELb1EEENS1_16block_id_wrapperIjLb0EEEEEvT_jT0_jPNS7_10value_typeE.numbered_sgpr, 9
	.set _ZN7rocprim17ROCPRIM_400000_NS6detail31init_lookback_scan_state_kernelINS1_19lookback_scan_stateImLb0ELb1EEENS1_16block_id_wrapperIjLb0EEEEEvT_jT0_jPNS7_10value_typeE.num_named_barrier, 0
	.set _ZN7rocprim17ROCPRIM_400000_NS6detail31init_lookback_scan_state_kernelINS1_19lookback_scan_stateImLb0ELb1EEENS1_16block_id_wrapperIjLb0EEEEEvT_jT0_jPNS7_10value_typeE.private_seg_size, 0
	.set _ZN7rocprim17ROCPRIM_400000_NS6detail31init_lookback_scan_state_kernelINS1_19lookback_scan_stateImLb0ELb1EEENS1_16block_id_wrapperIjLb0EEEEEvT_jT0_jPNS7_10value_typeE.uses_vcc, 1
	.set _ZN7rocprim17ROCPRIM_400000_NS6detail31init_lookback_scan_state_kernelINS1_19lookback_scan_stateImLb0ELb1EEENS1_16block_id_wrapperIjLb0EEEEEvT_jT0_jPNS7_10value_typeE.uses_flat_scratch, 0
	.set _ZN7rocprim17ROCPRIM_400000_NS6detail31init_lookback_scan_state_kernelINS1_19lookback_scan_stateImLb0ELb1EEENS1_16block_id_wrapperIjLb0EEEEEvT_jT0_jPNS7_10value_typeE.has_dyn_sized_stack, 0
	.set _ZN7rocprim17ROCPRIM_400000_NS6detail31init_lookback_scan_state_kernelINS1_19lookback_scan_stateImLb0ELb1EEENS1_16block_id_wrapperIjLb0EEEEEvT_jT0_jPNS7_10value_typeE.has_recursion, 0
	.set _ZN7rocprim17ROCPRIM_400000_NS6detail31init_lookback_scan_state_kernelINS1_19lookback_scan_stateImLb0ELb1EEENS1_16block_id_wrapperIjLb0EEEEEvT_jT0_jPNS7_10value_typeE.has_indirect_call, 0
	.section	.AMDGPU.csdata,"",@progbits
; Kernel info:
; codeLenInByte = 412
; TotalNumSgprs: 11
; NumVgprs: 8
; ScratchSize: 0
; MemoryBound: 0
; FloatMode: 240
; IeeeMode: 1
; LDSByteSize: 0 bytes/workgroup (compile time only)
; SGPRBlocks: 0
; VGPRBlocks: 0
; NumSGPRsForWavesPerEU: 11
; NumVGPRsForWavesPerEU: 8
; Occupancy: 16
; WaveLimiterHint : 0
; COMPUTE_PGM_RSRC2:SCRATCH_EN: 0
; COMPUTE_PGM_RSRC2:USER_SGPR: 2
; COMPUTE_PGM_RSRC2:TRAP_HANDLER: 0
; COMPUTE_PGM_RSRC2:TGID_X_EN: 1
; COMPUTE_PGM_RSRC2:TGID_Y_EN: 0
; COMPUTE_PGM_RSRC2:TGID_Z_EN: 0
; COMPUTE_PGM_RSRC2:TIDIG_COMP_CNT: 0
	.section	.text._ZN7rocprim17ROCPRIM_400000_NS6detail17trampoline_kernelINS0_14default_configENS1_25partition_config_selectorILNS1_17partition_subalgoE5ElNS0_10empty_typeEbEEZZNS1_14partition_implILS5_5ELb0ES3_mN6hipcub16HIPCUB_304000_NS21CountingInputIteratorIllEEPS6_NSA_22TransformInputIteratorIbN2at6native12_GLOBAL__N_19NonZeroOpIhEEPKhlEENS0_5tupleIJPlS6_EEENSN_IJSD_SD_EEES6_PiJS6_EEE10hipError_tPvRmT3_T4_T5_T6_T7_T9_mT8_P12ihipStream_tbDpT10_ENKUlT_T0_E_clISt17integral_constantIbLb0EES1B_EEDaS16_S17_EUlS16_E_NS1_11comp_targetILNS1_3genE0ELNS1_11target_archE4294967295ELNS1_3gpuE0ELNS1_3repE0EEENS1_30default_config_static_selectorELNS0_4arch9wavefront6targetE0EEEvT1_,"axG",@progbits,_ZN7rocprim17ROCPRIM_400000_NS6detail17trampoline_kernelINS0_14default_configENS1_25partition_config_selectorILNS1_17partition_subalgoE5ElNS0_10empty_typeEbEEZZNS1_14partition_implILS5_5ELb0ES3_mN6hipcub16HIPCUB_304000_NS21CountingInputIteratorIllEEPS6_NSA_22TransformInputIteratorIbN2at6native12_GLOBAL__N_19NonZeroOpIhEEPKhlEENS0_5tupleIJPlS6_EEENSN_IJSD_SD_EEES6_PiJS6_EEE10hipError_tPvRmT3_T4_T5_T6_T7_T9_mT8_P12ihipStream_tbDpT10_ENKUlT_T0_E_clISt17integral_constantIbLb0EES1B_EEDaS16_S17_EUlS16_E_NS1_11comp_targetILNS1_3genE0ELNS1_11target_archE4294967295ELNS1_3gpuE0ELNS1_3repE0EEENS1_30default_config_static_selectorELNS0_4arch9wavefront6targetE0EEEvT1_,comdat
	.globl	_ZN7rocprim17ROCPRIM_400000_NS6detail17trampoline_kernelINS0_14default_configENS1_25partition_config_selectorILNS1_17partition_subalgoE5ElNS0_10empty_typeEbEEZZNS1_14partition_implILS5_5ELb0ES3_mN6hipcub16HIPCUB_304000_NS21CountingInputIteratorIllEEPS6_NSA_22TransformInputIteratorIbN2at6native12_GLOBAL__N_19NonZeroOpIhEEPKhlEENS0_5tupleIJPlS6_EEENSN_IJSD_SD_EEES6_PiJS6_EEE10hipError_tPvRmT3_T4_T5_T6_T7_T9_mT8_P12ihipStream_tbDpT10_ENKUlT_T0_E_clISt17integral_constantIbLb0EES1B_EEDaS16_S17_EUlS16_E_NS1_11comp_targetILNS1_3genE0ELNS1_11target_archE4294967295ELNS1_3gpuE0ELNS1_3repE0EEENS1_30default_config_static_selectorELNS0_4arch9wavefront6targetE0EEEvT1_ ; -- Begin function _ZN7rocprim17ROCPRIM_400000_NS6detail17trampoline_kernelINS0_14default_configENS1_25partition_config_selectorILNS1_17partition_subalgoE5ElNS0_10empty_typeEbEEZZNS1_14partition_implILS5_5ELb0ES3_mN6hipcub16HIPCUB_304000_NS21CountingInputIteratorIllEEPS6_NSA_22TransformInputIteratorIbN2at6native12_GLOBAL__N_19NonZeroOpIhEEPKhlEENS0_5tupleIJPlS6_EEENSN_IJSD_SD_EEES6_PiJS6_EEE10hipError_tPvRmT3_T4_T5_T6_T7_T9_mT8_P12ihipStream_tbDpT10_ENKUlT_T0_E_clISt17integral_constantIbLb0EES1B_EEDaS16_S17_EUlS16_E_NS1_11comp_targetILNS1_3genE0ELNS1_11target_archE4294967295ELNS1_3gpuE0ELNS1_3repE0EEENS1_30default_config_static_selectorELNS0_4arch9wavefront6targetE0EEEvT1_
	.p2align	8
	.type	_ZN7rocprim17ROCPRIM_400000_NS6detail17trampoline_kernelINS0_14default_configENS1_25partition_config_selectorILNS1_17partition_subalgoE5ElNS0_10empty_typeEbEEZZNS1_14partition_implILS5_5ELb0ES3_mN6hipcub16HIPCUB_304000_NS21CountingInputIteratorIllEEPS6_NSA_22TransformInputIteratorIbN2at6native12_GLOBAL__N_19NonZeroOpIhEEPKhlEENS0_5tupleIJPlS6_EEENSN_IJSD_SD_EEES6_PiJS6_EEE10hipError_tPvRmT3_T4_T5_T6_T7_T9_mT8_P12ihipStream_tbDpT10_ENKUlT_T0_E_clISt17integral_constantIbLb0EES1B_EEDaS16_S17_EUlS16_E_NS1_11comp_targetILNS1_3genE0ELNS1_11target_archE4294967295ELNS1_3gpuE0ELNS1_3repE0EEENS1_30default_config_static_selectorELNS0_4arch9wavefront6targetE0EEEvT1_,@function
_ZN7rocprim17ROCPRIM_400000_NS6detail17trampoline_kernelINS0_14default_configENS1_25partition_config_selectorILNS1_17partition_subalgoE5ElNS0_10empty_typeEbEEZZNS1_14partition_implILS5_5ELb0ES3_mN6hipcub16HIPCUB_304000_NS21CountingInputIteratorIllEEPS6_NSA_22TransformInputIteratorIbN2at6native12_GLOBAL__N_19NonZeroOpIhEEPKhlEENS0_5tupleIJPlS6_EEENSN_IJSD_SD_EEES6_PiJS6_EEE10hipError_tPvRmT3_T4_T5_T6_T7_T9_mT8_P12ihipStream_tbDpT10_ENKUlT_T0_E_clISt17integral_constantIbLb0EES1B_EEDaS16_S17_EUlS16_E_NS1_11comp_targetILNS1_3genE0ELNS1_11target_archE4294967295ELNS1_3gpuE0ELNS1_3repE0EEENS1_30default_config_static_selectorELNS0_4arch9wavefront6targetE0EEEvT1_: ; @_ZN7rocprim17ROCPRIM_400000_NS6detail17trampoline_kernelINS0_14default_configENS1_25partition_config_selectorILNS1_17partition_subalgoE5ElNS0_10empty_typeEbEEZZNS1_14partition_implILS5_5ELb0ES3_mN6hipcub16HIPCUB_304000_NS21CountingInputIteratorIllEEPS6_NSA_22TransformInputIteratorIbN2at6native12_GLOBAL__N_19NonZeroOpIhEEPKhlEENS0_5tupleIJPlS6_EEENSN_IJSD_SD_EEES6_PiJS6_EEE10hipError_tPvRmT3_T4_T5_T6_T7_T9_mT8_P12ihipStream_tbDpT10_ENKUlT_T0_E_clISt17integral_constantIbLb0EES1B_EEDaS16_S17_EUlS16_E_NS1_11comp_targetILNS1_3genE0ELNS1_11target_archE4294967295ELNS1_3gpuE0ELNS1_3repE0EEENS1_30default_config_static_selectorELNS0_4arch9wavefront6targetE0EEEvT1_
; %bb.0:
	.section	.rodata,"a",@progbits
	.p2align	6, 0x0
	.amdhsa_kernel _ZN7rocprim17ROCPRIM_400000_NS6detail17trampoline_kernelINS0_14default_configENS1_25partition_config_selectorILNS1_17partition_subalgoE5ElNS0_10empty_typeEbEEZZNS1_14partition_implILS5_5ELb0ES3_mN6hipcub16HIPCUB_304000_NS21CountingInputIteratorIllEEPS6_NSA_22TransformInputIteratorIbN2at6native12_GLOBAL__N_19NonZeroOpIhEEPKhlEENS0_5tupleIJPlS6_EEENSN_IJSD_SD_EEES6_PiJS6_EEE10hipError_tPvRmT3_T4_T5_T6_T7_T9_mT8_P12ihipStream_tbDpT10_ENKUlT_T0_E_clISt17integral_constantIbLb0EES1B_EEDaS16_S17_EUlS16_E_NS1_11comp_targetILNS1_3genE0ELNS1_11target_archE4294967295ELNS1_3gpuE0ELNS1_3repE0EEENS1_30default_config_static_selectorELNS0_4arch9wavefront6targetE0EEEvT1_
		.amdhsa_group_segment_fixed_size 0
		.amdhsa_private_segment_fixed_size 0
		.amdhsa_kernarg_size 120
		.amdhsa_user_sgpr_count 2
		.amdhsa_user_sgpr_dispatch_ptr 0
		.amdhsa_user_sgpr_queue_ptr 0
		.amdhsa_user_sgpr_kernarg_segment_ptr 1
		.amdhsa_user_sgpr_dispatch_id 0
		.amdhsa_user_sgpr_private_segment_size 0
		.amdhsa_wavefront_size32 1
		.amdhsa_uses_dynamic_stack 0
		.amdhsa_enable_private_segment 0
		.amdhsa_system_sgpr_workgroup_id_x 1
		.amdhsa_system_sgpr_workgroup_id_y 0
		.amdhsa_system_sgpr_workgroup_id_z 0
		.amdhsa_system_sgpr_workgroup_info 0
		.amdhsa_system_vgpr_workitem_id 0
		.amdhsa_next_free_vgpr 1
		.amdhsa_next_free_sgpr 1
		.amdhsa_reserve_vcc 0
		.amdhsa_float_round_mode_32 0
		.amdhsa_float_round_mode_16_64 0
		.amdhsa_float_denorm_mode_32 3
		.amdhsa_float_denorm_mode_16_64 3
		.amdhsa_fp16_overflow 0
		.amdhsa_workgroup_processor_mode 1
		.amdhsa_memory_ordered 1
		.amdhsa_forward_progress 1
		.amdhsa_inst_pref_size 0
		.amdhsa_round_robin_scheduling 0
		.amdhsa_exception_fp_ieee_invalid_op 0
		.amdhsa_exception_fp_denorm_src 0
		.amdhsa_exception_fp_ieee_div_zero 0
		.amdhsa_exception_fp_ieee_overflow 0
		.amdhsa_exception_fp_ieee_underflow 0
		.amdhsa_exception_fp_ieee_inexact 0
		.amdhsa_exception_int_div_zero 0
	.end_amdhsa_kernel
	.section	.text._ZN7rocprim17ROCPRIM_400000_NS6detail17trampoline_kernelINS0_14default_configENS1_25partition_config_selectorILNS1_17partition_subalgoE5ElNS0_10empty_typeEbEEZZNS1_14partition_implILS5_5ELb0ES3_mN6hipcub16HIPCUB_304000_NS21CountingInputIteratorIllEEPS6_NSA_22TransformInputIteratorIbN2at6native12_GLOBAL__N_19NonZeroOpIhEEPKhlEENS0_5tupleIJPlS6_EEENSN_IJSD_SD_EEES6_PiJS6_EEE10hipError_tPvRmT3_T4_T5_T6_T7_T9_mT8_P12ihipStream_tbDpT10_ENKUlT_T0_E_clISt17integral_constantIbLb0EES1B_EEDaS16_S17_EUlS16_E_NS1_11comp_targetILNS1_3genE0ELNS1_11target_archE4294967295ELNS1_3gpuE0ELNS1_3repE0EEENS1_30default_config_static_selectorELNS0_4arch9wavefront6targetE0EEEvT1_,"axG",@progbits,_ZN7rocprim17ROCPRIM_400000_NS6detail17trampoline_kernelINS0_14default_configENS1_25partition_config_selectorILNS1_17partition_subalgoE5ElNS0_10empty_typeEbEEZZNS1_14partition_implILS5_5ELb0ES3_mN6hipcub16HIPCUB_304000_NS21CountingInputIteratorIllEEPS6_NSA_22TransformInputIteratorIbN2at6native12_GLOBAL__N_19NonZeroOpIhEEPKhlEENS0_5tupleIJPlS6_EEENSN_IJSD_SD_EEES6_PiJS6_EEE10hipError_tPvRmT3_T4_T5_T6_T7_T9_mT8_P12ihipStream_tbDpT10_ENKUlT_T0_E_clISt17integral_constantIbLb0EES1B_EEDaS16_S17_EUlS16_E_NS1_11comp_targetILNS1_3genE0ELNS1_11target_archE4294967295ELNS1_3gpuE0ELNS1_3repE0EEENS1_30default_config_static_selectorELNS0_4arch9wavefront6targetE0EEEvT1_,comdat
.Lfunc_end38:
	.size	_ZN7rocprim17ROCPRIM_400000_NS6detail17trampoline_kernelINS0_14default_configENS1_25partition_config_selectorILNS1_17partition_subalgoE5ElNS0_10empty_typeEbEEZZNS1_14partition_implILS5_5ELb0ES3_mN6hipcub16HIPCUB_304000_NS21CountingInputIteratorIllEEPS6_NSA_22TransformInputIteratorIbN2at6native12_GLOBAL__N_19NonZeroOpIhEEPKhlEENS0_5tupleIJPlS6_EEENSN_IJSD_SD_EEES6_PiJS6_EEE10hipError_tPvRmT3_T4_T5_T6_T7_T9_mT8_P12ihipStream_tbDpT10_ENKUlT_T0_E_clISt17integral_constantIbLb0EES1B_EEDaS16_S17_EUlS16_E_NS1_11comp_targetILNS1_3genE0ELNS1_11target_archE4294967295ELNS1_3gpuE0ELNS1_3repE0EEENS1_30default_config_static_selectorELNS0_4arch9wavefront6targetE0EEEvT1_, .Lfunc_end38-_ZN7rocprim17ROCPRIM_400000_NS6detail17trampoline_kernelINS0_14default_configENS1_25partition_config_selectorILNS1_17partition_subalgoE5ElNS0_10empty_typeEbEEZZNS1_14partition_implILS5_5ELb0ES3_mN6hipcub16HIPCUB_304000_NS21CountingInputIteratorIllEEPS6_NSA_22TransformInputIteratorIbN2at6native12_GLOBAL__N_19NonZeroOpIhEEPKhlEENS0_5tupleIJPlS6_EEENSN_IJSD_SD_EEES6_PiJS6_EEE10hipError_tPvRmT3_T4_T5_T6_T7_T9_mT8_P12ihipStream_tbDpT10_ENKUlT_T0_E_clISt17integral_constantIbLb0EES1B_EEDaS16_S17_EUlS16_E_NS1_11comp_targetILNS1_3genE0ELNS1_11target_archE4294967295ELNS1_3gpuE0ELNS1_3repE0EEENS1_30default_config_static_selectorELNS0_4arch9wavefront6targetE0EEEvT1_
                                        ; -- End function
	.set _ZN7rocprim17ROCPRIM_400000_NS6detail17trampoline_kernelINS0_14default_configENS1_25partition_config_selectorILNS1_17partition_subalgoE5ElNS0_10empty_typeEbEEZZNS1_14partition_implILS5_5ELb0ES3_mN6hipcub16HIPCUB_304000_NS21CountingInputIteratorIllEEPS6_NSA_22TransformInputIteratorIbN2at6native12_GLOBAL__N_19NonZeroOpIhEEPKhlEENS0_5tupleIJPlS6_EEENSN_IJSD_SD_EEES6_PiJS6_EEE10hipError_tPvRmT3_T4_T5_T6_T7_T9_mT8_P12ihipStream_tbDpT10_ENKUlT_T0_E_clISt17integral_constantIbLb0EES1B_EEDaS16_S17_EUlS16_E_NS1_11comp_targetILNS1_3genE0ELNS1_11target_archE4294967295ELNS1_3gpuE0ELNS1_3repE0EEENS1_30default_config_static_selectorELNS0_4arch9wavefront6targetE0EEEvT1_.num_vgpr, 0
	.set _ZN7rocprim17ROCPRIM_400000_NS6detail17trampoline_kernelINS0_14default_configENS1_25partition_config_selectorILNS1_17partition_subalgoE5ElNS0_10empty_typeEbEEZZNS1_14partition_implILS5_5ELb0ES3_mN6hipcub16HIPCUB_304000_NS21CountingInputIteratorIllEEPS6_NSA_22TransformInputIteratorIbN2at6native12_GLOBAL__N_19NonZeroOpIhEEPKhlEENS0_5tupleIJPlS6_EEENSN_IJSD_SD_EEES6_PiJS6_EEE10hipError_tPvRmT3_T4_T5_T6_T7_T9_mT8_P12ihipStream_tbDpT10_ENKUlT_T0_E_clISt17integral_constantIbLb0EES1B_EEDaS16_S17_EUlS16_E_NS1_11comp_targetILNS1_3genE0ELNS1_11target_archE4294967295ELNS1_3gpuE0ELNS1_3repE0EEENS1_30default_config_static_selectorELNS0_4arch9wavefront6targetE0EEEvT1_.num_agpr, 0
	.set _ZN7rocprim17ROCPRIM_400000_NS6detail17trampoline_kernelINS0_14default_configENS1_25partition_config_selectorILNS1_17partition_subalgoE5ElNS0_10empty_typeEbEEZZNS1_14partition_implILS5_5ELb0ES3_mN6hipcub16HIPCUB_304000_NS21CountingInputIteratorIllEEPS6_NSA_22TransformInputIteratorIbN2at6native12_GLOBAL__N_19NonZeroOpIhEEPKhlEENS0_5tupleIJPlS6_EEENSN_IJSD_SD_EEES6_PiJS6_EEE10hipError_tPvRmT3_T4_T5_T6_T7_T9_mT8_P12ihipStream_tbDpT10_ENKUlT_T0_E_clISt17integral_constantIbLb0EES1B_EEDaS16_S17_EUlS16_E_NS1_11comp_targetILNS1_3genE0ELNS1_11target_archE4294967295ELNS1_3gpuE0ELNS1_3repE0EEENS1_30default_config_static_selectorELNS0_4arch9wavefront6targetE0EEEvT1_.numbered_sgpr, 0
	.set _ZN7rocprim17ROCPRIM_400000_NS6detail17trampoline_kernelINS0_14default_configENS1_25partition_config_selectorILNS1_17partition_subalgoE5ElNS0_10empty_typeEbEEZZNS1_14partition_implILS5_5ELb0ES3_mN6hipcub16HIPCUB_304000_NS21CountingInputIteratorIllEEPS6_NSA_22TransformInputIteratorIbN2at6native12_GLOBAL__N_19NonZeroOpIhEEPKhlEENS0_5tupleIJPlS6_EEENSN_IJSD_SD_EEES6_PiJS6_EEE10hipError_tPvRmT3_T4_T5_T6_T7_T9_mT8_P12ihipStream_tbDpT10_ENKUlT_T0_E_clISt17integral_constantIbLb0EES1B_EEDaS16_S17_EUlS16_E_NS1_11comp_targetILNS1_3genE0ELNS1_11target_archE4294967295ELNS1_3gpuE0ELNS1_3repE0EEENS1_30default_config_static_selectorELNS0_4arch9wavefront6targetE0EEEvT1_.num_named_barrier, 0
	.set _ZN7rocprim17ROCPRIM_400000_NS6detail17trampoline_kernelINS0_14default_configENS1_25partition_config_selectorILNS1_17partition_subalgoE5ElNS0_10empty_typeEbEEZZNS1_14partition_implILS5_5ELb0ES3_mN6hipcub16HIPCUB_304000_NS21CountingInputIteratorIllEEPS6_NSA_22TransformInputIteratorIbN2at6native12_GLOBAL__N_19NonZeroOpIhEEPKhlEENS0_5tupleIJPlS6_EEENSN_IJSD_SD_EEES6_PiJS6_EEE10hipError_tPvRmT3_T4_T5_T6_T7_T9_mT8_P12ihipStream_tbDpT10_ENKUlT_T0_E_clISt17integral_constantIbLb0EES1B_EEDaS16_S17_EUlS16_E_NS1_11comp_targetILNS1_3genE0ELNS1_11target_archE4294967295ELNS1_3gpuE0ELNS1_3repE0EEENS1_30default_config_static_selectorELNS0_4arch9wavefront6targetE0EEEvT1_.private_seg_size, 0
	.set _ZN7rocprim17ROCPRIM_400000_NS6detail17trampoline_kernelINS0_14default_configENS1_25partition_config_selectorILNS1_17partition_subalgoE5ElNS0_10empty_typeEbEEZZNS1_14partition_implILS5_5ELb0ES3_mN6hipcub16HIPCUB_304000_NS21CountingInputIteratorIllEEPS6_NSA_22TransformInputIteratorIbN2at6native12_GLOBAL__N_19NonZeroOpIhEEPKhlEENS0_5tupleIJPlS6_EEENSN_IJSD_SD_EEES6_PiJS6_EEE10hipError_tPvRmT3_T4_T5_T6_T7_T9_mT8_P12ihipStream_tbDpT10_ENKUlT_T0_E_clISt17integral_constantIbLb0EES1B_EEDaS16_S17_EUlS16_E_NS1_11comp_targetILNS1_3genE0ELNS1_11target_archE4294967295ELNS1_3gpuE0ELNS1_3repE0EEENS1_30default_config_static_selectorELNS0_4arch9wavefront6targetE0EEEvT1_.uses_vcc, 0
	.set _ZN7rocprim17ROCPRIM_400000_NS6detail17trampoline_kernelINS0_14default_configENS1_25partition_config_selectorILNS1_17partition_subalgoE5ElNS0_10empty_typeEbEEZZNS1_14partition_implILS5_5ELb0ES3_mN6hipcub16HIPCUB_304000_NS21CountingInputIteratorIllEEPS6_NSA_22TransformInputIteratorIbN2at6native12_GLOBAL__N_19NonZeroOpIhEEPKhlEENS0_5tupleIJPlS6_EEENSN_IJSD_SD_EEES6_PiJS6_EEE10hipError_tPvRmT3_T4_T5_T6_T7_T9_mT8_P12ihipStream_tbDpT10_ENKUlT_T0_E_clISt17integral_constantIbLb0EES1B_EEDaS16_S17_EUlS16_E_NS1_11comp_targetILNS1_3genE0ELNS1_11target_archE4294967295ELNS1_3gpuE0ELNS1_3repE0EEENS1_30default_config_static_selectorELNS0_4arch9wavefront6targetE0EEEvT1_.uses_flat_scratch, 0
	.set _ZN7rocprim17ROCPRIM_400000_NS6detail17trampoline_kernelINS0_14default_configENS1_25partition_config_selectorILNS1_17partition_subalgoE5ElNS0_10empty_typeEbEEZZNS1_14partition_implILS5_5ELb0ES3_mN6hipcub16HIPCUB_304000_NS21CountingInputIteratorIllEEPS6_NSA_22TransformInputIteratorIbN2at6native12_GLOBAL__N_19NonZeroOpIhEEPKhlEENS0_5tupleIJPlS6_EEENSN_IJSD_SD_EEES6_PiJS6_EEE10hipError_tPvRmT3_T4_T5_T6_T7_T9_mT8_P12ihipStream_tbDpT10_ENKUlT_T0_E_clISt17integral_constantIbLb0EES1B_EEDaS16_S17_EUlS16_E_NS1_11comp_targetILNS1_3genE0ELNS1_11target_archE4294967295ELNS1_3gpuE0ELNS1_3repE0EEENS1_30default_config_static_selectorELNS0_4arch9wavefront6targetE0EEEvT1_.has_dyn_sized_stack, 0
	.set _ZN7rocprim17ROCPRIM_400000_NS6detail17trampoline_kernelINS0_14default_configENS1_25partition_config_selectorILNS1_17partition_subalgoE5ElNS0_10empty_typeEbEEZZNS1_14partition_implILS5_5ELb0ES3_mN6hipcub16HIPCUB_304000_NS21CountingInputIteratorIllEEPS6_NSA_22TransformInputIteratorIbN2at6native12_GLOBAL__N_19NonZeroOpIhEEPKhlEENS0_5tupleIJPlS6_EEENSN_IJSD_SD_EEES6_PiJS6_EEE10hipError_tPvRmT3_T4_T5_T6_T7_T9_mT8_P12ihipStream_tbDpT10_ENKUlT_T0_E_clISt17integral_constantIbLb0EES1B_EEDaS16_S17_EUlS16_E_NS1_11comp_targetILNS1_3genE0ELNS1_11target_archE4294967295ELNS1_3gpuE0ELNS1_3repE0EEENS1_30default_config_static_selectorELNS0_4arch9wavefront6targetE0EEEvT1_.has_recursion, 0
	.set _ZN7rocprim17ROCPRIM_400000_NS6detail17trampoline_kernelINS0_14default_configENS1_25partition_config_selectorILNS1_17partition_subalgoE5ElNS0_10empty_typeEbEEZZNS1_14partition_implILS5_5ELb0ES3_mN6hipcub16HIPCUB_304000_NS21CountingInputIteratorIllEEPS6_NSA_22TransformInputIteratorIbN2at6native12_GLOBAL__N_19NonZeroOpIhEEPKhlEENS0_5tupleIJPlS6_EEENSN_IJSD_SD_EEES6_PiJS6_EEE10hipError_tPvRmT3_T4_T5_T6_T7_T9_mT8_P12ihipStream_tbDpT10_ENKUlT_T0_E_clISt17integral_constantIbLb0EES1B_EEDaS16_S17_EUlS16_E_NS1_11comp_targetILNS1_3genE0ELNS1_11target_archE4294967295ELNS1_3gpuE0ELNS1_3repE0EEENS1_30default_config_static_selectorELNS0_4arch9wavefront6targetE0EEEvT1_.has_indirect_call, 0
	.section	.AMDGPU.csdata,"",@progbits
; Kernel info:
; codeLenInByte = 0
; TotalNumSgprs: 0
; NumVgprs: 0
; ScratchSize: 0
; MemoryBound: 0
; FloatMode: 240
; IeeeMode: 1
; LDSByteSize: 0 bytes/workgroup (compile time only)
; SGPRBlocks: 0
; VGPRBlocks: 0
; NumSGPRsForWavesPerEU: 1
; NumVGPRsForWavesPerEU: 1
; Occupancy: 16
; WaveLimiterHint : 0
; COMPUTE_PGM_RSRC2:SCRATCH_EN: 0
; COMPUTE_PGM_RSRC2:USER_SGPR: 2
; COMPUTE_PGM_RSRC2:TRAP_HANDLER: 0
; COMPUTE_PGM_RSRC2:TGID_X_EN: 1
; COMPUTE_PGM_RSRC2:TGID_Y_EN: 0
; COMPUTE_PGM_RSRC2:TGID_Z_EN: 0
; COMPUTE_PGM_RSRC2:TIDIG_COMP_CNT: 0
	.section	.text._ZN7rocprim17ROCPRIM_400000_NS6detail17trampoline_kernelINS0_14default_configENS1_25partition_config_selectorILNS1_17partition_subalgoE5ElNS0_10empty_typeEbEEZZNS1_14partition_implILS5_5ELb0ES3_mN6hipcub16HIPCUB_304000_NS21CountingInputIteratorIllEEPS6_NSA_22TransformInputIteratorIbN2at6native12_GLOBAL__N_19NonZeroOpIhEEPKhlEENS0_5tupleIJPlS6_EEENSN_IJSD_SD_EEES6_PiJS6_EEE10hipError_tPvRmT3_T4_T5_T6_T7_T9_mT8_P12ihipStream_tbDpT10_ENKUlT_T0_E_clISt17integral_constantIbLb0EES1B_EEDaS16_S17_EUlS16_E_NS1_11comp_targetILNS1_3genE5ELNS1_11target_archE942ELNS1_3gpuE9ELNS1_3repE0EEENS1_30default_config_static_selectorELNS0_4arch9wavefront6targetE0EEEvT1_,"axG",@progbits,_ZN7rocprim17ROCPRIM_400000_NS6detail17trampoline_kernelINS0_14default_configENS1_25partition_config_selectorILNS1_17partition_subalgoE5ElNS0_10empty_typeEbEEZZNS1_14partition_implILS5_5ELb0ES3_mN6hipcub16HIPCUB_304000_NS21CountingInputIteratorIllEEPS6_NSA_22TransformInputIteratorIbN2at6native12_GLOBAL__N_19NonZeroOpIhEEPKhlEENS0_5tupleIJPlS6_EEENSN_IJSD_SD_EEES6_PiJS6_EEE10hipError_tPvRmT3_T4_T5_T6_T7_T9_mT8_P12ihipStream_tbDpT10_ENKUlT_T0_E_clISt17integral_constantIbLb0EES1B_EEDaS16_S17_EUlS16_E_NS1_11comp_targetILNS1_3genE5ELNS1_11target_archE942ELNS1_3gpuE9ELNS1_3repE0EEENS1_30default_config_static_selectorELNS0_4arch9wavefront6targetE0EEEvT1_,comdat
	.globl	_ZN7rocprim17ROCPRIM_400000_NS6detail17trampoline_kernelINS0_14default_configENS1_25partition_config_selectorILNS1_17partition_subalgoE5ElNS0_10empty_typeEbEEZZNS1_14partition_implILS5_5ELb0ES3_mN6hipcub16HIPCUB_304000_NS21CountingInputIteratorIllEEPS6_NSA_22TransformInputIteratorIbN2at6native12_GLOBAL__N_19NonZeroOpIhEEPKhlEENS0_5tupleIJPlS6_EEENSN_IJSD_SD_EEES6_PiJS6_EEE10hipError_tPvRmT3_T4_T5_T6_T7_T9_mT8_P12ihipStream_tbDpT10_ENKUlT_T0_E_clISt17integral_constantIbLb0EES1B_EEDaS16_S17_EUlS16_E_NS1_11comp_targetILNS1_3genE5ELNS1_11target_archE942ELNS1_3gpuE9ELNS1_3repE0EEENS1_30default_config_static_selectorELNS0_4arch9wavefront6targetE0EEEvT1_ ; -- Begin function _ZN7rocprim17ROCPRIM_400000_NS6detail17trampoline_kernelINS0_14default_configENS1_25partition_config_selectorILNS1_17partition_subalgoE5ElNS0_10empty_typeEbEEZZNS1_14partition_implILS5_5ELb0ES3_mN6hipcub16HIPCUB_304000_NS21CountingInputIteratorIllEEPS6_NSA_22TransformInputIteratorIbN2at6native12_GLOBAL__N_19NonZeroOpIhEEPKhlEENS0_5tupleIJPlS6_EEENSN_IJSD_SD_EEES6_PiJS6_EEE10hipError_tPvRmT3_T4_T5_T6_T7_T9_mT8_P12ihipStream_tbDpT10_ENKUlT_T0_E_clISt17integral_constantIbLb0EES1B_EEDaS16_S17_EUlS16_E_NS1_11comp_targetILNS1_3genE5ELNS1_11target_archE942ELNS1_3gpuE9ELNS1_3repE0EEENS1_30default_config_static_selectorELNS0_4arch9wavefront6targetE0EEEvT1_
	.p2align	8
	.type	_ZN7rocprim17ROCPRIM_400000_NS6detail17trampoline_kernelINS0_14default_configENS1_25partition_config_selectorILNS1_17partition_subalgoE5ElNS0_10empty_typeEbEEZZNS1_14partition_implILS5_5ELb0ES3_mN6hipcub16HIPCUB_304000_NS21CountingInputIteratorIllEEPS6_NSA_22TransformInputIteratorIbN2at6native12_GLOBAL__N_19NonZeroOpIhEEPKhlEENS0_5tupleIJPlS6_EEENSN_IJSD_SD_EEES6_PiJS6_EEE10hipError_tPvRmT3_T4_T5_T6_T7_T9_mT8_P12ihipStream_tbDpT10_ENKUlT_T0_E_clISt17integral_constantIbLb0EES1B_EEDaS16_S17_EUlS16_E_NS1_11comp_targetILNS1_3genE5ELNS1_11target_archE942ELNS1_3gpuE9ELNS1_3repE0EEENS1_30default_config_static_selectorELNS0_4arch9wavefront6targetE0EEEvT1_,@function
_ZN7rocprim17ROCPRIM_400000_NS6detail17trampoline_kernelINS0_14default_configENS1_25partition_config_selectorILNS1_17partition_subalgoE5ElNS0_10empty_typeEbEEZZNS1_14partition_implILS5_5ELb0ES3_mN6hipcub16HIPCUB_304000_NS21CountingInputIteratorIllEEPS6_NSA_22TransformInputIteratorIbN2at6native12_GLOBAL__N_19NonZeroOpIhEEPKhlEENS0_5tupleIJPlS6_EEENSN_IJSD_SD_EEES6_PiJS6_EEE10hipError_tPvRmT3_T4_T5_T6_T7_T9_mT8_P12ihipStream_tbDpT10_ENKUlT_T0_E_clISt17integral_constantIbLb0EES1B_EEDaS16_S17_EUlS16_E_NS1_11comp_targetILNS1_3genE5ELNS1_11target_archE942ELNS1_3gpuE9ELNS1_3repE0EEENS1_30default_config_static_selectorELNS0_4arch9wavefront6targetE0EEEvT1_: ; @_ZN7rocprim17ROCPRIM_400000_NS6detail17trampoline_kernelINS0_14default_configENS1_25partition_config_selectorILNS1_17partition_subalgoE5ElNS0_10empty_typeEbEEZZNS1_14partition_implILS5_5ELb0ES3_mN6hipcub16HIPCUB_304000_NS21CountingInputIteratorIllEEPS6_NSA_22TransformInputIteratorIbN2at6native12_GLOBAL__N_19NonZeroOpIhEEPKhlEENS0_5tupleIJPlS6_EEENSN_IJSD_SD_EEES6_PiJS6_EEE10hipError_tPvRmT3_T4_T5_T6_T7_T9_mT8_P12ihipStream_tbDpT10_ENKUlT_T0_E_clISt17integral_constantIbLb0EES1B_EEDaS16_S17_EUlS16_E_NS1_11comp_targetILNS1_3genE5ELNS1_11target_archE942ELNS1_3gpuE9ELNS1_3repE0EEENS1_30default_config_static_selectorELNS0_4arch9wavefront6targetE0EEEvT1_
; %bb.0:
	.section	.rodata,"a",@progbits
	.p2align	6, 0x0
	.amdhsa_kernel _ZN7rocprim17ROCPRIM_400000_NS6detail17trampoline_kernelINS0_14default_configENS1_25partition_config_selectorILNS1_17partition_subalgoE5ElNS0_10empty_typeEbEEZZNS1_14partition_implILS5_5ELb0ES3_mN6hipcub16HIPCUB_304000_NS21CountingInputIteratorIllEEPS6_NSA_22TransformInputIteratorIbN2at6native12_GLOBAL__N_19NonZeroOpIhEEPKhlEENS0_5tupleIJPlS6_EEENSN_IJSD_SD_EEES6_PiJS6_EEE10hipError_tPvRmT3_T4_T5_T6_T7_T9_mT8_P12ihipStream_tbDpT10_ENKUlT_T0_E_clISt17integral_constantIbLb0EES1B_EEDaS16_S17_EUlS16_E_NS1_11comp_targetILNS1_3genE5ELNS1_11target_archE942ELNS1_3gpuE9ELNS1_3repE0EEENS1_30default_config_static_selectorELNS0_4arch9wavefront6targetE0EEEvT1_
		.amdhsa_group_segment_fixed_size 0
		.amdhsa_private_segment_fixed_size 0
		.amdhsa_kernarg_size 120
		.amdhsa_user_sgpr_count 2
		.amdhsa_user_sgpr_dispatch_ptr 0
		.amdhsa_user_sgpr_queue_ptr 0
		.amdhsa_user_sgpr_kernarg_segment_ptr 1
		.amdhsa_user_sgpr_dispatch_id 0
		.amdhsa_user_sgpr_private_segment_size 0
		.amdhsa_wavefront_size32 1
		.amdhsa_uses_dynamic_stack 0
		.amdhsa_enable_private_segment 0
		.amdhsa_system_sgpr_workgroup_id_x 1
		.amdhsa_system_sgpr_workgroup_id_y 0
		.amdhsa_system_sgpr_workgroup_id_z 0
		.amdhsa_system_sgpr_workgroup_info 0
		.amdhsa_system_vgpr_workitem_id 0
		.amdhsa_next_free_vgpr 1
		.amdhsa_next_free_sgpr 1
		.amdhsa_reserve_vcc 0
		.amdhsa_float_round_mode_32 0
		.amdhsa_float_round_mode_16_64 0
		.amdhsa_float_denorm_mode_32 3
		.amdhsa_float_denorm_mode_16_64 3
		.amdhsa_fp16_overflow 0
		.amdhsa_workgroup_processor_mode 1
		.amdhsa_memory_ordered 1
		.amdhsa_forward_progress 1
		.amdhsa_inst_pref_size 0
		.amdhsa_round_robin_scheduling 0
		.amdhsa_exception_fp_ieee_invalid_op 0
		.amdhsa_exception_fp_denorm_src 0
		.amdhsa_exception_fp_ieee_div_zero 0
		.amdhsa_exception_fp_ieee_overflow 0
		.amdhsa_exception_fp_ieee_underflow 0
		.amdhsa_exception_fp_ieee_inexact 0
		.amdhsa_exception_int_div_zero 0
	.end_amdhsa_kernel
	.section	.text._ZN7rocprim17ROCPRIM_400000_NS6detail17trampoline_kernelINS0_14default_configENS1_25partition_config_selectorILNS1_17partition_subalgoE5ElNS0_10empty_typeEbEEZZNS1_14partition_implILS5_5ELb0ES3_mN6hipcub16HIPCUB_304000_NS21CountingInputIteratorIllEEPS6_NSA_22TransformInputIteratorIbN2at6native12_GLOBAL__N_19NonZeroOpIhEEPKhlEENS0_5tupleIJPlS6_EEENSN_IJSD_SD_EEES6_PiJS6_EEE10hipError_tPvRmT3_T4_T5_T6_T7_T9_mT8_P12ihipStream_tbDpT10_ENKUlT_T0_E_clISt17integral_constantIbLb0EES1B_EEDaS16_S17_EUlS16_E_NS1_11comp_targetILNS1_3genE5ELNS1_11target_archE942ELNS1_3gpuE9ELNS1_3repE0EEENS1_30default_config_static_selectorELNS0_4arch9wavefront6targetE0EEEvT1_,"axG",@progbits,_ZN7rocprim17ROCPRIM_400000_NS6detail17trampoline_kernelINS0_14default_configENS1_25partition_config_selectorILNS1_17partition_subalgoE5ElNS0_10empty_typeEbEEZZNS1_14partition_implILS5_5ELb0ES3_mN6hipcub16HIPCUB_304000_NS21CountingInputIteratorIllEEPS6_NSA_22TransformInputIteratorIbN2at6native12_GLOBAL__N_19NonZeroOpIhEEPKhlEENS0_5tupleIJPlS6_EEENSN_IJSD_SD_EEES6_PiJS6_EEE10hipError_tPvRmT3_T4_T5_T6_T7_T9_mT8_P12ihipStream_tbDpT10_ENKUlT_T0_E_clISt17integral_constantIbLb0EES1B_EEDaS16_S17_EUlS16_E_NS1_11comp_targetILNS1_3genE5ELNS1_11target_archE942ELNS1_3gpuE9ELNS1_3repE0EEENS1_30default_config_static_selectorELNS0_4arch9wavefront6targetE0EEEvT1_,comdat
.Lfunc_end39:
	.size	_ZN7rocprim17ROCPRIM_400000_NS6detail17trampoline_kernelINS0_14default_configENS1_25partition_config_selectorILNS1_17partition_subalgoE5ElNS0_10empty_typeEbEEZZNS1_14partition_implILS5_5ELb0ES3_mN6hipcub16HIPCUB_304000_NS21CountingInputIteratorIllEEPS6_NSA_22TransformInputIteratorIbN2at6native12_GLOBAL__N_19NonZeroOpIhEEPKhlEENS0_5tupleIJPlS6_EEENSN_IJSD_SD_EEES6_PiJS6_EEE10hipError_tPvRmT3_T4_T5_T6_T7_T9_mT8_P12ihipStream_tbDpT10_ENKUlT_T0_E_clISt17integral_constantIbLb0EES1B_EEDaS16_S17_EUlS16_E_NS1_11comp_targetILNS1_3genE5ELNS1_11target_archE942ELNS1_3gpuE9ELNS1_3repE0EEENS1_30default_config_static_selectorELNS0_4arch9wavefront6targetE0EEEvT1_, .Lfunc_end39-_ZN7rocprim17ROCPRIM_400000_NS6detail17trampoline_kernelINS0_14default_configENS1_25partition_config_selectorILNS1_17partition_subalgoE5ElNS0_10empty_typeEbEEZZNS1_14partition_implILS5_5ELb0ES3_mN6hipcub16HIPCUB_304000_NS21CountingInputIteratorIllEEPS6_NSA_22TransformInputIteratorIbN2at6native12_GLOBAL__N_19NonZeroOpIhEEPKhlEENS0_5tupleIJPlS6_EEENSN_IJSD_SD_EEES6_PiJS6_EEE10hipError_tPvRmT3_T4_T5_T6_T7_T9_mT8_P12ihipStream_tbDpT10_ENKUlT_T0_E_clISt17integral_constantIbLb0EES1B_EEDaS16_S17_EUlS16_E_NS1_11comp_targetILNS1_3genE5ELNS1_11target_archE942ELNS1_3gpuE9ELNS1_3repE0EEENS1_30default_config_static_selectorELNS0_4arch9wavefront6targetE0EEEvT1_
                                        ; -- End function
	.set _ZN7rocprim17ROCPRIM_400000_NS6detail17trampoline_kernelINS0_14default_configENS1_25partition_config_selectorILNS1_17partition_subalgoE5ElNS0_10empty_typeEbEEZZNS1_14partition_implILS5_5ELb0ES3_mN6hipcub16HIPCUB_304000_NS21CountingInputIteratorIllEEPS6_NSA_22TransformInputIteratorIbN2at6native12_GLOBAL__N_19NonZeroOpIhEEPKhlEENS0_5tupleIJPlS6_EEENSN_IJSD_SD_EEES6_PiJS6_EEE10hipError_tPvRmT3_T4_T5_T6_T7_T9_mT8_P12ihipStream_tbDpT10_ENKUlT_T0_E_clISt17integral_constantIbLb0EES1B_EEDaS16_S17_EUlS16_E_NS1_11comp_targetILNS1_3genE5ELNS1_11target_archE942ELNS1_3gpuE9ELNS1_3repE0EEENS1_30default_config_static_selectorELNS0_4arch9wavefront6targetE0EEEvT1_.num_vgpr, 0
	.set _ZN7rocprim17ROCPRIM_400000_NS6detail17trampoline_kernelINS0_14default_configENS1_25partition_config_selectorILNS1_17partition_subalgoE5ElNS0_10empty_typeEbEEZZNS1_14partition_implILS5_5ELb0ES3_mN6hipcub16HIPCUB_304000_NS21CountingInputIteratorIllEEPS6_NSA_22TransformInputIteratorIbN2at6native12_GLOBAL__N_19NonZeroOpIhEEPKhlEENS0_5tupleIJPlS6_EEENSN_IJSD_SD_EEES6_PiJS6_EEE10hipError_tPvRmT3_T4_T5_T6_T7_T9_mT8_P12ihipStream_tbDpT10_ENKUlT_T0_E_clISt17integral_constantIbLb0EES1B_EEDaS16_S17_EUlS16_E_NS1_11comp_targetILNS1_3genE5ELNS1_11target_archE942ELNS1_3gpuE9ELNS1_3repE0EEENS1_30default_config_static_selectorELNS0_4arch9wavefront6targetE0EEEvT1_.num_agpr, 0
	.set _ZN7rocprim17ROCPRIM_400000_NS6detail17trampoline_kernelINS0_14default_configENS1_25partition_config_selectorILNS1_17partition_subalgoE5ElNS0_10empty_typeEbEEZZNS1_14partition_implILS5_5ELb0ES3_mN6hipcub16HIPCUB_304000_NS21CountingInputIteratorIllEEPS6_NSA_22TransformInputIteratorIbN2at6native12_GLOBAL__N_19NonZeroOpIhEEPKhlEENS0_5tupleIJPlS6_EEENSN_IJSD_SD_EEES6_PiJS6_EEE10hipError_tPvRmT3_T4_T5_T6_T7_T9_mT8_P12ihipStream_tbDpT10_ENKUlT_T0_E_clISt17integral_constantIbLb0EES1B_EEDaS16_S17_EUlS16_E_NS1_11comp_targetILNS1_3genE5ELNS1_11target_archE942ELNS1_3gpuE9ELNS1_3repE0EEENS1_30default_config_static_selectorELNS0_4arch9wavefront6targetE0EEEvT1_.numbered_sgpr, 0
	.set _ZN7rocprim17ROCPRIM_400000_NS6detail17trampoline_kernelINS0_14default_configENS1_25partition_config_selectorILNS1_17partition_subalgoE5ElNS0_10empty_typeEbEEZZNS1_14partition_implILS5_5ELb0ES3_mN6hipcub16HIPCUB_304000_NS21CountingInputIteratorIllEEPS6_NSA_22TransformInputIteratorIbN2at6native12_GLOBAL__N_19NonZeroOpIhEEPKhlEENS0_5tupleIJPlS6_EEENSN_IJSD_SD_EEES6_PiJS6_EEE10hipError_tPvRmT3_T4_T5_T6_T7_T9_mT8_P12ihipStream_tbDpT10_ENKUlT_T0_E_clISt17integral_constantIbLb0EES1B_EEDaS16_S17_EUlS16_E_NS1_11comp_targetILNS1_3genE5ELNS1_11target_archE942ELNS1_3gpuE9ELNS1_3repE0EEENS1_30default_config_static_selectorELNS0_4arch9wavefront6targetE0EEEvT1_.num_named_barrier, 0
	.set _ZN7rocprim17ROCPRIM_400000_NS6detail17trampoline_kernelINS0_14default_configENS1_25partition_config_selectorILNS1_17partition_subalgoE5ElNS0_10empty_typeEbEEZZNS1_14partition_implILS5_5ELb0ES3_mN6hipcub16HIPCUB_304000_NS21CountingInputIteratorIllEEPS6_NSA_22TransformInputIteratorIbN2at6native12_GLOBAL__N_19NonZeroOpIhEEPKhlEENS0_5tupleIJPlS6_EEENSN_IJSD_SD_EEES6_PiJS6_EEE10hipError_tPvRmT3_T4_T5_T6_T7_T9_mT8_P12ihipStream_tbDpT10_ENKUlT_T0_E_clISt17integral_constantIbLb0EES1B_EEDaS16_S17_EUlS16_E_NS1_11comp_targetILNS1_3genE5ELNS1_11target_archE942ELNS1_3gpuE9ELNS1_3repE0EEENS1_30default_config_static_selectorELNS0_4arch9wavefront6targetE0EEEvT1_.private_seg_size, 0
	.set _ZN7rocprim17ROCPRIM_400000_NS6detail17trampoline_kernelINS0_14default_configENS1_25partition_config_selectorILNS1_17partition_subalgoE5ElNS0_10empty_typeEbEEZZNS1_14partition_implILS5_5ELb0ES3_mN6hipcub16HIPCUB_304000_NS21CountingInputIteratorIllEEPS6_NSA_22TransformInputIteratorIbN2at6native12_GLOBAL__N_19NonZeroOpIhEEPKhlEENS0_5tupleIJPlS6_EEENSN_IJSD_SD_EEES6_PiJS6_EEE10hipError_tPvRmT3_T4_T5_T6_T7_T9_mT8_P12ihipStream_tbDpT10_ENKUlT_T0_E_clISt17integral_constantIbLb0EES1B_EEDaS16_S17_EUlS16_E_NS1_11comp_targetILNS1_3genE5ELNS1_11target_archE942ELNS1_3gpuE9ELNS1_3repE0EEENS1_30default_config_static_selectorELNS0_4arch9wavefront6targetE0EEEvT1_.uses_vcc, 0
	.set _ZN7rocprim17ROCPRIM_400000_NS6detail17trampoline_kernelINS0_14default_configENS1_25partition_config_selectorILNS1_17partition_subalgoE5ElNS0_10empty_typeEbEEZZNS1_14partition_implILS5_5ELb0ES3_mN6hipcub16HIPCUB_304000_NS21CountingInputIteratorIllEEPS6_NSA_22TransformInputIteratorIbN2at6native12_GLOBAL__N_19NonZeroOpIhEEPKhlEENS0_5tupleIJPlS6_EEENSN_IJSD_SD_EEES6_PiJS6_EEE10hipError_tPvRmT3_T4_T5_T6_T7_T9_mT8_P12ihipStream_tbDpT10_ENKUlT_T0_E_clISt17integral_constantIbLb0EES1B_EEDaS16_S17_EUlS16_E_NS1_11comp_targetILNS1_3genE5ELNS1_11target_archE942ELNS1_3gpuE9ELNS1_3repE0EEENS1_30default_config_static_selectorELNS0_4arch9wavefront6targetE0EEEvT1_.uses_flat_scratch, 0
	.set _ZN7rocprim17ROCPRIM_400000_NS6detail17trampoline_kernelINS0_14default_configENS1_25partition_config_selectorILNS1_17partition_subalgoE5ElNS0_10empty_typeEbEEZZNS1_14partition_implILS5_5ELb0ES3_mN6hipcub16HIPCUB_304000_NS21CountingInputIteratorIllEEPS6_NSA_22TransformInputIteratorIbN2at6native12_GLOBAL__N_19NonZeroOpIhEEPKhlEENS0_5tupleIJPlS6_EEENSN_IJSD_SD_EEES6_PiJS6_EEE10hipError_tPvRmT3_T4_T5_T6_T7_T9_mT8_P12ihipStream_tbDpT10_ENKUlT_T0_E_clISt17integral_constantIbLb0EES1B_EEDaS16_S17_EUlS16_E_NS1_11comp_targetILNS1_3genE5ELNS1_11target_archE942ELNS1_3gpuE9ELNS1_3repE0EEENS1_30default_config_static_selectorELNS0_4arch9wavefront6targetE0EEEvT1_.has_dyn_sized_stack, 0
	.set _ZN7rocprim17ROCPRIM_400000_NS6detail17trampoline_kernelINS0_14default_configENS1_25partition_config_selectorILNS1_17partition_subalgoE5ElNS0_10empty_typeEbEEZZNS1_14partition_implILS5_5ELb0ES3_mN6hipcub16HIPCUB_304000_NS21CountingInputIteratorIllEEPS6_NSA_22TransformInputIteratorIbN2at6native12_GLOBAL__N_19NonZeroOpIhEEPKhlEENS0_5tupleIJPlS6_EEENSN_IJSD_SD_EEES6_PiJS6_EEE10hipError_tPvRmT3_T4_T5_T6_T7_T9_mT8_P12ihipStream_tbDpT10_ENKUlT_T0_E_clISt17integral_constantIbLb0EES1B_EEDaS16_S17_EUlS16_E_NS1_11comp_targetILNS1_3genE5ELNS1_11target_archE942ELNS1_3gpuE9ELNS1_3repE0EEENS1_30default_config_static_selectorELNS0_4arch9wavefront6targetE0EEEvT1_.has_recursion, 0
	.set _ZN7rocprim17ROCPRIM_400000_NS6detail17trampoline_kernelINS0_14default_configENS1_25partition_config_selectorILNS1_17partition_subalgoE5ElNS0_10empty_typeEbEEZZNS1_14partition_implILS5_5ELb0ES3_mN6hipcub16HIPCUB_304000_NS21CountingInputIteratorIllEEPS6_NSA_22TransformInputIteratorIbN2at6native12_GLOBAL__N_19NonZeroOpIhEEPKhlEENS0_5tupleIJPlS6_EEENSN_IJSD_SD_EEES6_PiJS6_EEE10hipError_tPvRmT3_T4_T5_T6_T7_T9_mT8_P12ihipStream_tbDpT10_ENKUlT_T0_E_clISt17integral_constantIbLb0EES1B_EEDaS16_S17_EUlS16_E_NS1_11comp_targetILNS1_3genE5ELNS1_11target_archE942ELNS1_3gpuE9ELNS1_3repE0EEENS1_30default_config_static_selectorELNS0_4arch9wavefront6targetE0EEEvT1_.has_indirect_call, 0
	.section	.AMDGPU.csdata,"",@progbits
; Kernel info:
; codeLenInByte = 0
; TotalNumSgprs: 0
; NumVgprs: 0
; ScratchSize: 0
; MemoryBound: 0
; FloatMode: 240
; IeeeMode: 1
; LDSByteSize: 0 bytes/workgroup (compile time only)
; SGPRBlocks: 0
; VGPRBlocks: 0
; NumSGPRsForWavesPerEU: 1
; NumVGPRsForWavesPerEU: 1
; Occupancy: 16
; WaveLimiterHint : 0
; COMPUTE_PGM_RSRC2:SCRATCH_EN: 0
; COMPUTE_PGM_RSRC2:USER_SGPR: 2
; COMPUTE_PGM_RSRC2:TRAP_HANDLER: 0
; COMPUTE_PGM_RSRC2:TGID_X_EN: 1
; COMPUTE_PGM_RSRC2:TGID_Y_EN: 0
; COMPUTE_PGM_RSRC2:TGID_Z_EN: 0
; COMPUTE_PGM_RSRC2:TIDIG_COMP_CNT: 0
	.section	.text._ZN7rocprim17ROCPRIM_400000_NS6detail17trampoline_kernelINS0_14default_configENS1_25partition_config_selectorILNS1_17partition_subalgoE5ElNS0_10empty_typeEbEEZZNS1_14partition_implILS5_5ELb0ES3_mN6hipcub16HIPCUB_304000_NS21CountingInputIteratorIllEEPS6_NSA_22TransformInputIteratorIbN2at6native12_GLOBAL__N_19NonZeroOpIhEEPKhlEENS0_5tupleIJPlS6_EEENSN_IJSD_SD_EEES6_PiJS6_EEE10hipError_tPvRmT3_T4_T5_T6_T7_T9_mT8_P12ihipStream_tbDpT10_ENKUlT_T0_E_clISt17integral_constantIbLb0EES1B_EEDaS16_S17_EUlS16_E_NS1_11comp_targetILNS1_3genE4ELNS1_11target_archE910ELNS1_3gpuE8ELNS1_3repE0EEENS1_30default_config_static_selectorELNS0_4arch9wavefront6targetE0EEEvT1_,"axG",@progbits,_ZN7rocprim17ROCPRIM_400000_NS6detail17trampoline_kernelINS0_14default_configENS1_25partition_config_selectorILNS1_17partition_subalgoE5ElNS0_10empty_typeEbEEZZNS1_14partition_implILS5_5ELb0ES3_mN6hipcub16HIPCUB_304000_NS21CountingInputIteratorIllEEPS6_NSA_22TransformInputIteratorIbN2at6native12_GLOBAL__N_19NonZeroOpIhEEPKhlEENS0_5tupleIJPlS6_EEENSN_IJSD_SD_EEES6_PiJS6_EEE10hipError_tPvRmT3_T4_T5_T6_T7_T9_mT8_P12ihipStream_tbDpT10_ENKUlT_T0_E_clISt17integral_constantIbLb0EES1B_EEDaS16_S17_EUlS16_E_NS1_11comp_targetILNS1_3genE4ELNS1_11target_archE910ELNS1_3gpuE8ELNS1_3repE0EEENS1_30default_config_static_selectorELNS0_4arch9wavefront6targetE0EEEvT1_,comdat
	.globl	_ZN7rocprim17ROCPRIM_400000_NS6detail17trampoline_kernelINS0_14default_configENS1_25partition_config_selectorILNS1_17partition_subalgoE5ElNS0_10empty_typeEbEEZZNS1_14partition_implILS5_5ELb0ES3_mN6hipcub16HIPCUB_304000_NS21CountingInputIteratorIllEEPS6_NSA_22TransformInputIteratorIbN2at6native12_GLOBAL__N_19NonZeroOpIhEEPKhlEENS0_5tupleIJPlS6_EEENSN_IJSD_SD_EEES6_PiJS6_EEE10hipError_tPvRmT3_T4_T5_T6_T7_T9_mT8_P12ihipStream_tbDpT10_ENKUlT_T0_E_clISt17integral_constantIbLb0EES1B_EEDaS16_S17_EUlS16_E_NS1_11comp_targetILNS1_3genE4ELNS1_11target_archE910ELNS1_3gpuE8ELNS1_3repE0EEENS1_30default_config_static_selectorELNS0_4arch9wavefront6targetE0EEEvT1_ ; -- Begin function _ZN7rocprim17ROCPRIM_400000_NS6detail17trampoline_kernelINS0_14default_configENS1_25partition_config_selectorILNS1_17partition_subalgoE5ElNS0_10empty_typeEbEEZZNS1_14partition_implILS5_5ELb0ES3_mN6hipcub16HIPCUB_304000_NS21CountingInputIteratorIllEEPS6_NSA_22TransformInputIteratorIbN2at6native12_GLOBAL__N_19NonZeroOpIhEEPKhlEENS0_5tupleIJPlS6_EEENSN_IJSD_SD_EEES6_PiJS6_EEE10hipError_tPvRmT3_T4_T5_T6_T7_T9_mT8_P12ihipStream_tbDpT10_ENKUlT_T0_E_clISt17integral_constantIbLb0EES1B_EEDaS16_S17_EUlS16_E_NS1_11comp_targetILNS1_3genE4ELNS1_11target_archE910ELNS1_3gpuE8ELNS1_3repE0EEENS1_30default_config_static_selectorELNS0_4arch9wavefront6targetE0EEEvT1_
	.p2align	8
	.type	_ZN7rocprim17ROCPRIM_400000_NS6detail17trampoline_kernelINS0_14default_configENS1_25partition_config_selectorILNS1_17partition_subalgoE5ElNS0_10empty_typeEbEEZZNS1_14partition_implILS5_5ELb0ES3_mN6hipcub16HIPCUB_304000_NS21CountingInputIteratorIllEEPS6_NSA_22TransformInputIteratorIbN2at6native12_GLOBAL__N_19NonZeroOpIhEEPKhlEENS0_5tupleIJPlS6_EEENSN_IJSD_SD_EEES6_PiJS6_EEE10hipError_tPvRmT3_T4_T5_T6_T7_T9_mT8_P12ihipStream_tbDpT10_ENKUlT_T0_E_clISt17integral_constantIbLb0EES1B_EEDaS16_S17_EUlS16_E_NS1_11comp_targetILNS1_3genE4ELNS1_11target_archE910ELNS1_3gpuE8ELNS1_3repE0EEENS1_30default_config_static_selectorELNS0_4arch9wavefront6targetE0EEEvT1_,@function
_ZN7rocprim17ROCPRIM_400000_NS6detail17trampoline_kernelINS0_14default_configENS1_25partition_config_selectorILNS1_17partition_subalgoE5ElNS0_10empty_typeEbEEZZNS1_14partition_implILS5_5ELb0ES3_mN6hipcub16HIPCUB_304000_NS21CountingInputIteratorIllEEPS6_NSA_22TransformInputIteratorIbN2at6native12_GLOBAL__N_19NonZeroOpIhEEPKhlEENS0_5tupleIJPlS6_EEENSN_IJSD_SD_EEES6_PiJS6_EEE10hipError_tPvRmT3_T4_T5_T6_T7_T9_mT8_P12ihipStream_tbDpT10_ENKUlT_T0_E_clISt17integral_constantIbLb0EES1B_EEDaS16_S17_EUlS16_E_NS1_11comp_targetILNS1_3genE4ELNS1_11target_archE910ELNS1_3gpuE8ELNS1_3repE0EEENS1_30default_config_static_selectorELNS0_4arch9wavefront6targetE0EEEvT1_: ; @_ZN7rocprim17ROCPRIM_400000_NS6detail17trampoline_kernelINS0_14default_configENS1_25partition_config_selectorILNS1_17partition_subalgoE5ElNS0_10empty_typeEbEEZZNS1_14partition_implILS5_5ELb0ES3_mN6hipcub16HIPCUB_304000_NS21CountingInputIteratorIllEEPS6_NSA_22TransformInputIteratorIbN2at6native12_GLOBAL__N_19NonZeroOpIhEEPKhlEENS0_5tupleIJPlS6_EEENSN_IJSD_SD_EEES6_PiJS6_EEE10hipError_tPvRmT3_T4_T5_T6_T7_T9_mT8_P12ihipStream_tbDpT10_ENKUlT_T0_E_clISt17integral_constantIbLb0EES1B_EEDaS16_S17_EUlS16_E_NS1_11comp_targetILNS1_3genE4ELNS1_11target_archE910ELNS1_3gpuE8ELNS1_3repE0EEENS1_30default_config_static_selectorELNS0_4arch9wavefront6targetE0EEEvT1_
; %bb.0:
	.section	.rodata,"a",@progbits
	.p2align	6, 0x0
	.amdhsa_kernel _ZN7rocprim17ROCPRIM_400000_NS6detail17trampoline_kernelINS0_14default_configENS1_25partition_config_selectorILNS1_17partition_subalgoE5ElNS0_10empty_typeEbEEZZNS1_14partition_implILS5_5ELb0ES3_mN6hipcub16HIPCUB_304000_NS21CountingInputIteratorIllEEPS6_NSA_22TransformInputIteratorIbN2at6native12_GLOBAL__N_19NonZeroOpIhEEPKhlEENS0_5tupleIJPlS6_EEENSN_IJSD_SD_EEES6_PiJS6_EEE10hipError_tPvRmT3_T4_T5_T6_T7_T9_mT8_P12ihipStream_tbDpT10_ENKUlT_T0_E_clISt17integral_constantIbLb0EES1B_EEDaS16_S17_EUlS16_E_NS1_11comp_targetILNS1_3genE4ELNS1_11target_archE910ELNS1_3gpuE8ELNS1_3repE0EEENS1_30default_config_static_selectorELNS0_4arch9wavefront6targetE0EEEvT1_
		.amdhsa_group_segment_fixed_size 0
		.amdhsa_private_segment_fixed_size 0
		.amdhsa_kernarg_size 120
		.amdhsa_user_sgpr_count 2
		.amdhsa_user_sgpr_dispatch_ptr 0
		.amdhsa_user_sgpr_queue_ptr 0
		.amdhsa_user_sgpr_kernarg_segment_ptr 1
		.amdhsa_user_sgpr_dispatch_id 0
		.amdhsa_user_sgpr_private_segment_size 0
		.amdhsa_wavefront_size32 1
		.amdhsa_uses_dynamic_stack 0
		.amdhsa_enable_private_segment 0
		.amdhsa_system_sgpr_workgroup_id_x 1
		.amdhsa_system_sgpr_workgroup_id_y 0
		.amdhsa_system_sgpr_workgroup_id_z 0
		.amdhsa_system_sgpr_workgroup_info 0
		.amdhsa_system_vgpr_workitem_id 0
		.amdhsa_next_free_vgpr 1
		.amdhsa_next_free_sgpr 1
		.amdhsa_reserve_vcc 0
		.amdhsa_float_round_mode_32 0
		.amdhsa_float_round_mode_16_64 0
		.amdhsa_float_denorm_mode_32 3
		.amdhsa_float_denorm_mode_16_64 3
		.amdhsa_fp16_overflow 0
		.amdhsa_workgroup_processor_mode 1
		.amdhsa_memory_ordered 1
		.amdhsa_forward_progress 1
		.amdhsa_inst_pref_size 0
		.amdhsa_round_robin_scheduling 0
		.amdhsa_exception_fp_ieee_invalid_op 0
		.amdhsa_exception_fp_denorm_src 0
		.amdhsa_exception_fp_ieee_div_zero 0
		.amdhsa_exception_fp_ieee_overflow 0
		.amdhsa_exception_fp_ieee_underflow 0
		.amdhsa_exception_fp_ieee_inexact 0
		.amdhsa_exception_int_div_zero 0
	.end_amdhsa_kernel
	.section	.text._ZN7rocprim17ROCPRIM_400000_NS6detail17trampoline_kernelINS0_14default_configENS1_25partition_config_selectorILNS1_17partition_subalgoE5ElNS0_10empty_typeEbEEZZNS1_14partition_implILS5_5ELb0ES3_mN6hipcub16HIPCUB_304000_NS21CountingInputIteratorIllEEPS6_NSA_22TransformInputIteratorIbN2at6native12_GLOBAL__N_19NonZeroOpIhEEPKhlEENS0_5tupleIJPlS6_EEENSN_IJSD_SD_EEES6_PiJS6_EEE10hipError_tPvRmT3_T4_T5_T6_T7_T9_mT8_P12ihipStream_tbDpT10_ENKUlT_T0_E_clISt17integral_constantIbLb0EES1B_EEDaS16_S17_EUlS16_E_NS1_11comp_targetILNS1_3genE4ELNS1_11target_archE910ELNS1_3gpuE8ELNS1_3repE0EEENS1_30default_config_static_selectorELNS0_4arch9wavefront6targetE0EEEvT1_,"axG",@progbits,_ZN7rocprim17ROCPRIM_400000_NS6detail17trampoline_kernelINS0_14default_configENS1_25partition_config_selectorILNS1_17partition_subalgoE5ElNS0_10empty_typeEbEEZZNS1_14partition_implILS5_5ELb0ES3_mN6hipcub16HIPCUB_304000_NS21CountingInputIteratorIllEEPS6_NSA_22TransformInputIteratorIbN2at6native12_GLOBAL__N_19NonZeroOpIhEEPKhlEENS0_5tupleIJPlS6_EEENSN_IJSD_SD_EEES6_PiJS6_EEE10hipError_tPvRmT3_T4_T5_T6_T7_T9_mT8_P12ihipStream_tbDpT10_ENKUlT_T0_E_clISt17integral_constantIbLb0EES1B_EEDaS16_S17_EUlS16_E_NS1_11comp_targetILNS1_3genE4ELNS1_11target_archE910ELNS1_3gpuE8ELNS1_3repE0EEENS1_30default_config_static_selectorELNS0_4arch9wavefront6targetE0EEEvT1_,comdat
.Lfunc_end40:
	.size	_ZN7rocprim17ROCPRIM_400000_NS6detail17trampoline_kernelINS0_14default_configENS1_25partition_config_selectorILNS1_17partition_subalgoE5ElNS0_10empty_typeEbEEZZNS1_14partition_implILS5_5ELb0ES3_mN6hipcub16HIPCUB_304000_NS21CountingInputIteratorIllEEPS6_NSA_22TransformInputIteratorIbN2at6native12_GLOBAL__N_19NonZeroOpIhEEPKhlEENS0_5tupleIJPlS6_EEENSN_IJSD_SD_EEES6_PiJS6_EEE10hipError_tPvRmT3_T4_T5_T6_T7_T9_mT8_P12ihipStream_tbDpT10_ENKUlT_T0_E_clISt17integral_constantIbLb0EES1B_EEDaS16_S17_EUlS16_E_NS1_11comp_targetILNS1_3genE4ELNS1_11target_archE910ELNS1_3gpuE8ELNS1_3repE0EEENS1_30default_config_static_selectorELNS0_4arch9wavefront6targetE0EEEvT1_, .Lfunc_end40-_ZN7rocprim17ROCPRIM_400000_NS6detail17trampoline_kernelINS0_14default_configENS1_25partition_config_selectorILNS1_17partition_subalgoE5ElNS0_10empty_typeEbEEZZNS1_14partition_implILS5_5ELb0ES3_mN6hipcub16HIPCUB_304000_NS21CountingInputIteratorIllEEPS6_NSA_22TransformInputIteratorIbN2at6native12_GLOBAL__N_19NonZeroOpIhEEPKhlEENS0_5tupleIJPlS6_EEENSN_IJSD_SD_EEES6_PiJS6_EEE10hipError_tPvRmT3_T4_T5_T6_T7_T9_mT8_P12ihipStream_tbDpT10_ENKUlT_T0_E_clISt17integral_constantIbLb0EES1B_EEDaS16_S17_EUlS16_E_NS1_11comp_targetILNS1_3genE4ELNS1_11target_archE910ELNS1_3gpuE8ELNS1_3repE0EEENS1_30default_config_static_selectorELNS0_4arch9wavefront6targetE0EEEvT1_
                                        ; -- End function
	.set _ZN7rocprim17ROCPRIM_400000_NS6detail17trampoline_kernelINS0_14default_configENS1_25partition_config_selectorILNS1_17partition_subalgoE5ElNS0_10empty_typeEbEEZZNS1_14partition_implILS5_5ELb0ES3_mN6hipcub16HIPCUB_304000_NS21CountingInputIteratorIllEEPS6_NSA_22TransformInputIteratorIbN2at6native12_GLOBAL__N_19NonZeroOpIhEEPKhlEENS0_5tupleIJPlS6_EEENSN_IJSD_SD_EEES6_PiJS6_EEE10hipError_tPvRmT3_T4_T5_T6_T7_T9_mT8_P12ihipStream_tbDpT10_ENKUlT_T0_E_clISt17integral_constantIbLb0EES1B_EEDaS16_S17_EUlS16_E_NS1_11comp_targetILNS1_3genE4ELNS1_11target_archE910ELNS1_3gpuE8ELNS1_3repE0EEENS1_30default_config_static_selectorELNS0_4arch9wavefront6targetE0EEEvT1_.num_vgpr, 0
	.set _ZN7rocprim17ROCPRIM_400000_NS6detail17trampoline_kernelINS0_14default_configENS1_25partition_config_selectorILNS1_17partition_subalgoE5ElNS0_10empty_typeEbEEZZNS1_14partition_implILS5_5ELb0ES3_mN6hipcub16HIPCUB_304000_NS21CountingInputIteratorIllEEPS6_NSA_22TransformInputIteratorIbN2at6native12_GLOBAL__N_19NonZeroOpIhEEPKhlEENS0_5tupleIJPlS6_EEENSN_IJSD_SD_EEES6_PiJS6_EEE10hipError_tPvRmT3_T4_T5_T6_T7_T9_mT8_P12ihipStream_tbDpT10_ENKUlT_T0_E_clISt17integral_constantIbLb0EES1B_EEDaS16_S17_EUlS16_E_NS1_11comp_targetILNS1_3genE4ELNS1_11target_archE910ELNS1_3gpuE8ELNS1_3repE0EEENS1_30default_config_static_selectorELNS0_4arch9wavefront6targetE0EEEvT1_.num_agpr, 0
	.set _ZN7rocprim17ROCPRIM_400000_NS6detail17trampoline_kernelINS0_14default_configENS1_25partition_config_selectorILNS1_17partition_subalgoE5ElNS0_10empty_typeEbEEZZNS1_14partition_implILS5_5ELb0ES3_mN6hipcub16HIPCUB_304000_NS21CountingInputIteratorIllEEPS6_NSA_22TransformInputIteratorIbN2at6native12_GLOBAL__N_19NonZeroOpIhEEPKhlEENS0_5tupleIJPlS6_EEENSN_IJSD_SD_EEES6_PiJS6_EEE10hipError_tPvRmT3_T4_T5_T6_T7_T9_mT8_P12ihipStream_tbDpT10_ENKUlT_T0_E_clISt17integral_constantIbLb0EES1B_EEDaS16_S17_EUlS16_E_NS1_11comp_targetILNS1_3genE4ELNS1_11target_archE910ELNS1_3gpuE8ELNS1_3repE0EEENS1_30default_config_static_selectorELNS0_4arch9wavefront6targetE0EEEvT1_.numbered_sgpr, 0
	.set _ZN7rocprim17ROCPRIM_400000_NS6detail17trampoline_kernelINS0_14default_configENS1_25partition_config_selectorILNS1_17partition_subalgoE5ElNS0_10empty_typeEbEEZZNS1_14partition_implILS5_5ELb0ES3_mN6hipcub16HIPCUB_304000_NS21CountingInputIteratorIllEEPS6_NSA_22TransformInputIteratorIbN2at6native12_GLOBAL__N_19NonZeroOpIhEEPKhlEENS0_5tupleIJPlS6_EEENSN_IJSD_SD_EEES6_PiJS6_EEE10hipError_tPvRmT3_T4_T5_T6_T7_T9_mT8_P12ihipStream_tbDpT10_ENKUlT_T0_E_clISt17integral_constantIbLb0EES1B_EEDaS16_S17_EUlS16_E_NS1_11comp_targetILNS1_3genE4ELNS1_11target_archE910ELNS1_3gpuE8ELNS1_3repE0EEENS1_30default_config_static_selectorELNS0_4arch9wavefront6targetE0EEEvT1_.num_named_barrier, 0
	.set _ZN7rocprim17ROCPRIM_400000_NS6detail17trampoline_kernelINS0_14default_configENS1_25partition_config_selectorILNS1_17partition_subalgoE5ElNS0_10empty_typeEbEEZZNS1_14partition_implILS5_5ELb0ES3_mN6hipcub16HIPCUB_304000_NS21CountingInputIteratorIllEEPS6_NSA_22TransformInputIteratorIbN2at6native12_GLOBAL__N_19NonZeroOpIhEEPKhlEENS0_5tupleIJPlS6_EEENSN_IJSD_SD_EEES6_PiJS6_EEE10hipError_tPvRmT3_T4_T5_T6_T7_T9_mT8_P12ihipStream_tbDpT10_ENKUlT_T0_E_clISt17integral_constantIbLb0EES1B_EEDaS16_S17_EUlS16_E_NS1_11comp_targetILNS1_3genE4ELNS1_11target_archE910ELNS1_3gpuE8ELNS1_3repE0EEENS1_30default_config_static_selectorELNS0_4arch9wavefront6targetE0EEEvT1_.private_seg_size, 0
	.set _ZN7rocprim17ROCPRIM_400000_NS6detail17trampoline_kernelINS0_14default_configENS1_25partition_config_selectorILNS1_17partition_subalgoE5ElNS0_10empty_typeEbEEZZNS1_14partition_implILS5_5ELb0ES3_mN6hipcub16HIPCUB_304000_NS21CountingInputIteratorIllEEPS6_NSA_22TransformInputIteratorIbN2at6native12_GLOBAL__N_19NonZeroOpIhEEPKhlEENS0_5tupleIJPlS6_EEENSN_IJSD_SD_EEES6_PiJS6_EEE10hipError_tPvRmT3_T4_T5_T6_T7_T9_mT8_P12ihipStream_tbDpT10_ENKUlT_T0_E_clISt17integral_constantIbLb0EES1B_EEDaS16_S17_EUlS16_E_NS1_11comp_targetILNS1_3genE4ELNS1_11target_archE910ELNS1_3gpuE8ELNS1_3repE0EEENS1_30default_config_static_selectorELNS0_4arch9wavefront6targetE0EEEvT1_.uses_vcc, 0
	.set _ZN7rocprim17ROCPRIM_400000_NS6detail17trampoline_kernelINS0_14default_configENS1_25partition_config_selectorILNS1_17partition_subalgoE5ElNS0_10empty_typeEbEEZZNS1_14partition_implILS5_5ELb0ES3_mN6hipcub16HIPCUB_304000_NS21CountingInputIteratorIllEEPS6_NSA_22TransformInputIteratorIbN2at6native12_GLOBAL__N_19NonZeroOpIhEEPKhlEENS0_5tupleIJPlS6_EEENSN_IJSD_SD_EEES6_PiJS6_EEE10hipError_tPvRmT3_T4_T5_T6_T7_T9_mT8_P12ihipStream_tbDpT10_ENKUlT_T0_E_clISt17integral_constantIbLb0EES1B_EEDaS16_S17_EUlS16_E_NS1_11comp_targetILNS1_3genE4ELNS1_11target_archE910ELNS1_3gpuE8ELNS1_3repE0EEENS1_30default_config_static_selectorELNS0_4arch9wavefront6targetE0EEEvT1_.uses_flat_scratch, 0
	.set _ZN7rocprim17ROCPRIM_400000_NS6detail17trampoline_kernelINS0_14default_configENS1_25partition_config_selectorILNS1_17partition_subalgoE5ElNS0_10empty_typeEbEEZZNS1_14partition_implILS5_5ELb0ES3_mN6hipcub16HIPCUB_304000_NS21CountingInputIteratorIllEEPS6_NSA_22TransformInputIteratorIbN2at6native12_GLOBAL__N_19NonZeroOpIhEEPKhlEENS0_5tupleIJPlS6_EEENSN_IJSD_SD_EEES6_PiJS6_EEE10hipError_tPvRmT3_T4_T5_T6_T7_T9_mT8_P12ihipStream_tbDpT10_ENKUlT_T0_E_clISt17integral_constantIbLb0EES1B_EEDaS16_S17_EUlS16_E_NS1_11comp_targetILNS1_3genE4ELNS1_11target_archE910ELNS1_3gpuE8ELNS1_3repE0EEENS1_30default_config_static_selectorELNS0_4arch9wavefront6targetE0EEEvT1_.has_dyn_sized_stack, 0
	.set _ZN7rocprim17ROCPRIM_400000_NS6detail17trampoline_kernelINS0_14default_configENS1_25partition_config_selectorILNS1_17partition_subalgoE5ElNS0_10empty_typeEbEEZZNS1_14partition_implILS5_5ELb0ES3_mN6hipcub16HIPCUB_304000_NS21CountingInputIteratorIllEEPS6_NSA_22TransformInputIteratorIbN2at6native12_GLOBAL__N_19NonZeroOpIhEEPKhlEENS0_5tupleIJPlS6_EEENSN_IJSD_SD_EEES6_PiJS6_EEE10hipError_tPvRmT3_T4_T5_T6_T7_T9_mT8_P12ihipStream_tbDpT10_ENKUlT_T0_E_clISt17integral_constantIbLb0EES1B_EEDaS16_S17_EUlS16_E_NS1_11comp_targetILNS1_3genE4ELNS1_11target_archE910ELNS1_3gpuE8ELNS1_3repE0EEENS1_30default_config_static_selectorELNS0_4arch9wavefront6targetE0EEEvT1_.has_recursion, 0
	.set _ZN7rocprim17ROCPRIM_400000_NS6detail17trampoline_kernelINS0_14default_configENS1_25partition_config_selectorILNS1_17partition_subalgoE5ElNS0_10empty_typeEbEEZZNS1_14partition_implILS5_5ELb0ES3_mN6hipcub16HIPCUB_304000_NS21CountingInputIteratorIllEEPS6_NSA_22TransformInputIteratorIbN2at6native12_GLOBAL__N_19NonZeroOpIhEEPKhlEENS0_5tupleIJPlS6_EEENSN_IJSD_SD_EEES6_PiJS6_EEE10hipError_tPvRmT3_T4_T5_T6_T7_T9_mT8_P12ihipStream_tbDpT10_ENKUlT_T0_E_clISt17integral_constantIbLb0EES1B_EEDaS16_S17_EUlS16_E_NS1_11comp_targetILNS1_3genE4ELNS1_11target_archE910ELNS1_3gpuE8ELNS1_3repE0EEENS1_30default_config_static_selectorELNS0_4arch9wavefront6targetE0EEEvT1_.has_indirect_call, 0
	.section	.AMDGPU.csdata,"",@progbits
; Kernel info:
; codeLenInByte = 0
; TotalNumSgprs: 0
; NumVgprs: 0
; ScratchSize: 0
; MemoryBound: 0
; FloatMode: 240
; IeeeMode: 1
; LDSByteSize: 0 bytes/workgroup (compile time only)
; SGPRBlocks: 0
; VGPRBlocks: 0
; NumSGPRsForWavesPerEU: 1
; NumVGPRsForWavesPerEU: 1
; Occupancy: 16
; WaveLimiterHint : 0
; COMPUTE_PGM_RSRC2:SCRATCH_EN: 0
; COMPUTE_PGM_RSRC2:USER_SGPR: 2
; COMPUTE_PGM_RSRC2:TRAP_HANDLER: 0
; COMPUTE_PGM_RSRC2:TGID_X_EN: 1
; COMPUTE_PGM_RSRC2:TGID_Y_EN: 0
; COMPUTE_PGM_RSRC2:TGID_Z_EN: 0
; COMPUTE_PGM_RSRC2:TIDIG_COMP_CNT: 0
	.section	.text._ZN7rocprim17ROCPRIM_400000_NS6detail17trampoline_kernelINS0_14default_configENS1_25partition_config_selectorILNS1_17partition_subalgoE5ElNS0_10empty_typeEbEEZZNS1_14partition_implILS5_5ELb0ES3_mN6hipcub16HIPCUB_304000_NS21CountingInputIteratorIllEEPS6_NSA_22TransformInputIteratorIbN2at6native12_GLOBAL__N_19NonZeroOpIhEEPKhlEENS0_5tupleIJPlS6_EEENSN_IJSD_SD_EEES6_PiJS6_EEE10hipError_tPvRmT3_T4_T5_T6_T7_T9_mT8_P12ihipStream_tbDpT10_ENKUlT_T0_E_clISt17integral_constantIbLb0EES1B_EEDaS16_S17_EUlS16_E_NS1_11comp_targetILNS1_3genE3ELNS1_11target_archE908ELNS1_3gpuE7ELNS1_3repE0EEENS1_30default_config_static_selectorELNS0_4arch9wavefront6targetE0EEEvT1_,"axG",@progbits,_ZN7rocprim17ROCPRIM_400000_NS6detail17trampoline_kernelINS0_14default_configENS1_25partition_config_selectorILNS1_17partition_subalgoE5ElNS0_10empty_typeEbEEZZNS1_14partition_implILS5_5ELb0ES3_mN6hipcub16HIPCUB_304000_NS21CountingInputIteratorIllEEPS6_NSA_22TransformInputIteratorIbN2at6native12_GLOBAL__N_19NonZeroOpIhEEPKhlEENS0_5tupleIJPlS6_EEENSN_IJSD_SD_EEES6_PiJS6_EEE10hipError_tPvRmT3_T4_T5_T6_T7_T9_mT8_P12ihipStream_tbDpT10_ENKUlT_T0_E_clISt17integral_constantIbLb0EES1B_EEDaS16_S17_EUlS16_E_NS1_11comp_targetILNS1_3genE3ELNS1_11target_archE908ELNS1_3gpuE7ELNS1_3repE0EEENS1_30default_config_static_selectorELNS0_4arch9wavefront6targetE0EEEvT1_,comdat
	.globl	_ZN7rocprim17ROCPRIM_400000_NS6detail17trampoline_kernelINS0_14default_configENS1_25partition_config_selectorILNS1_17partition_subalgoE5ElNS0_10empty_typeEbEEZZNS1_14partition_implILS5_5ELb0ES3_mN6hipcub16HIPCUB_304000_NS21CountingInputIteratorIllEEPS6_NSA_22TransformInputIteratorIbN2at6native12_GLOBAL__N_19NonZeroOpIhEEPKhlEENS0_5tupleIJPlS6_EEENSN_IJSD_SD_EEES6_PiJS6_EEE10hipError_tPvRmT3_T4_T5_T6_T7_T9_mT8_P12ihipStream_tbDpT10_ENKUlT_T0_E_clISt17integral_constantIbLb0EES1B_EEDaS16_S17_EUlS16_E_NS1_11comp_targetILNS1_3genE3ELNS1_11target_archE908ELNS1_3gpuE7ELNS1_3repE0EEENS1_30default_config_static_selectorELNS0_4arch9wavefront6targetE0EEEvT1_ ; -- Begin function _ZN7rocprim17ROCPRIM_400000_NS6detail17trampoline_kernelINS0_14default_configENS1_25partition_config_selectorILNS1_17partition_subalgoE5ElNS0_10empty_typeEbEEZZNS1_14partition_implILS5_5ELb0ES3_mN6hipcub16HIPCUB_304000_NS21CountingInputIteratorIllEEPS6_NSA_22TransformInputIteratorIbN2at6native12_GLOBAL__N_19NonZeroOpIhEEPKhlEENS0_5tupleIJPlS6_EEENSN_IJSD_SD_EEES6_PiJS6_EEE10hipError_tPvRmT3_T4_T5_T6_T7_T9_mT8_P12ihipStream_tbDpT10_ENKUlT_T0_E_clISt17integral_constantIbLb0EES1B_EEDaS16_S17_EUlS16_E_NS1_11comp_targetILNS1_3genE3ELNS1_11target_archE908ELNS1_3gpuE7ELNS1_3repE0EEENS1_30default_config_static_selectorELNS0_4arch9wavefront6targetE0EEEvT1_
	.p2align	8
	.type	_ZN7rocprim17ROCPRIM_400000_NS6detail17trampoline_kernelINS0_14default_configENS1_25partition_config_selectorILNS1_17partition_subalgoE5ElNS0_10empty_typeEbEEZZNS1_14partition_implILS5_5ELb0ES3_mN6hipcub16HIPCUB_304000_NS21CountingInputIteratorIllEEPS6_NSA_22TransformInputIteratorIbN2at6native12_GLOBAL__N_19NonZeroOpIhEEPKhlEENS0_5tupleIJPlS6_EEENSN_IJSD_SD_EEES6_PiJS6_EEE10hipError_tPvRmT3_T4_T5_T6_T7_T9_mT8_P12ihipStream_tbDpT10_ENKUlT_T0_E_clISt17integral_constantIbLb0EES1B_EEDaS16_S17_EUlS16_E_NS1_11comp_targetILNS1_3genE3ELNS1_11target_archE908ELNS1_3gpuE7ELNS1_3repE0EEENS1_30default_config_static_selectorELNS0_4arch9wavefront6targetE0EEEvT1_,@function
_ZN7rocprim17ROCPRIM_400000_NS6detail17trampoline_kernelINS0_14default_configENS1_25partition_config_selectorILNS1_17partition_subalgoE5ElNS0_10empty_typeEbEEZZNS1_14partition_implILS5_5ELb0ES3_mN6hipcub16HIPCUB_304000_NS21CountingInputIteratorIllEEPS6_NSA_22TransformInputIteratorIbN2at6native12_GLOBAL__N_19NonZeroOpIhEEPKhlEENS0_5tupleIJPlS6_EEENSN_IJSD_SD_EEES6_PiJS6_EEE10hipError_tPvRmT3_T4_T5_T6_T7_T9_mT8_P12ihipStream_tbDpT10_ENKUlT_T0_E_clISt17integral_constantIbLb0EES1B_EEDaS16_S17_EUlS16_E_NS1_11comp_targetILNS1_3genE3ELNS1_11target_archE908ELNS1_3gpuE7ELNS1_3repE0EEENS1_30default_config_static_selectorELNS0_4arch9wavefront6targetE0EEEvT1_: ; @_ZN7rocprim17ROCPRIM_400000_NS6detail17trampoline_kernelINS0_14default_configENS1_25partition_config_selectorILNS1_17partition_subalgoE5ElNS0_10empty_typeEbEEZZNS1_14partition_implILS5_5ELb0ES3_mN6hipcub16HIPCUB_304000_NS21CountingInputIteratorIllEEPS6_NSA_22TransformInputIteratorIbN2at6native12_GLOBAL__N_19NonZeroOpIhEEPKhlEENS0_5tupleIJPlS6_EEENSN_IJSD_SD_EEES6_PiJS6_EEE10hipError_tPvRmT3_T4_T5_T6_T7_T9_mT8_P12ihipStream_tbDpT10_ENKUlT_T0_E_clISt17integral_constantIbLb0EES1B_EEDaS16_S17_EUlS16_E_NS1_11comp_targetILNS1_3genE3ELNS1_11target_archE908ELNS1_3gpuE7ELNS1_3repE0EEENS1_30default_config_static_selectorELNS0_4arch9wavefront6targetE0EEEvT1_
; %bb.0:
	.section	.rodata,"a",@progbits
	.p2align	6, 0x0
	.amdhsa_kernel _ZN7rocprim17ROCPRIM_400000_NS6detail17trampoline_kernelINS0_14default_configENS1_25partition_config_selectorILNS1_17partition_subalgoE5ElNS0_10empty_typeEbEEZZNS1_14partition_implILS5_5ELb0ES3_mN6hipcub16HIPCUB_304000_NS21CountingInputIteratorIllEEPS6_NSA_22TransformInputIteratorIbN2at6native12_GLOBAL__N_19NonZeroOpIhEEPKhlEENS0_5tupleIJPlS6_EEENSN_IJSD_SD_EEES6_PiJS6_EEE10hipError_tPvRmT3_T4_T5_T6_T7_T9_mT8_P12ihipStream_tbDpT10_ENKUlT_T0_E_clISt17integral_constantIbLb0EES1B_EEDaS16_S17_EUlS16_E_NS1_11comp_targetILNS1_3genE3ELNS1_11target_archE908ELNS1_3gpuE7ELNS1_3repE0EEENS1_30default_config_static_selectorELNS0_4arch9wavefront6targetE0EEEvT1_
		.amdhsa_group_segment_fixed_size 0
		.amdhsa_private_segment_fixed_size 0
		.amdhsa_kernarg_size 120
		.amdhsa_user_sgpr_count 2
		.amdhsa_user_sgpr_dispatch_ptr 0
		.amdhsa_user_sgpr_queue_ptr 0
		.amdhsa_user_sgpr_kernarg_segment_ptr 1
		.amdhsa_user_sgpr_dispatch_id 0
		.amdhsa_user_sgpr_private_segment_size 0
		.amdhsa_wavefront_size32 1
		.amdhsa_uses_dynamic_stack 0
		.amdhsa_enable_private_segment 0
		.amdhsa_system_sgpr_workgroup_id_x 1
		.amdhsa_system_sgpr_workgroup_id_y 0
		.amdhsa_system_sgpr_workgroup_id_z 0
		.amdhsa_system_sgpr_workgroup_info 0
		.amdhsa_system_vgpr_workitem_id 0
		.amdhsa_next_free_vgpr 1
		.amdhsa_next_free_sgpr 1
		.amdhsa_reserve_vcc 0
		.amdhsa_float_round_mode_32 0
		.amdhsa_float_round_mode_16_64 0
		.amdhsa_float_denorm_mode_32 3
		.amdhsa_float_denorm_mode_16_64 3
		.amdhsa_fp16_overflow 0
		.amdhsa_workgroup_processor_mode 1
		.amdhsa_memory_ordered 1
		.amdhsa_forward_progress 1
		.amdhsa_inst_pref_size 0
		.amdhsa_round_robin_scheduling 0
		.amdhsa_exception_fp_ieee_invalid_op 0
		.amdhsa_exception_fp_denorm_src 0
		.amdhsa_exception_fp_ieee_div_zero 0
		.amdhsa_exception_fp_ieee_overflow 0
		.amdhsa_exception_fp_ieee_underflow 0
		.amdhsa_exception_fp_ieee_inexact 0
		.amdhsa_exception_int_div_zero 0
	.end_amdhsa_kernel
	.section	.text._ZN7rocprim17ROCPRIM_400000_NS6detail17trampoline_kernelINS0_14default_configENS1_25partition_config_selectorILNS1_17partition_subalgoE5ElNS0_10empty_typeEbEEZZNS1_14partition_implILS5_5ELb0ES3_mN6hipcub16HIPCUB_304000_NS21CountingInputIteratorIllEEPS6_NSA_22TransformInputIteratorIbN2at6native12_GLOBAL__N_19NonZeroOpIhEEPKhlEENS0_5tupleIJPlS6_EEENSN_IJSD_SD_EEES6_PiJS6_EEE10hipError_tPvRmT3_T4_T5_T6_T7_T9_mT8_P12ihipStream_tbDpT10_ENKUlT_T0_E_clISt17integral_constantIbLb0EES1B_EEDaS16_S17_EUlS16_E_NS1_11comp_targetILNS1_3genE3ELNS1_11target_archE908ELNS1_3gpuE7ELNS1_3repE0EEENS1_30default_config_static_selectorELNS0_4arch9wavefront6targetE0EEEvT1_,"axG",@progbits,_ZN7rocprim17ROCPRIM_400000_NS6detail17trampoline_kernelINS0_14default_configENS1_25partition_config_selectorILNS1_17partition_subalgoE5ElNS0_10empty_typeEbEEZZNS1_14partition_implILS5_5ELb0ES3_mN6hipcub16HIPCUB_304000_NS21CountingInputIteratorIllEEPS6_NSA_22TransformInputIteratorIbN2at6native12_GLOBAL__N_19NonZeroOpIhEEPKhlEENS0_5tupleIJPlS6_EEENSN_IJSD_SD_EEES6_PiJS6_EEE10hipError_tPvRmT3_T4_T5_T6_T7_T9_mT8_P12ihipStream_tbDpT10_ENKUlT_T0_E_clISt17integral_constantIbLb0EES1B_EEDaS16_S17_EUlS16_E_NS1_11comp_targetILNS1_3genE3ELNS1_11target_archE908ELNS1_3gpuE7ELNS1_3repE0EEENS1_30default_config_static_selectorELNS0_4arch9wavefront6targetE0EEEvT1_,comdat
.Lfunc_end41:
	.size	_ZN7rocprim17ROCPRIM_400000_NS6detail17trampoline_kernelINS0_14default_configENS1_25partition_config_selectorILNS1_17partition_subalgoE5ElNS0_10empty_typeEbEEZZNS1_14partition_implILS5_5ELb0ES3_mN6hipcub16HIPCUB_304000_NS21CountingInputIteratorIllEEPS6_NSA_22TransformInputIteratorIbN2at6native12_GLOBAL__N_19NonZeroOpIhEEPKhlEENS0_5tupleIJPlS6_EEENSN_IJSD_SD_EEES6_PiJS6_EEE10hipError_tPvRmT3_T4_T5_T6_T7_T9_mT8_P12ihipStream_tbDpT10_ENKUlT_T0_E_clISt17integral_constantIbLb0EES1B_EEDaS16_S17_EUlS16_E_NS1_11comp_targetILNS1_3genE3ELNS1_11target_archE908ELNS1_3gpuE7ELNS1_3repE0EEENS1_30default_config_static_selectorELNS0_4arch9wavefront6targetE0EEEvT1_, .Lfunc_end41-_ZN7rocprim17ROCPRIM_400000_NS6detail17trampoline_kernelINS0_14default_configENS1_25partition_config_selectorILNS1_17partition_subalgoE5ElNS0_10empty_typeEbEEZZNS1_14partition_implILS5_5ELb0ES3_mN6hipcub16HIPCUB_304000_NS21CountingInputIteratorIllEEPS6_NSA_22TransformInputIteratorIbN2at6native12_GLOBAL__N_19NonZeroOpIhEEPKhlEENS0_5tupleIJPlS6_EEENSN_IJSD_SD_EEES6_PiJS6_EEE10hipError_tPvRmT3_T4_T5_T6_T7_T9_mT8_P12ihipStream_tbDpT10_ENKUlT_T0_E_clISt17integral_constantIbLb0EES1B_EEDaS16_S17_EUlS16_E_NS1_11comp_targetILNS1_3genE3ELNS1_11target_archE908ELNS1_3gpuE7ELNS1_3repE0EEENS1_30default_config_static_selectorELNS0_4arch9wavefront6targetE0EEEvT1_
                                        ; -- End function
	.set _ZN7rocprim17ROCPRIM_400000_NS6detail17trampoline_kernelINS0_14default_configENS1_25partition_config_selectorILNS1_17partition_subalgoE5ElNS0_10empty_typeEbEEZZNS1_14partition_implILS5_5ELb0ES3_mN6hipcub16HIPCUB_304000_NS21CountingInputIteratorIllEEPS6_NSA_22TransformInputIteratorIbN2at6native12_GLOBAL__N_19NonZeroOpIhEEPKhlEENS0_5tupleIJPlS6_EEENSN_IJSD_SD_EEES6_PiJS6_EEE10hipError_tPvRmT3_T4_T5_T6_T7_T9_mT8_P12ihipStream_tbDpT10_ENKUlT_T0_E_clISt17integral_constantIbLb0EES1B_EEDaS16_S17_EUlS16_E_NS1_11comp_targetILNS1_3genE3ELNS1_11target_archE908ELNS1_3gpuE7ELNS1_3repE0EEENS1_30default_config_static_selectorELNS0_4arch9wavefront6targetE0EEEvT1_.num_vgpr, 0
	.set _ZN7rocprim17ROCPRIM_400000_NS6detail17trampoline_kernelINS0_14default_configENS1_25partition_config_selectorILNS1_17partition_subalgoE5ElNS0_10empty_typeEbEEZZNS1_14partition_implILS5_5ELb0ES3_mN6hipcub16HIPCUB_304000_NS21CountingInputIteratorIllEEPS6_NSA_22TransformInputIteratorIbN2at6native12_GLOBAL__N_19NonZeroOpIhEEPKhlEENS0_5tupleIJPlS6_EEENSN_IJSD_SD_EEES6_PiJS6_EEE10hipError_tPvRmT3_T4_T5_T6_T7_T9_mT8_P12ihipStream_tbDpT10_ENKUlT_T0_E_clISt17integral_constantIbLb0EES1B_EEDaS16_S17_EUlS16_E_NS1_11comp_targetILNS1_3genE3ELNS1_11target_archE908ELNS1_3gpuE7ELNS1_3repE0EEENS1_30default_config_static_selectorELNS0_4arch9wavefront6targetE0EEEvT1_.num_agpr, 0
	.set _ZN7rocprim17ROCPRIM_400000_NS6detail17trampoline_kernelINS0_14default_configENS1_25partition_config_selectorILNS1_17partition_subalgoE5ElNS0_10empty_typeEbEEZZNS1_14partition_implILS5_5ELb0ES3_mN6hipcub16HIPCUB_304000_NS21CountingInputIteratorIllEEPS6_NSA_22TransformInputIteratorIbN2at6native12_GLOBAL__N_19NonZeroOpIhEEPKhlEENS0_5tupleIJPlS6_EEENSN_IJSD_SD_EEES6_PiJS6_EEE10hipError_tPvRmT3_T4_T5_T6_T7_T9_mT8_P12ihipStream_tbDpT10_ENKUlT_T0_E_clISt17integral_constantIbLb0EES1B_EEDaS16_S17_EUlS16_E_NS1_11comp_targetILNS1_3genE3ELNS1_11target_archE908ELNS1_3gpuE7ELNS1_3repE0EEENS1_30default_config_static_selectorELNS0_4arch9wavefront6targetE0EEEvT1_.numbered_sgpr, 0
	.set _ZN7rocprim17ROCPRIM_400000_NS6detail17trampoline_kernelINS0_14default_configENS1_25partition_config_selectorILNS1_17partition_subalgoE5ElNS0_10empty_typeEbEEZZNS1_14partition_implILS5_5ELb0ES3_mN6hipcub16HIPCUB_304000_NS21CountingInputIteratorIllEEPS6_NSA_22TransformInputIteratorIbN2at6native12_GLOBAL__N_19NonZeroOpIhEEPKhlEENS0_5tupleIJPlS6_EEENSN_IJSD_SD_EEES6_PiJS6_EEE10hipError_tPvRmT3_T4_T5_T6_T7_T9_mT8_P12ihipStream_tbDpT10_ENKUlT_T0_E_clISt17integral_constantIbLb0EES1B_EEDaS16_S17_EUlS16_E_NS1_11comp_targetILNS1_3genE3ELNS1_11target_archE908ELNS1_3gpuE7ELNS1_3repE0EEENS1_30default_config_static_selectorELNS0_4arch9wavefront6targetE0EEEvT1_.num_named_barrier, 0
	.set _ZN7rocprim17ROCPRIM_400000_NS6detail17trampoline_kernelINS0_14default_configENS1_25partition_config_selectorILNS1_17partition_subalgoE5ElNS0_10empty_typeEbEEZZNS1_14partition_implILS5_5ELb0ES3_mN6hipcub16HIPCUB_304000_NS21CountingInputIteratorIllEEPS6_NSA_22TransformInputIteratorIbN2at6native12_GLOBAL__N_19NonZeroOpIhEEPKhlEENS0_5tupleIJPlS6_EEENSN_IJSD_SD_EEES6_PiJS6_EEE10hipError_tPvRmT3_T4_T5_T6_T7_T9_mT8_P12ihipStream_tbDpT10_ENKUlT_T0_E_clISt17integral_constantIbLb0EES1B_EEDaS16_S17_EUlS16_E_NS1_11comp_targetILNS1_3genE3ELNS1_11target_archE908ELNS1_3gpuE7ELNS1_3repE0EEENS1_30default_config_static_selectorELNS0_4arch9wavefront6targetE0EEEvT1_.private_seg_size, 0
	.set _ZN7rocprim17ROCPRIM_400000_NS6detail17trampoline_kernelINS0_14default_configENS1_25partition_config_selectorILNS1_17partition_subalgoE5ElNS0_10empty_typeEbEEZZNS1_14partition_implILS5_5ELb0ES3_mN6hipcub16HIPCUB_304000_NS21CountingInputIteratorIllEEPS6_NSA_22TransformInputIteratorIbN2at6native12_GLOBAL__N_19NonZeroOpIhEEPKhlEENS0_5tupleIJPlS6_EEENSN_IJSD_SD_EEES6_PiJS6_EEE10hipError_tPvRmT3_T4_T5_T6_T7_T9_mT8_P12ihipStream_tbDpT10_ENKUlT_T0_E_clISt17integral_constantIbLb0EES1B_EEDaS16_S17_EUlS16_E_NS1_11comp_targetILNS1_3genE3ELNS1_11target_archE908ELNS1_3gpuE7ELNS1_3repE0EEENS1_30default_config_static_selectorELNS0_4arch9wavefront6targetE0EEEvT1_.uses_vcc, 0
	.set _ZN7rocprim17ROCPRIM_400000_NS6detail17trampoline_kernelINS0_14default_configENS1_25partition_config_selectorILNS1_17partition_subalgoE5ElNS0_10empty_typeEbEEZZNS1_14partition_implILS5_5ELb0ES3_mN6hipcub16HIPCUB_304000_NS21CountingInputIteratorIllEEPS6_NSA_22TransformInputIteratorIbN2at6native12_GLOBAL__N_19NonZeroOpIhEEPKhlEENS0_5tupleIJPlS6_EEENSN_IJSD_SD_EEES6_PiJS6_EEE10hipError_tPvRmT3_T4_T5_T6_T7_T9_mT8_P12ihipStream_tbDpT10_ENKUlT_T0_E_clISt17integral_constantIbLb0EES1B_EEDaS16_S17_EUlS16_E_NS1_11comp_targetILNS1_3genE3ELNS1_11target_archE908ELNS1_3gpuE7ELNS1_3repE0EEENS1_30default_config_static_selectorELNS0_4arch9wavefront6targetE0EEEvT1_.uses_flat_scratch, 0
	.set _ZN7rocprim17ROCPRIM_400000_NS6detail17trampoline_kernelINS0_14default_configENS1_25partition_config_selectorILNS1_17partition_subalgoE5ElNS0_10empty_typeEbEEZZNS1_14partition_implILS5_5ELb0ES3_mN6hipcub16HIPCUB_304000_NS21CountingInputIteratorIllEEPS6_NSA_22TransformInputIteratorIbN2at6native12_GLOBAL__N_19NonZeroOpIhEEPKhlEENS0_5tupleIJPlS6_EEENSN_IJSD_SD_EEES6_PiJS6_EEE10hipError_tPvRmT3_T4_T5_T6_T7_T9_mT8_P12ihipStream_tbDpT10_ENKUlT_T0_E_clISt17integral_constantIbLb0EES1B_EEDaS16_S17_EUlS16_E_NS1_11comp_targetILNS1_3genE3ELNS1_11target_archE908ELNS1_3gpuE7ELNS1_3repE0EEENS1_30default_config_static_selectorELNS0_4arch9wavefront6targetE0EEEvT1_.has_dyn_sized_stack, 0
	.set _ZN7rocprim17ROCPRIM_400000_NS6detail17trampoline_kernelINS0_14default_configENS1_25partition_config_selectorILNS1_17partition_subalgoE5ElNS0_10empty_typeEbEEZZNS1_14partition_implILS5_5ELb0ES3_mN6hipcub16HIPCUB_304000_NS21CountingInputIteratorIllEEPS6_NSA_22TransformInputIteratorIbN2at6native12_GLOBAL__N_19NonZeroOpIhEEPKhlEENS0_5tupleIJPlS6_EEENSN_IJSD_SD_EEES6_PiJS6_EEE10hipError_tPvRmT3_T4_T5_T6_T7_T9_mT8_P12ihipStream_tbDpT10_ENKUlT_T0_E_clISt17integral_constantIbLb0EES1B_EEDaS16_S17_EUlS16_E_NS1_11comp_targetILNS1_3genE3ELNS1_11target_archE908ELNS1_3gpuE7ELNS1_3repE0EEENS1_30default_config_static_selectorELNS0_4arch9wavefront6targetE0EEEvT1_.has_recursion, 0
	.set _ZN7rocprim17ROCPRIM_400000_NS6detail17trampoline_kernelINS0_14default_configENS1_25partition_config_selectorILNS1_17partition_subalgoE5ElNS0_10empty_typeEbEEZZNS1_14partition_implILS5_5ELb0ES3_mN6hipcub16HIPCUB_304000_NS21CountingInputIteratorIllEEPS6_NSA_22TransformInputIteratorIbN2at6native12_GLOBAL__N_19NonZeroOpIhEEPKhlEENS0_5tupleIJPlS6_EEENSN_IJSD_SD_EEES6_PiJS6_EEE10hipError_tPvRmT3_T4_T5_T6_T7_T9_mT8_P12ihipStream_tbDpT10_ENKUlT_T0_E_clISt17integral_constantIbLb0EES1B_EEDaS16_S17_EUlS16_E_NS1_11comp_targetILNS1_3genE3ELNS1_11target_archE908ELNS1_3gpuE7ELNS1_3repE0EEENS1_30default_config_static_selectorELNS0_4arch9wavefront6targetE0EEEvT1_.has_indirect_call, 0
	.section	.AMDGPU.csdata,"",@progbits
; Kernel info:
; codeLenInByte = 0
; TotalNumSgprs: 0
; NumVgprs: 0
; ScratchSize: 0
; MemoryBound: 0
; FloatMode: 240
; IeeeMode: 1
; LDSByteSize: 0 bytes/workgroup (compile time only)
; SGPRBlocks: 0
; VGPRBlocks: 0
; NumSGPRsForWavesPerEU: 1
; NumVGPRsForWavesPerEU: 1
; Occupancy: 16
; WaveLimiterHint : 0
; COMPUTE_PGM_RSRC2:SCRATCH_EN: 0
; COMPUTE_PGM_RSRC2:USER_SGPR: 2
; COMPUTE_PGM_RSRC2:TRAP_HANDLER: 0
; COMPUTE_PGM_RSRC2:TGID_X_EN: 1
; COMPUTE_PGM_RSRC2:TGID_Y_EN: 0
; COMPUTE_PGM_RSRC2:TGID_Z_EN: 0
; COMPUTE_PGM_RSRC2:TIDIG_COMP_CNT: 0
	.section	.text._ZN7rocprim17ROCPRIM_400000_NS6detail17trampoline_kernelINS0_14default_configENS1_25partition_config_selectorILNS1_17partition_subalgoE5ElNS0_10empty_typeEbEEZZNS1_14partition_implILS5_5ELb0ES3_mN6hipcub16HIPCUB_304000_NS21CountingInputIteratorIllEEPS6_NSA_22TransformInputIteratorIbN2at6native12_GLOBAL__N_19NonZeroOpIhEEPKhlEENS0_5tupleIJPlS6_EEENSN_IJSD_SD_EEES6_PiJS6_EEE10hipError_tPvRmT3_T4_T5_T6_T7_T9_mT8_P12ihipStream_tbDpT10_ENKUlT_T0_E_clISt17integral_constantIbLb0EES1B_EEDaS16_S17_EUlS16_E_NS1_11comp_targetILNS1_3genE2ELNS1_11target_archE906ELNS1_3gpuE6ELNS1_3repE0EEENS1_30default_config_static_selectorELNS0_4arch9wavefront6targetE0EEEvT1_,"axG",@progbits,_ZN7rocprim17ROCPRIM_400000_NS6detail17trampoline_kernelINS0_14default_configENS1_25partition_config_selectorILNS1_17partition_subalgoE5ElNS0_10empty_typeEbEEZZNS1_14partition_implILS5_5ELb0ES3_mN6hipcub16HIPCUB_304000_NS21CountingInputIteratorIllEEPS6_NSA_22TransformInputIteratorIbN2at6native12_GLOBAL__N_19NonZeroOpIhEEPKhlEENS0_5tupleIJPlS6_EEENSN_IJSD_SD_EEES6_PiJS6_EEE10hipError_tPvRmT3_T4_T5_T6_T7_T9_mT8_P12ihipStream_tbDpT10_ENKUlT_T0_E_clISt17integral_constantIbLb0EES1B_EEDaS16_S17_EUlS16_E_NS1_11comp_targetILNS1_3genE2ELNS1_11target_archE906ELNS1_3gpuE6ELNS1_3repE0EEENS1_30default_config_static_selectorELNS0_4arch9wavefront6targetE0EEEvT1_,comdat
	.globl	_ZN7rocprim17ROCPRIM_400000_NS6detail17trampoline_kernelINS0_14default_configENS1_25partition_config_selectorILNS1_17partition_subalgoE5ElNS0_10empty_typeEbEEZZNS1_14partition_implILS5_5ELb0ES3_mN6hipcub16HIPCUB_304000_NS21CountingInputIteratorIllEEPS6_NSA_22TransformInputIteratorIbN2at6native12_GLOBAL__N_19NonZeroOpIhEEPKhlEENS0_5tupleIJPlS6_EEENSN_IJSD_SD_EEES6_PiJS6_EEE10hipError_tPvRmT3_T4_T5_T6_T7_T9_mT8_P12ihipStream_tbDpT10_ENKUlT_T0_E_clISt17integral_constantIbLb0EES1B_EEDaS16_S17_EUlS16_E_NS1_11comp_targetILNS1_3genE2ELNS1_11target_archE906ELNS1_3gpuE6ELNS1_3repE0EEENS1_30default_config_static_selectorELNS0_4arch9wavefront6targetE0EEEvT1_ ; -- Begin function _ZN7rocprim17ROCPRIM_400000_NS6detail17trampoline_kernelINS0_14default_configENS1_25partition_config_selectorILNS1_17partition_subalgoE5ElNS0_10empty_typeEbEEZZNS1_14partition_implILS5_5ELb0ES3_mN6hipcub16HIPCUB_304000_NS21CountingInputIteratorIllEEPS6_NSA_22TransformInputIteratorIbN2at6native12_GLOBAL__N_19NonZeroOpIhEEPKhlEENS0_5tupleIJPlS6_EEENSN_IJSD_SD_EEES6_PiJS6_EEE10hipError_tPvRmT3_T4_T5_T6_T7_T9_mT8_P12ihipStream_tbDpT10_ENKUlT_T0_E_clISt17integral_constantIbLb0EES1B_EEDaS16_S17_EUlS16_E_NS1_11comp_targetILNS1_3genE2ELNS1_11target_archE906ELNS1_3gpuE6ELNS1_3repE0EEENS1_30default_config_static_selectorELNS0_4arch9wavefront6targetE0EEEvT1_
	.p2align	8
	.type	_ZN7rocprim17ROCPRIM_400000_NS6detail17trampoline_kernelINS0_14default_configENS1_25partition_config_selectorILNS1_17partition_subalgoE5ElNS0_10empty_typeEbEEZZNS1_14partition_implILS5_5ELb0ES3_mN6hipcub16HIPCUB_304000_NS21CountingInputIteratorIllEEPS6_NSA_22TransformInputIteratorIbN2at6native12_GLOBAL__N_19NonZeroOpIhEEPKhlEENS0_5tupleIJPlS6_EEENSN_IJSD_SD_EEES6_PiJS6_EEE10hipError_tPvRmT3_T4_T5_T6_T7_T9_mT8_P12ihipStream_tbDpT10_ENKUlT_T0_E_clISt17integral_constantIbLb0EES1B_EEDaS16_S17_EUlS16_E_NS1_11comp_targetILNS1_3genE2ELNS1_11target_archE906ELNS1_3gpuE6ELNS1_3repE0EEENS1_30default_config_static_selectorELNS0_4arch9wavefront6targetE0EEEvT1_,@function
_ZN7rocprim17ROCPRIM_400000_NS6detail17trampoline_kernelINS0_14default_configENS1_25partition_config_selectorILNS1_17partition_subalgoE5ElNS0_10empty_typeEbEEZZNS1_14partition_implILS5_5ELb0ES3_mN6hipcub16HIPCUB_304000_NS21CountingInputIteratorIllEEPS6_NSA_22TransformInputIteratorIbN2at6native12_GLOBAL__N_19NonZeroOpIhEEPKhlEENS0_5tupleIJPlS6_EEENSN_IJSD_SD_EEES6_PiJS6_EEE10hipError_tPvRmT3_T4_T5_T6_T7_T9_mT8_P12ihipStream_tbDpT10_ENKUlT_T0_E_clISt17integral_constantIbLb0EES1B_EEDaS16_S17_EUlS16_E_NS1_11comp_targetILNS1_3genE2ELNS1_11target_archE906ELNS1_3gpuE6ELNS1_3repE0EEENS1_30default_config_static_selectorELNS0_4arch9wavefront6targetE0EEEvT1_: ; @_ZN7rocprim17ROCPRIM_400000_NS6detail17trampoline_kernelINS0_14default_configENS1_25partition_config_selectorILNS1_17partition_subalgoE5ElNS0_10empty_typeEbEEZZNS1_14partition_implILS5_5ELb0ES3_mN6hipcub16HIPCUB_304000_NS21CountingInputIteratorIllEEPS6_NSA_22TransformInputIteratorIbN2at6native12_GLOBAL__N_19NonZeroOpIhEEPKhlEENS0_5tupleIJPlS6_EEENSN_IJSD_SD_EEES6_PiJS6_EEE10hipError_tPvRmT3_T4_T5_T6_T7_T9_mT8_P12ihipStream_tbDpT10_ENKUlT_T0_E_clISt17integral_constantIbLb0EES1B_EEDaS16_S17_EUlS16_E_NS1_11comp_targetILNS1_3genE2ELNS1_11target_archE906ELNS1_3gpuE6ELNS1_3repE0EEENS1_30default_config_static_selectorELNS0_4arch9wavefront6targetE0EEEvT1_
; %bb.0:
	.section	.rodata,"a",@progbits
	.p2align	6, 0x0
	.amdhsa_kernel _ZN7rocprim17ROCPRIM_400000_NS6detail17trampoline_kernelINS0_14default_configENS1_25partition_config_selectorILNS1_17partition_subalgoE5ElNS0_10empty_typeEbEEZZNS1_14partition_implILS5_5ELb0ES3_mN6hipcub16HIPCUB_304000_NS21CountingInputIteratorIllEEPS6_NSA_22TransformInputIteratorIbN2at6native12_GLOBAL__N_19NonZeroOpIhEEPKhlEENS0_5tupleIJPlS6_EEENSN_IJSD_SD_EEES6_PiJS6_EEE10hipError_tPvRmT3_T4_T5_T6_T7_T9_mT8_P12ihipStream_tbDpT10_ENKUlT_T0_E_clISt17integral_constantIbLb0EES1B_EEDaS16_S17_EUlS16_E_NS1_11comp_targetILNS1_3genE2ELNS1_11target_archE906ELNS1_3gpuE6ELNS1_3repE0EEENS1_30default_config_static_selectorELNS0_4arch9wavefront6targetE0EEEvT1_
		.amdhsa_group_segment_fixed_size 0
		.amdhsa_private_segment_fixed_size 0
		.amdhsa_kernarg_size 120
		.amdhsa_user_sgpr_count 2
		.amdhsa_user_sgpr_dispatch_ptr 0
		.amdhsa_user_sgpr_queue_ptr 0
		.amdhsa_user_sgpr_kernarg_segment_ptr 1
		.amdhsa_user_sgpr_dispatch_id 0
		.amdhsa_user_sgpr_private_segment_size 0
		.amdhsa_wavefront_size32 1
		.amdhsa_uses_dynamic_stack 0
		.amdhsa_enable_private_segment 0
		.amdhsa_system_sgpr_workgroup_id_x 1
		.amdhsa_system_sgpr_workgroup_id_y 0
		.amdhsa_system_sgpr_workgroup_id_z 0
		.amdhsa_system_sgpr_workgroup_info 0
		.amdhsa_system_vgpr_workitem_id 0
		.amdhsa_next_free_vgpr 1
		.amdhsa_next_free_sgpr 1
		.amdhsa_reserve_vcc 0
		.amdhsa_float_round_mode_32 0
		.amdhsa_float_round_mode_16_64 0
		.amdhsa_float_denorm_mode_32 3
		.amdhsa_float_denorm_mode_16_64 3
		.amdhsa_fp16_overflow 0
		.amdhsa_workgroup_processor_mode 1
		.amdhsa_memory_ordered 1
		.amdhsa_forward_progress 1
		.amdhsa_inst_pref_size 0
		.amdhsa_round_robin_scheduling 0
		.amdhsa_exception_fp_ieee_invalid_op 0
		.amdhsa_exception_fp_denorm_src 0
		.amdhsa_exception_fp_ieee_div_zero 0
		.amdhsa_exception_fp_ieee_overflow 0
		.amdhsa_exception_fp_ieee_underflow 0
		.amdhsa_exception_fp_ieee_inexact 0
		.amdhsa_exception_int_div_zero 0
	.end_amdhsa_kernel
	.section	.text._ZN7rocprim17ROCPRIM_400000_NS6detail17trampoline_kernelINS0_14default_configENS1_25partition_config_selectorILNS1_17partition_subalgoE5ElNS0_10empty_typeEbEEZZNS1_14partition_implILS5_5ELb0ES3_mN6hipcub16HIPCUB_304000_NS21CountingInputIteratorIllEEPS6_NSA_22TransformInputIteratorIbN2at6native12_GLOBAL__N_19NonZeroOpIhEEPKhlEENS0_5tupleIJPlS6_EEENSN_IJSD_SD_EEES6_PiJS6_EEE10hipError_tPvRmT3_T4_T5_T6_T7_T9_mT8_P12ihipStream_tbDpT10_ENKUlT_T0_E_clISt17integral_constantIbLb0EES1B_EEDaS16_S17_EUlS16_E_NS1_11comp_targetILNS1_3genE2ELNS1_11target_archE906ELNS1_3gpuE6ELNS1_3repE0EEENS1_30default_config_static_selectorELNS0_4arch9wavefront6targetE0EEEvT1_,"axG",@progbits,_ZN7rocprim17ROCPRIM_400000_NS6detail17trampoline_kernelINS0_14default_configENS1_25partition_config_selectorILNS1_17partition_subalgoE5ElNS0_10empty_typeEbEEZZNS1_14partition_implILS5_5ELb0ES3_mN6hipcub16HIPCUB_304000_NS21CountingInputIteratorIllEEPS6_NSA_22TransformInputIteratorIbN2at6native12_GLOBAL__N_19NonZeroOpIhEEPKhlEENS0_5tupleIJPlS6_EEENSN_IJSD_SD_EEES6_PiJS6_EEE10hipError_tPvRmT3_T4_T5_T6_T7_T9_mT8_P12ihipStream_tbDpT10_ENKUlT_T0_E_clISt17integral_constantIbLb0EES1B_EEDaS16_S17_EUlS16_E_NS1_11comp_targetILNS1_3genE2ELNS1_11target_archE906ELNS1_3gpuE6ELNS1_3repE0EEENS1_30default_config_static_selectorELNS0_4arch9wavefront6targetE0EEEvT1_,comdat
.Lfunc_end42:
	.size	_ZN7rocprim17ROCPRIM_400000_NS6detail17trampoline_kernelINS0_14default_configENS1_25partition_config_selectorILNS1_17partition_subalgoE5ElNS0_10empty_typeEbEEZZNS1_14partition_implILS5_5ELb0ES3_mN6hipcub16HIPCUB_304000_NS21CountingInputIteratorIllEEPS6_NSA_22TransformInputIteratorIbN2at6native12_GLOBAL__N_19NonZeroOpIhEEPKhlEENS0_5tupleIJPlS6_EEENSN_IJSD_SD_EEES6_PiJS6_EEE10hipError_tPvRmT3_T4_T5_T6_T7_T9_mT8_P12ihipStream_tbDpT10_ENKUlT_T0_E_clISt17integral_constantIbLb0EES1B_EEDaS16_S17_EUlS16_E_NS1_11comp_targetILNS1_3genE2ELNS1_11target_archE906ELNS1_3gpuE6ELNS1_3repE0EEENS1_30default_config_static_selectorELNS0_4arch9wavefront6targetE0EEEvT1_, .Lfunc_end42-_ZN7rocprim17ROCPRIM_400000_NS6detail17trampoline_kernelINS0_14default_configENS1_25partition_config_selectorILNS1_17partition_subalgoE5ElNS0_10empty_typeEbEEZZNS1_14partition_implILS5_5ELb0ES3_mN6hipcub16HIPCUB_304000_NS21CountingInputIteratorIllEEPS6_NSA_22TransformInputIteratorIbN2at6native12_GLOBAL__N_19NonZeroOpIhEEPKhlEENS0_5tupleIJPlS6_EEENSN_IJSD_SD_EEES6_PiJS6_EEE10hipError_tPvRmT3_T4_T5_T6_T7_T9_mT8_P12ihipStream_tbDpT10_ENKUlT_T0_E_clISt17integral_constantIbLb0EES1B_EEDaS16_S17_EUlS16_E_NS1_11comp_targetILNS1_3genE2ELNS1_11target_archE906ELNS1_3gpuE6ELNS1_3repE0EEENS1_30default_config_static_selectorELNS0_4arch9wavefront6targetE0EEEvT1_
                                        ; -- End function
	.set _ZN7rocprim17ROCPRIM_400000_NS6detail17trampoline_kernelINS0_14default_configENS1_25partition_config_selectorILNS1_17partition_subalgoE5ElNS0_10empty_typeEbEEZZNS1_14partition_implILS5_5ELb0ES3_mN6hipcub16HIPCUB_304000_NS21CountingInputIteratorIllEEPS6_NSA_22TransformInputIteratorIbN2at6native12_GLOBAL__N_19NonZeroOpIhEEPKhlEENS0_5tupleIJPlS6_EEENSN_IJSD_SD_EEES6_PiJS6_EEE10hipError_tPvRmT3_T4_T5_T6_T7_T9_mT8_P12ihipStream_tbDpT10_ENKUlT_T0_E_clISt17integral_constantIbLb0EES1B_EEDaS16_S17_EUlS16_E_NS1_11comp_targetILNS1_3genE2ELNS1_11target_archE906ELNS1_3gpuE6ELNS1_3repE0EEENS1_30default_config_static_selectorELNS0_4arch9wavefront6targetE0EEEvT1_.num_vgpr, 0
	.set _ZN7rocprim17ROCPRIM_400000_NS6detail17trampoline_kernelINS0_14default_configENS1_25partition_config_selectorILNS1_17partition_subalgoE5ElNS0_10empty_typeEbEEZZNS1_14partition_implILS5_5ELb0ES3_mN6hipcub16HIPCUB_304000_NS21CountingInputIteratorIllEEPS6_NSA_22TransformInputIteratorIbN2at6native12_GLOBAL__N_19NonZeroOpIhEEPKhlEENS0_5tupleIJPlS6_EEENSN_IJSD_SD_EEES6_PiJS6_EEE10hipError_tPvRmT3_T4_T5_T6_T7_T9_mT8_P12ihipStream_tbDpT10_ENKUlT_T0_E_clISt17integral_constantIbLb0EES1B_EEDaS16_S17_EUlS16_E_NS1_11comp_targetILNS1_3genE2ELNS1_11target_archE906ELNS1_3gpuE6ELNS1_3repE0EEENS1_30default_config_static_selectorELNS0_4arch9wavefront6targetE0EEEvT1_.num_agpr, 0
	.set _ZN7rocprim17ROCPRIM_400000_NS6detail17trampoline_kernelINS0_14default_configENS1_25partition_config_selectorILNS1_17partition_subalgoE5ElNS0_10empty_typeEbEEZZNS1_14partition_implILS5_5ELb0ES3_mN6hipcub16HIPCUB_304000_NS21CountingInputIteratorIllEEPS6_NSA_22TransformInputIteratorIbN2at6native12_GLOBAL__N_19NonZeroOpIhEEPKhlEENS0_5tupleIJPlS6_EEENSN_IJSD_SD_EEES6_PiJS6_EEE10hipError_tPvRmT3_T4_T5_T6_T7_T9_mT8_P12ihipStream_tbDpT10_ENKUlT_T0_E_clISt17integral_constantIbLb0EES1B_EEDaS16_S17_EUlS16_E_NS1_11comp_targetILNS1_3genE2ELNS1_11target_archE906ELNS1_3gpuE6ELNS1_3repE0EEENS1_30default_config_static_selectorELNS0_4arch9wavefront6targetE0EEEvT1_.numbered_sgpr, 0
	.set _ZN7rocprim17ROCPRIM_400000_NS6detail17trampoline_kernelINS0_14default_configENS1_25partition_config_selectorILNS1_17partition_subalgoE5ElNS0_10empty_typeEbEEZZNS1_14partition_implILS5_5ELb0ES3_mN6hipcub16HIPCUB_304000_NS21CountingInputIteratorIllEEPS6_NSA_22TransformInputIteratorIbN2at6native12_GLOBAL__N_19NonZeroOpIhEEPKhlEENS0_5tupleIJPlS6_EEENSN_IJSD_SD_EEES6_PiJS6_EEE10hipError_tPvRmT3_T4_T5_T6_T7_T9_mT8_P12ihipStream_tbDpT10_ENKUlT_T0_E_clISt17integral_constantIbLb0EES1B_EEDaS16_S17_EUlS16_E_NS1_11comp_targetILNS1_3genE2ELNS1_11target_archE906ELNS1_3gpuE6ELNS1_3repE0EEENS1_30default_config_static_selectorELNS0_4arch9wavefront6targetE0EEEvT1_.num_named_barrier, 0
	.set _ZN7rocprim17ROCPRIM_400000_NS6detail17trampoline_kernelINS0_14default_configENS1_25partition_config_selectorILNS1_17partition_subalgoE5ElNS0_10empty_typeEbEEZZNS1_14partition_implILS5_5ELb0ES3_mN6hipcub16HIPCUB_304000_NS21CountingInputIteratorIllEEPS6_NSA_22TransformInputIteratorIbN2at6native12_GLOBAL__N_19NonZeroOpIhEEPKhlEENS0_5tupleIJPlS6_EEENSN_IJSD_SD_EEES6_PiJS6_EEE10hipError_tPvRmT3_T4_T5_T6_T7_T9_mT8_P12ihipStream_tbDpT10_ENKUlT_T0_E_clISt17integral_constantIbLb0EES1B_EEDaS16_S17_EUlS16_E_NS1_11comp_targetILNS1_3genE2ELNS1_11target_archE906ELNS1_3gpuE6ELNS1_3repE0EEENS1_30default_config_static_selectorELNS0_4arch9wavefront6targetE0EEEvT1_.private_seg_size, 0
	.set _ZN7rocprim17ROCPRIM_400000_NS6detail17trampoline_kernelINS0_14default_configENS1_25partition_config_selectorILNS1_17partition_subalgoE5ElNS0_10empty_typeEbEEZZNS1_14partition_implILS5_5ELb0ES3_mN6hipcub16HIPCUB_304000_NS21CountingInputIteratorIllEEPS6_NSA_22TransformInputIteratorIbN2at6native12_GLOBAL__N_19NonZeroOpIhEEPKhlEENS0_5tupleIJPlS6_EEENSN_IJSD_SD_EEES6_PiJS6_EEE10hipError_tPvRmT3_T4_T5_T6_T7_T9_mT8_P12ihipStream_tbDpT10_ENKUlT_T0_E_clISt17integral_constantIbLb0EES1B_EEDaS16_S17_EUlS16_E_NS1_11comp_targetILNS1_3genE2ELNS1_11target_archE906ELNS1_3gpuE6ELNS1_3repE0EEENS1_30default_config_static_selectorELNS0_4arch9wavefront6targetE0EEEvT1_.uses_vcc, 0
	.set _ZN7rocprim17ROCPRIM_400000_NS6detail17trampoline_kernelINS0_14default_configENS1_25partition_config_selectorILNS1_17partition_subalgoE5ElNS0_10empty_typeEbEEZZNS1_14partition_implILS5_5ELb0ES3_mN6hipcub16HIPCUB_304000_NS21CountingInputIteratorIllEEPS6_NSA_22TransformInputIteratorIbN2at6native12_GLOBAL__N_19NonZeroOpIhEEPKhlEENS0_5tupleIJPlS6_EEENSN_IJSD_SD_EEES6_PiJS6_EEE10hipError_tPvRmT3_T4_T5_T6_T7_T9_mT8_P12ihipStream_tbDpT10_ENKUlT_T0_E_clISt17integral_constantIbLb0EES1B_EEDaS16_S17_EUlS16_E_NS1_11comp_targetILNS1_3genE2ELNS1_11target_archE906ELNS1_3gpuE6ELNS1_3repE0EEENS1_30default_config_static_selectorELNS0_4arch9wavefront6targetE0EEEvT1_.uses_flat_scratch, 0
	.set _ZN7rocprim17ROCPRIM_400000_NS6detail17trampoline_kernelINS0_14default_configENS1_25partition_config_selectorILNS1_17partition_subalgoE5ElNS0_10empty_typeEbEEZZNS1_14partition_implILS5_5ELb0ES3_mN6hipcub16HIPCUB_304000_NS21CountingInputIteratorIllEEPS6_NSA_22TransformInputIteratorIbN2at6native12_GLOBAL__N_19NonZeroOpIhEEPKhlEENS0_5tupleIJPlS6_EEENSN_IJSD_SD_EEES6_PiJS6_EEE10hipError_tPvRmT3_T4_T5_T6_T7_T9_mT8_P12ihipStream_tbDpT10_ENKUlT_T0_E_clISt17integral_constantIbLb0EES1B_EEDaS16_S17_EUlS16_E_NS1_11comp_targetILNS1_3genE2ELNS1_11target_archE906ELNS1_3gpuE6ELNS1_3repE0EEENS1_30default_config_static_selectorELNS0_4arch9wavefront6targetE0EEEvT1_.has_dyn_sized_stack, 0
	.set _ZN7rocprim17ROCPRIM_400000_NS6detail17trampoline_kernelINS0_14default_configENS1_25partition_config_selectorILNS1_17partition_subalgoE5ElNS0_10empty_typeEbEEZZNS1_14partition_implILS5_5ELb0ES3_mN6hipcub16HIPCUB_304000_NS21CountingInputIteratorIllEEPS6_NSA_22TransformInputIteratorIbN2at6native12_GLOBAL__N_19NonZeroOpIhEEPKhlEENS0_5tupleIJPlS6_EEENSN_IJSD_SD_EEES6_PiJS6_EEE10hipError_tPvRmT3_T4_T5_T6_T7_T9_mT8_P12ihipStream_tbDpT10_ENKUlT_T0_E_clISt17integral_constantIbLb0EES1B_EEDaS16_S17_EUlS16_E_NS1_11comp_targetILNS1_3genE2ELNS1_11target_archE906ELNS1_3gpuE6ELNS1_3repE0EEENS1_30default_config_static_selectorELNS0_4arch9wavefront6targetE0EEEvT1_.has_recursion, 0
	.set _ZN7rocprim17ROCPRIM_400000_NS6detail17trampoline_kernelINS0_14default_configENS1_25partition_config_selectorILNS1_17partition_subalgoE5ElNS0_10empty_typeEbEEZZNS1_14partition_implILS5_5ELb0ES3_mN6hipcub16HIPCUB_304000_NS21CountingInputIteratorIllEEPS6_NSA_22TransformInputIteratorIbN2at6native12_GLOBAL__N_19NonZeroOpIhEEPKhlEENS0_5tupleIJPlS6_EEENSN_IJSD_SD_EEES6_PiJS6_EEE10hipError_tPvRmT3_T4_T5_T6_T7_T9_mT8_P12ihipStream_tbDpT10_ENKUlT_T0_E_clISt17integral_constantIbLb0EES1B_EEDaS16_S17_EUlS16_E_NS1_11comp_targetILNS1_3genE2ELNS1_11target_archE906ELNS1_3gpuE6ELNS1_3repE0EEENS1_30default_config_static_selectorELNS0_4arch9wavefront6targetE0EEEvT1_.has_indirect_call, 0
	.section	.AMDGPU.csdata,"",@progbits
; Kernel info:
; codeLenInByte = 0
; TotalNumSgprs: 0
; NumVgprs: 0
; ScratchSize: 0
; MemoryBound: 0
; FloatMode: 240
; IeeeMode: 1
; LDSByteSize: 0 bytes/workgroup (compile time only)
; SGPRBlocks: 0
; VGPRBlocks: 0
; NumSGPRsForWavesPerEU: 1
; NumVGPRsForWavesPerEU: 1
; Occupancy: 16
; WaveLimiterHint : 0
; COMPUTE_PGM_RSRC2:SCRATCH_EN: 0
; COMPUTE_PGM_RSRC2:USER_SGPR: 2
; COMPUTE_PGM_RSRC2:TRAP_HANDLER: 0
; COMPUTE_PGM_RSRC2:TGID_X_EN: 1
; COMPUTE_PGM_RSRC2:TGID_Y_EN: 0
; COMPUTE_PGM_RSRC2:TGID_Z_EN: 0
; COMPUTE_PGM_RSRC2:TIDIG_COMP_CNT: 0
	.section	.text._ZN7rocprim17ROCPRIM_400000_NS6detail17trampoline_kernelINS0_14default_configENS1_25partition_config_selectorILNS1_17partition_subalgoE5ElNS0_10empty_typeEbEEZZNS1_14partition_implILS5_5ELb0ES3_mN6hipcub16HIPCUB_304000_NS21CountingInputIteratorIllEEPS6_NSA_22TransformInputIteratorIbN2at6native12_GLOBAL__N_19NonZeroOpIhEEPKhlEENS0_5tupleIJPlS6_EEENSN_IJSD_SD_EEES6_PiJS6_EEE10hipError_tPvRmT3_T4_T5_T6_T7_T9_mT8_P12ihipStream_tbDpT10_ENKUlT_T0_E_clISt17integral_constantIbLb0EES1B_EEDaS16_S17_EUlS16_E_NS1_11comp_targetILNS1_3genE10ELNS1_11target_archE1200ELNS1_3gpuE4ELNS1_3repE0EEENS1_30default_config_static_selectorELNS0_4arch9wavefront6targetE0EEEvT1_,"axG",@progbits,_ZN7rocprim17ROCPRIM_400000_NS6detail17trampoline_kernelINS0_14default_configENS1_25partition_config_selectorILNS1_17partition_subalgoE5ElNS0_10empty_typeEbEEZZNS1_14partition_implILS5_5ELb0ES3_mN6hipcub16HIPCUB_304000_NS21CountingInputIteratorIllEEPS6_NSA_22TransformInputIteratorIbN2at6native12_GLOBAL__N_19NonZeroOpIhEEPKhlEENS0_5tupleIJPlS6_EEENSN_IJSD_SD_EEES6_PiJS6_EEE10hipError_tPvRmT3_T4_T5_T6_T7_T9_mT8_P12ihipStream_tbDpT10_ENKUlT_T0_E_clISt17integral_constantIbLb0EES1B_EEDaS16_S17_EUlS16_E_NS1_11comp_targetILNS1_3genE10ELNS1_11target_archE1200ELNS1_3gpuE4ELNS1_3repE0EEENS1_30default_config_static_selectorELNS0_4arch9wavefront6targetE0EEEvT1_,comdat
	.globl	_ZN7rocprim17ROCPRIM_400000_NS6detail17trampoline_kernelINS0_14default_configENS1_25partition_config_selectorILNS1_17partition_subalgoE5ElNS0_10empty_typeEbEEZZNS1_14partition_implILS5_5ELb0ES3_mN6hipcub16HIPCUB_304000_NS21CountingInputIteratorIllEEPS6_NSA_22TransformInputIteratorIbN2at6native12_GLOBAL__N_19NonZeroOpIhEEPKhlEENS0_5tupleIJPlS6_EEENSN_IJSD_SD_EEES6_PiJS6_EEE10hipError_tPvRmT3_T4_T5_T6_T7_T9_mT8_P12ihipStream_tbDpT10_ENKUlT_T0_E_clISt17integral_constantIbLb0EES1B_EEDaS16_S17_EUlS16_E_NS1_11comp_targetILNS1_3genE10ELNS1_11target_archE1200ELNS1_3gpuE4ELNS1_3repE0EEENS1_30default_config_static_selectorELNS0_4arch9wavefront6targetE0EEEvT1_ ; -- Begin function _ZN7rocprim17ROCPRIM_400000_NS6detail17trampoline_kernelINS0_14default_configENS1_25partition_config_selectorILNS1_17partition_subalgoE5ElNS0_10empty_typeEbEEZZNS1_14partition_implILS5_5ELb0ES3_mN6hipcub16HIPCUB_304000_NS21CountingInputIteratorIllEEPS6_NSA_22TransformInputIteratorIbN2at6native12_GLOBAL__N_19NonZeroOpIhEEPKhlEENS0_5tupleIJPlS6_EEENSN_IJSD_SD_EEES6_PiJS6_EEE10hipError_tPvRmT3_T4_T5_T6_T7_T9_mT8_P12ihipStream_tbDpT10_ENKUlT_T0_E_clISt17integral_constantIbLb0EES1B_EEDaS16_S17_EUlS16_E_NS1_11comp_targetILNS1_3genE10ELNS1_11target_archE1200ELNS1_3gpuE4ELNS1_3repE0EEENS1_30default_config_static_selectorELNS0_4arch9wavefront6targetE0EEEvT1_
	.p2align	8
	.type	_ZN7rocprim17ROCPRIM_400000_NS6detail17trampoline_kernelINS0_14default_configENS1_25partition_config_selectorILNS1_17partition_subalgoE5ElNS0_10empty_typeEbEEZZNS1_14partition_implILS5_5ELb0ES3_mN6hipcub16HIPCUB_304000_NS21CountingInputIteratorIllEEPS6_NSA_22TransformInputIteratorIbN2at6native12_GLOBAL__N_19NonZeroOpIhEEPKhlEENS0_5tupleIJPlS6_EEENSN_IJSD_SD_EEES6_PiJS6_EEE10hipError_tPvRmT3_T4_T5_T6_T7_T9_mT8_P12ihipStream_tbDpT10_ENKUlT_T0_E_clISt17integral_constantIbLb0EES1B_EEDaS16_S17_EUlS16_E_NS1_11comp_targetILNS1_3genE10ELNS1_11target_archE1200ELNS1_3gpuE4ELNS1_3repE0EEENS1_30default_config_static_selectorELNS0_4arch9wavefront6targetE0EEEvT1_,@function
_ZN7rocprim17ROCPRIM_400000_NS6detail17trampoline_kernelINS0_14default_configENS1_25partition_config_selectorILNS1_17partition_subalgoE5ElNS0_10empty_typeEbEEZZNS1_14partition_implILS5_5ELb0ES3_mN6hipcub16HIPCUB_304000_NS21CountingInputIteratorIllEEPS6_NSA_22TransformInputIteratorIbN2at6native12_GLOBAL__N_19NonZeroOpIhEEPKhlEENS0_5tupleIJPlS6_EEENSN_IJSD_SD_EEES6_PiJS6_EEE10hipError_tPvRmT3_T4_T5_T6_T7_T9_mT8_P12ihipStream_tbDpT10_ENKUlT_T0_E_clISt17integral_constantIbLb0EES1B_EEDaS16_S17_EUlS16_E_NS1_11comp_targetILNS1_3genE10ELNS1_11target_archE1200ELNS1_3gpuE4ELNS1_3repE0EEENS1_30default_config_static_selectorELNS0_4arch9wavefront6targetE0EEEvT1_: ; @_ZN7rocprim17ROCPRIM_400000_NS6detail17trampoline_kernelINS0_14default_configENS1_25partition_config_selectorILNS1_17partition_subalgoE5ElNS0_10empty_typeEbEEZZNS1_14partition_implILS5_5ELb0ES3_mN6hipcub16HIPCUB_304000_NS21CountingInputIteratorIllEEPS6_NSA_22TransformInputIteratorIbN2at6native12_GLOBAL__N_19NonZeroOpIhEEPKhlEENS0_5tupleIJPlS6_EEENSN_IJSD_SD_EEES6_PiJS6_EEE10hipError_tPvRmT3_T4_T5_T6_T7_T9_mT8_P12ihipStream_tbDpT10_ENKUlT_T0_E_clISt17integral_constantIbLb0EES1B_EEDaS16_S17_EUlS16_E_NS1_11comp_targetILNS1_3genE10ELNS1_11target_archE1200ELNS1_3gpuE4ELNS1_3repE0EEENS1_30default_config_static_selectorELNS0_4arch9wavefront6targetE0EEEvT1_
; %bb.0:
	s_clause 0x3
	s_load_b128 s[8:11], s[0:1], 0x48
	s_load_b32 s16, s[0:1], 0x70
	s_load_b128 s[4:7], s[0:1], 0x8
	s_load_b64 s[2:3], s[0:1], 0x58
	s_mov_b32 s13, 0
	s_lshl_b32 s12, ttmp9, 10
	s_mov_b32 s15, s13
	v_lshrrev_b32_e32 v12, 2, v0
	v_or_b32_e32 v9, 0x200, v0
	v_or_b32_e32 v10, 0x300, v0
	v_and_b32_e32 v11, 0xf8, v0
	s_mov_b32 s19, -1
	s_wait_kmcnt 0x0
	s_load_b64 s[10:11], s[10:11], 0x0
	s_lshl_b32 s14, s16, 10
	s_add_co_i32 s16, s16, -1
	s_add_nc_u64 s[14:15], s[6:7], s[14:15]
	s_lshl_b32 s17, s16, 10
	v_cmp_le_u64_e64 s14, s[2:3], s[14:15]
	s_add_co_i32 s3, s6, s17
	s_cmp_eq_u32 ttmp9, s16
	s_add_nc_u64 s[4:5], s[6:7], s[4:5]
	s_cselect_b32 s16, -1, 0
	s_delay_alu instid0(SALU_CYCLE_1) | instskip(SKIP_2) | instid1(SALU_CYCLE_1)
	s_and_b32 s14, s16, s14
	s_wait_alu 0xfffe
	s_xor_b32 s17, s14, -1
	s_and_b32 vcc_lo, exec_lo, s17
	s_cbranch_vccz .LBB43_2
; %bb.1:
	v_or_b32_e32 v7, 0x100, v0
	v_or_b32_e32 v1, s12, v0
	v_lshrrev_b32_e32 v8, 2, v9
	v_lshrrev_b32_e32 v13, 2, v10
	v_and_b32_e32 v14, 56, v12
	v_lshrrev_b32_e32 v7, 2, v7
	v_add_co_u32 v1, s14, s4, v1
	s_wait_alu 0xf1ff
	v_add_co_ci_u32_e64 v2, null, s5, 0, s14
	v_lshlrev_b32_e32 v15, 3, v0
	v_and_b32_e32 v16, 0x78, v7
	v_add_co_u32 v3, vcc_lo, 0x100, v1
	v_and_b32_e32 v17, 0xb8, v8
	v_and_b32_e32 v13, 0xf8, v13
	v_add_co_ci_u32_e64 v4, null, 0, v2, vcc_lo
	v_add_co_u32 v5, vcc_lo, 0x200, v1
	v_add_nc_u32_e32 v14, v14, v15
	s_wait_alu 0xfffd
	v_add_co_ci_u32_e64 v6, null, 0, v2, vcc_lo
	v_add_co_u32 v7, vcc_lo, 0x300, v1
	v_add_nc_u32_e32 v16, v16, v15
	v_add_nc_u32_e32 v17, v17, v15
	s_wait_alu 0xfffd
	v_add_co_ci_u32_e64 v8, null, 0, v2, vcc_lo
	v_add_nc_u32_e32 v13, v13, v15
	ds_store_b64 v14, v[1:2]
	ds_store_b64 v16, v[3:4] offset:2048
	ds_store_b64 v17, v[5:6] offset:4096
	ds_store_b64 v13, v[7:8] offset:6144
	v_lshl_add_u32 v1, v0, 5, v11
	s_wait_dscnt 0x0
	s_barrier_signal -1
	s_barrier_wait -1
	global_inv scope:SCOPE_SE
	ds_load_2addr_b64 v[5:8], v1 offset1:1
	ds_load_2addr_b64 v[1:4], v1 offset0:2 offset1:3
	s_mov_b32 s19, s13
	s_branch .LBB43_3
.LBB43_2:
                                        ; implicit-def: $vgpr3_vgpr4
                                        ; implicit-def: $vgpr7_vgpr8
.LBB43_3:
	s_load_b64 s[14:15], s[0:1], 0x20
	s_sub_co_i32 s18, s2, s3
	s_and_not1_b32 vcc_lo, exec_lo, s19
	v_cmp_gt_u32_e64 s2, s18, v0
	s_wait_alu 0xfffe
	s_cbranch_vccnz .LBB43_5
; %bb.4:
	s_wait_dscnt 0x1
	v_or_b32_e32 v7, 0x100, v0
	s_add_nc_u64 s[4:5], s[4:5], s[12:13]
	v_lshrrev_b32_e32 v14, 2, v9
	s_wait_dscnt 0x0
	s_wait_alu 0xfffe
	v_add_co_u32 v1, s3, s4, v0
	s_wait_alu 0xf1ff
	v_add_co_ci_u32_e64 v2, null, s5, 0, s3
	v_add_co_u32 v3, s3, s4, v7
	s_wait_alu 0xf1ff
	v_add_co_ci_u32_e64 v4, null, s5, 0, s3
	v_cmp_gt_u32_e32 vcc_lo, s18, v7
	v_add_co_u32 v13, s3, s4, v10
	s_wait_alu 0xf1ff
	v_add_co_ci_u32_e64 v8, null, s5, 0, s3
	s_wait_alu 0xfffd
	v_dual_cndmask_b32 v4, 0, v4 :: v_dual_cndmask_b32 v3, 0, v3
	v_cmp_gt_u32_e32 vcc_lo, s18, v10
	v_lshrrev_b32_e32 v7, 2, v7
	v_lshrrev_b32_e32 v15, 2, v10
	v_cndmask_b32_e64 v2, 0, v2, s2
	v_cndmask_b32_e64 v1, 0, v1, s2
	v_add_co_u32 v5, s2, s4, v9
	v_and_b32_e32 v12, 56, v12
	v_lshlrev_b32_e32 v16, 3, v0
	s_wait_alu 0xfffd
	v_dual_cndmask_b32 v8, 0, v8 :: v_dual_and_b32 v17, 0x78, v7
	s_wait_alu 0xf1ff
	v_add_co_ci_u32_e64 v6, null, s5, 0, s2
	v_cmp_gt_u32_e64 s2, s18, v9
	v_and_b32_e32 v14, 0xb8, v14
	v_and_b32_e32 v15, 0xf8, v15
	v_dual_cndmask_b32 v7, 0, v13 :: v_dual_add_nc_u32 v12, v12, v16
	v_add_nc_u32_e32 v13, v17, v16
	s_wait_alu 0xf1ff
	v_cndmask_b32_e64 v6, 0, v6, s2
	v_cndmask_b32_e64 v5, 0, v5, s2
	v_add_nc_u32_e32 v14, v14, v16
	v_add_nc_u32_e32 v15, v15, v16
	ds_store_b64 v12, v[1:2]
	ds_store_b64 v13, v[3:4] offset:2048
	ds_store_b64 v14, v[5:6] offset:4096
	;; [unrolled: 1-line block ×3, first 2 shown]
	v_lshl_add_u32 v1, v0, 5, v11
	s_wait_loadcnt_dscnt 0x0
	s_barrier_signal -1
	s_barrier_wait -1
	global_inv scope:SCOPE_SE
	ds_load_2addr_b64 v[5:8], v1 offset1:1
	ds_load_2addr_b64 v[1:4], v1 offset0:2 offset1:3
.LBB43_5:
	v_lshrrev_b32_e32 v26, 5, v0
	s_wait_kmcnt 0x0
	s_add_nc_u64 s[2:3], s[14:15], s[6:7]
	s_and_b32 vcc_lo, exec_lo, s17
	s_wait_alu 0xfffe
	s_add_nc_u64 s[2:3], s[2:3], s[12:13]
	s_mov_b32 s4, -1
	s_wait_loadcnt_dscnt 0x0
	s_barrier_signal -1
	s_barrier_wait -1
	global_inv scope:SCOPE_SE
	s_cbranch_vccz .LBB43_7
; %bb.6:
	s_clause 0x3
	global_load_u8 v11, v0, s[2:3]
	global_load_u8 v12, v0, s[2:3] offset:256
	global_load_u8 v13, v0, s[2:3] offset:512
	;; [unrolled: 1-line block ×3, first 2 shown]
	v_or_b32_e32 v15, 0x100, v0
	v_lshrrev_b32_e32 v16, 5, v9
	v_lshrrev_b32_e32 v17, 5, v10
	v_and_b32_e32 v18, 4, v26
	s_mov_b32 s4, 0
	v_lshrrev_b32_e32 v15, 5, v15
	v_and_b32_e32 v16, 20, v16
	v_and_b32_e32 v17, 28, v17
	v_add_nc_u32_e32 v18, v18, v0
	s_delay_alu instid0(VALU_DEP_4) | instskip(NEXT) | instid1(VALU_DEP_4)
	v_and_b32_e32 v15, 12, v15
	v_add_nc_u32_e32 v16, v16, v0
	s_delay_alu instid0(VALU_DEP_4) | instskip(NEXT) | instid1(VALU_DEP_3)
	v_add_nc_u32_e32 v17, v17, v0
	v_add_nc_u32_e32 v15, v15, v0
	s_wait_loadcnt 0x3
	v_cmp_ne_u16_e32 vcc_lo, 0, v11
	s_wait_alu 0xfffd
	v_cndmask_b32_e64 v11, 0, 1, vcc_lo
	s_wait_loadcnt 0x2
	v_cmp_ne_u16_e32 vcc_lo, 0, v12
	s_wait_alu 0xfffd
	v_cndmask_b32_e64 v12, 0, 1, vcc_lo
	;; [unrolled: 4-line block ×4, first 2 shown]
	ds_store_b8 v18, v11
	ds_store_b8 v15, v12 offset:256
	ds_store_b8 v16, v13 offset:512
	;; [unrolled: 1-line block ×3, first 2 shown]
	s_wait_dscnt 0x0
	s_barrier_signal -1
	s_barrier_wait -1
.LBB43_7:
	s_wait_alu 0xfffe
	s_and_not1_b32 vcc_lo, exec_lo, s4
	s_wait_alu 0xfffe
	s_cbranch_vccnz .LBB43_15
; %bb.8:
	v_dual_mov_b32 v11, 0 :: v_dual_mov_b32 v12, 0
	s_mov_b32 s4, exec_lo
	v_cmpx_gt_u32_e64 s18, v0
	s_cbranch_execz .LBB43_10
; %bb.9:
	global_load_u8 v11, v0, s[2:3]
	s_wait_loadcnt 0x0
	v_cmp_ne_u16_e32 vcc_lo, 0, v11
	s_wait_alu 0xfffd
	v_cndmask_b32_e64 v11, 0, 1, vcc_lo
	v_cndmask_b32_e64 v12, 0, 1, vcc_lo
.LBB43_10:
	s_wait_alu 0xfffe
	s_or_b32 exec_lo, exec_lo, s4
	v_or_b32_e32 v13, 0x100, v0
	s_mov_b32 s4, exec_lo
	s_delay_alu instid0(VALU_DEP_1)
	v_cmpx_gt_u32_e64 s18, v13
	s_cbranch_execnz .LBB43_129
; %bb.11:
	s_wait_alu 0xfffe
	s_or_b32 exec_lo, exec_lo, s4
	s_delay_alu instid0(SALU_CYCLE_1)
	s_mov_b32 s4, exec_lo
	v_cmpx_gt_u32_e64 s18, v9
	s_cbranch_execnz .LBB43_130
.LBB43_12:
	s_wait_alu 0xfffe
	s_or_b32 exec_lo, exec_lo, s4
	s_delay_alu instid0(SALU_CYCLE_1)
	s_mov_b32 s4, exec_lo
	v_cmpx_gt_u32_e64 s18, v10
	s_cbranch_execz .LBB43_14
.LBB43_13:
	global_load_u8 v14, v0, s[2:3] offset:768
	v_lshrrev_b32_e32 v15, 16, v12
	s_wait_loadcnt 0x0
	v_cmp_ne_u16_e32 vcc_lo, 0, v14
	s_wait_alu 0xfffd
	v_cndmask_b32_e64 v14, 0, 1, vcc_lo
	s_delay_alu instid0(VALU_DEP_1) | instskip(NEXT) | instid1(VALU_DEP_1)
	v_lshlrev_b16 v14, 8, v14
	v_or_b32_e32 v14, v15, v14
	s_delay_alu instid0(VALU_DEP_1) | instskip(NEXT) | instid1(VALU_DEP_1)
	v_lshlrev_b32_e32 v14, 16, v14
	v_and_or_b32 v12, 0xffff, v12, v14
.LBB43_14:
	s_wait_alu 0xfffe
	s_or_b32 exec_lo, exec_lo, s4
	v_lshrrev_b32_e32 v13, 5, v13
	v_lshrrev_b32_e32 v9, 5, v9
	;; [unrolled: 1-line block ×3, first 2 shown]
	v_and_b32_e32 v14, 4, v26
	v_lshrrev_b32_e32 v15, 8, v12
	v_and_b32_e32 v13, 12, v13
	v_and_b32_e32 v9, 28, v9
	v_and_b32_e32 v10, 28, v10
	v_add_nc_u32_e32 v14, v14, v0
	v_lshrrev_b32_e32 v16, 24, v12
	v_add_nc_u32_e32 v13, v13, v0
	v_add_nc_u32_e32 v9, v9, v0
	;; [unrolled: 1-line block ×3, first 2 shown]
	ds_store_b8 v14, v11
	ds_store_b8 v13, v15 offset:256
	ds_store_b8_d16_hi v9, v12 offset:512
	ds_store_b8 v10, v16 offset:768
	s_wait_loadcnt_dscnt 0x0
	s_barrier_signal -1
	s_barrier_wait -1
.LBB43_15:
	v_lshrrev_b32_e32 v9, 3, v0
	s_wait_loadcnt 0x0
	global_inv scope:SCOPE_SE
	s_load_b64 s[6:7], s[0:1], 0x68
	v_mbcnt_lo_u32_b32 v31, -1, 0
	s_cmp_lg_u32 ttmp9, 0
	v_dual_mov_b32 v10, 0 :: v_dual_and_b32 v9, 28, v9
	s_mov_b32 s3, -1
	s_delay_alu instid0(VALU_DEP_2) | instskip(NEXT) | instid1(VALU_DEP_2)
	v_and_b32_e32 v32, 15, v31
	v_lshl_add_u32 v9, v0, 2, v9
	ds_load_b32 v27, v9
	s_wait_loadcnt_dscnt 0x0
	s_barrier_signal -1
	s_barrier_wait -1
	global_inv scope:SCOPE_SE
	v_and_b32_e32 v30, 0xff, v27
	v_bfe_u32 v29, v27, 8, 8
	v_bfe_u32 v28, v27, 16, 8
	v_lshrrev_b32_e32 v25, 24, v27
	s_delay_alu instid0(VALU_DEP_2) | instskip(NEXT) | instid1(VALU_DEP_1)
	v_add3_u32 v9, v29, v30, v28
	v_add_co_u32 v17, s2, v9, v25
	s_wait_alu 0xf1ff
	v_add_co_ci_u32_e64 v18, null, 0, 0, s2
	v_cmp_ne_u32_e64 s2, 0, v32
	s_cbranch_scc0 .LBB43_72
; %bb.16:
	v_mov_b32_e32 v11, v17
	v_mov_b32_dpp v9, v17 row_shr:1 row_mask:0xf bank_mask:0xf
	v_mov_b32_dpp v14, v10 row_shr:1 row_mask:0xf bank_mask:0xf
	v_dual_mov_b32 v13, v17 :: v_dual_mov_b32 v12, v18
	s_and_saveexec_b32 s3, s2
; %bb.17:
	s_delay_alu instid0(VALU_DEP_3) | instskip(SKIP_2) | instid1(VALU_DEP_2)
	v_add_co_u32 v13, vcc_lo, v17, v9
	s_wait_alu 0xfffd
	v_add_co_ci_u32_e64 v10, null, 0, v18, vcc_lo
	v_add_co_u32 v9, vcc_lo, 0, v13
	s_wait_alu 0xfffd
	s_delay_alu instid0(VALU_DEP_2) | instskip(NEXT) | instid1(VALU_DEP_1)
	v_add_co_ci_u32_e64 v10, null, v14, v10, vcc_lo
	v_dual_mov_b32 v12, v10 :: v_dual_mov_b32 v11, v9
; %bb.18:
	s_wait_alu 0xfffe
	s_or_b32 exec_lo, exec_lo, s3
	v_mov_b32_dpp v9, v13 row_shr:2 row_mask:0xf bank_mask:0xf
	v_mov_b32_dpp v14, v10 row_shr:2 row_mask:0xf bank_mask:0xf
	s_mov_b32 s3, exec_lo
	v_cmpx_lt_u32_e32 1, v32
; %bb.19:
	s_delay_alu instid0(VALU_DEP_3) | instskip(SKIP_2) | instid1(VALU_DEP_2)
	v_add_co_u32 v13, vcc_lo, v11, v9
	s_wait_alu 0xfffd
	v_add_co_ci_u32_e64 v10, null, 0, v12, vcc_lo
	v_add_co_u32 v9, vcc_lo, 0, v13
	s_wait_alu 0xfffd
	s_delay_alu instid0(VALU_DEP_2) | instskip(NEXT) | instid1(VALU_DEP_1)
	v_add_co_ci_u32_e64 v10, null, v14, v10, vcc_lo
	v_dual_mov_b32 v12, v10 :: v_dual_mov_b32 v11, v9
; %bb.20:
	s_wait_alu 0xfffe
	s_or_b32 exec_lo, exec_lo, s3
	v_mov_b32_dpp v9, v13 row_shr:4 row_mask:0xf bank_mask:0xf
	v_mov_b32_dpp v14, v10 row_shr:4 row_mask:0xf bank_mask:0xf
	s_mov_b32 s3, exec_lo
	v_cmpx_lt_u32_e32 3, v32
	;; [unrolled: 17-line block ×3, first 2 shown]
; %bb.23:
	s_delay_alu instid0(VALU_DEP_3) | instskip(SKIP_2) | instid1(VALU_DEP_2)
	v_add_co_u32 v13, vcc_lo, v11, v14
	s_wait_alu 0xfffd
	v_add_co_ci_u32_e64 v10, null, 0, v12, vcc_lo
	v_add_co_u32 v11, vcc_lo, 0, v13
	s_wait_alu 0xfffd
	s_delay_alu instid0(VALU_DEP_2) | instskip(NEXT) | instid1(VALU_DEP_1)
	v_add_co_ci_u32_e64 v12, null, v9, v10, vcc_lo
	v_mov_b32_e32 v10, v12
; %bb.24:
	s_wait_alu 0xfffe
	s_or_b32 exec_lo, exec_lo, s3
	ds_swizzle_b32 v9, v13 offset:swizzle(BROADCAST,32,15)
	ds_swizzle_b32 v14, v10 offset:swizzle(BROADCAST,32,15)
	v_and_b32_e32 v15, 16, v31
	s_mov_b32 s3, exec_lo
	s_delay_alu instid0(VALU_DEP_1)
	v_cmpx_ne_u32_e32 0, v15
	s_cbranch_execz .LBB43_26
; %bb.25:
	s_wait_dscnt 0x1
	v_add_co_u32 v13, vcc_lo, v11, v9
	s_wait_alu 0xfffd
	v_add_co_ci_u32_e64 v10, null, 0, v12, vcc_lo
	s_delay_alu instid0(VALU_DEP_2) | instskip(SKIP_2) | instid1(VALU_DEP_2)
	v_add_co_u32 v9, vcc_lo, 0, v13
	s_wait_dscnt 0x0
	s_wait_alu 0xfffd
	v_add_co_ci_u32_e64 v10, null, v14, v10, vcc_lo
	s_delay_alu instid0(VALU_DEP_1)
	v_dual_mov_b32 v12, v10 :: v_dual_mov_b32 v11, v9
.LBB43_26:
	s_wait_alu 0xfffe
	s_or_b32 exec_lo, exec_lo, s3
	s_wait_dscnt 0x1
	v_or_b32_e32 v9, 31, v0
	s_mov_b32 s3, exec_lo
	s_delay_alu instid0(VALU_DEP_1)
	v_cmpx_eq_u32_e64 v0, v9
; %bb.27:
	v_lshlrev_b32_e32 v9, 3, v26
	ds_store_b64 v9, v[11:12]
; %bb.28:
	s_wait_alu 0xfffe
	s_or_b32 exec_lo, exec_lo, s3
	s_delay_alu instid0(SALU_CYCLE_1)
	s_mov_b32 s3, exec_lo
	s_wait_loadcnt_dscnt 0x0
	s_barrier_signal -1
	s_barrier_wait -1
	global_inv scope:SCOPE_SE
	v_cmpx_gt_u32_e32 8, v0
	s_cbranch_execz .LBB43_36
; %bb.29:
	v_lshlrev_b32_e32 v9, 3, v0
	s_mov_b32 s4, exec_lo
	ds_load_b64 v[11:12], v9
	s_wait_dscnt 0x0
	v_dual_mov_b32 v15, v11 :: v_dual_and_b32 v14, 7, v31
	v_mov_b32_dpp v19, v11 row_shr:1 row_mask:0xf bank_mask:0xf
	v_mov_b32_dpp v16, v12 row_shr:1 row_mask:0xf bank_mask:0xf
	s_delay_alu instid0(VALU_DEP_3)
	v_cmpx_ne_u32_e32 0, v14
; %bb.30:
	s_delay_alu instid0(VALU_DEP_3) | instskip(SKIP_2) | instid1(VALU_DEP_2)
	v_add_co_u32 v15, vcc_lo, v11, v19
	s_wait_alu 0xfffd
	v_add_co_ci_u32_e64 v12, null, 0, v12, vcc_lo
	v_add_co_u32 v11, vcc_lo, 0, v15
	s_wait_alu 0xfffd
	s_delay_alu instid0(VALU_DEP_2)
	v_add_co_ci_u32_e64 v12, null, v16, v12, vcc_lo
; %bb.31:
	s_wait_alu 0xfffe
	s_or_b32 exec_lo, exec_lo, s4
	v_mov_b32_dpp v19, v15 row_shr:2 row_mask:0xf bank_mask:0xf
	s_delay_alu instid0(VALU_DEP_2)
	v_mov_b32_dpp v16, v12 row_shr:2 row_mask:0xf bank_mask:0xf
	s_mov_b32 s4, exec_lo
	v_cmpx_lt_u32_e32 1, v14
; %bb.32:
	s_delay_alu instid0(VALU_DEP_3) | instskip(SKIP_2) | instid1(VALU_DEP_2)
	v_add_co_u32 v15, vcc_lo, v11, v19
	s_wait_alu 0xfffd
	v_add_co_ci_u32_e64 v12, null, 0, v12, vcc_lo
	v_add_co_u32 v11, vcc_lo, 0, v15
	s_wait_alu 0xfffd
	s_delay_alu instid0(VALU_DEP_2)
	v_add_co_ci_u32_e64 v12, null, v16, v12, vcc_lo
; %bb.33:
	s_wait_alu 0xfffe
	s_or_b32 exec_lo, exec_lo, s4
	v_mov_b32_dpp v16, v15 row_shr:4 row_mask:0xf bank_mask:0xf
	s_delay_alu instid0(VALU_DEP_2)
	v_mov_b32_dpp v15, v12 row_shr:4 row_mask:0xf bank_mask:0xf
	s_mov_b32 s4, exec_lo
	v_cmpx_lt_u32_e32 3, v14
; %bb.34:
	s_delay_alu instid0(VALU_DEP_3) | instskip(SKIP_2) | instid1(VALU_DEP_2)
	v_add_co_u32 v11, vcc_lo, v11, v16
	s_wait_alu 0xfffd
	v_add_co_ci_u32_e64 v12, null, 0, v12, vcc_lo
	v_add_co_u32 v11, vcc_lo, v11, 0
	s_wait_alu 0xfffd
	s_delay_alu instid0(VALU_DEP_2)
	v_add_co_ci_u32_e64 v12, null, v12, v15, vcc_lo
; %bb.35:
	s_wait_alu 0xfffe
	s_or_b32 exec_lo, exec_lo, s4
	ds_store_b64 v9, v[11:12]
.LBB43_36:
	s_wait_alu 0xfffe
	s_or_b32 exec_lo, exec_lo, s3
	s_delay_alu instid0(SALU_CYCLE_1)
	s_mov_b32 s4, exec_lo
	v_cmp_gt_u32_e32 vcc_lo, 32, v0
	s_wait_loadcnt_dscnt 0x0
	s_barrier_signal -1
	s_barrier_wait -1
	global_inv scope:SCOPE_SE
                                        ; implicit-def: $vgpr19_vgpr20
	v_cmpx_lt_u32_e32 31, v0
	s_cbranch_execz .LBB43_38
; %bb.37:
	v_lshl_add_u32 v9, v26, 3, -8
	ds_load_b64 v[19:20], v9
	s_wait_dscnt 0x0
	v_add_co_u32 v13, s3, v13, v19
	s_wait_alu 0xf1ff
	v_add_co_ci_u32_e64 v10, null, v10, v20, s3
.LBB43_38:
	s_wait_alu 0xfffe
	s_or_b32 exec_lo, exec_lo, s4
	v_sub_co_u32 v9, s3, v31, 1
	s_delay_alu instid0(VALU_DEP_1) | instskip(SKIP_1) | instid1(VALU_DEP_1)
	v_cmp_gt_i32_e64 s4, 0, v9
	s_wait_alu 0xf1ff
	v_cndmask_b32_e64 v9, v9, v31, s4
	s_delay_alu instid0(VALU_DEP_1)
	v_lshlrev_b32_e32 v9, 2, v9
	ds_bpermute_b32 v33, v9, v13
	ds_bpermute_b32 v34, v9, v10
	s_and_saveexec_b32 s4, vcc_lo
	s_cbranch_execz .LBB43_77
; %bb.39:
	v_mov_b32_e32 v12, 0
	ds_load_b64 v[9:10], v12 offset:56
	s_and_saveexec_b32 s5, s3
	s_cbranch_execz .LBB43_41
; %bb.40:
	s_add_co_i32 s12, ttmp9, 32
	s_wait_alu 0xfffe
	s_lshl_b64 s[12:13], s[12:13], 4
	s_wait_kmcnt 0x0
	s_wait_alu 0xfffe
	s_add_nc_u64 s[12:13], s[6:7], s[12:13]
	s_wait_alu 0xfffe
	v_dual_mov_b32 v11, 1 :: v_dual_mov_b32 v14, s13
	v_mov_b32_e32 v13, s12
	s_wait_dscnt 0x0
	;;#ASMSTART
	global_store_b128 v[13:14], v[9:12] off scope:SCOPE_DEV	
s_wait_storecnt 0x0
	;;#ASMEND
.LBB43_41:
	s_wait_alu 0xfffe
	s_or_b32 exec_lo, exec_lo, s5
	v_xad_u32 v21, v31, -1, ttmp9
	s_mov_b32 s12, 0
	s_mov_b32 s5, exec_lo
	s_delay_alu instid0(VALU_DEP_1) | instskip(NEXT) | instid1(VALU_DEP_1)
	v_add_nc_u32_e32 v11, 32, v21
	v_lshlrev_b64_e32 v[11:12], 4, v[11:12]
	s_wait_kmcnt 0x0
	s_delay_alu instid0(VALU_DEP_1) | instskip(SKIP_1) | instid1(VALU_DEP_2)
	v_add_co_u32 v11, vcc_lo, s6, v11
	s_wait_alu 0xfffd
	v_add_co_ci_u32_e64 v12, null, s7, v12, vcc_lo
	;;#ASMSTART
	global_load_b128 v[13:16], v[11:12] off scope:SCOPE_DEV	
s_wait_loadcnt 0x0
	;;#ASMEND
	v_and_b32_e32 v16, 0xff, v15
	s_delay_alu instid0(VALU_DEP_1)
	v_cmpx_eq_u16_e32 0, v16
	s_cbranch_execz .LBB43_44
.LBB43_42:                              ; =>This Inner Loop Header: Depth=1
	;;#ASMSTART
	global_load_b128 v[13:16], v[11:12] off scope:SCOPE_DEV	
s_wait_loadcnt 0x0
	;;#ASMEND
	v_and_b32_e32 v16, 0xff, v15
	s_delay_alu instid0(VALU_DEP_1)
	v_cmp_ne_u16_e32 vcc_lo, 0, v16
	s_wait_alu 0xfffe
	s_or_b32 s12, vcc_lo, s12
	s_wait_alu 0xfffe
	s_and_not1_b32 exec_lo, exec_lo, s12
	s_cbranch_execnz .LBB43_42
; %bb.43:
	s_or_b32 exec_lo, exec_lo, s12
.LBB43_44:
	s_wait_alu 0xfffe
	s_or_b32 exec_lo, exec_lo, s5
	v_cmp_ne_u32_e32 vcc_lo, 31, v31
	v_and_b32_e32 v12, 0xff, v15
	v_lshlrev_b32_e64 v36, v31, -1
	s_mov_b32 s5, exec_lo
	s_wait_alu 0xfffd
	v_add_co_ci_u32_e64 v11, null, 0, v31, vcc_lo
	v_cmp_eq_u16_e32 vcc_lo, 2, v12
	s_delay_alu instid0(VALU_DEP_2)
	v_dual_mov_b32 v12, v13 :: v_dual_lshlrev_b32 v35, 2, v11
	s_wait_alu 0xfffd
	v_and_or_b32 v11, vcc_lo, v36, 0x80000000
	ds_bpermute_b32 v22, v35, v13
	ds_bpermute_b32 v16, v35, v14
	v_ctz_i32_b32_e32 v11, v11
	s_delay_alu instid0(VALU_DEP_1)
	v_cmpx_lt_u32_e64 v31, v11
	s_cbranch_execz .LBB43_46
; %bb.45:
	s_wait_dscnt 0x1
	v_add_co_u32 v12, vcc_lo, v13, v22
	s_wait_alu 0xfffd
	v_add_co_ci_u32_e64 v14, null, 0, v14, vcc_lo
	s_delay_alu instid0(VALU_DEP_2) | instskip(SKIP_2) | instid1(VALU_DEP_2)
	v_add_co_u32 v13, vcc_lo, 0, v12
	s_wait_dscnt 0x0
	s_wait_alu 0xfffd
	v_add_co_ci_u32_e64 v14, null, v16, v14, vcc_lo
.LBB43_46:
	s_wait_alu 0xfffe
	s_or_b32 exec_lo, exec_lo, s5
	v_cmp_gt_u32_e32 vcc_lo, 30, v31
	v_add_nc_u32_e32 v38, 2, v31
	s_mov_b32 s5, exec_lo
	s_wait_dscnt 0x0
	s_wait_alu 0xfffd
	v_cndmask_b32_e64 v16, 0, 2, vcc_lo
	s_delay_alu instid0(VALU_DEP_1)
	v_add_lshl_u32 v37, v16, v31, 2
	ds_bpermute_b32 v22, v37, v12
	ds_bpermute_b32 v16, v37, v14
	v_cmpx_le_u32_e64 v38, v11
	s_cbranch_execz .LBB43_48
; %bb.47:
	s_wait_dscnt 0x1
	v_add_co_u32 v12, vcc_lo, v13, v22
	s_wait_alu 0xfffd
	v_add_co_ci_u32_e64 v14, null, 0, v14, vcc_lo
	s_delay_alu instid0(VALU_DEP_2) | instskip(SKIP_2) | instid1(VALU_DEP_2)
	v_add_co_u32 v13, vcc_lo, 0, v12
	s_wait_dscnt 0x0
	s_wait_alu 0xfffd
	v_add_co_ci_u32_e64 v14, null, v16, v14, vcc_lo
.LBB43_48:
	s_wait_alu 0xfffe
	s_or_b32 exec_lo, exec_lo, s5
	v_cmp_gt_u32_e32 vcc_lo, 28, v31
	v_add_nc_u32_e32 v40, 4, v31
	s_mov_b32 s5, exec_lo
	s_wait_dscnt 0x0
	s_wait_alu 0xfffd
	v_cndmask_b32_e64 v16, 0, 4, vcc_lo
	s_delay_alu instid0(VALU_DEP_1)
	v_add_lshl_u32 v39, v16, v31, 2
	ds_bpermute_b32 v22, v39, v12
	ds_bpermute_b32 v16, v39, v14
	v_cmpx_le_u32_e64 v40, v11
	;; [unrolled: 25-line block ×3, first 2 shown]
	s_cbranch_execz .LBB43_52
; %bb.51:
	s_wait_dscnt 0x1
	v_add_co_u32 v12, vcc_lo, v13, v22
	s_wait_alu 0xfffd
	v_add_co_ci_u32_e64 v14, null, 0, v14, vcc_lo
	s_delay_alu instid0(VALU_DEP_2) | instskip(SKIP_2) | instid1(VALU_DEP_2)
	v_add_co_u32 v13, vcc_lo, 0, v12
	s_wait_dscnt 0x0
	s_wait_alu 0xfffd
	v_add_co_ci_u32_e64 v14, null, v16, v14, vcc_lo
.LBB43_52:
	s_wait_alu 0xfffe
	s_or_b32 exec_lo, exec_lo, s5
	v_lshl_or_b32 v43, v31, 2, 64
	v_add_nc_u32_e32 v44, 16, v31
	s_mov_b32 s5, exec_lo
	s_wait_dscnt 0x0
	ds_bpermute_b32 v16, v43, v12
	ds_bpermute_b32 v12, v43, v14
	v_cmpx_le_u32_e64 v44, v11
	s_cbranch_execz .LBB43_54
; %bb.53:
	s_wait_dscnt 0x1
	v_add_co_u32 v11, vcc_lo, v13, v16
	s_wait_alu 0xfffd
	v_add_co_ci_u32_e64 v14, null, 0, v14, vcc_lo
	s_delay_alu instid0(VALU_DEP_2) | instskip(SKIP_2) | instid1(VALU_DEP_2)
	v_add_co_u32 v13, vcc_lo, v11, 0
	s_wait_dscnt 0x0
	s_wait_alu 0xfffd
	v_add_co_ci_u32_e64 v14, null, v14, v12, vcc_lo
.LBB43_54:
	s_wait_alu 0xfffe
	s_or_b32 exec_lo, exec_lo, s5
	v_mov_b32_e32 v22, 0
	s_branch .LBB43_57
.LBB43_55:                              ;   in Loop: Header=BB43_57 Depth=1
	s_wait_alu 0xfffe
	s_or_b32 exec_lo, exec_lo, s5
	v_add_co_u32 v13, vcc_lo, v13, v11
	v_subrev_nc_u32_e32 v21, 32, v21
	s_wait_alu 0xfffd
	v_add_co_ci_u32_e64 v14, null, v14, v12, vcc_lo
	s_mov_b32 s5, 0
.LBB43_56:                              ;   in Loop: Header=BB43_57 Depth=1
	s_wait_alu 0xfffe
	s_and_b32 vcc_lo, exec_lo, s5
	s_wait_alu 0xfffe
	s_cbranch_vccnz .LBB43_73
.LBB43_57:                              ; =>This Loop Header: Depth=1
                                        ;     Child Loop BB43_60 Depth 2
	v_and_b32_e32 v11, 0xff, v15
	s_mov_b32 s5, -1
	s_delay_alu instid0(VALU_DEP_1)
	v_cmp_ne_u16_e32 vcc_lo, 2, v11
	s_wait_dscnt 0x0
	v_dual_mov_b32 v11, v13 :: v_dual_mov_b32 v12, v14
                                        ; implicit-def: $vgpr13_vgpr14
	s_cmp_lg_u32 vcc_lo, exec_lo
	s_cbranch_scc1 .LBB43_56
; %bb.58:                               ;   in Loop: Header=BB43_57 Depth=1
	v_lshlrev_b64_e32 v[13:14], 4, v[21:22]
	s_mov_b32 s5, exec_lo
	s_delay_alu instid0(VALU_DEP_1) | instskip(SKIP_1) | instid1(VALU_DEP_2)
	v_add_co_u32 v23, vcc_lo, s6, v13
	s_wait_alu 0xfffd
	v_add_co_ci_u32_e64 v24, null, s7, v14, vcc_lo
	;;#ASMSTART
	global_load_b128 v[13:16], v[23:24] off scope:SCOPE_DEV	
s_wait_loadcnt 0x0
	;;#ASMEND
	v_and_b32_e32 v16, 0xff, v15
	s_delay_alu instid0(VALU_DEP_1)
	v_cmpx_eq_u16_e32 0, v16
	s_cbranch_execz .LBB43_62
; %bb.59:                               ;   in Loop: Header=BB43_57 Depth=1
	s_mov_b32 s12, 0
.LBB43_60:                              ;   Parent Loop BB43_57 Depth=1
                                        ; =>  This Inner Loop Header: Depth=2
	;;#ASMSTART
	global_load_b128 v[13:16], v[23:24] off scope:SCOPE_DEV	
s_wait_loadcnt 0x0
	;;#ASMEND
	v_and_b32_e32 v16, 0xff, v15
	s_delay_alu instid0(VALU_DEP_1)
	v_cmp_ne_u16_e32 vcc_lo, 0, v16
	s_wait_alu 0xfffe
	s_or_b32 s12, vcc_lo, s12
	s_wait_alu 0xfffe
	s_and_not1_b32 exec_lo, exec_lo, s12
	s_cbranch_execnz .LBB43_60
; %bb.61:                               ;   in Loop: Header=BB43_57 Depth=1
	s_or_b32 exec_lo, exec_lo, s12
.LBB43_62:                              ;   in Loop: Header=BB43_57 Depth=1
	s_wait_alu 0xfffe
	s_or_b32 exec_lo, exec_lo, s5
	v_dual_mov_b32 v23, v13 :: v_dual_and_b32 v16, 0xff, v15
	ds_bpermute_b32 v45, v35, v13
	ds_bpermute_b32 v24, v35, v14
	s_mov_b32 s5, exec_lo
	v_cmp_eq_u16_e32 vcc_lo, 2, v16
	s_wait_alu 0xfffd
	v_and_or_b32 v16, vcc_lo, v36, 0x80000000
	s_delay_alu instid0(VALU_DEP_1) | instskip(NEXT) | instid1(VALU_DEP_1)
	v_ctz_i32_b32_e32 v16, v16
	v_cmpx_lt_u32_e64 v31, v16
	s_cbranch_execz .LBB43_64
; %bb.63:                               ;   in Loop: Header=BB43_57 Depth=1
	s_wait_dscnt 0x1
	v_add_co_u32 v23, vcc_lo, v13, v45
	s_wait_alu 0xfffd
	v_add_co_ci_u32_e64 v14, null, 0, v14, vcc_lo
	s_delay_alu instid0(VALU_DEP_2) | instskip(SKIP_2) | instid1(VALU_DEP_2)
	v_add_co_u32 v13, vcc_lo, 0, v23
	s_wait_dscnt 0x0
	s_wait_alu 0xfffd
	v_add_co_ci_u32_e64 v14, null, v24, v14, vcc_lo
.LBB43_64:                              ;   in Loop: Header=BB43_57 Depth=1
	s_wait_alu 0xfffe
	s_or_b32 exec_lo, exec_lo, s5
	s_wait_dscnt 0x1
	ds_bpermute_b32 v45, v37, v23
	s_wait_dscnt 0x1
	ds_bpermute_b32 v24, v37, v14
	s_mov_b32 s5, exec_lo
	v_cmpx_le_u32_e64 v38, v16
	s_cbranch_execz .LBB43_66
; %bb.65:                               ;   in Loop: Header=BB43_57 Depth=1
	s_wait_dscnt 0x1
	v_add_co_u32 v23, vcc_lo, v13, v45
	s_wait_alu 0xfffd
	v_add_co_ci_u32_e64 v14, null, 0, v14, vcc_lo
	s_delay_alu instid0(VALU_DEP_2) | instskip(SKIP_2) | instid1(VALU_DEP_2)
	v_add_co_u32 v13, vcc_lo, 0, v23
	s_wait_dscnt 0x0
	s_wait_alu 0xfffd
	v_add_co_ci_u32_e64 v14, null, v24, v14, vcc_lo
.LBB43_66:                              ;   in Loop: Header=BB43_57 Depth=1
	s_wait_alu 0xfffe
	s_or_b32 exec_lo, exec_lo, s5
	s_wait_dscnt 0x1
	ds_bpermute_b32 v45, v39, v23
	s_wait_dscnt 0x1
	ds_bpermute_b32 v24, v39, v14
	s_mov_b32 s5, exec_lo
	v_cmpx_le_u32_e64 v40, v16
	;; [unrolled: 20-line block ×3, first 2 shown]
	s_cbranch_execz .LBB43_70
; %bb.69:                               ;   in Loop: Header=BB43_57 Depth=1
	s_wait_dscnt 0x1
	v_add_co_u32 v23, vcc_lo, v13, v45
	s_wait_alu 0xfffd
	v_add_co_ci_u32_e64 v14, null, 0, v14, vcc_lo
	s_delay_alu instid0(VALU_DEP_2) | instskip(SKIP_2) | instid1(VALU_DEP_2)
	v_add_co_u32 v13, vcc_lo, 0, v23
	s_wait_dscnt 0x0
	s_wait_alu 0xfffd
	v_add_co_ci_u32_e64 v14, null, v24, v14, vcc_lo
.LBB43_70:                              ;   in Loop: Header=BB43_57 Depth=1
	s_wait_alu 0xfffe
	s_or_b32 exec_lo, exec_lo, s5
	s_wait_dscnt 0x0
	ds_bpermute_b32 v24, v43, v23
	ds_bpermute_b32 v23, v43, v14
	s_mov_b32 s5, exec_lo
	v_cmpx_le_u32_e64 v44, v16
	s_cbranch_execz .LBB43_55
; %bb.71:                               ;   in Loop: Header=BB43_57 Depth=1
	s_wait_dscnt 0x1
	v_add_co_u32 v13, vcc_lo, v13, v24
	s_wait_alu 0xfffd
	v_add_co_ci_u32_e64 v14, null, 0, v14, vcc_lo
	s_delay_alu instid0(VALU_DEP_2) | instskip(SKIP_2) | instid1(VALU_DEP_2)
	v_add_co_u32 v13, vcc_lo, v13, 0
	s_wait_dscnt 0x0
	s_wait_alu 0xfffd
	v_add_co_ci_u32_e64 v14, null, v14, v23, vcc_lo
	s_branch .LBB43_55
.LBB43_72:
                                        ; implicit-def: $vgpr15_vgpr16
                                        ; implicit-def: $vgpr13_vgpr14
                                        ; implicit-def: $vgpr19_vgpr20
                                        ; implicit-def: $vgpr21_vgpr22
                                        ; implicit-def: $vgpr11_vgpr12
	s_load_b64 s[4:5], s[0:1], 0x30
	s_and_b32 vcc_lo, exec_lo, s3
	s_wait_alu 0xfffe
	s_cbranch_vccnz .LBB43_78
	s_branch .LBB43_103
.LBB43_73:
	s_and_saveexec_b32 s5, s3
	s_cbranch_execz .LBB43_75
; %bb.74:
	s_add_co_i32 s12, ttmp9, 32
	s_mov_b32 s13, 0
	v_add_co_u32 v13, vcc_lo, v11, v9
	s_wait_alu 0xfffe
	s_lshl_b64 s[12:13], s[12:13], 4
	v_dual_mov_b32 v15, 2 :: v_dual_mov_b32 v16, 0
	s_wait_alu 0xfffe
	s_add_nc_u64 s[12:13], s[6:7], s[12:13]
	s_wait_alu 0xfffd
	v_add_co_ci_u32_e64 v14, null, v12, v10, vcc_lo
	s_wait_alu 0xfffe
	v_dual_mov_b32 v22, s13 :: v_dual_mov_b32 v21, s12
	;;#ASMSTART
	global_store_b128 v[21:22], v[13:16] off scope:SCOPE_DEV	
s_wait_storecnt 0x0
	;;#ASMEND
	ds_store_b128 v16, v[9:12] offset:8448
.LBB43_75:
	s_wait_alu 0xfffe
	s_or_b32 exec_lo, exec_lo, s5
	v_cmp_eq_u32_e32 vcc_lo, 0, v0
	s_and_b32 exec_lo, exec_lo, vcc_lo
; %bb.76:
	v_mov_b32_e32 v9, 0
	ds_store_b64 v9, v[11:12] offset:56
.LBB43_77:
	s_wait_alu 0xfffe
	s_or_b32 exec_lo, exec_lo, s4
	s_wait_dscnt 0x1
	v_cndmask_b32_e64 v10, v33, v19, s3
	v_cmp_ne_u32_e32 vcc_lo, 0, v0
	v_mov_b32_e32 v9, 0
	s_wait_loadcnt_dscnt 0x0
	s_barrier_signal -1
	s_barrier_wait -1
	global_inv scope:SCOPE_SE
	s_wait_alu 0xfffd
	v_cndmask_b32_e32 v16, 0, v10, vcc_lo
	ds_load_b64 v[13:14], v9 offset:56
	v_cndmask_b32_e64 v11, v34, v20, s3
	s_wait_loadcnt_dscnt 0x0
	s_barrier_signal -1
	s_barrier_wait -1
	global_inv scope:SCOPE_SE
	v_cndmask_b32_e32 v15, 0, v11, vcc_lo
	ds_load_b128 v[9:12], v9 offset:8448
	v_add_co_u32 v21, vcc_lo, v13, v16
	s_wait_alu 0xfffd
	v_add_co_ci_u32_e64 v22, null, v14, v15, vcc_lo
	s_delay_alu instid0(VALU_DEP_2) | instskip(SKIP_1) | instid1(VALU_DEP_2)
	v_add_co_u32 v19, vcc_lo, v21, v30
	s_wait_alu 0xfffd
	v_add_co_ci_u32_e64 v20, null, 0, v22, vcc_lo
	s_delay_alu instid0(VALU_DEP_2) | instskip(SKIP_1) | instid1(VALU_DEP_2)
	;; [unrolled: 4-line block ×3, first 2 shown]
	v_add_co_u32 v15, vcc_lo, v13, v28
	s_wait_alu 0xfffd
	v_add_co_ci_u32_e64 v16, null, 0, v14, vcc_lo
	s_load_b64 s[4:5], s[0:1], 0x30
	s_branch .LBB43_103
.LBB43_78:
	s_wait_dscnt 0x0
	v_dual_mov_b32 v10, 0 :: v_dual_mov_b32 v11, v17
	v_mov_b32_dpp v12, v17 row_shr:1 row_mask:0xf bank_mask:0xf
	s_delay_alu instid0(VALU_DEP_2)
	v_mov_b32_dpp v9, v10 row_shr:1 row_mask:0xf bank_mask:0xf
	s_and_saveexec_b32 s0, s2
; %bb.79:
	s_delay_alu instid0(VALU_DEP_2) | instskip(SKIP_2) | instid1(VALU_DEP_2)
	v_add_co_u32 v11, vcc_lo, v17, v12
	s_wait_alu 0xfffd
	v_add_co_ci_u32_e64 v10, null, 0, v18, vcc_lo
	v_add_co_u32 v17, vcc_lo, 0, v11
	s_wait_alu 0xfffd
	s_delay_alu instid0(VALU_DEP_2) | instskip(NEXT) | instid1(VALU_DEP_1)
	v_add_co_ci_u32_e64 v18, null, v9, v10, vcc_lo
	v_mov_b32_e32 v10, v18
; %bb.80:
	s_or_b32 exec_lo, exec_lo, s0
	v_mov_b32_dpp v9, v11 row_shr:2 row_mask:0xf bank_mask:0xf
	s_delay_alu instid0(VALU_DEP_2)
	v_mov_b32_dpp v12, v10 row_shr:2 row_mask:0xf bank_mask:0xf
	s_mov_b32 s0, exec_lo
	v_cmpx_lt_u32_e32 1, v32
; %bb.81:
	s_delay_alu instid0(VALU_DEP_3) | instskip(SKIP_2) | instid1(VALU_DEP_2)
	v_add_co_u32 v11, vcc_lo, v17, v9
	s_wait_alu 0xfffd
	v_add_co_ci_u32_e64 v10, null, 0, v18, vcc_lo
	v_add_co_u32 v9, vcc_lo, 0, v11
	s_wait_alu 0xfffd
	s_delay_alu instid0(VALU_DEP_2) | instskip(NEXT) | instid1(VALU_DEP_1)
	v_add_co_ci_u32_e64 v10, null, v12, v10, vcc_lo
	v_dual_mov_b32 v18, v10 :: v_dual_mov_b32 v17, v9
; %bb.82:
	s_or_b32 exec_lo, exec_lo, s0
	v_mov_b32_dpp v9, v11 row_shr:4 row_mask:0xf bank_mask:0xf
	v_mov_b32_dpp v12, v10 row_shr:4 row_mask:0xf bank_mask:0xf
	s_mov_b32 s0, exec_lo
	v_cmpx_lt_u32_e32 3, v32
; %bb.83:
	s_delay_alu instid0(VALU_DEP_3) | instskip(SKIP_2) | instid1(VALU_DEP_2)
	v_add_co_u32 v11, vcc_lo, v17, v9
	s_wait_alu 0xfffd
	v_add_co_ci_u32_e64 v10, null, 0, v18, vcc_lo
	v_add_co_u32 v9, vcc_lo, 0, v11
	s_wait_alu 0xfffd
	s_delay_alu instid0(VALU_DEP_2) | instskip(NEXT) | instid1(VALU_DEP_1)
	v_add_co_ci_u32_e64 v10, null, v12, v10, vcc_lo
	v_dual_mov_b32 v18, v10 :: v_dual_mov_b32 v17, v9
; %bb.84:
	s_or_b32 exec_lo, exec_lo, s0
	v_mov_b32_dpp v12, v11 row_shr:8 row_mask:0xf bank_mask:0xf
	v_mov_b32_dpp v9, v10 row_shr:8 row_mask:0xf bank_mask:0xf
	s_mov_b32 s0, exec_lo
	v_cmpx_lt_u32_e32 7, v32
; %bb.85:
	s_delay_alu instid0(VALU_DEP_3) | instskip(SKIP_2) | instid1(VALU_DEP_2)
	v_add_co_u32 v11, vcc_lo, v17, v12
	s_wait_alu 0xfffd
	v_add_co_ci_u32_e64 v10, null, 0, v18, vcc_lo
	v_add_co_u32 v17, vcc_lo, 0, v11
	s_wait_alu 0xfffd
	s_delay_alu instid0(VALU_DEP_2) | instskip(NEXT) | instid1(VALU_DEP_1)
	v_add_co_ci_u32_e64 v18, null, v9, v10, vcc_lo
	v_mov_b32_e32 v10, v18
; %bb.86:
	s_or_b32 exec_lo, exec_lo, s0
	ds_swizzle_b32 v11, v11 offset:swizzle(BROADCAST,32,15)
	ds_swizzle_b32 v9, v10 offset:swizzle(BROADCAST,32,15)
	v_and_b32_e32 v10, 16, v31
	s_mov_b32 s0, exec_lo
	s_delay_alu instid0(VALU_DEP_1)
	v_cmpx_ne_u32_e32 0, v10
	s_cbranch_execz .LBB43_88
; %bb.87:
	s_wait_dscnt 0x1
	v_add_co_u32 v10, vcc_lo, v17, v11
	s_wait_alu 0xfffd
	v_add_co_ci_u32_e64 v11, null, 0, v18, vcc_lo
	s_delay_alu instid0(VALU_DEP_2) | instskip(SKIP_2) | instid1(VALU_DEP_2)
	v_add_co_u32 v17, vcc_lo, v10, 0
	s_wait_dscnt 0x0
	s_wait_alu 0xfffd
	v_add_co_ci_u32_e64 v18, null, v11, v9, vcc_lo
.LBB43_88:
	s_or_b32 exec_lo, exec_lo, s0
	s_wait_dscnt 0x0
	v_or_b32_e32 v9, 31, v0
	s_mov_b32 s0, exec_lo
	s_delay_alu instid0(VALU_DEP_1)
	v_cmpx_eq_u32_e64 v0, v9
; %bb.89:
	v_lshlrev_b32_e32 v9, 3, v26
	ds_store_b64 v9, v[17:18]
; %bb.90:
	s_or_b32 exec_lo, exec_lo, s0
	s_delay_alu instid0(SALU_CYCLE_1)
	s_mov_b32 s0, exec_lo
	s_wait_loadcnt_dscnt 0x0
	s_barrier_signal -1
	s_barrier_wait -1
	global_inv scope:SCOPE_SE
	v_cmpx_gt_u32_e32 8, v0
	s_cbranch_execz .LBB43_98
; %bb.91:
	v_lshlrev_b32_e32 v11, 3, v0
	s_mov_b32 s1, exec_lo
	ds_load_b64 v[9:10], v11
	s_wait_dscnt 0x0
	v_dual_mov_b32 v13, v9 :: v_dual_and_b32 v12, 7, v31
	v_mov_b32_dpp v15, v9 row_shr:1 row_mask:0xf bank_mask:0xf
	v_mov_b32_dpp v14, v10 row_shr:1 row_mask:0xf bank_mask:0xf
	s_delay_alu instid0(VALU_DEP_3)
	v_cmpx_ne_u32_e32 0, v12
; %bb.92:
	s_delay_alu instid0(VALU_DEP_3) | instskip(SKIP_2) | instid1(VALU_DEP_2)
	v_add_co_u32 v13, vcc_lo, v9, v15
	s_wait_alu 0xfffd
	v_add_co_ci_u32_e64 v10, null, 0, v10, vcc_lo
	v_add_co_u32 v9, vcc_lo, 0, v13
	s_wait_alu 0xfffd
	s_delay_alu instid0(VALU_DEP_2)
	v_add_co_ci_u32_e64 v10, null, v14, v10, vcc_lo
; %bb.93:
	s_or_b32 exec_lo, exec_lo, s1
	v_mov_b32_dpp v15, v13 row_shr:2 row_mask:0xf bank_mask:0xf
	s_delay_alu instid0(VALU_DEP_2)
	v_mov_b32_dpp v14, v10 row_shr:2 row_mask:0xf bank_mask:0xf
	s_mov_b32 s1, exec_lo
	v_cmpx_lt_u32_e32 1, v12
; %bb.94:
	s_delay_alu instid0(VALU_DEP_3) | instskip(SKIP_2) | instid1(VALU_DEP_2)
	v_add_co_u32 v13, vcc_lo, v9, v15
	s_wait_alu 0xfffd
	v_add_co_ci_u32_e64 v10, null, 0, v10, vcc_lo
	v_add_co_u32 v9, vcc_lo, 0, v13
	s_wait_alu 0xfffd
	s_delay_alu instid0(VALU_DEP_2)
	v_add_co_ci_u32_e64 v10, null, v14, v10, vcc_lo
; %bb.95:
	s_or_b32 exec_lo, exec_lo, s1
	v_mov_b32_dpp v14, v13 row_shr:4 row_mask:0xf bank_mask:0xf
	s_delay_alu instid0(VALU_DEP_2)
	v_mov_b32_dpp v13, v10 row_shr:4 row_mask:0xf bank_mask:0xf
	s_mov_b32 s1, exec_lo
	v_cmpx_lt_u32_e32 3, v12
; %bb.96:
	s_delay_alu instid0(VALU_DEP_3) | instskip(SKIP_2) | instid1(VALU_DEP_2)
	v_add_co_u32 v9, vcc_lo, v9, v14
	s_wait_alu 0xfffd
	v_add_co_ci_u32_e64 v10, null, 0, v10, vcc_lo
	v_add_co_u32 v9, vcc_lo, v9, 0
	s_wait_alu 0xfffd
	s_delay_alu instid0(VALU_DEP_2)
	v_add_co_ci_u32_e64 v10, null, v10, v13, vcc_lo
; %bb.97:
	s_or_b32 exec_lo, exec_lo, s1
	ds_store_b64 v11, v[9:10]
.LBB43_98:
	s_or_b32 exec_lo, exec_lo, s0
	v_mov_b32_e32 v13, 0
	v_mov_b32_e32 v14, 0
	s_mov_b32 s0, exec_lo
	s_wait_loadcnt_dscnt 0x0
	s_barrier_signal -1
	s_barrier_wait -1
	global_inv scope:SCOPE_SE
	v_cmpx_lt_u32_e32 31, v0
; %bb.99:
	v_lshl_add_u32 v9, v26, 3, -8
	ds_load_b64 v[13:14], v9
; %bb.100:
	s_or_b32 exec_lo, exec_lo, s0
	v_sub_co_u32 v9, vcc_lo, v31, 1
	v_mov_b32_e32 v12, 0
	s_delay_alu instid0(VALU_DEP_2) | instskip(NEXT) | instid1(VALU_DEP_1)
	v_cmp_gt_i32_e64 s0, 0, v9
	v_cndmask_b32_e64 v9, v9, v31, s0
	s_wait_dscnt 0x0
	v_add_co_u32 v10, s0, v13, v17
	s_wait_alu 0xf1ff
	v_add_co_ci_u32_e64 v11, null, v14, v18, s0
	v_lshlrev_b32_e32 v9, 2, v9
	v_cmp_eq_u32_e64 s0, 0, v0
	ds_bpermute_b32 v15, v9, v10
	ds_bpermute_b32 v16, v9, v11
	ds_load_b64 v[9:10], v12 offset:56
	s_and_saveexec_b32 s1, s0
	s_cbranch_execz .LBB43_102
; %bb.101:
	s_wait_kmcnt 0x0
	s_add_nc_u64 s[2:3], s[6:7], 0x200
	s_wait_alu 0xfffe
	v_dual_mov_b32 v11, 2 :: v_dual_mov_b32 v18, s3
	v_mov_b32_e32 v17, s2
	s_wait_dscnt 0x0
	;;#ASMSTART
	global_store_b128 v[17:18], v[9:12] off scope:SCOPE_DEV	
s_wait_storecnt 0x0
	;;#ASMEND
.LBB43_102:
	s_wait_alu 0xfffe
	s_or_b32 exec_lo, exec_lo, s1
	s_wait_dscnt 0x1
	s_wait_alu 0xfffd
	v_dual_cndmask_b32 v11, v15, v13 :: v_dual_cndmask_b32 v12, v16, v14
	s_wait_loadcnt_dscnt 0x0
	s_barrier_signal -1
	s_barrier_wait -1
	s_delay_alu instid0(VALU_DEP_1)
	v_cndmask_b32_e64 v21, v11, 0, s0
	v_cndmask_b32_e64 v22, v12, 0, s0
	v_mov_b32_e32 v11, 0
	v_mov_b32_e32 v12, 0
	global_inv scope:SCOPE_SE
	v_add_co_u32 v19, vcc_lo, v21, v30
	s_wait_alu 0xfffd
	v_add_co_ci_u32_e64 v20, null, 0, v22, vcc_lo
	s_delay_alu instid0(VALU_DEP_2) | instskip(SKIP_1) | instid1(VALU_DEP_2)
	v_add_co_u32 v13, vcc_lo, v19, v29
	s_wait_alu 0xfffd
	v_add_co_ci_u32_e64 v14, null, 0, v20, vcc_lo
	s_delay_alu instid0(VALU_DEP_2) | instskip(SKIP_1) | instid1(VALU_DEP_2)
	v_add_co_u32 v15, vcc_lo, v13, v28
	s_wait_alu 0xfffd
	v_add_co_ci_u32_e64 v16, null, 0, v14, vcc_lo
.LBB43_103:
	v_and_b32_e32 v26, 1, v27
	s_wait_dscnt 0x0
	v_cmp_gt_u64_e32 vcc_lo, 0x101, v[9:10]
	v_lshrrev_b32_e32 v23, 16, v27
	v_lshrrev_b32_e32 v24, 8, v27
	s_mov_b32 s1, -1
	v_cmp_eq_u32_e64 s0, 1, v26
	s_cbranch_vccnz .LBB43_107
; %bb.104:
	s_wait_alu 0xfffe
	s_and_b32 vcc_lo, exec_lo, s1
	s_wait_alu 0xfffe
	s_cbranch_vccnz .LBB43_116
.LBB43_105:
	v_cmp_eq_u32_e32 vcc_lo, 0, v0
	s_and_b32 s0, vcc_lo, s16
	s_wait_alu 0xfffe
	s_and_saveexec_b32 s1, s0
	s_cbranch_execnz .LBB43_128
.LBB43_106:
	s_endpgm
.LBB43_107:
	v_add_co_u32 v17, vcc_lo, v11, v9
	s_wait_alu 0xfffd
	v_add_co_ci_u32_e64 v18, null, v12, v10, vcc_lo
	s_delay_alu instid0(VALU_DEP_1)
	v_cmp_lt_u64_e32 vcc_lo, v[21:22], v[17:18]
	s_or_b32 s1, s17, vcc_lo
	s_wait_alu 0xfffe
	s_and_b32 s1, s1, s0
	s_wait_alu 0xfffe
	s_and_saveexec_b32 s0, s1
	s_cbranch_execz .LBB43_109
; %bb.108:
	v_lshlrev_b64_e32 v[27:28], 3, v[21:22]
	s_lshl_b64 s[2:3], s[10:11], 3
	s_wait_kmcnt 0x0
	s_wait_alu 0xfffe
	s_add_nc_u64 s[2:3], s[4:5], s[2:3]
	s_wait_alu 0xfffe
	v_add_co_u32 v27, vcc_lo, s2, v27
	s_wait_alu 0xfffd
	v_add_co_ci_u32_e64 v28, null, s3, v28, vcc_lo
	global_store_b64 v[27:28], v[5:6], off
.LBB43_109:
	s_wait_alu 0xfffe
	s_or_b32 exec_lo, exec_lo, s0
	v_and_b32_e32 v22, 1, v24
	v_cmp_lt_u64_e32 vcc_lo, v[19:20], v[17:18]
	s_delay_alu instid0(VALU_DEP_2)
	v_cmp_eq_u32_e64 s0, 1, v22
	s_or_b32 s1, s17, vcc_lo
	s_wait_alu 0xfffe
	s_and_b32 s1, s1, s0
	s_wait_alu 0xfffe
	s_and_saveexec_b32 s0, s1
	s_cbranch_execz .LBB43_111
; %bb.110:
	v_lshlrev_b64_e32 v[27:28], 3, v[19:20]
	s_lshl_b64 s[2:3], s[10:11], 3
	s_wait_kmcnt 0x0
	s_wait_alu 0xfffe
	s_add_nc_u64 s[2:3], s[4:5], s[2:3]
	s_wait_alu 0xfffe
	v_add_co_u32 v27, vcc_lo, s2, v27
	s_wait_alu 0xfffd
	v_add_co_ci_u32_e64 v28, null, s3, v28, vcc_lo
	global_store_b64 v[27:28], v[7:8], off
.LBB43_111:
	s_wait_alu 0xfffe
	s_or_b32 exec_lo, exec_lo, s0
	v_and_b32_e32 v20, 1, v23
	v_cmp_lt_u64_e32 vcc_lo, v[13:14], v[17:18]
	s_delay_alu instid0(VALU_DEP_2)
	v_cmp_eq_u32_e64 s0, 1, v20
	;; [unrolled: 24-line block ×3, first 2 shown]
	s_or_b32 s1, s17, vcc_lo
	s_wait_alu 0xfffe
	s_and_b32 s1, s1, s0
	s_wait_alu 0xfffe
	s_and_saveexec_b32 s0, s1
	s_cbranch_execz .LBB43_115
; %bb.114:
	v_lshlrev_b64_e32 v[16:17], 3, v[15:16]
	s_lshl_b64 s[2:3], s[10:11], 3
	s_wait_kmcnt 0x0
	s_wait_alu 0xfffe
	s_add_nc_u64 s[2:3], s[4:5], s[2:3]
	s_wait_alu 0xfffe
	v_add_co_u32 v16, vcc_lo, s2, v16
	s_wait_alu 0xfffd
	v_add_co_ci_u32_e64 v17, null, s3, v17, vcc_lo
	global_store_b64 v[16:17], v[3:4], off
.LBB43_115:
	s_wait_alu 0xfffe
	s_or_b32 exec_lo, exec_lo, s0
	s_branch .LBB43_105
.LBB43_116:
	s_mov_b32 s0, exec_lo
	v_cmpx_eq_u32_e32 1, v26
; %bb.117:
	v_sub_nc_u32_e32 v14, v21, v11
	s_delay_alu instid0(VALU_DEP_1)
	v_lshlrev_b32_e32 v14, 3, v14
	ds_store_b64 v14, v[5:6]
; %bb.118:
	s_wait_alu 0xfffe
	s_or_b32 exec_lo, exec_lo, s0
	v_and_b32_e32 v5, 1, v24
	s_mov_b32 s0, exec_lo
	s_delay_alu instid0(VALU_DEP_1)
	v_cmpx_eq_u32_e32 1, v5
; %bb.119:
	v_sub_nc_u32_e32 v5, v19, v11
	s_delay_alu instid0(VALU_DEP_1)
	v_lshlrev_b32_e32 v5, 3, v5
	ds_store_b64 v5, v[7:8]
; %bb.120:
	s_wait_alu 0xfffe
	s_or_b32 exec_lo, exec_lo, s0
	v_and_b32_e32 v5, 1, v23
	s_mov_b32 s0, exec_lo
	s_delay_alu instid0(VALU_DEP_1)
	;; [unrolled: 12-line block ×3, first 2 shown]
	v_cmpx_eq_u32_e32 1, v1
; %bb.123:
	v_sub_nc_u32_e32 v1, v15, v11
	s_delay_alu instid0(VALU_DEP_1)
	v_lshlrev_b32_e32 v1, 3, v1
	ds_store_b64 v1, v[3:4]
; %bb.124:
	s_wait_alu 0xfffe
	s_or_b32 exec_lo, exec_lo, s0
	v_mov_b32_e32 v3, 0
	s_mov_b32 s1, exec_lo
	s_wait_storecnt 0x0
	s_wait_loadcnt_dscnt 0x0
	s_barrier_signal -1
	s_barrier_wait -1
	v_mov_b32_e32 v1, v3
	global_inv scope:SCOPE_SE
	v_cmpx_gt_u64_e64 v[9:10], v[0:1]
	s_cbranch_execz .LBB43_127
; %bb.125:
	v_lshlrev_b64_e32 v[4:5], 3, v[11:12]
	s_lshl_b64 s[2:3], s[10:11], 3
	v_or_b32_e32 v2, 0x100, v0
	s_wait_kmcnt 0x0
	s_delay_alu instid0(VALU_DEP_2) | instskip(SKIP_3) | instid1(VALU_DEP_2)
	v_add_co_u32 v4, vcc_lo, s4, v4
	s_wait_alu 0xfffd
	v_add_co_ci_u32_e64 v5, null, s5, v5, vcc_lo
	s_wait_alu 0xfffe
	v_add_co_u32 v6, vcc_lo, v4, s2
	s_wait_alu 0xfffd
	s_delay_alu instid0(VALU_DEP_2)
	v_add_co_ci_u32_e64 v7, null, s3, v5, vcc_lo
	v_dual_mov_b32 v5, v1 :: v_dual_mov_b32 v4, v0
	s_mov_b32 s2, 0
.LBB43_126:                             ; =>This Inner Loop Header: Depth=1
	s_delay_alu instid0(VALU_DEP_1) | instskip(NEXT) | instid1(VALU_DEP_2)
	v_lshlrev_b32_e32 v1, 3, v4
	v_lshlrev_b64_e32 v[15:16], 3, v[4:5]
	v_dual_mov_b32 v5, v3 :: v_dual_mov_b32 v4, v2
	v_cmp_le_u64_e32 vcc_lo, v[9:10], v[2:3]
	ds_load_b64 v[13:14], v1
	v_add_nc_u32_e32 v2, 0x100, v2
	v_add_co_u32 v15, s0, v6, v15
	s_wait_alu 0xf1ff
	v_add_co_ci_u32_e64 v16, null, v7, v16, s0
	s_wait_alu 0xfffe
	s_or_b32 s2, vcc_lo, s2
	s_wait_dscnt 0x0
	global_store_b64 v[15:16], v[13:14], off
	s_wait_alu 0xfffe
	s_and_not1_b32 exec_lo, exec_lo, s2
	s_cbranch_execnz .LBB43_126
.LBB43_127:
	s_wait_alu 0xfffe
	s_or_b32 exec_lo, exec_lo, s1
	v_cmp_eq_u32_e32 vcc_lo, 0, v0
	s_and_b32 s0, vcc_lo, s16
	s_wait_alu 0xfffe
	s_and_saveexec_b32 s1, s0
	s_cbranch_execz .LBB43_106
.LBB43_128:
	v_add_co_u32 v0, vcc_lo, v11, v9
	s_wait_alu 0xfffd
	v_add_co_ci_u32_e64 v1, null, v12, v10, vcc_lo
	v_mov_b32_e32 v2, 0
	s_delay_alu instid0(VALU_DEP_3) | instskip(SKIP_1) | instid1(VALU_DEP_3)
	v_add_co_u32 v0, vcc_lo, v0, s10
	s_wait_alu 0xfffd
	v_add_co_ci_u32_e64 v1, null, s11, v1, vcc_lo
	global_store_b64 v2, v[0:1], s[8:9]
	s_endpgm
.LBB43_129:
	global_load_u8 v14, v0, s[2:3] offset:256
	s_wait_loadcnt 0x0
	v_cmp_ne_u16_e32 vcc_lo, 0, v14
	s_wait_alu 0xfffd
	v_cndmask_b32_e64 v14, 0, 1, vcc_lo
	s_delay_alu instid0(VALU_DEP_1) | instskip(NEXT) | instid1(VALU_DEP_1)
	v_lshlrev_b16 v14, 8, v14
	v_or_b32_e32 v12, v12, v14
	s_delay_alu instid0(VALU_DEP_1) | instskip(SKIP_2) | instid1(SALU_CYCLE_1)
	v_and_b32_e32 v12, 0xffff, v12
	s_wait_alu 0xfffe
	s_or_b32 exec_lo, exec_lo, s4
	s_mov_b32 s4, exec_lo
	v_cmpx_gt_u32_e64 s18, v9
	s_cbranch_execz .LBB43_12
.LBB43_130:
	global_load_u8 v14, v0, s[2:3] offset:512
	s_wait_loadcnt 0x0
	v_cmp_ne_u16_e32 vcc_lo, 0, v14
	s_wait_alu 0xfffd
	v_cndmask_b32_e64 v14, 0, 1, vcc_lo
	s_delay_alu instid0(VALU_DEP_1) | instskip(SKIP_2) | instid1(SALU_CYCLE_1)
	v_lshl_or_b32 v12, v14, 16, v12
	s_wait_alu 0xfffe
	s_or_b32 exec_lo, exec_lo, s4
	s_mov_b32 s4, exec_lo
	v_cmpx_gt_u32_e64 s18, v10
	s_cbranch_execnz .LBB43_13
	s_branch .LBB43_14
	.section	.rodata,"a",@progbits
	.p2align	6, 0x0
	.amdhsa_kernel _ZN7rocprim17ROCPRIM_400000_NS6detail17trampoline_kernelINS0_14default_configENS1_25partition_config_selectorILNS1_17partition_subalgoE5ElNS0_10empty_typeEbEEZZNS1_14partition_implILS5_5ELb0ES3_mN6hipcub16HIPCUB_304000_NS21CountingInputIteratorIllEEPS6_NSA_22TransformInputIteratorIbN2at6native12_GLOBAL__N_19NonZeroOpIhEEPKhlEENS0_5tupleIJPlS6_EEENSN_IJSD_SD_EEES6_PiJS6_EEE10hipError_tPvRmT3_T4_T5_T6_T7_T9_mT8_P12ihipStream_tbDpT10_ENKUlT_T0_E_clISt17integral_constantIbLb0EES1B_EEDaS16_S17_EUlS16_E_NS1_11comp_targetILNS1_3genE10ELNS1_11target_archE1200ELNS1_3gpuE4ELNS1_3repE0EEENS1_30default_config_static_selectorELNS0_4arch9wavefront6targetE0EEEvT1_
		.amdhsa_group_segment_fixed_size 8464
		.amdhsa_private_segment_fixed_size 0
		.amdhsa_kernarg_size 120
		.amdhsa_user_sgpr_count 2
		.amdhsa_user_sgpr_dispatch_ptr 0
		.amdhsa_user_sgpr_queue_ptr 0
		.amdhsa_user_sgpr_kernarg_segment_ptr 1
		.amdhsa_user_sgpr_dispatch_id 0
		.amdhsa_user_sgpr_private_segment_size 0
		.amdhsa_wavefront_size32 1
		.amdhsa_uses_dynamic_stack 0
		.amdhsa_enable_private_segment 0
		.amdhsa_system_sgpr_workgroup_id_x 1
		.amdhsa_system_sgpr_workgroup_id_y 0
		.amdhsa_system_sgpr_workgroup_id_z 0
		.amdhsa_system_sgpr_workgroup_info 0
		.amdhsa_system_vgpr_workitem_id 0
		.amdhsa_next_free_vgpr 46
		.amdhsa_next_free_sgpr 20
		.amdhsa_reserve_vcc 1
		.amdhsa_float_round_mode_32 0
		.amdhsa_float_round_mode_16_64 0
		.amdhsa_float_denorm_mode_32 3
		.amdhsa_float_denorm_mode_16_64 3
		.amdhsa_fp16_overflow 0
		.amdhsa_workgroup_processor_mode 1
		.amdhsa_memory_ordered 1
		.amdhsa_forward_progress 1
		.amdhsa_inst_pref_size 54
		.amdhsa_round_robin_scheduling 0
		.amdhsa_exception_fp_ieee_invalid_op 0
		.amdhsa_exception_fp_denorm_src 0
		.amdhsa_exception_fp_ieee_div_zero 0
		.amdhsa_exception_fp_ieee_overflow 0
		.amdhsa_exception_fp_ieee_underflow 0
		.amdhsa_exception_fp_ieee_inexact 0
		.amdhsa_exception_int_div_zero 0
	.end_amdhsa_kernel
	.section	.text._ZN7rocprim17ROCPRIM_400000_NS6detail17trampoline_kernelINS0_14default_configENS1_25partition_config_selectorILNS1_17partition_subalgoE5ElNS0_10empty_typeEbEEZZNS1_14partition_implILS5_5ELb0ES3_mN6hipcub16HIPCUB_304000_NS21CountingInputIteratorIllEEPS6_NSA_22TransformInputIteratorIbN2at6native12_GLOBAL__N_19NonZeroOpIhEEPKhlEENS0_5tupleIJPlS6_EEENSN_IJSD_SD_EEES6_PiJS6_EEE10hipError_tPvRmT3_T4_T5_T6_T7_T9_mT8_P12ihipStream_tbDpT10_ENKUlT_T0_E_clISt17integral_constantIbLb0EES1B_EEDaS16_S17_EUlS16_E_NS1_11comp_targetILNS1_3genE10ELNS1_11target_archE1200ELNS1_3gpuE4ELNS1_3repE0EEENS1_30default_config_static_selectorELNS0_4arch9wavefront6targetE0EEEvT1_,"axG",@progbits,_ZN7rocprim17ROCPRIM_400000_NS6detail17trampoline_kernelINS0_14default_configENS1_25partition_config_selectorILNS1_17partition_subalgoE5ElNS0_10empty_typeEbEEZZNS1_14partition_implILS5_5ELb0ES3_mN6hipcub16HIPCUB_304000_NS21CountingInputIteratorIllEEPS6_NSA_22TransformInputIteratorIbN2at6native12_GLOBAL__N_19NonZeroOpIhEEPKhlEENS0_5tupleIJPlS6_EEENSN_IJSD_SD_EEES6_PiJS6_EEE10hipError_tPvRmT3_T4_T5_T6_T7_T9_mT8_P12ihipStream_tbDpT10_ENKUlT_T0_E_clISt17integral_constantIbLb0EES1B_EEDaS16_S17_EUlS16_E_NS1_11comp_targetILNS1_3genE10ELNS1_11target_archE1200ELNS1_3gpuE4ELNS1_3repE0EEENS1_30default_config_static_selectorELNS0_4arch9wavefront6targetE0EEEvT1_,comdat
.Lfunc_end43:
	.size	_ZN7rocprim17ROCPRIM_400000_NS6detail17trampoline_kernelINS0_14default_configENS1_25partition_config_selectorILNS1_17partition_subalgoE5ElNS0_10empty_typeEbEEZZNS1_14partition_implILS5_5ELb0ES3_mN6hipcub16HIPCUB_304000_NS21CountingInputIteratorIllEEPS6_NSA_22TransformInputIteratorIbN2at6native12_GLOBAL__N_19NonZeroOpIhEEPKhlEENS0_5tupleIJPlS6_EEENSN_IJSD_SD_EEES6_PiJS6_EEE10hipError_tPvRmT3_T4_T5_T6_T7_T9_mT8_P12ihipStream_tbDpT10_ENKUlT_T0_E_clISt17integral_constantIbLb0EES1B_EEDaS16_S17_EUlS16_E_NS1_11comp_targetILNS1_3genE10ELNS1_11target_archE1200ELNS1_3gpuE4ELNS1_3repE0EEENS1_30default_config_static_selectorELNS0_4arch9wavefront6targetE0EEEvT1_, .Lfunc_end43-_ZN7rocprim17ROCPRIM_400000_NS6detail17trampoline_kernelINS0_14default_configENS1_25partition_config_selectorILNS1_17partition_subalgoE5ElNS0_10empty_typeEbEEZZNS1_14partition_implILS5_5ELb0ES3_mN6hipcub16HIPCUB_304000_NS21CountingInputIteratorIllEEPS6_NSA_22TransformInputIteratorIbN2at6native12_GLOBAL__N_19NonZeroOpIhEEPKhlEENS0_5tupleIJPlS6_EEENSN_IJSD_SD_EEES6_PiJS6_EEE10hipError_tPvRmT3_T4_T5_T6_T7_T9_mT8_P12ihipStream_tbDpT10_ENKUlT_T0_E_clISt17integral_constantIbLb0EES1B_EEDaS16_S17_EUlS16_E_NS1_11comp_targetILNS1_3genE10ELNS1_11target_archE1200ELNS1_3gpuE4ELNS1_3repE0EEENS1_30default_config_static_selectorELNS0_4arch9wavefront6targetE0EEEvT1_
                                        ; -- End function
	.set _ZN7rocprim17ROCPRIM_400000_NS6detail17trampoline_kernelINS0_14default_configENS1_25partition_config_selectorILNS1_17partition_subalgoE5ElNS0_10empty_typeEbEEZZNS1_14partition_implILS5_5ELb0ES3_mN6hipcub16HIPCUB_304000_NS21CountingInputIteratorIllEEPS6_NSA_22TransformInputIteratorIbN2at6native12_GLOBAL__N_19NonZeroOpIhEEPKhlEENS0_5tupleIJPlS6_EEENSN_IJSD_SD_EEES6_PiJS6_EEE10hipError_tPvRmT3_T4_T5_T6_T7_T9_mT8_P12ihipStream_tbDpT10_ENKUlT_T0_E_clISt17integral_constantIbLb0EES1B_EEDaS16_S17_EUlS16_E_NS1_11comp_targetILNS1_3genE10ELNS1_11target_archE1200ELNS1_3gpuE4ELNS1_3repE0EEENS1_30default_config_static_selectorELNS0_4arch9wavefront6targetE0EEEvT1_.num_vgpr, 46
	.set _ZN7rocprim17ROCPRIM_400000_NS6detail17trampoline_kernelINS0_14default_configENS1_25partition_config_selectorILNS1_17partition_subalgoE5ElNS0_10empty_typeEbEEZZNS1_14partition_implILS5_5ELb0ES3_mN6hipcub16HIPCUB_304000_NS21CountingInputIteratorIllEEPS6_NSA_22TransformInputIteratorIbN2at6native12_GLOBAL__N_19NonZeroOpIhEEPKhlEENS0_5tupleIJPlS6_EEENSN_IJSD_SD_EEES6_PiJS6_EEE10hipError_tPvRmT3_T4_T5_T6_T7_T9_mT8_P12ihipStream_tbDpT10_ENKUlT_T0_E_clISt17integral_constantIbLb0EES1B_EEDaS16_S17_EUlS16_E_NS1_11comp_targetILNS1_3genE10ELNS1_11target_archE1200ELNS1_3gpuE4ELNS1_3repE0EEENS1_30default_config_static_selectorELNS0_4arch9wavefront6targetE0EEEvT1_.num_agpr, 0
	.set _ZN7rocprim17ROCPRIM_400000_NS6detail17trampoline_kernelINS0_14default_configENS1_25partition_config_selectorILNS1_17partition_subalgoE5ElNS0_10empty_typeEbEEZZNS1_14partition_implILS5_5ELb0ES3_mN6hipcub16HIPCUB_304000_NS21CountingInputIteratorIllEEPS6_NSA_22TransformInputIteratorIbN2at6native12_GLOBAL__N_19NonZeroOpIhEEPKhlEENS0_5tupleIJPlS6_EEENSN_IJSD_SD_EEES6_PiJS6_EEE10hipError_tPvRmT3_T4_T5_T6_T7_T9_mT8_P12ihipStream_tbDpT10_ENKUlT_T0_E_clISt17integral_constantIbLb0EES1B_EEDaS16_S17_EUlS16_E_NS1_11comp_targetILNS1_3genE10ELNS1_11target_archE1200ELNS1_3gpuE4ELNS1_3repE0EEENS1_30default_config_static_selectorELNS0_4arch9wavefront6targetE0EEEvT1_.numbered_sgpr, 20
	.set _ZN7rocprim17ROCPRIM_400000_NS6detail17trampoline_kernelINS0_14default_configENS1_25partition_config_selectorILNS1_17partition_subalgoE5ElNS0_10empty_typeEbEEZZNS1_14partition_implILS5_5ELb0ES3_mN6hipcub16HIPCUB_304000_NS21CountingInputIteratorIllEEPS6_NSA_22TransformInputIteratorIbN2at6native12_GLOBAL__N_19NonZeroOpIhEEPKhlEENS0_5tupleIJPlS6_EEENSN_IJSD_SD_EEES6_PiJS6_EEE10hipError_tPvRmT3_T4_T5_T6_T7_T9_mT8_P12ihipStream_tbDpT10_ENKUlT_T0_E_clISt17integral_constantIbLb0EES1B_EEDaS16_S17_EUlS16_E_NS1_11comp_targetILNS1_3genE10ELNS1_11target_archE1200ELNS1_3gpuE4ELNS1_3repE0EEENS1_30default_config_static_selectorELNS0_4arch9wavefront6targetE0EEEvT1_.num_named_barrier, 0
	.set _ZN7rocprim17ROCPRIM_400000_NS6detail17trampoline_kernelINS0_14default_configENS1_25partition_config_selectorILNS1_17partition_subalgoE5ElNS0_10empty_typeEbEEZZNS1_14partition_implILS5_5ELb0ES3_mN6hipcub16HIPCUB_304000_NS21CountingInputIteratorIllEEPS6_NSA_22TransformInputIteratorIbN2at6native12_GLOBAL__N_19NonZeroOpIhEEPKhlEENS0_5tupleIJPlS6_EEENSN_IJSD_SD_EEES6_PiJS6_EEE10hipError_tPvRmT3_T4_T5_T6_T7_T9_mT8_P12ihipStream_tbDpT10_ENKUlT_T0_E_clISt17integral_constantIbLb0EES1B_EEDaS16_S17_EUlS16_E_NS1_11comp_targetILNS1_3genE10ELNS1_11target_archE1200ELNS1_3gpuE4ELNS1_3repE0EEENS1_30default_config_static_selectorELNS0_4arch9wavefront6targetE0EEEvT1_.private_seg_size, 0
	.set _ZN7rocprim17ROCPRIM_400000_NS6detail17trampoline_kernelINS0_14default_configENS1_25partition_config_selectorILNS1_17partition_subalgoE5ElNS0_10empty_typeEbEEZZNS1_14partition_implILS5_5ELb0ES3_mN6hipcub16HIPCUB_304000_NS21CountingInputIteratorIllEEPS6_NSA_22TransformInputIteratorIbN2at6native12_GLOBAL__N_19NonZeroOpIhEEPKhlEENS0_5tupleIJPlS6_EEENSN_IJSD_SD_EEES6_PiJS6_EEE10hipError_tPvRmT3_T4_T5_T6_T7_T9_mT8_P12ihipStream_tbDpT10_ENKUlT_T0_E_clISt17integral_constantIbLb0EES1B_EEDaS16_S17_EUlS16_E_NS1_11comp_targetILNS1_3genE10ELNS1_11target_archE1200ELNS1_3gpuE4ELNS1_3repE0EEENS1_30default_config_static_selectorELNS0_4arch9wavefront6targetE0EEEvT1_.uses_vcc, 1
	.set _ZN7rocprim17ROCPRIM_400000_NS6detail17trampoline_kernelINS0_14default_configENS1_25partition_config_selectorILNS1_17partition_subalgoE5ElNS0_10empty_typeEbEEZZNS1_14partition_implILS5_5ELb0ES3_mN6hipcub16HIPCUB_304000_NS21CountingInputIteratorIllEEPS6_NSA_22TransformInputIteratorIbN2at6native12_GLOBAL__N_19NonZeroOpIhEEPKhlEENS0_5tupleIJPlS6_EEENSN_IJSD_SD_EEES6_PiJS6_EEE10hipError_tPvRmT3_T4_T5_T6_T7_T9_mT8_P12ihipStream_tbDpT10_ENKUlT_T0_E_clISt17integral_constantIbLb0EES1B_EEDaS16_S17_EUlS16_E_NS1_11comp_targetILNS1_3genE10ELNS1_11target_archE1200ELNS1_3gpuE4ELNS1_3repE0EEENS1_30default_config_static_selectorELNS0_4arch9wavefront6targetE0EEEvT1_.uses_flat_scratch, 0
	.set _ZN7rocprim17ROCPRIM_400000_NS6detail17trampoline_kernelINS0_14default_configENS1_25partition_config_selectorILNS1_17partition_subalgoE5ElNS0_10empty_typeEbEEZZNS1_14partition_implILS5_5ELb0ES3_mN6hipcub16HIPCUB_304000_NS21CountingInputIteratorIllEEPS6_NSA_22TransformInputIteratorIbN2at6native12_GLOBAL__N_19NonZeroOpIhEEPKhlEENS0_5tupleIJPlS6_EEENSN_IJSD_SD_EEES6_PiJS6_EEE10hipError_tPvRmT3_T4_T5_T6_T7_T9_mT8_P12ihipStream_tbDpT10_ENKUlT_T0_E_clISt17integral_constantIbLb0EES1B_EEDaS16_S17_EUlS16_E_NS1_11comp_targetILNS1_3genE10ELNS1_11target_archE1200ELNS1_3gpuE4ELNS1_3repE0EEENS1_30default_config_static_selectorELNS0_4arch9wavefront6targetE0EEEvT1_.has_dyn_sized_stack, 0
	.set _ZN7rocprim17ROCPRIM_400000_NS6detail17trampoline_kernelINS0_14default_configENS1_25partition_config_selectorILNS1_17partition_subalgoE5ElNS0_10empty_typeEbEEZZNS1_14partition_implILS5_5ELb0ES3_mN6hipcub16HIPCUB_304000_NS21CountingInputIteratorIllEEPS6_NSA_22TransformInputIteratorIbN2at6native12_GLOBAL__N_19NonZeroOpIhEEPKhlEENS0_5tupleIJPlS6_EEENSN_IJSD_SD_EEES6_PiJS6_EEE10hipError_tPvRmT3_T4_T5_T6_T7_T9_mT8_P12ihipStream_tbDpT10_ENKUlT_T0_E_clISt17integral_constantIbLb0EES1B_EEDaS16_S17_EUlS16_E_NS1_11comp_targetILNS1_3genE10ELNS1_11target_archE1200ELNS1_3gpuE4ELNS1_3repE0EEENS1_30default_config_static_selectorELNS0_4arch9wavefront6targetE0EEEvT1_.has_recursion, 0
	.set _ZN7rocprim17ROCPRIM_400000_NS6detail17trampoline_kernelINS0_14default_configENS1_25partition_config_selectorILNS1_17partition_subalgoE5ElNS0_10empty_typeEbEEZZNS1_14partition_implILS5_5ELb0ES3_mN6hipcub16HIPCUB_304000_NS21CountingInputIteratorIllEEPS6_NSA_22TransformInputIteratorIbN2at6native12_GLOBAL__N_19NonZeroOpIhEEPKhlEENS0_5tupleIJPlS6_EEENSN_IJSD_SD_EEES6_PiJS6_EEE10hipError_tPvRmT3_T4_T5_T6_T7_T9_mT8_P12ihipStream_tbDpT10_ENKUlT_T0_E_clISt17integral_constantIbLb0EES1B_EEDaS16_S17_EUlS16_E_NS1_11comp_targetILNS1_3genE10ELNS1_11target_archE1200ELNS1_3gpuE4ELNS1_3repE0EEENS1_30default_config_static_selectorELNS0_4arch9wavefront6targetE0EEEvT1_.has_indirect_call, 0
	.section	.AMDGPU.csdata,"",@progbits
; Kernel info:
; codeLenInByte = 6796
; TotalNumSgprs: 22
; NumVgprs: 46
; ScratchSize: 0
; MemoryBound: 0
; FloatMode: 240
; IeeeMode: 1
; LDSByteSize: 8464 bytes/workgroup (compile time only)
; SGPRBlocks: 0
; VGPRBlocks: 5
; NumSGPRsForWavesPerEU: 22
; NumVGPRsForWavesPerEU: 46
; Occupancy: 16
; WaveLimiterHint : 1
; COMPUTE_PGM_RSRC2:SCRATCH_EN: 0
; COMPUTE_PGM_RSRC2:USER_SGPR: 2
; COMPUTE_PGM_RSRC2:TRAP_HANDLER: 0
; COMPUTE_PGM_RSRC2:TGID_X_EN: 1
; COMPUTE_PGM_RSRC2:TGID_Y_EN: 0
; COMPUTE_PGM_RSRC2:TGID_Z_EN: 0
; COMPUTE_PGM_RSRC2:TIDIG_COMP_CNT: 0
	.section	.text._ZN7rocprim17ROCPRIM_400000_NS6detail17trampoline_kernelINS0_14default_configENS1_25partition_config_selectorILNS1_17partition_subalgoE5ElNS0_10empty_typeEbEEZZNS1_14partition_implILS5_5ELb0ES3_mN6hipcub16HIPCUB_304000_NS21CountingInputIteratorIllEEPS6_NSA_22TransformInputIteratorIbN2at6native12_GLOBAL__N_19NonZeroOpIhEEPKhlEENS0_5tupleIJPlS6_EEENSN_IJSD_SD_EEES6_PiJS6_EEE10hipError_tPvRmT3_T4_T5_T6_T7_T9_mT8_P12ihipStream_tbDpT10_ENKUlT_T0_E_clISt17integral_constantIbLb0EES1B_EEDaS16_S17_EUlS16_E_NS1_11comp_targetILNS1_3genE9ELNS1_11target_archE1100ELNS1_3gpuE3ELNS1_3repE0EEENS1_30default_config_static_selectorELNS0_4arch9wavefront6targetE0EEEvT1_,"axG",@progbits,_ZN7rocprim17ROCPRIM_400000_NS6detail17trampoline_kernelINS0_14default_configENS1_25partition_config_selectorILNS1_17partition_subalgoE5ElNS0_10empty_typeEbEEZZNS1_14partition_implILS5_5ELb0ES3_mN6hipcub16HIPCUB_304000_NS21CountingInputIteratorIllEEPS6_NSA_22TransformInputIteratorIbN2at6native12_GLOBAL__N_19NonZeroOpIhEEPKhlEENS0_5tupleIJPlS6_EEENSN_IJSD_SD_EEES6_PiJS6_EEE10hipError_tPvRmT3_T4_T5_T6_T7_T9_mT8_P12ihipStream_tbDpT10_ENKUlT_T0_E_clISt17integral_constantIbLb0EES1B_EEDaS16_S17_EUlS16_E_NS1_11comp_targetILNS1_3genE9ELNS1_11target_archE1100ELNS1_3gpuE3ELNS1_3repE0EEENS1_30default_config_static_selectorELNS0_4arch9wavefront6targetE0EEEvT1_,comdat
	.globl	_ZN7rocprim17ROCPRIM_400000_NS6detail17trampoline_kernelINS0_14default_configENS1_25partition_config_selectorILNS1_17partition_subalgoE5ElNS0_10empty_typeEbEEZZNS1_14partition_implILS5_5ELb0ES3_mN6hipcub16HIPCUB_304000_NS21CountingInputIteratorIllEEPS6_NSA_22TransformInputIteratorIbN2at6native12_GLOBAL__N_19NonZeroOpIhEEPKhlEENS0_5tupleIJPlS6_EEENSN_IJSD_SD_EEES6_PiJS6_EEE10hipError_tPvRmT3_T4_T5_T6_T7_T9_mT8_P12ihipStream_tbDpT10_ENKUlT_T0_E_clISt17integral_constantIbLb0EES1B_EEDaS16_S17_EUlS16_E_NS1_11comp_targetILNS1_3genE9ELNS1_11target_archE1100ELNS1_3gpuE3ELNS1_3repE0EEENS1_30default_config_static_selectorELNS0_4arch9wavefront6targetE0EEEvT1_ ; -- Begin function _ZN7rocprim17ROCPRIM_400000_NS6detail17trampoline_kernelINS0_14default_configENS1_25partition_config_selectorILNS1_17partition_subalgoE5ElNS0_10empty_typeEbEEZZNS1_14partition_implILS5_5ELb0ES3_mN6hipcub16HIPCUB_304000_NS21CountingInputIteratorIllEEPS6_NSA_22TransformInputIteratorIbN2at6native12_GLOBAL__N_19NonZeroOpIhEEPKhlEENS0_5tupleIJPlS6_EEENSN_IJSD_SD_EEES6_PiJS6_EEE10hipError_tPvRmT3_T4_T5_T6_T7_T9_mT8_P12ihipStream_tbDpT10_ENKUlT_T0_E_clISt17integral_constantIbLb0EES1B_EEDaS16_S17_EUlS16_E_NS1_11comp_targetILNS1_3genE9ELNS1_11target_archE1100ELNS1_3gpuE3ELNS1_3repE0EEENS1_30default_config_static_selectorELNS0_4arch9wavefront6targetE0EEEvT1_
	.p2align	8
	.type	_ZN7rocprim17ROCPRIM_400000_NS6detail17trampoline_kernelINS0_14default_configENS1_25partition_config_selectorILNS1_17partition_subalgoE5ElNS0_10empty_typeEbEEZZNS1_14partition_implILS5_5ELb0ES3_mN6hipcub16HIPCUB_304000_NS21CountingInputIteratorIllEEPS6_NSA_22TransformInputIteratorIbN2at6native12_GLOBAL__N_19NonZeroOpIhEEPKhlEENS0_5tupleIJPlS6_EEENSN_IJSD_SD_EEES6_PiJS6_EEE10hipError_tPvRmT3_T4_T5_T6_T7_T9_mT8_P12ihipStream_tbDpT10_ENKUlT_T0_E_clISt17integral_constantIbLb0EES1B_EEDaS16_S17_EUlS16_E_NS1_11comp_targetILNS1_3genE9ELNS1_11target_archE1100ELNS1_3gpuE3ELNS1_3repE0EEENS1_30default_config_static_selectorELNS0_4arch9wavefront6targetE0EEEvT1_,@function
_ZN7rocprim17ROCPRIM_400000_NS6detail17trampoline_kernelINS0_14default_configENS1_25partition_config_selectorILNS1_17partition_subalgoE5ElNS0_10empty_typeEbEEZZNS1_14partition_implILS5_5ELb0ES3_mN6hipcub16HIPCUB_304000_NS21CountingInputIteratorIllEEPS6_NSA_22TransformInputIteratorIbN2at6native12_GLOBAL__N_19NonZeroOpIhEEPKhlEENS0_5tupleIJPlS6_EEENSN_IJSD_SD_EEES6_PiJS6_EEE10hipError_tPvRmT3_T4_T5_T6_T7_T9_mT8_P12ihipStream_tbDpT10_ENKUlT_T0_E_clISt17integral_constantIbLb0EES1B_EEDaS16_S17_EUlS16_E_NS1_11comp_targetILNS1_3genE9ELNS1_11target_archE1100ELNS1_3gpuE3ELNS1_3repE0EEENS1_30default_config_static_selectorELNS0_4arch9wavefront6targetE0EEEvT1_: ; @_ZN7rocprim17ROCPRIM_400000_NS6detail17trampoline_kernelINS0_14default_configENS1_25partition_config_selectorILNS1_17partition_subalgoE5ElNS0_10empty_typeEbEEZZNS1_14partition_implILS5_5ELb0ES3_mN6hipcub16HIPCUB_304000_NS21CountingInputIteratorIllEEPS6_NSA_22TransformInputIteratorIbN2at6native12_GLOBAL__N_19NonZeroOpIhEEPKhlEENS0_5tupleIJPlS6_EEENSN_IJSD_SD_EEES6_PiJS6_EEE10hipError_tPvRmT3_T4_T5_T6_T7_T9_mT8_P12ihipStream_tbDpT10_ENKUlT_T0_E_clISt17integral_constantIbLb0EES1B_EEDaS16_S17_EUlS16_E_NS1_11comp_targetILNS1_3genE9ELNS1_11target_archE1100ELNS1_3gpuE3ELNS1_3repE0EEENS1_30default_config_static_selectorELNS0_4arch9wavefront6targetE0EEEvT1_
; %bb.0:
	.section	.rodata,"a",@progbits
	.p2align	6, 0x0
	.amdhsa_kernel _ZN7rocprim17ROCPRIM_400000_NS6detail17trampoline_kernelINS0_14default_configENS1_25partition_config_selectorILNS1_17partition_subalgoE5ElNS0_10empty_typeEbEEZZNS1_14partition_implILS5_5ELb0ES3_mN6hipcub16HIPCUB_304000_NS21CountingInputIteratorIllEEPS6_NSA_22TransformInputIteratorIbN2at6native12_GLOBAL__N_19NonZeroOpIhEEPKhlEENS0_5tupleIJPlS6_EEENSN_IJSD_SD_EEES6_PiJS6_EEE10hipError_tPvRmT3_T4_T5_T6_T7_T9_mT8_P12ihipStream_tbDpT10_ENKUlT_T0_E_clISt17integral_constantIbLb0EES1B_EEDaS16_S17_EUlS16_E_NS1_11comp_targetILNS1_3genE9ELNS1_11target_archE1100ELNS1_3gpuE3ELNS1_3repE0EEENS1_30default_config_static_selectorELNS0_4arch9wavefront6targetE0EEEvT1_
		.amdhsa_group_segment_fixed_size 0
		.amdhsa_private_segment_fixed_size 0
		.amdhsa_kernarg_size 120
		.amdhsa_user_sgpr_count 2
		.amdhsa_user_sgpr_dispatch_ptr 0
		.amdhsa_user_sgpr_queue_ptr 0
		.amdhsa_user_sgpr_kernarg_segment_ptr 1
		.amdhsa_user_sgpr_dispatch_id 0
		.amdhsa_user_sgpr_private_segment_size 0
		.amdhsa_wavefront_size32 1
		.amdhsa_uses_dynamic_stack 0
		.amdhsa_enable_private_segment 0
		.amdhsa_system_sgpr_workgroup_id_x 1
		.amdhsa_system_sgpr_workgroup_id_y 0
		.amdhsa_system_sgpr_workgroup_id_z 0
		.amdhsa_system_sgpr_workgroup_info 0
		.amdhsa_system_vgpr_workitem_id 0
		.amdhsa_next_free_vgpr 1
		.amdhsa_next_free_sgpr 1
		.amdhsa_reserve_vcc 0
		.amdhsa_float_round_mode_32 0
		.amdhsa_float_round_mode_16_64 0
		.amdhsa_float_denorm_mode_32 3
		.amdhsa_float_denorm_mode_16_64 3
		.amdhsa_fp16_overflow 0
		.amdhsa_workgroup_processor_mode 1
		.amdhsa_memory_ordered 1
		.amdhsa_forward_progress 1
		.amdhsa_inst_pref_size 0
		.amdhsa_round_robin_scheduling 0
		.amdhsa_exception_fp_ieee_invalid_op 0
		.amdhsa_exception_fp_denorm_src 0
		.amdhsa_exception_fp_ieee_div_zero 0
		.amdhsa_exception_fp_ieee_overflow 0
		.amdhsa_exception_fp_ieee_underflow 0
		.amdhsa_exception_fp_ieee_inexact 0
		.amdhsa_exception_int_div_zero 0
	.end_amdhsa_kernel
	.section	.text._ZN7rocprim17ROCPRIM_400000_NS6detail17trampoline_kernelINS0_14default_configENS1_25partition_config_selectorILNS1_17partition_subalgoE5ElNS0_10empty_typeEbEEZZNS1_14partition_implILS5_5ELb0ES3_mN6hipcub16HIPCUB_304000_NS21CountingInputIteratorIllEEPS6_NSA_22TransformInputIteratorIbN2at6native12_GLOBAL__N_19NonZeroOpIhEEPKhlEENS0_5tupleIJPlS6_EEENSN_IJSD_SD_EEES6_PiJS6_EEE10hipError_tPvRmT3_T4_T5_T6_T7_T9_mT8_P12ihipStream_tbDpT10_ENKUlT_T0_E_clISt17integral_constantIbLb0EES1B_EEDaS16_S17_EUlS16_E_NS1_11comp_targetILNS1_3genE9ELNS1_11target_archE1100ELNS1_3gpuE3ELNS1_3repE0EEENS1_30default_config_static_selectorELNS0_4arch9wavefront6targetE0EEEvT1_,"axG",@progbits,_ZN7rocprim17ROCPRIM_400000_NS6detail17trampoline_kernelINS0_14default_configENS1_25partition_config_selectorILNS1_17partition_subalgoE5ElNS0_10empty_typeEbEEZZNS1_14partition_implILS5_5ELb0ES3_mN6hipcub16HIPCUB_304000_NS21CountingInputIteratorIllEEPS6_NSA_22TransformInputIteratorIbN2at6native12_GLOBAL__N_19NonZeroOpIhEEPKhlEENS0_5tupleIJPlS6_EEENSN_IJSD_SD_EEES6_PiJS6_EEE10hipError_tPvRmT3_T4_T5_T6_T7_T9_mT8_P12ihipStream_tbDpT10_ENKUlT_T0_E_clISt17integral_constantIbLb0EES1B_EEDaS16_S17_EUlS16_E_NS1_11comp_targetILNS1_3genE9ELNS1_11target_archE1100ELNS1_3gpuE3ELNS1_3repE0EEENS1_30default_config_static_selectorELNS0_4arch9wavefront6targetE0EEEvT1_,comdat
.Lfunc_end44:
	.size	_ZN7rocprim17ROCPRIM_400000_NS6detail17trampoline_kernelINS0_14default_configENS1_25partition_config_selectorILNS1_17partition_subalgoE5ElNS0_10empty_typeEbEEZZNS1_14partition_implILS5_5ELb0ES3_mN6hipcub16HIPCUB_304000_NS21CountingInputIteratorIllEEPS6_NSA_22TransformInputIteratorIbN2at6native12_GLOBAL__N_19NonZeroOpIhEEPKhlEENS0_5tupleIJPlS6_EEENSN_IJSD_SD_EEES6_PiJS6_EEE10hipError_tPvRmT3_T4_T5_T6_T7_T9_mT8_P12ihipStream_tbDpT10_ENKUlT_T0_E_clISt17integral_constantIbLb0EES1B_EEDaS16_S17_EUlS16_E_NS1_11comp_targetILNS1_3genE9ELNS1_11target_archE1100ELNS1_3gpuE3ELNS1_3repE0EEENS1_30default_config_static_selectorELNS0_4arch9wavefront6targetE0EEEvT1_, .Lfunc_end44-_ZN7rocprim17ROCPRIM_400000_NS6detail17trampoline_kernelINS0_14default_configENS1_25partition_config_selectorILNS1_17partition_subalgoE5ElNS0_10empty_typeEbEEZZNS1_14partition_implILS5_5ELb0ES3_mN6hipcub16HIPCUB_304000_NS21CountingInputIteratorIllEEPS6_NSA_22TransformInputIteratorIbN2at6native12_GLOBAL__N_19NonZeroOpIhEEPKhlEENS0_5tupleIJPlS6_EEENSN_IJSD_SD_EEES6_PiJS6_EEE10hipError_tPvRmT3_T4_T5_T6_T7_T9_mT8_P12ihipStream_tbDpT10_ENKUlT_T0_E_clISt17integral_constantIbLb0EES1B_EEDaS16_S17_EUlS16_E_NS1_11comp_targetILNS1_3genE9ELNS1_11target_archE1100ELNS1_3gpuE3ELNS1_3repE0EEENS1_30default_config_static_selectorELNS0_4arch9wavefront6targetE0EEEvT1_
                                        ; -- End function
	.set _ZN7rocprim17ROCPRIM_400000_NS6detail17trampoline_kernelINS0_14default_configENS1_25partition_config_selectorILNS1_17partition_subalgoE5ElNS0_10empty_typeEbEEZZNS1_14partition_implILS5_5ELb0ES3_mN6hipcub16HIPCUB_304000_NS21CountingInputIteratorIllEEPS6_NSA_22TransformInputIteratorIbN2at6native12_GLOBAL__N_19NonZeroOpIhEEPKhlEENS0_5tupleIJPlS6_EEENSN_IJSD_SD_EEES6_PiJS6_EEE10hipError_tPvRmT3_T4_T5_T6_T7_T9_mT8_P12ihipStream_tbDpT10_ENKUlT_T0_E_clISt17integral_constantIbLb0EES1B_EEDaS16_S17_EUlS16_E_NS1_11comp_targetILNS1_3genE9ELNS1_11target_archE1100ELNS1_3gpuE3ELNS1_3repE0EEENS1_30default_config_static_selectorELNS0_4arch9wavefront6targetE0EEEvT1_.num_vgpr, 0
	.set _ZN7rocprim17ROCPRIM_400000_NS6detail17trampoline_kernelINS0_14default_configENS1_25partition_config_selectorILNS1_17partition_subalgoE5ElNS0_10empty_typeEbEEZZNS1_14partition_implILS5_5ELb0ES3_mN6hipcub16HIPCUB_304000_NS21CountingInputIteratorIllEEPS6_NSA_22TransformInputIteratorIbN2at6native12_GLOBAL__N_19NonZeroOpIhEEPKhlEENS0_5tupleIJPlS6_EEENSN_IJSD_SD_EEES6_PiJS6_EEE10hipError_tPvRmT3_T4_T5_T6_T7_T9_mT8_P12ihipStream_tbDpT10_ENKUlT_T0_E_clISt17integral_constantIbLb0EES1B_EEDaS16_S17_EUlS16_E_NS1_11comp_targetILNS1_3genE9ELNS1_11target_archE1100ELNS1_3gpuE3ELNS1_3repE0EEENS1_30default_config_static_selectorELNS0_4arch9wavefront6targetE0EEEvT1_.num_agpr, 0
	.set _ZN7rocprim17ROCPRIM_400000_NS6detail17trampoline_kernelINS0_14default_configENS1_25partition_config_selectorILNS1_17partition_subalgoE5ElNS0_10empty_typeEbEEZZNS1_14partition_implILS5_5ELb0ES3_mN6hipcub16HIPCUB_304000_NS21CountingInputIteratorIllEEPS6_NSA_22TransformInputIteratorIbN2at6native12_GLOBAL__N_19NonZeroOpIhEEPKhlEENS0_5tupleIJPlS6_EEENSN_IJSD_SD_EEES6_PiJS6_EEE10hipError_tPvRmT3_T4_T5_T6_T7_T9_mT8_P12ihipStream_tbDpT10_ENKUlT_T0_E_clISt17integral_constantIbLb0EES1B_EEDaS16_S17_EUlS16_E_NS1_11comp_targetILNS1_3genE9ELNS1_11target_archE1100ELNS1_3gpuE3ELNS1_3repE0EEENS1_30default_config_static_selectorELNS0_4arch9wavefront6targetE0EEEvT1_.numbered_sgpr, 0
	.set _ZN7rocprim17ROCPRIM_400000_NS6detail17trampoline_kernelINS0_14default_configENS1_25partition_config_selectorILNS1_17partition_subalgoE5ElNS0_10empty_typeEbEEZZNS1_14partition_implILS5_5ELb0ES3_mN6hipcub16HIPCUB_304000_NS21CountingInputIteratorIllEEPS6_NSA_22TransformInputIteratorIbN2at6native12_GLOBAL__N_19NonZeroOpIhEEPKhlEENS0_5tupleIJPlS6_EEENSN_IJSD_SD_EEES6_PiJS6_EEE10hipError_tPvRmT3_T4_T5_T6_T7_T9_mT8_P12ihipStream_tbDpT10_ENKUlT_T0_E_clISt17integral_constantIbLb0EES1B_EEDaS16_S17_EUlS16_E_NS1_11comp_targetILNS1_3genE9ELNS1_11target_archE1100ELNS1_3gpuE3ELNS1_3repE0EEENS1_30default_config_static_selectorELNS0_4arch9wavefront6targetE0EEEvT1_.num_named_barrier, 0
	.set _ZN7rocprim17ROCPRIM_400000_NS6detail17trampoline_kernelINS0_14default_configENS1_25partition_config_selectorILNS1_17partition_subalgoE5ElNS0_10empty_typeEbEEZZNS1_14partition_implILS5_5ELb0ES3_mN6hipcub16HIPCUB_304000_NS21CountingInputIteratorIllEEPS6_NSA_22TransformInputIteratorIbN2at6native12_GLOBAL__N_19NonZeroOpIhEEPKhlEENS0_5tupleIJPlS6_EEENSN_IJSD_SD_EEES6_PiJS6_EEE10hipError_tPvRmT3_T4_T5_T6_T7_T9_mT8_P12ihipStream_tbDpT10_ENKUlT_T0_E_clISt17integral_constantIbLb0EES1B_EEDaS16_S17_EUlS16_E_NS1_11comp_targetILNS1_3genE9ELNS1_11target_archE1100ELNS1_3gpuE3ELNS1_3repE0EEENS1_30default_config_static_selectorELNS0_4arch9wavefront6targetE0EEEvT1_.private_seg_size, 0
	.set _ZN7rocprim17ROCPRIM_400000_NS6detail17trampoline_kernelINS0_14default_configENS1_25partition_config_selectorILNS1_17partition_subalgoE5ElNS0_10empty_typeEbEEZZNS1_14partition_implILS5_5ELb0ES3_mN6hipcub16HIPCUB_304000_NS21CountingInputIteratorIllEEPS6_NSA_22TransformInputIteratorIbN2at6native12_GLOBAL__N_19NonZeroOpIhEEPKhlEENS0_5tupleIJPlS6_EEENSN_IJSD_SD_EEES6_PiJS6_EEE10hipError_tPvRmT3_T4_T5_T6_T7_T9_mT8_P12ihipStream_tbDpT10_ENKUlT_T0_E_clISt17integral_constantIbLb0EES1B_EEDaS16_S17_EUlS16_E_NS1_11comp_targetILNS1_3genE9ELNS1_11target_archE1100ELNS1_3gpuE3ELNS1_3repE0EEENS1_30default_config_static_selectorELNS0_4arch9wavefront6targetE0EEEvT1_.uses_vcc, 0
	.set _ZN7rocprim17ROCPRIM_400000_NS6detail17trampoline_kernelINS0_14default_configENS1_25partition_config_selectorILNS1_17partition_subalgoE5ElNS0_10empty_typeEbEEZZNS1_14partition_implILS5_5ELb0ES3_mN6hipcub16HIPCUB_304000_NS21CountingInputIteratorIllEEPS6_NSA_22TransformInputIteratorIbN2at6native12_GLOBAL__N_19NonZeroOpIhEEPKhlEENS0_5tupleIJPlS6_EEENSN_IJSD_SD_EEES6_PiJS6_EEE10hipError_tPvRmT3_T4_T5_T6_T7_T9_mT8_P12ihipStream_tbDpT10_ENKUlT_T0_E_clISt17integral_constantIbLb0EES1B_EEDaS16_S17_EUlS16_E_NS1_11comp_targetILNS1_3genE9ELNS1_11target_archE1100ELNS1_3gpuE3ELNS1_3repE0EEENS1_30default_config_static_selectorELNS0_4arch9wavefront6targetE0EEEvT1_.uses_flat_scratch, 0
	.set _ZN7rocprim17ROCPRIM_400000_NS6detail17trampoline_kernelINS0_14default_configENS1_25partition_config_selectorILNS1_17partition_subalgoE5ElNS0_10empty_typeEbEEZZNS1_14partition_implILS5_5ELb0ES3_mN6hipcub16HIPCUB_304000_NS21CountingInputIteratorIllEEPS6_NSA_22TransformInputIteratorIbN2at6native12_GLOBAL__N_19NonZeroOpIhEEPKhlEENS0_5tupleIJPlS6_EEENSN_IJSD_SD_EEES6_PiJS6_EEE10hipError_tPvRmT3_T4_T5_T6_T7_T9_mT8_P12ihipStream_tbDpT10_ENKUlT_T0_E_clISt17integral_constantIbLb0EES1B_EEDaS16_S17_EUlS16_E_NS1_11comp_targetILNS1_3genE9ELNS1_11target_archE1100ELNS1_3gpuE3ELNS1_3repE0EEENS1_30default_config_static_selectorELNS0_4arch9wavefront6targetE0EEEvT1_.has_dyn_sized_stack, 0
	.set _ZN7rocprim17ROCPRIM_400000_NS6detail17trampoline_kernelINS0_14default_configENS1_25partition_config_selectorILNS1_17partition_subalgoE5ElNS0_10empty_typeEbEEZZNS1_14partition_implILS5_5ELb0ES3_mN6hipcub16HIPCUB_304000_NS21CountingInputIteratorIllEEPS6_NSA_22TransformInputIteratorIbN2at6native12_GLOBAL__N_19NonZeroOpIhEEPKhlEENS0_5tupleIJPlS6_EEENSN_IJSD_SD_EEES6_PiJS6_EEE10hipError_tPvRmT3_T4_T5_T6_T7_T9_mT8_P12ihipStream_tbDpT10_ENKUlT_T0_E_clISt17integral_constantIbLb0EES1B_EEDaS16_S17_EUlS16_E_NS1_11comp_targetILNS1_3genE9ELNS1_11target_archE1100ELNS1_3gpuE3ELNS1_3repE0EEENS1_30default_config_static_selectorELNS0_4arch9wavefront6targetE0EEEvT1_.has_recursion, 0
	.set _ZN7rocprim17ROCPRIM_400000_NS6detail17trampoline_kernelINS0_14default_configENS1_25partition_config_selectorILNS1_17partition_subalgoE5ElNS0_10empty_typeEbEEZZNS1_14partition_implILS5_5ELb0ES3_mN6hipcub16HIPCUB_304000_NS21CountingInputIteratorIllEEPS6_NSA_22TransformInputIteratorIbN2at6native12_GLOBAL__N_19NonZeroOpIhEEPKhlEENS0_5tupleIJPlS6_EEENSN_IJSD_SD_EEES6_PiJS6_EEE10hipError_tPvRmT3_T4_T5_T6_T7_T9_mT8_P12ihipStream_tbDpT10_ENKUlT_T0_E_clISt17integral_constantIbLb0EES1B_EEDaS16_S17_EUlS16_E_NS1_11comp_targetILNS1_3genE9ELNS1_11target_archE1100ELNS1_3gpuE3ELNS1_3repE0EEENS1_30default_config_static_selectorELNS0_4arch9wavefront6targetE0EEEvT1_.has_indirect_call, 0
	.section	.AMDGPU.csdata,"",@progbits
; Kernel info:
; codeLenInByte = 0
; TotalNumSgprs: 0
; NumVgprs: 0
; ScratchSize: 0
; MemoryBound: 0
; FloatMode: 240
; IeeeMode: 1
; LDSByteSize: 0 bytes/workgroup (compile time only)
; SGPRBlocks: 0
; VGPRBlocks: 0
; NumSGPRsForWavesPerEU: 1
; NumVGPRsForWavesPerEU: 1
; Occupancy: 16
; WaveLimiterHint : 0
; COMPUTE_PGM_RSRC2:SCRATCH_EN: 0
; COMPUTE_PGM_RSRC2:USER_SGPR: 2
; COMPUTE_PGM_RSRC2:TRAP_HANDLER: 0
; COMPUTE_PGM_RSRC2:TGID_X_EN: 1
; COMPUTE_PGM_RSRC2:TGID_Y_EN: 0
; COMPUTE_PGM_RSRC2:TGID_Z_EN: 0
; COMPUTE_PGM_RSRC2:TIDIG_COMP_CNT: 0
	.section	.text._ZN7rocprim17ROCPRIM_400000_NS6detail17trampoline_kernelINS0_14default_configENS1_25partition_config_selectorILNS1_17partition_subalgoE5ElNS0_10empty_typeEbEEZZNS1_14partition_implILS5_5ELb0ES3_mN6hipcub16HIPCUB_304000_NS21CountingInputIteratorIllEEPS6_NSA_22TransformInputIteratorIbN2at6native12_GLOBAL__N_19NonZeroOpIhEEPKhlEENS0_5tupleIJPlS6_EEENSN_IJSD_SD_EEES6_PiJS6_EEE10hipError_tPvRmT3_T4_T5_T6_T7_T9_mT8_P12ihipStream_tbDpT10_ENKUlT_T0_E_clISt17integral_constantIbLb0EES1B_EEDaS16_S17_EUlS16_E_NS1_11comp_targetILNS1_3genE8ELNS1_11target_archE1030ELNS1_3gpuE2ELNS1_3repE0EEENS1_30default_config_static_selectorELNS0_4arch9wavefront6targetE0EEEvT1_,"axG",@progbits,_ZN7rocprim17ROCPRIM_400000_NS6detail17trampoline_kernelINS0_14default_configENS1_25partition_config_selectorILNS1_17partition_subalgoE5ElNS0_10empty_typeEbEEZZNS1_14partition_implILS5_5ELb0ES3_mN6hipcub16HIPCUB_304000_NS21CountingInputIteratorIllEEPS6_NSA_22TransformInputIteratorIbN2at6native12_GLOBAL__N_19NonZeroOpIhEEPKhlEENS0_5tupleIJPlS6_EEENSN_IJSD_SD_EEES6_PiJS6_EEE10hipError_tPvRmT3_T4_T5_T6_T7_T9_mT8_P12ihipStream_tbDpT10_ENKUlT_T0_E_clISt17integral_constantIbLb0EES1B_EEDaS16_S17_EUlS16_E_NS1_11comp_targetILNS1_3genE8ELNS1_11target_archE1030ELNS1_3gpuE2ELNS1_3repE0EEENS1_30default_config_static_selectorELNS0_4arch9wavefront6targetE0EEEvT1_,comdat
	.globl	_ZN7rocprim17ROCPRIM_400000_NS6detail17trampoline_kernelINS0_14default_configENS1_25partition_config_selectorILNS1_17partition_subalgoE5ElNS0_10empty_typeEbEEZZNS1_14partition_implILS5_5ELb0ES3_mN6hipcub16HIPCUB_304000_NS21CountingInputIteratorIllEEPS6_NSA_22TransformInputIteratorIbN2at6native12_GLOBAL__N_19NonZeroOpIhEEPKhlEENS0_5tupleIJPlS6_EEENSN_IJSD_SD_EEES6_PiJS6_EEE10hipError_tPvRmT3_T4_T5_T6_T7_T9_mT8_P12ihipStream_tbDpT10_ENKUlT_T0_E_clISt17integral_constantIbLb0EES1B_EEDaS16_S17_EUlS16_E_NS1_11comp_targetILNS1_3genE8ELNS1_11target_archE1030ELNS1_3gpuE2ELNS1_3repE0EEENS1_30default_config_static_selectorELNS0_4arch9wavefront6targetE0EEEvT1_ ; -- Begin function _ZN7rocprim17ROCPRIM_400000_NS6detail17trampoline_kernelINS0_14default_configENS1_25partition_config_selectorILNS1_17partition_subalgoE5ElNS0_10empty_typeEbEEZZNS1_14partition_implILS5_5ELb0ES3_mN6hipcub16HIPCUB_304000_NS21CountingInputIteratorIllEEPS6_NSA_22TransformInputIteratorIbN2at6native12_GLOBAL__N_19NonZeroOpIhEEPKhlEENS0_5tupleIJPlS6_EEENSN_IJSD_SD_EEES6_PiJS6_EEE10hipError_tPvRmT3_T4_T5_T6_T7_T9_mT8_P12ihipStream_tbDpT10_ENKUlT_T0_E_clISt17integral_constantIbLb0EES1B_EEDaS16_S17_EUlS16_E_NS1_11comp_targetILNS1_3genE8ELNS1_11target_archE1030ELNS1_3gpuE2ELNS1_3repE0EEENS1_30default_config_static_selectorELNS0_4arch9wavefront6targetE0EEEvT1_
	.p2align	8
	.type	_ZN7rocprim17ROCPRIM_400000_NS6detail17trampoline_kernelINS0_14default_configENS1_25partition_config_selectorILNS1_17partition_subalgoE5ElNS0_10empty_typeEbEEZZNS1_14partition_implILS5_5ELb0ES3_mN6hipcub16HIPCUB_304000_NS21CountingInputIteratorIllEEPS6_NSA_22TransformInputIteratorIbN2at6native12_GLOBAL__N_19NonZeroOpIhEEPKhlEENS0_5tupleIJPlS6_EEENSN_IJSD_SD_EEES6_PiJS6_EEE10hipError_tPvRmT3_T4_T5_T6_T7_T9_mT8_P12ihipStream_tbDpT10_ENKUlT_T0_E_clISt17integral_constantIbLb0EES1B_EEDaS16_S17_EUlS16_E_NS1_11comp_targetILNS1_3genE8ELNS1_11target_archE1030ELNS1_3gpuE2ELNS1_3repE0EEENS1_30default_config_static_selectorELNS0_4arch9wavefront6targetE0EEEvT1_,@function
_ZN7rocprim17ROCPRIM_400000_NS6detail17trampoline_kernelINS0_14default_configENS1_25partition_config_selectorILNS1_17partition_subalgoE5ElNS0_10empty_typeEbEEZZNS1_14partition_implILS5_5ELb0ES3_mN6hipcub16HIPCUB_304000_NS21CountingInputIteratorIllEEPS6_NSA_22TransformInputIteratorIbN2at6native12_GLOBAL__N_19NonZeroOpIhEEPKhlEENS0_5tupleIJPlS6_EEENSN_IJSD_SD_EEES6_PiJS6_EEE10hipError_tPvRmT3_T4_T5_T6_T7_T9_mT8_P12ihipStream_tbDpT10_ENKUlT_T0_E_clISt17integral_constantIbLb0EES1B_EEDaS16_S17_EUlS16_E_NS1_11comp_targetILNS1_3genE8ELNS1_11target_archE1030ELNS1_3gpuE2ELNS1_3repE0EEENS1_30default_config_static_selectorELNS0_4arch9wavefront6targetE0EEEvT1_: ; @_ZN7rocprim17ROCPRIM_400000_NS6detail17trampoline_kernelINS0_14default_configENS1_25partition_config_selectorILNS1_17partition_subalgoE5ElNS0_10empty_typeEbEEZZNS1_14partition_implILS5_5ELb0ES3_mN6hipcub16HIPCUB_304000_NS21CountingInputIteratorIllEEPS6_NSA_22TransformInputIteratorIbN2at6native12_GLOBAL__N_19NonZeroOpIhEEPKhlEENS0_5tupleIJPlS6_EEENSN_IJSD_SD_EEES6_PiJS6_EEE10hipError_tPvRmT3_T4_T5_T6_T7_T9_mT8_P12ihipStream_tbDpT10_ENKUlT_T0_E_clISt17integral_constantIbLb0EES1B_EEDaS16_S17_EUlS16_E_NS1_11comp_targetILNS1_3genE8ELNS1_11target_archE1030ELNS1_3gpuE2ELNS1_3repE0EEENS1_30default_config_static_selectorELNS0_4arch9wavefront6targetE0EEEvT1_
; %bb.0:
	.section	.rodata,"a",@progbits
	.p2align	6, 0x0
	.amdhsa_kernel _ZN7rocprim17ROCPRIM_400000_NS6detail17trampoline_kernelINS0_14default_configENS1_25partition_config_selectorILNS1_17partition_subalgoE5ElNS0_10empty_typeEbEEZZNS1_14partition_implILS5_5ELb0ES3_mN6hipcub16HIPCUB_304000_NS21CountingInputIteratorIllEEPS6_NSA_22TransformInputIteratorIbN2at6native12_GLOBAL__N_19NonZeroOpIhEEPKhlEENS0_5tupleIJPlS6_EEENSN_IJSD_SD_EEES6_PiJS6_EEE10hipError_tPvRmT3_T4_T5_T6_T7_T9_mT8_P12ihipStream_tbDpT10_ENKUlT_T0_E_clISt17integral_constantIbLb0EES1B_EEDaS16_S17_EUlS16_E_NS1_11comp_targetILNS1_3genE8ELNS1_11target_archE1030ELNS1_3gpuE2ELNS1_3repE0EEENS1_30default_config_static_selectorELNS0_4arch9wavefront6targetE0EEEvT1_
		.amdhsa_group_segment_fixed_size 0
		.amdhsa_private_segment_fixed_size 0
		.amdhsa_kernarg_size 120
		.amdhsa_user_sgpr_count 2
		.amdhsa_user_sgpr_dispatch_ptr 0
		.amdhsa_user_sgpr_queue_ptr 0
		.amdhsa_user_sgpr_kernarg_segment_ptr 1
		.amdhsa_user_sgpr_dispatch_id 0
		.amdhsa_user_sgpr_private_segment_size 0
		.amdhsa_wavefront_size32 1
		.amdhsa_uses_dynamic_stack 0
		.amdhsa_enable_private_segment 0
		.amdhsa_system_sgpr_workgroup_id_x 1
		.amdhsa_system_sgpr_workgroup_id_y 0
		.amdhsa_system_sgpr_workgroup_id_z 0
		.amdhsa_system_sgpr_workgroup_info 0
		.amdhsa_system_vgpr_workitem_id 0
		.amdhsa_next_free_vgpr 1
		.amdhsa_next_free_sgpr 1
		.amdhsa_reserve_vcc 0
		.amdhsa_float_round_mode_32 0
		.amdhsa_float_round_mode_16_64 0
		.amdhsa_float_denorm_mode_32 3
		.amdhsa_float_denorm_mode_16_64 3
		.amdhsa_fp16_overflow 0
		.amdhsa_workgroup_processor_mode 1
		.amdhsa_memory_ordered 1
		.amdhsa_forward_progress 1
		.amdhsa_inst_pref_size 0
		.amdhsa_round_robin_scheduling 0
		.amdhsa_exception_fp_ieee_invalid_op 0
		.amdhsa_exception_fp_denorm_src 0
		.amdhsa_exception_fp_ieee_div_zero 0
		.amdhsa_exception_fp_ieee_overflow 0
		.amdhsa_exception_fp_ieee_underflow 0
		.amdhsa_exception_fp_ieee_inexact 0
		.amdhsa_exception_int_div_zero 0
	.end_amdhsa_kernel
	.section	.text._ZN7rocprim17ROCPRIM_400000_NS6detail17trampoline_kernelINS0_14default_configENS1_25partition_config_selectorILNS1_17partition_subalgoE5ElNS0_10empty_typeEbEEZZNS1_14partition_implILS5_5ELb0ES3_mN6hipcub16HIPCUB_304000_NS21CountingInputIteratorIllEEPS6_NSA_22TransformInputIteratorIbN2at6native12_GLOBAL__N_19NonZeroOpIhEEPKhlEENS0_5tupleIJPlS6_EEENSN_IJSD_SD_EEES6_PiJS6_EEE10hipError_tPvRmT3_T4_T5_T6_T7_T9_mT8_P12ihipStream_tbDpT10_ENKUlT_T0_E_clISt17integral_constantIbLb0EES1B_EEDaS16_S17_EUlS16_E_NS1_11comp_targetILNS1_3genE8ELNS1_11target_archE1030ELNS1_3gpuE2ELNS1_3repE0EEENS1_30default_config_static_selectorELNS0_4arch9wavefront6targetE0EEEvT1_,"axG",@progbits,_ZN7rocprim17ROCPRIM_400000_NS6detail17trampoline_kernelINS0_14default_configENS1_25partition_config_selectorILNS1_17partition_subalgoE5ElNS0_10empty_typeEbEEZZNS1_14partition_implILS5_5ELb0ES3_mN6hipcub16HIPCUB_304000_NS21CountingInputIteratorIllEEPS6_NSA_22TransformInputIteratorIbN2at6native12_GLOBAL__N_19NonZeroOpIhEEPKhlEENS0_5tupleIJPlS6_EEENSN_IJSD_SD_EEES6_PiJS6_EEE10hipError_tPvRmT3_T4_T5_T6_T7_T9_mT8_P12ihipStream_tbDpT10_ENKUlT_T0_E_clISt17integral_constantIbLb0EES1B_EEDaS16_S17_EUlS16_E_NS1_11comp_targetILNS1_3genE8ELNS1_11target_archE1030ELNS1_3gpuE2ELNS1_3repE0EEENS1_30default_config_static_selectorELNS0_4arch9wavefront6targetE0EEEvT1_,comdat
.Lfunc_end45:
	.size	_ZN7rocprim17ROCPRIM_400000_NS6detail17trampoline_kernelINS0_14default_configENS1_25partition_config_selectorILNS1_17partition_subalgoE5ElNS0_10empty_typeEbEEZZNS1_14partition_implILS5_5ELb0ES3_mN6hipcub16HIPCUB_304000_NS21CountingInputIteratorIllEEPS6_NSA_22TransformInputIteratorIbN2at6native12_GLOBAL__N_19NonZeroOpIhEEPKhlEENS0_5tupleIJPlS6_EEENSN_IJSD_SD_EEES6_PiJS6_EEE10hipError_tPvRmT3_T4_T5_T6_T7_T9_mT8_P12ihipStream_tbDpT10_ENKUlT_T0_E_clISt17integral_constantIbLb0EES1B_EEDaS16_S17_EUlS16_E_NS1_11comp_targetILNS1_3genE8ELNS1_11target_archE1030ELNS1_3gpuE2ELNS1_3repE0EEENS1_30default_config_static_selectorELNS0_4arch9wavefront6targetE0EEEvT1_, .Lfunc_end45-_ZN7rocprim17ROCPRIM_400000_NS6detail17trampoline_kernelINS0_14default_configENS1_25partition_config_selectorILNS1_17partition_subalgoE5ElNS0_10empty_typeEbEEZZNS1_14partition_implILS5_5ELb0ES3_mN6hipcub16HIPCUB_304000_NS21CountingInputIteratorIllEEPS6_NSA_22TransformInputIteratorIbN2at6native12_GLOBAL__N_19NonZeroOpIhEEPKhlEENS0_5tupleIJPlS6_EEENSN_IJSD_SD_EEES6_PiJS6_EEE10hipError_tPvRmT3_T4_T5_T6_T7_T9_mT8_P12ihipStream_tbDpT10_ENKUlT_T0_E_clISt17integral_constantIbLb0EES1B_EEDaS16_S17_EUlS16_E_NS1_11comp_targetILNS1_3genE8ELNS1_11target_archE1030ELNS1_3gpuE2ELNS1_3repE0EEENS1_30default_config_static_selectorELNS0_4arch9wavefront6targetE0EEEvT1_
                                        ; -- End function
	.set _ZN7rocprim17ROCPRIM_400000_NS6detail17trampoline_kernelINS0_14default_configENS1_25partition_config_selectorILNS1_17partition_subalgoE5ElNS0_10empty_typeEbEEZZNS1_14partition_implILS5_5ELb0ES3_mN6hipcub16HIPCUB_304000_NS21CountingInputIteratorIllEEPS6_NSA_22TransformInputIteratorIbN2at6native12_GLOBAL__N_19NonZeroOpIhEEPKhlEENS0_5tupleIJPlS6_EEENSN_IJSD_SD_EEES6_PiJS6_EEE10hipError_tPvRmT3_T4_T5_T6_T7_T9_mT8_P12ihipStream_tbDpT10_ENKUlT_T0_E_clISt17integral_constantIbLb0EES1B_EEDaS16_S17_EUlS16_E_NS1_11comp_targetILNS1_3genE8ELNS1_11target_archE1030ELNS1_3gpuE2ELNS1_3repE0EEENS1_30default_config_static_selectorELNS0_4arch9wavefront6targetE0EEEvT1_.num_vgpr, 0
	.set _ZN7rocprim17ROCPRIM_400000_NS6detail17trampoline_kernelINS0_14default_configENS1_25partition_config_selectorILNS1_17partition_subalgoE5ElNS0_10empty_typeEbEEZZNS1_14partition_implILS5_5ELb0ES3_mN6hipcub16HIPCUB_304000_NS21CountingInputIteratorIllEEPS6_NSA_22TransformInputIteratorIbN2at6native12_GLOBAL__N_19NonZeroOpIhEEPKhlEENS0_5tupleIJPlS6_EEENSN_IJSD_SD_EEES6_PiJS6_EEE10hipError_tPvRmT3_T4_T5_T6_T7_T9_mT8_P12ihipStream_tbDpT10_ENKUlT_T0_E_clISt17integral_constantIbLb0EES1B_EEDaS16_S17_EUlS16_E_NS1_11comp_targetILNS1_3genE8ELNS1_11target_archE1030ELNS1_3gpuE2ELNS1_3repE0EEENS1_30default_config_static_selectorELNS0_4arch9wavefront6targetE0EEEvT1_.num_agpr, 0
	.set _ZN7rocprim17ROCPRIM_400000_NS6detail17trampoline_kernelINS0_14default_configENS1_25partition_config_selectorILNS1_17partition_subalgoE5ElNS0_10empty_typeEbEEZZNS1_14partition_implILS5_5ELb0ES3_mN6hipcub16HIPCUB_304000_NS21CountingInputIteratorIllEEPS6_NSA_22TransformInputIteratorIbN2at6native12_GLOBAL__N_19NonZeroOpIhEEPKhlEENS0_5tupleIJPlS6_EEENSN_IJSD_SD_EEES6_PiJS6_EEE10hipError_tPvRmT3_T4_T5_T6_T7_T9_mT8_P12ihipStream_tbDpT10_ENKUlT_T0_E_clISt17integral_constantIbLb0EES1B_EEDaS16_S17_EUlS16_E_NS1_11comp_targetILNS1_3genE8ELNS1_11target_archE1030ELNS1_3gpuE2ELNS1_3repE0EEENS1_30default_config_static_selectorELNS0_4arch9wavefront6targetE0EEEvT1_.numbered_sgpr, 0
	.set _ZN7rocprim17ROCPRIM_400000_NS6detail17trampoline_kernelINS0_14default_configENS1_25partition_config_selectorILNS1_17partition_subalgoE5ElNS0_10empty_typeEbEEZZNS1_14partition_implILS5_5ELb0ES3_mN6hipcub16HIPCUB_304000_NS21CountingInputIteratorIllEEPS6_NSA_22TransformInputIteratorIbN2at6native12_GLOBAL__N_19NonZeroOpIhEEPKhlEENS0_5tupleIJPlS6_EEENSN_IJSD_SD_EEES6_PiJS6_EEE10hipError_tPvRmT3_T4_T5_T6_T7_T9_mT8_P12ihipStream_tbDpT10_ENKUlT_T0_E_clISt17integral_constantIbLb0EES1B_EEDaS16_S17_EUlS16_E_NS1_11comp_targetILNS1_3genE8ELNS1_11target_archE1030ELNS1_3gpuE2ELNS1_3repE0EEENS1_30default_config_static_selectorELNS0_4arch9wavefront6targetE0EEEvT1_.num_named_barrier, 0
	.set _ZN7rocprim17ROCPRIM_400000_NS6detail17trampoline_kernelINS0_14default_configENS1_25partition_config_selectorILNS1_17partition_subalgoE5ElNS0_10empty_typeEbEEZZNS1_14partition_implILS5_5ELb0ES3_mN6hipcub16HIPCUB_304000_NS21CountingInputIteratorIllEEPS6_NSA_22TransformInputIteratorIbN2at6native12_GLOBAL__N_19NonZeroOpIhEEPKhlEENS0_5tupleIJPlS6_EEENSN_IJSD_SD_EEES6_PiJS6_EEE10hipError_tPvRmT3_T4_T5_T6_T7_T9_mT8_P12ihipStream_tbDpT10_ENKUlT_T0_E_clISt17integral_constantIbLb0EES1B_EEDaS16_S17_EUlS16_E_NS1_11comp_targetILNS1_3genE8ELNS1_11target_archE1030ELNS1_3gpuE2ELNS1_3repE0EEENS1_30default_config_static_selectorELNS0_4arch9wavefront6targetE0EEEvT1_.private_seg_size, 0
	.set _ZN7rocprim17ROCPRIM_400000_NS6detail17trampoline_kernelINS0_14default_configENS1_25partition_config_selectorILNS1_17partition_subalgoE5ElNS0_10empty_typeEbEEZZNS1_14partition_implILS5_5ELb0ES3_mN6hipcub16HIPCUB_304000_NS21CountingInputIteratorIllEEPS6_NSA_22TransformInputIteratorIbN2at6native12_GLOBAL__N_19NonZeroOpIhEEPKhlEENS0_5tupleIJPlS6_EEENSN_IJSD_SD_EEES6_PiJS6_EEE10hipError_tPvRmT3_T4_T5_T6_T7_T9_mT8_P12ihipStream_tbDpT10_ENKUlT_T0_E_clISt17integral_constantIbLb0EES1B_EEDaS16_S17_EUlS16_E_NS1_11comp_targetILNS1_3genE8ELNS1_11target_archE1030ELNS1_3gpuE2ELNS1_3repE0EEENS1_30default_config_static_selectorELNS0_4arch9wavefront6targetE0EEEvT1_.uses_vcc, 0
	.set _ZN7rocprim17ROCPRIM_400000_NS6detail17trampoline_kernelINS0_14default_configENS1_25partition_config_selectorILNS1_17partition_subalgoE5ElNS0_10empty_typeEbEEZZNS1_14partition_implILS5_5ELb0ES3_mN6hipcub16HIPCUB_304000_NS21CountingInputIteratorIllEEPS6_NSA_22TransformInputIteratorIbN2at6native12_GLOBAL__N_19NonZeroOpIhEEPKhlEENS0_5tupleIJPlS6_EEENSN_IJSD_SD_EEES6_PiJS6_EEE10hipError_tPvRmT3_T4_T5_T6_T7_T9_mT8_P12ihipStream_tbDpT10_ENKUlT_T0_E_clISt17integral_constantIbLb0EES1B_EEDaS16_S17_EUlS16_E_NS1_11comp_targetILNS1_3genE8ELNS1_11target_archE1030ELNS1_3gpuE2ELNS1_3repE0EEENS1_30default_config_static_selectorELNS0_4arch9wavefront6targetE0EEEvT1_.uses_flat_scratch, 0
	.set _ZN7rocprim17ROCPRIM_400000_NS6detail17trampoline_kernelINS0_14default_configENS1_25partition_config_selectorILNS1_17partition_subalgoE5ElNS0_10empty_typeEbEEZZNS1_14partition_implILS5_5ELb0ES3_mN6hipcub16HIPCUB_304000_NS21CountingInputIteratorIllEEPS6_NSA_22TransformInputIteratorIbN2at6native12_GLOBAL__N_19NonZeroOpIhEEPKhlEENS0_5tupleIJPlS6_EEENSN_IJSD_SD_EEES6_PiJS6_EEE10hipError_tPvRmT3_T4_T5_T6_T7_T9_mT8_P12ihipStream_tbDpT10_ENKUlT_T0_E_clISt17integral_constantIbLb0EES1B_EEDaS16_S17_EUlS16_E_NS1_11comp_targetILNS1_3genE8ELNS1_11target_archE1030ELNS1_3gpuE2ELNS1_3repE0EEENS1_30default_config_static_selectorELNS0_4arch9wavefront6targetE0EEEvT1_.has_dyn_sized_stack, 0
	.set _ZN7rocprim17ROCPRIM_400000_NS6detail17trampoline_kernelINS0_14default_configENS1_25partition_config_selectorILNS1_17partition_subalgoE5ElNS0_10empty_typeEbEEZZNS1_14partition_implILS5_5ELb0ES3_mN6hipcub16HIPCUB_304000_NS21CountingInputIteratorIllEEPS6_NSA_22TransformInputIteratorIbN2at6native12_GLOBAL__N_19NonZeroOpIhEEPKhlEENS0_5tupleIJPlS6_EEENSN_IJSD_SD_EEES6_PiJS6_EEE10hipError_tPvRmT3_T4_T5_T6_T7_T9_mT8_P12ihipStream_tbDpT10_ENKUlT_T0_E_clISt17integral_constantIbLb0EES1B_EEDaS16_S17_EUlS16_E_NS1_11comp_targetILNS1_3genE8ELNS1_11target_archE1030ELNS1_3gpuE2ELNS1_3repE0EEENS1_30default_config_static_selectorELNS0_4arch9wavefront6targetE0EEEvT1_.has_recursion, 0
	.set _ZN7rocprim17ROCPRIM_400000_NS6detail17trampoline_kernelINS0_14default_configENS1_25partition_config_selectorILNS1_17partition_subalgoE5ElNS0_10empty_typeEbEEZZNS1_14partition_implILS5_5ELb0ES3_mN6hipcub16HIPCUB_304000_NS21CountingInputIteratorIllEEPS6_NSA_22TransformInputIteratorIbN2at6native12_GLOBAL__N_19NonZeroOpIhEEPKhlEENS0_5tupleIJPlS6_EEENSN_IJSD_SD_EEES6_PiJS6_EEE10hipError_tPvRmT3_T4_T5_T6_T7_T9_mT8_P12ihipStream_tbDpT10_ENKUlT_T0_E_clISt17integral_constantIbLb0EES1B_EEDaS16_S17_EUlS16_E_NS1_11comp_targetILNS1_3genE8ELNS1_11target_archE1030ELNS1_3gpuE2ELNS1_3repE0EEENS1_30default_config_static_selectorELNS0_4arch9wavefront6targetE0EEEvT1_.has_indirect_call, 0
	.section	.AMDGPU.csdata,"",@progbits
; Kernel info:
; codeLenInByte = 0
; TotalNumSgprs: 0
; NumVgprs: 0
; ScratchSize: 0
; MemoryBound: 0
; FloatMode: 240
; IeeeMode: 1
; LDSByteSize: 0 bytes/workgroup (compile time only)
; SGPRBlocks: 0
; VGPRBlocks: 0
; NumSGPRsForWavesPerEU: 1
; NumVGPRsForWavesPerEU: 1
; Occupancy: 16
; WaveLimiterHint : 0
; COMPUTE_PGM_RSRC2:SCRATCH_EN: 0
; COMPUTE_PGM_RSRC2:USER_SGPR: 2
; COMPUTE_PGM_RSRC2:TRAP_HANDLER: 0
; COMPUTE_PGM_RSRC2:TGID_X_EN: 1
; COMPUTE_PGM_RSRC2:TGID_Y_EN: 0
; COMPUTE_PGM_RSRC2:TGID_Z_EN: 0
; COMPUTE_PGM_RSRC2:TIDIG_COMP_CNT: 0
	.section	.text._ZN7rocprim17ROCPRIM_400000_NS6detail17trampoline_kernelINS0_14default_configENS1_25transform_config_selectorImLb1EEEZNS1_14transform_implILb1ES3_S5_PmPiNS0_8identityIvEEEE10hipError_tT2_T3_mT4_P12ihipStream_tbEUlT_E_NS1_11comp_targetILNS1_3genE0ELNS1_11target_archE4294967295ELNS1_3gpuE0ELNS1_3repE0EEENS1_30default_config_static_selectorELNS0_4arch9wavefront6targetE0EEEvT1_,"axG",@progbits,_ZN7rocprim17ROCPRIM_400000_NS6detail17trampoline_kernelINS0_14default_configENS1_25transform_config_selectorImLb1EEEZNS1_14transform_implILb1ES3_S5_PmPiNS0_8identityIvEEEE10hipError_tT2_T3_mT4_P12ihipStream_tbEUlT_E_NS1_11comp_targetILNS1_3genE0ELNS1_11target_archE4294967295ELNS1_3gpuE0ELNS1_3repE0EEENS1_30default_config_static_selectorELNS0_4arch9wavefront6targetE0EEEvT1_,comdat
	.protected	_ZN7rocprim17ROCPRIM_400000_NS6detail17trampoline_kernelINS0_14default_configENS1_25transform_config_selectorImLb1EEEZNS1_14transform_implILb1ES3_S5_PmPiNS0_8identityIvEEEE10hipError_tT2_T3_mT4_P12ihipStream_tbEUlT_E_NS1_11comp_targetILNS1_3genE0ELNS1_11target_archE4294967295ELNS1_3gpuE0ELNS1_3repE0EEENS1_30default_config_static_selectorELNS0_4arch9wavefront6targetE0EEEvT1_ ; -- Begin function _ZN7rocprim17ROCPRIM_400000_NS6detail17trampoline_kernelINS0_14default_configENS1_25transform_config_selectorImLb1EEEZNS1_14transform_implILb1ES3_S5_PmPiNS0_8identityIvEEEE10hipError_tT2_T3_mT4_P12ihipStream_tbEUlT_E_NS1_11comp_targetILNS1_3genE0ELNS1_11target_archE4294967295ELNS1_3gpuE0ELNS1_3repE0EEENS1_30default_config_static_selectorELNS0_4arch9wavefront6targetE0EEEvT1_
	.globl	_ZN7rocprim17ROCPRIM_400000_NS6detail17trampoline_kernelINS0_14default_configENS1_25transform_config_selectorImLb1EEEZNS1_14transform_implILb1ES3_S5_PmPiNS0_8identityIvEEEE10hipError_tT2_T3_mT4_P12ihipStream_tbEUlT_E_NS1_11comp_targetILNS1_3genE0ELNS1_11target_archE4294967295ELNS1_3gpuE0ELNS1_3repE0EEENS1_30default_config_static_selectorELNS0_4arch9wavefront6targetE0EEEvT1_
	.p2align	8
	.type	_ZN7rocprim17ROCPRIM_400000_NS6detail17trampoline_kernelINS0_14default_configENS1_25transform_config_selectorImLb1EEEZNS1_14transform_implILb1ES3_S5_PmPiNS0_8identityIvEEEE10hipError_tT2_T3_mT4_P12ihipStream_tbEUlT_E_NS1_11comp_targetILNS1_3genE0ELNS1_11target_archE4294967295ELNS1_3gpuE0ELNS1_3repE0EEENS1_30default_config_static_selectorELNS0_4arch9wavefront6targetE0EEEvT1_,@function
_ZN7rocprim17ROCPRIM_400000_NS6detail17trampoline_kernelINS0_14default_configENS1_25transform_config_selectorImLb1EEEZNS1_14transform_implILb1ES3_S5_PmPiNS0_8identityIvEEEE10hipError_tT2_T3_mT4_P12ihipStream_tbEUlT_E_NS1_11comp_targetILNS1_3genE0ELNS1_11target_archE4294967295ELNS1_3gpuE0ELNS1_3repE0EEENS1_30default_config_static_selectorELNS0_4arch9wavefront6targetE0EEEvT1_: ; @_ZN7rocprim17ROCPRIM_400000_NS6detail17trampoline_kernelINS0_14default_configENS1_25transform_config_selectorImLb1EEEZNS1_14transform_implILb1ES3_S5_PmPiNS0_8identityIvEEEE10hipError_tT2_T3_mT4_P12ihipStream_tbEUlT_E_NS1_11comp_targetILNS1_3genE0ELNS1_11target_archE4294967295ELNS1_3gpuE0ELNS1_3repE0EEENS1_30default_config_static_selectorELNS0_4arch9wavefront6targetE0EEEvT1_
; %bb.0:
	.section	.rodata,"a",@progbits
	.p2align	6, 0x0
	.amdhsa_kernel _ZN7rocprim17ROCPRIM_400000_NS6detail17trampoline_kernelINS0_14default_configENS1_25transform_config_selectorImLb1EEEZNS1_14transform_implILb1ES3_S5_PmPiNS0_8identityIvEEEE10hipError_tT2_T3_mT4_P12ihipStream_tbEUlT_E_NS1_11comp_targetILNS1_3genE0ELNS1_11target_archE4294967295ELNS1_3gpuE0ELNS1_3repE0EEENS1_30default_config_static_selectorELNS0_4arch9wavefront6targetE0EEEvT1_
		.amdhsa_group_segment_fixed_size 0
		.amdhsa_private_segment_fixed_size 0
		.amdhsa_kernarg_size 40
		.amdhsa_user_sgpr_count 2
		.amdhsa_user_sgpr_dispatch_ptr 0
		.amdhsa_user_sgpr_queue_ptr 0
		.amdhsa_user_sgpr_kernarg_segment_ptr 1
		.amdhsa_user_sgpr_dispatch_id 0
		.amdhsa_user_sgpr_private_segment_size 0
		.amdhsa_wavefront_size32 1
		.amdhsa_uses_dynamic_stack 0
		.amdhsa_enable_private_segment 0
		.amdhsa_system_sgpr_workgroup_id_x 1
		.amdhsa_system_sgpr_workgroup_id_y 0
		.amdhsa_system_sgpr_workgroup_id_z 0
		.amdhsa_system_sgpr_workgroup_info 0
		.amdhsa_system_vgpr_workitem_id 0
		.amdhsa_next_free_vgpr 1
		.amdhsa_next_free_sgpr 1
		.amdhsa_reserve_vcc 0
		.amdhsa_float_round_mode_32 0
		.amdhsa_float_round_mode_16_64 0
		.amdhsa_float_denorm_mode_32 3
		.amdhsa_float_denorm_mode_16_64 3
		.amdhsa_fp16_overflow 0
		.amdhsa_workgroup_processor_mode 1
		.amdhsa_memory_ordered 1
		.amdhsa_forward_progress 1
		.amdhsa_inst_pref_size 0
		.amdhsa_round_robin_scheduling 0
		.amdhsa_exception_fp_ieee_invalid_op 0
		.amdhsa_exception_fp_denorm_src 0
		.amdhsa_exception_fp_ieee_div_zero 0
		.amdhsa_exception_fp_ieee_overflow 0
		.amdhsa_exception_fp_ieee_underflow 0
		.amdhsa_exception_fp_ieee_inexact 0
		.amdhsa_exception_int_div_zero 0
	.end_amdhsa_kernel
	.section	.text._ZN7rocprim17ROCPRIM_400000_NS6detail17trampoline_kernelINS0_14default_configENS1_25transform_config_selectorImLb1EEEZNS1_14transform_implILb1ES3_S5_PmPiNS0_8identityIvEEEE10hipError_tT2_T3_mT4_P12ihipStream_tbEUlT_E_NS1_11comp_targetILNS1_3genE0ELNS1_11target_archE4294967295ELNS1_3gpuE0ELNS1_3repE0EEENS1_30default_config_static_selectorELNS0_4arch9wavefront6targetE0EEEvT1_,"axG",@progbits,_ZN7rocprim17ROCPRIM_400000_NS6detail17trampoline_kernelINS0_14default_configENS1_25transform_config_selectorImLb1EEEZNS1_14transform_implILb1ES3_S5_PmPiNS0_8identityIvEEEE10hipError_tT2_T3_mT4_P12ihipStream_tbEUlT_E_NS1_11comp_targetILNS1_3genE0ELNS1_11target_archE4294967295ELNS1_3gpuE0ELNS1_3repE0EEENS1_30default_config_static_selectorELNS0_4arch9wavefront6targetE0EEEvT1_,comdat
.Lfunc_end46:
	.size	_ZN7rocprim17ROCPRIM_400000_NS6detail17trampoline_kernelINS0_14default_configENS1_25transform_config_selectorImLb1EEEZNS1_14transform_implILb1ES3_S5_PmPiNS0_8identityIvEEEE10hipError_tT2_T3_mT4_P12ihipStream_tbEUlT_E_NS1_11comp_targetILNS1_3genE0ELNS1_11target_archE4294967295ELNS1_3gpuE0ELNS1_3repE0EEENS1_30default_config_static_selectorELNS0_4arch9wavefront6targetE0EEEvT1_, .Lfunc_end46-_ZN7rocprim17ROCPRIM_400000_NS6detail17trampoline_kernelINS0_14default_configENS1_25transform_config_selectorImLb1EEEZNS1_14transform_implILb1ES3_S5_PmPiNS0_8identityIvEEEE10hipError_tT2_T3_mT4_P12ihipStream_tbEUlT_E_NS1_11comp_targetILNS1_3genE0ELNS1_11target_archE4294967295ELNS1_3gpuE0ELNS1_3repE0EEENS1_30default_config_static_selectorELNS0_4arch9wavefront6targetE0EEEvT1_
                                        ; -- End function
	.set _ZN7rocprim17ROCPRIM_400000_NS6detail17trampoline_kernelINS0_14default_configENS1_25transform_config_selectorImLb1EEEZNS1_14transform_implILb1ES3_S5_PmPiNS0_8identityIvEEEE10hipError_tT2_T3_mT4_P12ihipStream_tbEUlT_E_NS1_11comp_targetILNS1_3genE0ELNS1_11target_archE4294967295ELNS1_3gpuE0ELNS1_3repE0EEENS1_30default_config_static_selectorELNS0_4arch9wavefront6targetE0EEEvT1_.num_vgpr, 0
	.set _ZN7rocprim17ROCPRIM_400000_NS6detail17trampoline_kernelINS0_14default_configENS1_25transform_config_selectorImLb1EEEZNS1_14transform_implILb1ES3_S5_PmPiNS0_8identityIvEEEE10hipError_tT2_T3_mT4_P12ihipStream_tbEUlT_E_NS1_11comp_targetILNS1_3genE0ELNS1_11target_archE4294967295ELNS1_3gpuE0ELNS1_3repE0EEENS1_30default_config_static_selectorELNS0_4arch9wavefront6targetE0EEEvT1_.num_agpr, 0
	.set _ZN7rocprim17ROCPRIM_400000_NS6detail17trampoline_kernelINS0_14default_configENS1_25transform_config_selectorImLb1EEEZNS1_14transform_implILb1ES3_S5_PmPiNS0_8identityIvEEEE10hipError_tT2_T3_mT4_P12ihipStream_tbEUlT_E_NS1_11comp_targetILNS1_3genE0ELNS1_11target_archE4294967295ELNS1_3gpuE0ELNS1_3repE0EEENS1_30default_config_static_selectorELNS0_4arch9wavefront6targetE0EEEvT1_.numbered_sgpr, 0
	.set _ZN7rocprim17ROCPRIM_400000_NS6detail17trampoline_kernelINS0_14default_configENS1_25transform_config_selectorImLb1EEEZNS1_14transform_implILb1ES3_S5_PmPiNS0_8identityIvEEEE10hipError_tT2_T3_mT4_P12ihipStream_tbEUlT_E_NS1_11comp_targetILNS1_3genE0ELNS1_11target_archE4294967295ELNS1_3gpuE0ELNS1_3repE0EEENS1_30default_config_static_selectorELNS0_4arch9wavefront6targetE0EEEvT1_.num_named_barrier, 0
	.set _ZN7rocprim17ROCPRIM_400000_NS6detail17trampoline_kernelINS0_14default_configENS1_25transform_config_selectorImLb1EEEZNS1_14transform_implILb1ES3_S5_PmPiNS0_8identityIvEEEE10hipError_tT2_T3_mT4_P12ihipStream_tbEUlT_E_NS1_11comp_targetILNS1_3genE0ELNS1_11target_archE4294967295ELNS1_3gpuE0ELNS1_3repE0EEENS1_30default_config_static_selectorELNS0_4arch9wavefront6targetE0EEEvT1_.private_seg_size, 0
	.set _ZN7rocprim17ROCPRIM_400000_NS6detail17trampoline_kernelINS0_14default_configENS1_25transform_config_selectorImLb1EEEZNS1_14transform_implILb1ES3_S5_PmPiNS0_8identityIvEEEE10hipError_tT2_T3_mT4_P12ihipStream_tbEUlT_E_NS1_11comp_targetILNS1_3genE0ELNS1_11target_archE4294967295ELNS1_3gpuE0ELNS1_3repE0EEENS1_30default_config_static_selectorELNS0_4arch9wavefront6targetE0EEEvT1_.uses_vcc, 0
	.set _ZN7rocprim17ROCPRIM_400000_NS6detail17trampoline_kernelINS0_14default_configENS1_25transform_config_selectorImLb1EEEZNS1_14transform_implILb1ES3_S5_PmPiNS0_8identityIvEEEE10hipError_tT2_T3_mT4_P12ihipStream_tbEUlT_E_NS1_11comp_targetILNS1_3genE0ELNS1_11target_archE4294967295ELNS1_3gpuE0ELNS1_3repE0EEENS1_30default_config_static_selectorELNS0_4arch9wavefront6targetE0EEEvT1_.uses_flat_scratch, 0
	.set _ZN7rocprim17ROCPRIM_400000_NS6detail17trampoline_kernelINS0_14default_configENS1_25transform_config_selectorImLb1EEEZNS1_14transform_implILb1ES3_S5_PmPiNS0_8identityIvEEEE10hipError_tT2_T3_mT4_P12ihipStream_tbEUlT_E_NS1_11comp_targetILNS1_3genE0ELNS1_11target_archE4294967295ELNS1_3gpuE0ELNS1_3repE0EEENS1_30default_config_static_selectorELNS0_4arch9wavefront6targetE0EEEvT1_.has_dyn_sized_stack, 0
	.set _ZN7rocprim17ROCPRIM_400000_NS6detail17trampoline_kernelINS0_14default_configENS1_25transform_config_selectorImLb1EEEZNS1_14transform_implILb1ES3_S5_PmPiNS0_8identityIvEEEE10hipError_tT2_T3_mT4_P12ihipStream_tbEUlT_E_NS1_11comp_targetILNS1_3genE0ELNS1_11target_archE4294967295ELNS1_3gpuE0ELNS1_3repE0EEENS1_30default_config_static_selectorELNS0_4arch9wavefront6targetE0EEEvT1_.has_recursion, 0
	.set _ZN7rocprim17ROCPRIM_400000_NS6detail17trampoline_kernelINS0_14default_configENS1_25transform_config_selectorImLb1EEEZNS1_14transform_implILb1ES3_S5_PmPiNS0_8identityIvEEEE10hipError_tT2_T3_mT4_P12ihipStream_tbEUlT_E_NS1_11comp_targetILNS1_3genE0ELNS1_11target_archE4294967295ELNS1_3gpuE0ELNS1_3repE0EEENS1_30default_config_static_selectorELNS0_4arch9wavefront6targetE0EEEvT1_.has_indirect_call, 0
	.section	.AMDGPU.csdata,"",@progbits
; Kernel info:
; codeLenInByte = 0
; TotalNumSgprs: 0
; NumVgprs: 0
; ScratchSize: 0
; MemoryBound: 0
; FloatMode: 240
; IeeeMode: 1
; LDSByteSize: 0 bytes/workgroup (compile time only)
; SGPRBlocks: 0
; VGPRBlocks: 0
; NumSGPRsForWavesPerEU: 1
; NumVGPRsForWavesPerEU: 1
; Occupancy: 16
; WaveLimiterHint : 0
; COMPUTE_PGM_RSRC2:SCRATCH_EN: 0
; COMPUTE_PGM_RSRC2:USER_SGPR: 2
; COMPUTE_PGM_RSRC2:TRAP_HANDLER: 0
; COMPUTE_PGM_RSRC2:TGID_X_EN: 1
; COMPUTE_PGM_RSRC2:TGID_Y_EN: 0
; COMPUTE_PGM_RSRC2:TGID_Z_EN: 0
; COMPUTE_PGM_RSRC2:TIDIG_COMP_CNT: 0
	.section	.text._ZN7rocprim17ROCPRIM_400000_NS6detail17trampoline_kernelINS0_14default_configENS1_25transform_config_selectorImLb1EEEZNS1_14transform_implILb1ES3_S5_PmPiNS0_8identityIvEEEE10hipError_tT2_T3_mT4_P12ihipStream_tbEUlT_E_NS1_11comp_targetILNS1_3genE10ELNS1_11target_archE1201ELNS1_3gpuE5ELNS1_3repE0EEENS1_30default_config_static_selectorELNS0_4arch9wavefront6targetE0EEEvT1_,"axG",@progbits,_ZN7rocprim17ROCPRIM_400000_NS6detail17trampoline_kernelINS0_14default_configENS1_25transform_config_selectorImLb1EEEZNS1_14transform_implILb1ES3_S5_PmPiNS0_8identityIvEEEE10hipError_tT2_T3_mT4_P12ihipStream_tbEUlT_E_NS1_11comp_targetILNS1_3genE10ELNS1_11target_archE1201ELNS1_3gpuE5ELNS1_3repE0EEENS1_30default_config_static_selectorELNS0_4arch9wavefront6targetE0EEEvT1_,comdat
	.protected	_ZN7rocprim17ROCPRIM_400000_NS6detail17trampoline_kernelINS0_14default_configENS1_25transform_config_selectorImLb1EEEZNS1_14transform_implILb1ES3_S5_PmPiNS0_8identityIvEEEE10hipError_tT2_T3_mT4_P12ihipStream_tbEUlT_E_NS1_11comp_targetILNS1_3genE10ELNS1_11target_archE1201ELNS1_3gpuE5ELNS1_3repE0EEENS1_30default_config_static_selectorELNS0_4arch9wavefront6targetE0EEEvT1_ ; -- Begin function _ZN7rocprim17ROCPRIM_400000_NS6detail17trampoline_kernelINS0_14default_configENS1_25transform_config_selectorImLb1EEEZNS1_14transform_implILb1ES3_S5_PmPiNS0_8identityIvEEEE10hipError_tT2_T3_mT4_P12ihipStream_tbEUlT_E_NS1_11comp_targetILNS1_3genE10ELNS1_11target_archE1201ELNS1_3gpuE5ELNS1_3repE0EEENS1_30default_config_static_selectorELNS0_4arch9wavefront6targetE0EEEvT1_
	.globl	_ZN7rocprim17ROCPRIM_400000_NS6detail17trampoline_kernelINS0_14default_configENS1_25transform_config_selectorImLb1EEEZNS1_14transform_implILb1ES3_S5_PmPiNS0_8identityIvEEEE10hipError_tT2_T3_mT4_P12ihipStream_tbEUlT_E_NS1_11comp_targetILNS1_3genE10ELNS1_11target_archE1201ELNS1_3gpuE5ELNS1_3repE0EEENS1_30default_config_static_selectorELNS0_4arch9wavefront6targetE0EEEvT1_
	.p2align	8
	.type	_ZN7rocprim17ROCPRIM_400000_NS6detail17trampoline_kernelINS0_14default_configENS1_25transform_config_selectorImLb1EEEZNS1_14transform_implILb1ES3_S5_PmPiNS0_8identityIvEEEE10hipError_tT2_T3_mT4_P12ihipStream_tbEUlT_E_NS1_11comp_targetILNS1_3genE10ELNS1_11target_archE1201ELNS1_3gpuE5ELNS1_3repE0EEENS1_30default_config_static_selectorELNS0_4arch9wavefront6targetE0EEEvT1_,@function
_ZN7rocprim17ROCPRIM_400000_NS6detail17trampoline_kernelINS0_14default_configENS1_25transform_config_selectorImLb1EEEZNS1_14transform_implILb1ES3_S5_PmPiNS0_8identityIvEEEE10hipError_tT2_T3_mT4_P12ihipStream_tbEUlT_E_NS1_11comp_targetILNS1_3genE10ELNS1_11target_archE1201ELNS1_3gpuE5ELNS1_3repE0EEENS1_30default_config_static_selectorELNS0_4arch9wavefront6targetE0EEEvT1_: ; @_ZN7rocprim17ROCPRIM_400000_NS6detail17trampoline_kernelINS0_14default_configENS1_25transform_config_selectorImLb1EEEZNS1_14transform_implILb1ES3_S5_PmPiNS0_8identityIvEEEE10hipError_tT2_T3_mT4_P12ihipStream_tbEUlT_E_NS1_11comp_targetILNS1_3genE10ELNS1_11target_archE1201ELNS1_3gpuE5ELNS1_3repE0EEENS1_30default_config_static_selectorELNS0_4arch9wavefront6targetE0EEEvT1_
; %bb.0:
	s_clause 0x1
	s_load_b256 s[4:11], s[0:1], 0x0
	s_load_b32 s1, s[0:1], 0x28
	s_lshl_b32 s2, ttmp9, 11
	s_mov_b32 s3, 0
	s_mov_b32 s0, -1
	s_wait_kmcnt 0x0
	s_lshl_b64 s[12:13], s[6:7], 3
	s_lshl_b64 s[6:7], s[6:7], 2
	s_add_co_i32 s1, s1, -1
	s_add_nc_u64 s[12:13], s[4:5], s[12:13]
	s_add_nc_u64 s[4:5], s[10:11], s[6:7]
	s_lshl_b64 s[6:7], s[2:3], 3
	s_cmp_lg_u32 ttmp9, s1
	s_add_nc_u64 s[6:7], s[12:13], s[6:7]
	s_cbranch_scc0 .LBB47_2
; %bb.1:
	v_lshlrev_b32_e32 v1, 4, v0
	s_lshl_b64 s[0:1], s[2:3], 2
	s_delay_alu instid0(SALU_CYCLE_1)
	s_add_nc_u64 s[10:11], s[4:5], s[0:1]
	s_mov_b32 s0, s3
	global_load_b96 v[1:3], v1, s[6:7] th:TH_LOAD_NT
	s_wait_loadcnt 0x0
	v_dual_mov_b32 v2, v3 :: v_dual_lshlrev_b32 v3, 3, v0
	global_store_b64 v3, v[1:2], s[10:11]
.LBB47_2:
	s_and_not1_b32 vcc_lo, exec_lo, s0
	s_cbranch_vccnz .LBB47_11
; %bb.3:
	v_mov_b32_e32 v1, 0
	s_sub_co_i32 s1, s8, s2
	s_delay_alu instid0(SALU_CYCLE_1) | instskip(NEXT) | instid1(VALU_DEP_2)
	v_cmp_gt_u32_e32 vcc_lo, s1, v0
	v_mov_b32_e32 v3, v1
	s_and_saveexec_b32 s0, vcc_lo
	s_cbranch_execz .LBB47_5
; %bb.4:
	v_lshlrev_b32_e32 v2, 3, v0
	v_mov_b32_e32 v4, v1
	global_load_b64 v[2:3], v2, s[6:7]
	s_wait_loadcnt 0x0
	v_mov_b32_e32 v1, v2
	v_mov_b32_e32 v2, v3
	;; [unrolled: 1-line block ×4, first 2 shown]
.LBB47_5:
	s_wait_alu 0xfffe
	s_or_b32 exec_lo, exec_lo, s0
	v_or_b32_e32 v2, 0x400, v0
	s_delay_alu instid0(VALU_DEP_1) | instskip(SKIP_2) | instid1(SALU_CYCLE_1)
	v_cmp_gt_u32_e64 s0, s1, v2
	v_cmp_le_u32_e64 s1, s1, v2
	s_and_saveexec_b32 s8, s1
	s_xor_b32 s1, exec_lo, s8
	s_wait_alu 0xfffe
	s_and_not1_saveexec_b32 s1, s1
	s_cbranch_execz .LBB47_7
; %bb.6:
	v_lshlrev_b32_e32 v2, 3, v0
	global_load_b64 v[3:4], v2, s[6:7] offset:8192
.LBB47_7:
	s_wait_alu 0xfffe
	s_or_b32 exec_lo, exec_lo, s1
	v_lshlrev_b32_e32 v0, 2, v0
	s_lshl_b64 s[2:3], s[2:3], 2
	s_wait_loadcnt 0x0
	v_cndmask_b32_e32 v4, 0, v1, vcc_lo
	s_add_nc_u64 s[2:3], s[4:5], s[2:3]
	v_cndmask_b32_e64 v2, 0, v3, s0
	v_add_co_u32 v0, s1, s2, v0
	s_wait_alu 0xf1ff
	v_add_co_ci_u32_e64 v1, null, s3, 0, s1
	s_and_saveexec_b32 s1, vcc_lo
	s_cbranch_execz .LBB47_9
; %bb.8:
	global_store_b32 v[0:1], v4, off
.LBB47_9:
	s_wait_alu 0xfffe
	s_or_b32 exec_lo, exec_lo, s1
	s_and_saveexec_b32 s1, s0
	s_cbranch_execz .LBB47_11
; %bb.10:
	global_store_b32 v[0:1], v2, off offset:4096
.LBB47_11:
	s_endpgm
	.section	.rodata,"a",@progbits
	.p2align	6, 0x0
	.amdhsa_kernel _ZN7rocprim17ROCPRIM_400000_NS6detail17trampoline_kernelINS0_14default_configENS1_25transform_config_selectorImLb1EEEZNS1_14transform_implILb1ES3_S5_PmPiNS0_8identityIvEEEE10hipError_tT2_T3_mT4_P12ihipStream_tbEUlT_E_NS1_11comp_targetILNS1_3genE10ELNS1_11target_archE1201ELNS1_3gpuE5ELNS1_3repE0EEENS1_30default_config_static_selectorELNS0_4arch9wavefront6targetE0EEEvT1_
		.amdhsa_group_segment_fixed_size 0
		.amdhsa_private_segment_fixed_size 0
		.amdhsa_kernarg_size 296
		.amdhsa_user_sgpr_count 2
		.amdhsa_user_sgpr_dispatch_ptr 0
		.amdhsa_user_sgpr_queue_ptr 0
		.amdhsa_user_sgpr_kernarg_segment_ptr 1
		.amdhsa_user_sgpr_dispatch_id 0
		.amdhsa_user_sgpr_private_segment_size 0
		.amdhsa_wavefront_size32 1
		.amdhsa_uses_dynamic_stack 0
		.amdhsa_enable_private_segment 0
		.amdhsa_system_sgpr_workgroup_id_x 1
		.amdhsa_system_sgpr_workgroup_id_y 0
		.amdhsa_system_sgpr_workgroup_id_z 0
		.amdhsa_system_sgpr_workgroup_info 0
		.amdhsa_system_vgpr_workitem_id 0
		.amdhsa_next_free_vgpr 6
		.amdhsa_next_free_sgpr 14
		.amdhsa_reserve_vcc 1
		.amdhsa_float_round_mode_32 0
		.amdhsa_float_round_mode_16_64 0
		.amdhsa_float_denorm_mode_32 3
		.amdhsa_float_denorm_mode_16_64 3
		.amdhsa_fp16_overflow 0
		.amdhsa_workgroup_processor_mode 1
		.amdhsa_memory_ordered 1
		.amdhsa_forward_progress 1
		.amdhsa_inst_pref_size 3
		.amdhsa_round_robin_scheduling 0
		.amdhsa_exception_fp_ieee_invalid_op 0
		.amdhsa_exception_fp_denorm_src 0
		.amdhsa_exception_fp_ieee_div_zero 0
		.amdhsa_exception_fp_ieee_overflow 0
		.amdhsa_exception_fp_ieee_underflow 0
		.amdhsa_exception_fp_ieee_inexact 0
		.amdhsa_exception_int_div_zero 0
	.end_amdhsa_kernel
	.section	.text._ZN7rocprim17ROCPRIM_400000_NS6detail17trampoline_kernelINS0_14default_configENS1_25transform_config_selectorImLb1EEEZNS1_14transform_implILb1ES3_S5_PmPiNS0_8identityIvEEEE10hipError_tT2_T3_mT4_P12ihipStream_tbEUlT_E_NS1_11comp_targetILNS1_3genE10ELNS1_11target_archE1201ELNS1_3gpuE5ELNS1_3repE0EEENS1_30default_config_static_selectorELNS0_4arch9wavefront6targetE0EEEvT1_,"axG",@progbits,_ZN7rocprim17ROCPRIM_400000_NS6detail17trampoline_kernelINS0_14default_configENS1_25transform_config_selectorImLb1EEEZNS1_14transform_implILb1ES3_S5_PmPiNS0_8identityIvEEEE10hipError_tT2_T3_mT4_P12ihipStream_tbEUlT_E_NS1_11comp_targetILNS1_3genE10ELNS1_11target_archE1201ELNS1_3gpuE5ELNS1_3repE0EEENS1_30default_config_static_selectorELNS0_4arch9wavefront6targetE0EEEvT1_,comdat
.Lfunc_end47:
	.size	_ZN7rocprim17ROCPRIM_400000_NS6detail17trampoline_kernelINS0_14default_configENS1_25transform_config_selectorImLb1EEEZNS1_14transform_implILb1ES3_S5_PmPiNS0_8identityIvEEEE10hipError_tT2_T3_mT4_P12ihipStream_tbEUlT_E_NS1_11comp_targetILNS1_3genE10ELNS1_11target_archE1201ELNS1_3gpuE5ELNS1_3repE0EEENS1_30default_config_static_selectorELNS0_4arch9wavefront6targetE0EEEvT1_, .Lfunc_end47-_ZN7rocprim17ROCPRIM_400000_NS6detail17trampoline_kernelINS0_14default_configENS1_25transform_config_selectorImLb1EEEZNS1_14transform_implILb1ES3_S5_PmPiNS0_8identityIvEEEE10hipError_tT2_T3_mT4_P12ihipStream_tbEUlT_E_NS1_11comp_targetILNS1_3genE10ELNS1_11target_archE1201ELNS1_3gpuE5ELNS1_3repE0EEENS1_30default_config_static_selectorELNS0_4arch9wavefront6targetE0EEEvT1_
                                        ; -- End function
	.set _ZN7rocprim17ROCPRIM_400000_NS6detail17trampoline_kernelINS0_14default_configENS1_25transform_config_selectorImLb1EEEZNS1_14transform_implILb1ES3_S5_PmPiNS0_8identityIvEEEE10hipError_tT2_T3_mT4_P12ihipStream_tbEUlT_E_NS1_11comp_targetILNS1_3genE10ELNS1_11target_archE1201ELNS1_3gpuE5ELNS1_3repE0EEENS1_30default_config_static_selectorELNS0_4arch9wavefront6targetE0EEEvT1_.num_vgpr, 6
	.set _ZN7rocprim17ROCPRIM_400000_NS6detail17trampoline_kernelINS0_14default_configENS1_25transform_config_selectorImLb1EEEZNS1_14transform_implILb1ES3_S5_PmPiNS0_8identityIvEEEE10hipError_tT2_T3_mT4_P12ihipStream_tbEUlT_E_NS1_11comp_targetILNS1_3genE10ELNS1_11target_archE1201ELNS1_3gpuE5ELNS1_3repE0EEENS1_30default_config_static_selectorELNS0_4arch9wavefront6targetE0EEEvT1_.num_agpr, 0
	.set _ZN7rocprim17ROCPRIM_400000_NS6detail17trampoline_kernelINS0_14default_configENS1_25transform_config_selectorImLb1EEEZNS1_14transform_implILb1ES3_S5_PmPiNS0_8identityIvEEEE10hipError_tT2_T3_mT4_P12ihipStream_tbEUlT_E_NS1_11comp_targetILNS1_3genE10ELNS1_11target_archE1201ELNS1_3gpuE5ELNS1_3repE0EEENS1_30default_config_static_selectorELNS0_4arch9wavefront6targetE0EEEvT1_.numbered_sgpr, 14
	.set _ZN7rocprim17ROCPRIM_400000_NS6detail17trampoline_kernelINS0_14default_configENS1_25transform_config_selectorImLb1EEEZNS1_14transform_implILb1ES3_S5_PmPiNS0_8identityIvEEEE10hipError_tT2_T3_mT4_P12ihipStream_tbEUlT_E_NS1_11comp_targetILNS1_3genE10ELNS1_11target_archE1201ELNS1_3gpuE5ELNS1_3repE0EEENS1_30default_config_static_selectorELNS0_4arch9wavefront6targetE0EEEvT1_.num_named_barrier, 0
	.set _ZN7rocprim17ROCPRIM_400000_NS6detail17trampoline_kernelINS0_14default_configENS1_25transform_config_selectorImLb1EEEZNS1_14transform_implILb1ES3_S5_PmPiNS0_8identityIvEEEE10hipError_tT2_T3_mT4_P12ihipStream_tbEUlT_E_NS1_11comp_targetILNS1_3genE10ELNS1_11target_archE1201ELNS1_3gpuE5ELNS1_3repE0EEENS1_30default_config_static_selectorELNS0_4arch9wavefront6targetE0EEEvT1_.private_seg_size, 0
	.set _ZN7rocprim17ROCPRIM_400000_NS6detail17trampoline_kernelINS0_14default_configENS1_25transform_config_selectorImLb1EEEZNS1_14transform_implILb1ES3_S5_PmPiNS0_8identityIvEEEE10hipError_tT2_T3_mT4_P12ihipStream_tbEUlT_E_NS1_11comp_targetILNS1_3genE10ELNS1_11target_archE1201ELNS1_3gpuE5ELNS1_3repE0EEENS1_30default_config_static_selectorELNS0_4arch9wavefront6targetE0EEEvT1_.uses_vcc, 1
	.set _ZN7rocprim17ROCPRIM_400000_NS6detail17trampoline_kernelINS0_14default_configENS1_25transform_config_selectorImLb1EEEZNS1_14transform_implILb1ES3_S5_PmPiNS0_8identityIvEEEE10hipError_tT2_T3_mT4_P12ihipStream_tbEUlT_E_NS1_11comp_targetILNS1_3genE10ELNS1_11target_archE1201ELNS1_3gpuE5ELNS1_3repE0EEENS1_30default_config_static_selectorELNS0_4arch9wavefront6targetE0EEEvT1_.uses_flat_scratch, 0
	.set _ZN7rocprim17ROCPRIM_400000_NS6detail17trampoline_kernelINS0_14default_configENS1_25transform_config_selectorImLb1EEEZNS1_14transform_implILb1ES3_S5_PmPiNS0_8identityIvEEEE10hipError_tT2_T3_mT4_P12ihipStream_tbEUlT_E_NS1_11comp_targetILNS1_3genE10ELNS1_11target_archE1201ELNS1_3gpuE5ELNS1_3repE0EEENS1_30default_config_static_selectorELNS0_4arch9wavefront6targetE0EEEvT1_.has_dyn_sized_stack, 0
	.set _ZN7rocprim17ROCPRIM_400000_NS6detail17trampoline_kernelINS0_14default_configENS1_25transform_config_selectorImLb1EEEZNS1_14transform_implILb1ES3_S5_PmPiNS0_8identityIvEEEE10hipError_tT2_T3_mT4_P12ihipStream_tbEUlT_E_NS1_11comp_targetILNS1_3genE10ELNS1_11target_archE1201ELNS1_3gpuE5ELNS1_3repE0EEENS1_30default_config_static_selectorELNS0_4arch9wavefront6targetE0EEEvT1_.has_recursion, 0
	.set _ZN7rocprim17ROCPRIM_400000_NS6detail17trampoline_kernelINS0_14default_configENS1_25transform_config_selectorImLb1EEEZNS1_14transform_implILb1ES3_S5_PmPiNS0_8identityIvEEEE10hipError_tT2_T3_mT4_P12ihipStream_tbEUlT_E_NS1_11comp_targetILNS1_3genE10ELNS1_11target_archE1201ELNS1_3gpuE5ELNS1_3repE0EEENS1_30default_config_static_selectorELNS0_4arch9wavefront6targetE0EEEvT1_.has_indirect_call, 0
	.section	.AMDGPU.csdata,"",@progbits
; Kernel info:
; codeLenInByte = 384
; TotalNumSgprs: 16
; NumVgprs: 6
; ScratchSize: 0
; MemoryBound: 0
; FloatMode: 240
; IeeeMode: 1
; LDSByteSize: 0 bytes/workgroup (compile time only)
; SGPRBlocks: 0
; VGPRBlocks: 0
; NumSGPRsForWavesPerEU: 16
; NumVGPRsForWavesPerEU: 6
; Occupancy: 16
; WaveLimiterHint : 0
; COMPUTE_PGM_RSRC2:SCRATCH_EN: 0
; COMPUTE_PGM_RSRC2:USER_SGPR: 2
; COMPUTE_PGM_RSRC2:TRAP_HANDLER: 0
; COMPUTE_PGM_RSRC2:TGID_X_EN: 1
; COMPUTE_PGM_RSRC2:TGID_Y_EN: 0
; COMPUTE_PGM_RSRC2:TGID_Z_EN: 0
; COMPUTE_PGM_RSRC2:TIDIG_COMP_CNT: 0
	.section	.text._ZN7rocprim17ROCPRIM_400000_NS6detail17trampoline_kernelINS0_14default_configENS1_25transform_config_selectorImLb1EEEZNS1_14transform_implILb1ES3_S5_PmPiNS0_8identityIvEEEE10hipError_tT2_T3_mT4_P12ihipStream_tbEUlT_E_NS1_11comp_targetILNS1_3genE5ELNS1_11target_archE942ELNS1_3gpuE9ELNS1_3repE0EEENS1_30default_config_static_selectorELNS0_4arch9wavefront6targetE0EEEvT1_,"axG",@progbits,_ZN7rocprim17ROCPRIM_400000_NS6detail17trampoline_kernelINS0_14default_configENS1_25transform_config_selectorImLb1EEEZNS1_14transform_implILb1ES3_S5_PmPiNS0_8identityIvEEEE10hipError_tT2_T3_mT4_P12ihipStream_tbEUlT_E_NS1_11comp_targetILNS1_3genE5ELNS1_11target_archE942ELNS1_3gpuE9ELNS1_3repE0EEENS1_30default_config_static_selectorELNS0_4arch9wavefront6targetE0EEEvT1_,comdat
	.protected	_ZN7rocprim17ROCPRIM_400000_NS6detail17trampoline_kernelINS0_14default_configENS1_25transform_config_selectorImLb1EEEZNS1_14transform_implILb1ES3_S5_PmPiNS0_8identityIvEEEE10hipError_tT2_T3_mT4_P12ihipStream_tbEUlT_E_NS1_11comp_targetILNS1_3genE5ELNS1_11target_archE942ELNS1_3gpuE9ELNS1_3repE0EEENS1_30default_config_static_selectorELNS0_4arch9wavefront6targetE0EEEvT1_ ; -- Begin function _ZN7rocprim17ROCPRIM_400000_NS6detail17trampoline_kernelINS0_14default_configENS1_25transform_config_selectorImLb1EEEZNS1_14transform_implILb1ES3_S5_PmPiNS0_8identityIvEEEE10hipError_tT2_T3_mT4_P12ihipStream_tbEUlT_E_NS1_11comp_targetILNS1_3genE5ELNS1_11target_archE942ELNS1_3gpuE9ELNS1_3repE0EEENS1_30default_config_static_selectorELNS0_4arch9wavefront6targetE0EEEvT1_
	.globl	_ZN7rocprim17ROCPRIM_400000_NS6detail17trampoline_kernelINS0_14default_configENS1_25transform_config_selectorImLb1EEEZNS1_14transform_implILb1ES3_S5_PmPiNS0_8identityIvEEEE10hipError_tT2_T3_mT4_P12ihipStream_tbEUlT_E_NS1_11comp_targetILNS1_3genE5ELNS1_11target_archE942ELNS1_3gpuE9ELNS1_3repE0EEENS1_30default_config_static_selectorELNS0_4arch9wavefront6targetE0EEEvT1_
	.p2align	8
	.type	_ZN7rocprim17ROCPRIM_400000_NS6detail17trampoline_kernelINS0_14default_configENS1_25transform_config_selectorImLb1EEEZNS1_14transform_implILb1ES3_S5_PmPiNS0_8identityIvEEEE10hipError_tT2_T3_mT4_P12ihipStream_tbEUlT_E_NS1_11comp_targetILNS1_3genE5ELNS1_11target_archE942ELNS1_3gpuE9ELNS1_3repE0EEENS1_30default_config_static_selectorELNS0_4arch9wavefront6targetE0EEEvT1_,@function
_ZN7rocprim17ROCPRIM_400000_NS6detail17trampoline_kernelINS0_14default_configENS1_25transform_config_selectorImLb1EEEZNS1_14transform_implILb1ES3_S5_PmPiNS0_8identityIvEEEE10hipError_tT2_T3_mT4_P12ihipStream_tbEUlT_E_NS1_11comp_targetILNS1_3genE5ELNS1_11target_archE942ELNS1_3gpuE9ELNS1_3repE0EEENS1_30default_config_static_selectorELNS0_4arch9wavefront6targetE0EEEvT1_: ; @_ZN7rocprim17ROCPRIM_400000_NS6detail17trampoline_kernelINS0_14default_configENS1_25transform_config_selectorImLb1EEEZNS1_14transform_implILb1ES3_S5_PmPiNS0_8identityIvEEEE10hipError_tT2_T3_mT4_P12ihipStream_tbEUlT_E_NS1_11comp_targetILNS1_3genE5ELNS1_11target_archE942ELNS1_3gpuE9ELNS1_3repE0EEENS1_30default_config_static_selectorELNS0_4arch9wavefront6targetE0EEEvT1_
; %bb.0:
	.section	.rodata,"a",@progbits
	.p2align	6, 0x0
	.amdhsa_kernel _ZN7rocprim17ROCPRIM_400000_NS6detail17trampoline_kernelINS0_14default_configENS1_25transform_config_selectorImLb1EEEZNS1_14transform_implILb1ES3_S5_PmPiNS0_8identityIvEEEE10hipError_tT2_T3_mT4_P12ihipStream_tbEUlT_E_NS1_11comp_targetILNS1_3genE5ELNS1_11target_archE942ELNS1_3gpuE9ELNS1_3repE0EEENS1_30default_config_static_selectorELNS0_4arch9wavefront6targetE0EEEvT1_
		.amdhsa_group_segment_fixed_size 0
		.amdhsa_private_segment_fixed_size 0
		.amdhsa_kernarg_size 40
		.amdhsa_user_sgpr_count 2
		.amdhsa_user_sgpr_dispatch_ptr 0
		.amdhsa_user_sgpr_queue_ptr 0
		.amdhsa_user_sgpr_kernarg_segment_ptr 1
		.amdhsa_user_sgpr_dispatch_id 0
		.amdhsa_user_sgpr_private_segment_size 0
		.amdhsa_wavefront_size32 1
		.amdhsa_uses_dynamic_stack 0
		.amdhsa_enable_private_segment 0
		.amdhsa_system_sgpr_workgroup_id_x 1
		.amdhsa_system_sgpr_workgroup_id_y 0
		.amdhsa_system_sgpr_workgroup_id_z 0
		.amdhsa_system_sgpr_workgroup_info 0
		.amdhsa_system_vgpr_workitem_id 0
		.amdhsa_next_free_vgpr 1
		.amdhsa_next_free_sgpr 1
		.amdhsa_reserve_vcc 0
		.amdhsa_float_round_mode_32 0
		.amdhsa_float_round_mode_16_64 0
		.amdhsa_float_denorm_mode_32 3
		.amdhsa_float_denorm_mode_16_64 3
		.amdhsa_fp16_overflow 0
		.amdhsa_workgroup_processor_mode 1
		.amdhsa_memory_ordered 1
		.amdhsa_forward_progress 1
		.amdhsa_inst_pref_size 0
		.amdhsa_round_robin_scheduling 0
		.amdhsa_exception_fp_ieee_invalid_op 0
		.amdhsa_exception_fp_denorm_src 0
		.amdhsa_exception_fp_ieee_div_zero 0
		.amdhsa_exception_fp_ieee_overflow 0
		.amdhsa_exception_fp_ieee_underflow 0
		.amdhsa_exception_fp_ieee_inexact 0
		.amdhsa_exception_int_div_zero 0
	.end_amdhsa_kernel
	.section	.text._ZN7rocprim17ROCPRIM_400000_NS6detail17trampoline_kernelINS0_14default_configENS1_25transform_config_selectorImLb1EEEZNS1_14transform_implILb1ES3_S5_PmPiNS0_8identityIvEEEE10hipError_tT2_T3_mT4_P12ihipStream_tbEUlT_E_NS1_11comp_targetILNS1_3genE5ELNS1_11target_archE942ELNS1_3gpuE9ELNS1_3repE0EEENS1_30default_config_static_selectorELNS0_4arch9wavefront6targetE0EEEvT1_,"axG",@progbits,_ZN7rocprim17ROCPRIM_400000_NS6detail17trampoline_kernelINS0_14default_configENS1_25transform_config_selectorImLb1EEEZNS1_14transform_implILb1ES3_S5_PmPiNS0_8identityIvEEEE10hipError_tT2_T3_mT4_P12ihipStream_tbEUlT_E_NS1_11comp_targetILNS1_3genE5ELNS1_11target_archE942ELNS1_3gpuE9ELNS1_3repE0EEENS1_30default_config_static_selectorELNS0_4arch9wavefront6targetE0EEEvT1_,comdat
.Lfunc_end48:
	.size	_ZN7rocprim17ROCPRIM_400000_NS6detail17trampoline_kernelINS0_14default_configENS1_25transform_config_selectorImLb1EEEZNS1_14transform_implILb1ES3_S5_PmPiNS0_8identityIvEEEE10hipError_tT2_T3_mT4_P12ihipStream_tbEUlT_E_NS1_11comp_targetILNS1_3genE5ELNS1_11target_archE942ELNS1_3gpuE9ELNS1_3repE0EEENS1_30default_config_static_selectorELNS0_4arch9wavefront6targetE0EEEvT1_, .Lfunc_end48-_ZN7rocprim17ROCPRIM_400000_NS6detail17trampoline_kernelINS0_14default_configENS1_25transform_config_selectorImLb1EEEZNS1_14transform_implILb1ES3_S5_PmPiNS0_8identityIvEEEE10hipError_tT2_T3_mT4_P12ihipStream_tbEUlT_E_NS1_11comp_targetILNS1_3genE5ELNS1_11target_archE942ELNS1_3gpuE9ELNS1_3repE0EEENS1_30default_config_static_selectorELNS0_4arch9wavefront6targetE0EEEvT1_
                                        ; -- End function
	.set _ZN7rocprim17ROCPRIM_400000_NS6detail17trampoline_kernelINS0_14default_configENS1_25transform_config_selectorImLb1EEEZNS1_14transform_implILb1ES3_S5_PmPiNS0_8identityIvEEEE10hipError_tT2_T3_mT4_P12ihipStream_tbEUlT_E_NS1_11comp_targetILNS1_3genE5ELNS1_11target_archE942ELNS1_3gpuE9ELNS1_3repE0EEENS1_30default_config_static_selectorELNS0_4arch9wavefront6targetE0EEEvT1_.num_vgpr, 0
	.set _ZN7rocprim17ROCPRIM_400000_NS6detail17trampoline_kernelINS0_14default_configENS1_25transform_config_selectorImLb1EEEZNS1_14transform_implILb1ES3_S5_PmPiNS0_8identityIvEEEE10hipError_tT2_T3_mT4_P12ihipStream_tbEUlT_E_NS1_11comp_targetILNS1_3genE5ELNS1_11target_archE942ELNS1_3gpuE9ELNS1_3repE0EEENS1_30default_config_static_selectorELNS0_4arch9wavefront6targetE0EEEvT1_.num_agpr, 0
	.set _ZN7rocprim17ROCPRIM_400000_NS6detail17trampoline_kernelINS0_14default_configENS1_25transform_config_selectorImLb1EEEZNS1_14transform_implILb1ES3_S5_PmPiNS0_8identityIvEEEE10hipError_tT2_T3_mT4_P12ihipStream_tbEUlT_E_NS1_11comp_targetILNS1_3genE5ELNS1_11target_archE942ELNS1_3gpuE9ELNS1_3repE0EEENS1_30default_config_static_selectorELNS0_4arch9wavefront6targetE0EEEvT1_.numbered_sgpr, 0
	.set _ZN7rocprim17ROCPRIM_400000_NS6detail17trampoline_kernelINS0_14default_configENS1_25transform_config_selectorImLb1EEEZNS1_14transform_implILb1ES3_S5_PmPiNS0_8identityIvEEEE10hipError_tT2_T3_mT4_P12ihipStream_tbEUlT_E_NS1_11comp_targetILNS1_3genE5ELNS1_11target_archE942ELNS1_3gpuE9ELNS1_3repE0EEENS1_30default_config_static_selectorELNS0_4arch9wavefront6targetE0EEEvT1_.num_named_barrier, 0
	.set _ZN7rocprim17ROCPRIM_400000_NS6detail17trampoline_kernelINS0_14default_configENS1_25transform_config_selectorImLb1EEEZNS1_14transform_implILb1ES3_S5_PmPiNS0_8identityIvEEEE10hipError_tT2_T3_mT4_P12ihipStream_tbEUlT_E_NS1_11comp_targetILNS1_3genE5ELNS1_11target_archE942ELNS1_3gpuE9ELNS1_3repE0EEENS1_30default_config_static_selectorELNS0_4arch9wavefront6targetE0EEEvT1_.private_seg_size, 0
	.set _ZN7rocprim17ROCPRIM_400000_NS6detail17trampoline_kernelINS0_14default_configENS1_25transform_config_selectorImLb1EEEZNS1_14transform_implILb1ES3_S5_PmPiNS0_8identityIvEEEE10hipError_tT2_T3_mT4_P12ihipStream_tbEUlT_E_NS1_11comp_targetILNS1_3genE5ELNS1_11target_archE942ELNS1_3gpuE9ELNS1_3repE0EEENS1_30default_config_static_selectorELNS0_4arch9wavefront6targetE0EEEvT1_.uses_vcc, 0
	.set _ZN7rocprim17ROCPRIM_400000_NS6detail17trampoline_kernelINS0_14default_configENS1_25transform_config_selectorImLb1EEEZNS1_14transform_implILb1ES3_S5_PmPiNS0_8identityIvEEEE10hipError_tT2_T3_mT4_P12ihipStream_tbEUlT_E_NS1_11comp_targetILNS1_3genE5ELNS1_11target_archE942ELNS1_3gpuE9ELNS1_3repE0EEENS1_30default_config_static_selectorELNS0_4arch9wavefront6targetE0EEEvT1_.uses_flat_scratch, 0
	.set _ZN7rocprim17ROCPRIM_400000_NS6detail17trampoline_kernelINS0_14default_configENS1_25transform_config_selectorImLb1EEEZNS1_14transform_implILb1ES3_S5_PmPiNS0_8identityIvEEEE10hipError_tT2_T3_mT4_P12ihipStream_tbEUlT_E_NS1_11comp_targetILNS1_3genE5ELNS1_11target_archE942ELNS1_3gpuE9ELNS1_3repE0EEENS1_30default_config_static_selectorELNS0_4arch9wavefront6targetE0EEEvT1_.has_dyn_sized_stack, 0
	.set _ZN7rocprim17ROCPRIM_400000_NS6detail17trampoline_kernelINS0_14default_configENS1_25transform_config_selectorImLb1EEEZNS1_14transform_implILb1ES3_S5_PmPiNS0_8identityIvEEEE10hipError_tT2_T3_mT4_P12ihipStream_tbEUlT_E_NS1_11comp_targetILNS1_3genE5ELNS1_11target_archE942ELNS1_3gpuE9ELNS1_3repE0EEENS1_30default_config_static_selectorELNS0_4arch9wavefront6targetE0EEEvT1_.has_recursion, 0
	.set _ZN7rocprim17ROCPRIM_400000_NS6detail17trampoline_kernelINS0_14default_configENS1_25transform_config_selectorImLb1EEEZNS1_14transform_implILb1ES3_S5_PmPiNS0_8identityIvEEEE10hipError_tT2_T3_mT4_P12ihipStream_tbEUlT_E_NS1_11comp_targetILNS1_3genE5ELNS1_11target_archE942ELNS1_3gpuE9ELNS1_3repE0EEENS1_30default_config_static_selectorELNS0_4arch9wavefront6targetE0EEEvT1_.has_indirect_call, 0
	.section	.AMDGPU.csdata,"",@progbits
; Kernel info:
; codeLenInByte = 0
; TotalNumSgprs: 0
; NumVgprs: 0
; ScratchSize: 0
; MemoryBound: 0
; FloatMode: 240
; IeeeMode: 1
; LDSByteSize: 0 bytes/workgroup (compile time only)
; SGPRBlocks: 0
; VGPRBlocks: 0
; NumSGPRsForWavesPerEU: 1
; NumVGPRsForWavesPerEU: 1
; Occupancy: 16
; WaveLimiterHint : 0
; COMPUTE_PGM_RSRC2:SCRATCH_EN: 0
; COMPUTE_PGM_RSRC2:USER_SGPR: 2
; COMPUTE_PGM_RSRC2:TRAP_HANDLER: 0
; COMPUTE_PGM_RSRC2:TGID_X_EN: 1
; COMPUTE_PGM_RSRC2:TGID_Y_EN: 0
; COMPUTE_PGM_RSRC2:TGID_Z_EN: 0
; COMPUTE_PGM_RSRC2:TIDIG_COMP_CNT: 0
	.section	.text._ZN7rocprim17ROCPRIM_400000_NS6detail17trampoline_kernelINS0_14default_configENS1_25transform_config_selectorImLb1EEEZNS1_14transform_implILb1ES3_S5_PmPiNS0_8identityIvEEEE10hipError_tT2_T3_mT4_P12ihipStream_tbEUlT_E_NS1_11comp_targetILNS1_3genE4ELNS1_11target_archE910ELNS1_3gpuE8ELNS1_3repE0EEENS1_30default_config_static_selectorELNS0_4arch9wavefront6targetE0EEEvT1_,"axG",@progbits,_ZN7rocprim17ROCPRIM_400000_NS6detail17trampoline_kernelINS0_14default_configENS1_25transform_config_selectorImLb1EEEZNS1_14transform_implILb1ES3_S5_PmPiNS0_8identityIvEEEE10hipError_tT2_T3_mT4_P12ihipStream_tbEUlT_E_NS1_11comp_targetILNS1_3genE4ELNS1_11target_archE910ELNS1_3gpuE8ELNS1_3repE0EEENS1_30default_config_static_selectorELNS0_4arch9wavefront6targetE0EEEvT1_,comdat
	.protected	_ZN7rocprim17ROCPRIM_400000_NS6detail17trampoline_kernelINS0_14default_configENS1_25transform_config_selectorImLb1EEEZNS1_14transform_implILb1ES3_S5_PmPiNS0_8identityIvEEEE10hipError_tT2_T3_mT4_P12ihipStream_tbEUlT_E_NS1_11comp_targetILNS1_3genE4ELNS1_11target_archE910ELNS1_3gpuE8ELNS1_3repE0EEENS1_30default_config_static_selectorELNS0_4arch9wavefront6targetE0EEEvT1_ ; -- Begin function _ZN7rocprim17ROCPRIM_400000_NS6detail17trampoline_kernelINS0_14default_configENS1_25transform_config_selectorImLb1EEEZNS1_14transform_implILb1ES3_S5_PmPiNS0_8identityIvEEEE10hipError_tT2_T3_mT4_P12ihipStream_tbEUlT_E_NS1_11comp_targetILNS1_3genE4ELNS1_11target_archE910ELNS1_3gpuE8ELNS1_3repE0EEENS1_30default_config_static_selectorELNS0_4arch9wavefront6targetE0EEEvT1_
	.globl	_ZN7rocprim17ROCPRIM_400000_NS6detail17trampoline_kernelINS0_14default_configENS1_25transform_config_selectorImLb1EEEZNS1_14transform_implILb1ES3_S5_PmPiNS0_8identityIvEEEE10hipError_tT2_T3_mT4_P12ihipStream_tbEUlT_E_NS1_11comp_targetILNS1_3genE4ELNS1_11target_archE910ELNS1_3gpuE8ELNS1_3repE0EEENS1_30default_config_static_selectorELNS0_4arch9wavefront6targetE0EEEvT1_
	.p2align	8
	.type	_ZN7rocprim17ROCPRIM_400000_NS6detail17trampoline_kernelINS0_14default_configENS1_25transform_config_selectorImLb1EEEZNS1_14transform_implILb1ES3_S5_PmPiNS0_8identityIvEEEE10hipError_tT2_T3_mT4_P12ihipStream_tbEUlT_E_NS1_11comp_targetILNS1_3genE4ELNS1_11target_archE910ELNS1_3gpuE8ELNS1_3repE0EEENS1_30default_config_static_selectorELNS0_4arch9wavefront6targetE0EEEvT1_,@function
_ZN7rocprim17ROCPRIM_400000_NS6detail17trampoline_kernelINS0_14default_configENS1_25transform_config_selectorImLb1EEEZNS1_14transform_implILb1ES3_S5_PmPiNS0_8identityIvEEEE10hipError_tT2_T3_mT4_P12ihipStream_tbEUlT_E_NS1_11comp_targetILNS1_3genE4ELNS1_11target_archE910ELNS1_3gpuE8ELNS1_3repE0EEENS1_30default_config_static_selectorELNS0_4arch9wavefront6targetE0EEEvT1_: ; @_ZN7rocprim17ROCPRIM_400000_NS6detail17trampoline_kernelINS0_14default_configENS1_25transform_config_selectorImLb1EEEZNS1_14transform_implILb1ES3_S5_PmPiNS0_8identityIvEEEE10hipError_tT2_T3_mT4_P12ihipStream_tbEUlT_E_NS1_11comp_targetILNS1_3genE4ELNS1_11target_archE910ELNS1_3gpuE8ELNS1_3repE0EEENS1_30default_config_static_selectorELNS0_4arch9wavefront6targetE0EEEvT1_
; %bb.0:
	.section	.rodata,"a",@progbits
	.p2align	6, 0x0
	.amdhsa_kernel _ZN7rocprim17ROCPRIM_400000_NS6detail17trampoline_kernelINS0_14default_configENS1_25transform_config_selectorImLb1EEEZNS1_14transform_implILb1ES3_S5_PmPiNS0_8identityIvEEEE10hipError_tT2_T3_mT4_P12ihipStream_tbEUlT_E_NS1_11comp_targetILNS1_3genE4ELNS1_11target_archE910ELNS1_3gpuE8ELNS1_3repE0EEENS1_30default_config_static_selectorELNS0_4arch9wavefront6targetE0EEEvT1_
		.amdhsa_group_segment_fixed_size 0
		.amdhsa_private_segment_fixed_size 0
		.amdhsa_kernarg_size 40
		.amdhsa_user_sgpr_count 2
		.amdhsa_user_sgpr_dispatch_ptr 0
		.amdhsa_user_sgpr_queue_ptr 0
		.amdhsa_user_sgpr_kernarg_segment_ptr 1
		.amdhsa_user_sgpr_dispatch_id 0
		.amdhsa_user_sgpr_private_segment_size 0
		.amdhsa_wavefront_size32 1
		.amdhsa_uses_dynamic_stack 0
		.amdhsa_enable_private_segment 0
		.amdhsa_system_sgpr_workgroup_id_x 1
		.amdhsa_system_sgpr_workgroup_id_y 0
		.amdhsa_system_sgpr_workgroup_id_z 0
		.amdhsa_system_sgpr_workgroup_info 0
		.amdhsa_system_vgpr_workitem_id 0
		.amdhsa_next_free_vgpr 1
		.amdhsa_next_free_sgpr 1
		.amdhsa_reserve_vcc 0
		.amdhsa_float_round_mode_32 0
		.amdhsa_float_round_mode_16_64 0
		.amdhsa_float_denorm_mode_32 3
		.amdhsa_float_denorm_mode_16_64 3
		.amdhsa_fp16_overflow 0
		.amdhsa_workgroup_processor_mode 1
		.amdhsa_memory_ordered 1
		.amdhsa_forward_progress 1
		.amdhsa_inst_pref_size 0
		.amdhsa_round_robin_scheduling 0
		.amdhsa_exception_fp_ieee_invalid_op 0
		.amdhsa_exception_fp_denorm_src 0
		.amdhsa_exception_fp_ieee_div_zero 0
		.amdhsa_exception_fp_ieee_overflow 0
		.amdhsa_exception_fp_ieee_underflow 0
		.amdhsa_exception_fp_ieee_inexact 0
		.amdhsa_exception_int_div_zero 0
	.end_amdhsa_kernel
	.section	.text._ZN7rocprim17ROCPRIM_400000_NS6detail17trampoline_kernelINS0_14default_configENS1_25transform_config_selectorImLb1EEEZNS1_14transform_implILb1ES3_S5_PmPiNS0_8identityIvEEEE10hipError_tT2_T3_mT4_P12ihipStream_tbEUlT_E_NS1_11comp_targetILNS1_3genE4ELNS1_11target_archE910ELNS1_3gpuE8ELNS1_3repE0EEENS1_30default_config_static_selectorELNS0_4arch9wavefront6targetE0EEEvT1_,"axG",@progbits,_ZN7rocprim17ROCPRIM_400000_NS6detail17trampoline_kernelINS0_14default_configENS1_25transform_config_selectorImLb1EEEZNS1_14transform_implILb1ES3_S5_PmPiNS0_8identityIvEEEE10hipError_tT2_T3_mT4_P12ihipStream_tbEUlT_E_NS1_11comp_targetILNS1_3genE4ELNS1_11target_archE910ELNS1_3gpuE8ELNS1_3repE0EEENS1_30default_config_static_selectorELNS0_4arch9wavefront6targetE0EEEvT1_,comdat
.Lfunc_end49:
	.size	_ZN7rocprim17ROCPRIM_400000_NS6detail17trampoline_kernelINS0_14default_configENS1_25transform_config_selectorImLb1EEEZNS1_14transform_implILb1ES3_S5_PmPiNS0_8identityIvEEEE10hipError_tT2_T3_mT4_P12ihipStream_tbEUlT_E_NS1_11comp_targetILNS1_3genE4ELNS1_11target_archE910ELNS1_3gpuE8ELNS1_3repE0EEENS1_30default_config_static_selectorELNS0_4arch9wavefront6targetE0EEEvT1_, .Lfunc_end49-_ZN7rocprim17ROCPRIM_400000_NS6detail17trampoline_kernelINS0_14default_configENS1_25transform_config_selectorImLb1EEEZNS1_14transform_implILb1ES3_S5_PmPiNS0_8identityIvEEEE10hipError_tT2_T3_mT4_P12ihipStream_tbEUlT_E_NS1_11comp_targetILNS1_3genE4ELNS1_11target_archE910ELNS1_3gpuE8ELNS1_3repE0EEENS1_30default_config_static_selectorELNS0_4arch9wavefront6targetE0EEEvT1_
                                        ; -- End function
	.set _ZN7rocprim17ROCPRIM_400000_NS6detail17trampoline_kernelINS0_14default_configENS1_25transform_config_selectorImLb1EEEZNS1_14transform_implILb1ES3_S5_PmPiNS0_8identityIvEEEE10hipError_tT2_T3_mT4_P12ihipStream_tbEUlT_E_NS1_11comp_targetILNS1_3genE4ELNS1_11target_archE910ELNS1_3gpuE8ELNS1_3repE0EEENS1_30default_config_static_selectorELNS0_4arch9wavefront6targetE0EEEvT1_.num_vgpr, 0
	.set _ZN7rocprim17ROCPRIM_400000_NS6detail17trampoline_kernelINS0_14default_configENS1_25transform_config_selectorImLb1EEEZNS1_14transform_implILb1ES3_S5_PmPiNS0_8identityIvEEEE10hipError_tT2_T3_mT4_P12ihipStream_tbEUlT_E_NS1_11comp_targetILNS1_3genE4ELNS1_11target_archE910ELNS1_3gpuE8ELNS1_3repE0EEENS1_30default_config_static_selectorELNS0_4arch9wavefront6targetE0EEEvT1_.num_agpr, 0
	.set _ZN7rocprim17ROCPRIM_400000_NS6detail17trampoline_kernelINS0_14default_configENS1_25transform_config_selectorImLb1EEEZNS1_14transform_implILb1ES3_S5_PmPiNS0_8identityIvEEEE10hipError_tT2_T3_mT4_P12ihipStream_tbEUlT_E_NS1_11comp_targetILNS1_3genE4ELNS1_11target_archE910ELNS1_3gpuE8ELNS1_3repE0EEENS1_30default_config_static_selectorELNS0_4arch9wavefront6targetE0EEEvT1_.numbered_sgpr, 0
	.set _ZN7rocprim17ROCPRIM_400000_NS6detail17trampoline_kernelINS0_14default_configENS1_25transform_config_selectorImLb1EEEZNS1_14transform_implILb1ES3_S5_PmPiNS0_8identityIvEEEE10hipError_tT2_T3_mT4_P12ihipStream_tbEUlT_E_NS1_11comp_targetILNS1_3genE4ELNS1_11target_archE910ELNS1_3gpuE8ELNS1_3repE0EEENS1_30default_config_static_selectorELNS0_4arch9wavefront6targetE0EEEvT1_.num_named_barrier, 0
	.set _ZN7rocprim17ROCPRIM_400000_NS6detail17trampoline_kernelINS0_14default_configENS1_25transform_config_selectorImLb1EEEZNS1_14transform_implILb1ES3_S5_PmPiNS0_8identityIvEEEE10hipError_tT2_T3_mT4_P12ihipStream_tbEUlT_E_NS1_11comp_targetILNS1_3genE4ELNS1_11target_archE910ELNS1_3gpuE8ELNS1_3repE0EEENS1_30default_config_static_selectorELNS0_4arch9wavefront6targetE0EEEvT1_.private_seg_size, 0
	.set _ZN7rocprim17ROCPRIM_400000_NS6detail17trampoline_kernelINS0_14default_configENS1_25transform_config_selectorImLb1EEEZNS1_14transform_implILb1ES3_S5_PmPiNS0_8identityIvEEEE10hipError_tT2_T3_mT4_P12ihipStream_tbEUlT_E_NS1_11comp_targetILNS1_3genE4ELNS1_11target_archE910ELNS1_3gpuE8ELNS1_3repE0EEENS1_30default_config_static_selectorELNS0_4arch9wavefront6targetE0EEEvT1_.uses_vcc, 0
	.set _ZN7rocprim17ROCPRIM_400000_NS6detail17trampoline_kernelINS0_14default_configENS1_25transform_config_selectorImLb1EEEZNS1_14transform_implILb1ES3_S5_PmPiNS0_8identityIvEEEE10hipError_tT2_T3_mT4_P12ihipStream_tbEUlT_E_NS1_11comp_targetILNS1_3genE4ELNS1_11target_archE910ELNS1_3gpuE8ELNS1_3repE0EEENS1_30default_config_static_selectorELNS0_4arch9wavefront6targetE0EEEvT1_.uses_flat_scratch, 0
	.set _ZN7rocprim17ROCPRIM_400000_NS6detail17trampoline_kernelINS0_14default_configENS1_25transform_config_selectorImLb1EEEZNS1_14transform_implILb1ES3_S5_PmPiNS0_8identityIvEEEE10hipError_tT2_T3_mT4_P12ihipStream_tbEUlT_E_NS1_11comp_targetILNS1_3genE4ELNS1_11target_archE910ELNS1_3gpuE8ELNS1_3repE0EEENS1_30default_config_static_selectorELNS0_4arch9wavefront6targetE0EEEvT1_.has_dyn_sized_stack, 0
	.set _ZN7rocprim17ROCPRIM_400000_NS6detail17trampoline_kernelINS0_14default_configENS1_25transform_config_selectorImLb1EEEZNS1_14transform_implILb1ES3_S5_PmPiNS0_8identityIvEEEE10hipError_tT2_T3_mT4_P12ihipStream_tbEUlT_E_NS1_11comp_targetILNS1_3genE4ELNS1_11target_archE910ELNS1_3gpuE8ELNS1_3repE0EEENS1_30default_config_static_selectorELNS0_4arch9wavefront6targetE0EEEvT1_.has_recursion, 0
	.set _ZN7rocprim17ROCPRIM_400000_NS6detail17trampoline_kernelINS0_14default_configENS1_25transform_config_selectorImLb1EEEZNS1_14transform_implILb1ES3_S5_PmPiNS0_8identityIvEEEE10hipError_tT2_T3_mT4_P12ihipStream_tbEUlT_E_NS1_11comp_targetILNS1_3genE4ELNS1_11target_archE910ELNS1_3gpuE8ELNS1_3repE0EEENS1_30default_config_static_selectorELNS0_4arch9wavefront6targetE0EEEvT1_.has_indirect_call, 0
	.section	.AMDGPU.csdata,"",@progbits
; Kernel info:
; codeLenInByte = 0
; TotalNumSgprs: 0
; NumVgprs: 0
; ScratchSize: 0
; MemoryBound: 0
; FloatMode: 240
; IeeeMode: 1
; LDSByteSize: 0 bytes/workgroup (compile time only)
; SGPRBlocks: 0
; VGPRBlocks: 0
; NumSGPRsForWavesPerEU: 1
; NumVGPRsForWavesPerEU: 1
; Occupancy: 16
; WaveLimiterHint : 0
; COMPUTE_PGM_RSRC2:SCRATCH_EN: 0
; COMPUTE_PGM_RSRC2:USER_SGPR: 2
; COMPUTE_PGM_RSRC2:TRAP_HANDLER: 0
; COMPUTE_PGM_RSRC2:TGID_X_EN: 1
; COMPUTE_PGM_RSRC2:TGID_Y_EN: 0
; COMPUTE_PGM_RSRC2:TGID_Z_EN: 0
; COMPUTE_PGM_RSRC2:TIDIG_COMP_CNT: 0
	.section	.text._ZN7rocprim17ROCPRIM_400000_NS6detail17trampoline_kernelINS0_14default_configENS1_25transform_config_selectorImLb1EEEZNS1_14transform_implILb1ES3_S5_PmPiNS0_8identityIvEEEE10hipError_tT2_T3_mT4_P12ihipStream_tbEUlT_E_NS1_11comp_targetILNS1_3genE3ELNS1_11target_archE908ELNS1_3gpuE7ELNS1_3repE0EEENS1_30default_config_static_selectorELNS0_4arch9wavefront6targetE0EEEvT1_,"axG",@progbits,_ZN7rocprim17ROCPRIM_400000_NS6detail17trampoline_kernelINS0_14default_configENS1_25transform_config_selectorImLb1EEEZNS1_14transform_implILb1ES3_S5_PmPiNS0_8identityIvEEEE10hipError_tT2_T3_mT4_P12ihipStream_tbEUlT_E_NS1_11comp_targetILNS1_3genE3ELNS1_11target_archE908ELNS1_3gpuE7ELNS1_3repE0EEENS1_30default_config_static_selectorELNS0_4arch9wavefront6targetE0EEEvT1_,comdat
	.protected	_ZN7rocprim17ROCPRIM_400000_NS6detail17trampoline_kernelINS0_14default_configENS1_25transform_config_selectorImLb1EEEZNS1_14transform_implILb1ES3_S5_PmPiNS0_8identityIvEEEE10hipError_tT2_T3_mT4_P12ihipStream_tbEUlT_E_NS1_11comp_targetILNS1_3genE3ELNS1_11target_archE908ELNS1_3gpuE7ELNS1_3repE0EEENS1_30default_config_static_selectorELNS0_4arch9wavefront6targetE0EEEvT1_ ; -- Begin function _ZN7rocprim17ROCPRIM_400000_NS6detail17trampoline_kernelINS0_14default_configENS1_25transform_config_selectorImLb1EEEZNS1_14transform_implILb1ES3_S5_PmPiNS0_8identityIvEEEE10hipError_tT2_T3_mT4_P12ihipStream_tbEUlT_E_NS1_11comp_targetILNS1_3genE3ELNS1_11target_archE908ELNS1_3gpuE7ELNS1_3repE0EEENS1_30default_config_static_selectorELNS0_4arch9wavefront6targetE0EEEvT1_
	.globl	_ZN7rocprim17ROCPRIM_400000_NS6detail17trampoline_kernelINS0_14default_configENS1_25transform_config_selectorImLb1EEEZNS1_14transform_implILb1ES3_S5_PmPiNS0_8identityIvEEEE10hipError_tT2_T3_mT4_P12ihipStream_tbEUlT_E_NS1_11comp_targetILNS1_3genE3ELNS1_11target_archE908ELNS1_3gpuE7ELNS1_3repE0EEENS1_30default_config_static_selectorELNS0_4arch9wavefront6targetE0EEEvT1_
	.p2align	8
	.type	_ZN7rocprim17ROCPRIM_400000_NS6detail17trampoline_kernelINS0_14default_configENS1_25transform_config_selectorImLb1EEEZNS1_14transform_implILb1ES3_S5_PmPiNS0_8identityIvEEEE10hipError_tT2_T3_mT4_P12ihipStream_tbEUlT_E_NS1_11comp_targetILNS1_3genE3ELNS1_11target_archE908ELNS1_3gpuE7ELNS1_3repE0EEENS1_30default_config_static_selectorELNS0_4arch9wavefront6targetE0EEEvT1_,@function
_ZN7rocprim17ROCPRIM_400000_NS6detail17trampoline_kernelINS0_14default_configENS1_25transform_config_selectorImLb1EEEZNS1_14transform_implILb1ES3_S5_PmPiNS0_8identityIvEEEE10hipError_tT2_T3_mT4_P12ihipStream_tbEUlT_E_NS1_11comp_targetILNS1_3genE3ELNS1_11target_archE908ELNS1_3gpuE7ELNS1_3repE0EEENS1_30default_config_static_selectorELNS0_4arch9wavefront6targetE0EEEvT1_: ; @_ZN7rocprim17ROCPRIM_400000_NS6detail17trampoline_kernelINS0_14default_configENS1_25transform_config_selectorImLb1EEEZNS1_14transform_implILb1ES3_S5_PmPiNS0_8identityIvEEEE10hipError_tT2_T3_mT4_P12ihipStream_tbEUlT_E_NS1_11comp_targetILNS1_3genE3ELNS1_11target_archE908ELNS1_3gpuE7ELNS1_3repE0EEENS1_30default_config_static_selectorELNS0_4arch9wavefront6targetE0EEEvT1_
; %bb.0:
	.section	.rodata,"a",@progbits
	.p2align	6, 0x0
	.amdhsa_kernel _ZN7rocprim17ROCPRIM_400000_NS6detail17trampoline_kernelINS0_14default_configENS1_25transform_config_selectorImLb1EEEZNS1_14transform_implILb1ES3_S5_PmPiNS0_8identityIvEEEE10hipError_tT2_T3_mT4_P12ihipStream_tbEUlT_E_NS1_11comp_targetILNS1_3genE3ELNS1_11target_archE908ELNS1_3gpuE7ELNS1_3repE0EEENS1_30default_config_static_selectorELNS0_4arch9wavefront6targetE0EEEvT1_
		.amdhsa_group_segment_fixed_size 0
		.amdhsa_private_segment_fixed_size 0
		.amdhsa_kernarg_size 40
		.amdhsa_user_sgpr_count 2
		.amdhsa_user_sgpr_dispatch_ptr 0
		.amdhsa_user_sgpr_queue_ptr 0
		.amdhsa_user_sgpr_kernarg_segment_ptr 1
		.amdhsa_user_sgpr_dispatch_id 0
		.amdhsa_user_sgpr_private_segment_size 0
		.amdhsa_wavefront_size32 1
		.amdhsa_uses_dynamic_stack 0
		.amdhsa_enable_private_segment 0
		.amdhsa_system_sgpr_workgroup_id_x 1
		.amdhsa_system_sgpr_workgroup_id_y 0
		.amdhsa_system_sgpr_workgroup_id_z 0
		.amdhsa_system_sgpr_workgroup_info 0
		.amdhsa_system_vgpr_workitem_id 0
		.amdhsa_next_free_vgpr 1
		.amdhsa_next_free_sgpr 1
		.amdhsa_reserve_vcc 0
		.amdhsa_float_round_mode_32 0
		.amdhsa_float_round_mode_16_64 0
		.amdhsa_float_denorm_mode_32 3
		.amdhsa_float_denorm_mode_16_64 3
		.amdhsa_fp16_overflow 0
		.amdhsa_workgroup_processor_mode 1
		.amdhsa_memory_ordered 1
		.amdhsa_forward_progress 1
		.amdhsa_inst_pref_size 0
		.amdhsa_round_robin_scheduling 0
		.amdhsa_exception_fp_ieee_invalid_op 0
		.amdhsa_exception_fp_denorm_src 0
		.amdhsa_exception_fp_ieee_div_zero 0
		.amdhsa_exception_fp_ieee_overflow 0
		.amdhsa_exception_fp_ieee_underflow 0
		.amdhsa_exception_fp_ieee_inexact 0
		.amdhsa_exception_int_div_zero 0
	.end_amdhsa_kernel
	.section	.text._ZN7rocprim17ROCPRIM_400000_NS6detail17trampoline_kernelINS0_14default_configENS1_25transform_config_selectorImLb1EEEZNS1_14transform_implILb1ES3_S5_PmPiNS0_8identityIvEEEE10hipError_tT2_T3_mT4_P12ihipStream_tbEUlT_E_NS1_11comp_targetILNS1_3genE3ELNS1_11target_archE908ELNS1_3gpuE7ELNS1_3repE0EEENS1_30default_config_static_selectorELNS0_4arch9wavefront6targetE0EEEvT1_,"axG",@progbits,_ZN7rocprim17ROCPRIM_400000_NS6detail17trampoline_kernelINS0_14default_configENS1_25transform_config_selectorImLb1EEEZNS1_14transform_implILb1ES3_S5_PmPiNS0_8identityIvEEEE10hipError_tT2_T3_mT4_P12ihipStream_tbEUlT_E_NS1_11comp_targetILNS1_3genE3ELNS1_11target_archE908ELNS1_3gpuE7ELNS1_3repE0EEENS1_30default_config_static_selectorELNS0_4arch9wavefront6targetE0EEEvT1_,comdat
.Lfunc_end50:
	.size	_ZN7rocprim17ROCPRIM_400000_NS6detail17trampoline_kernelINS0_14default_configENS1_25transform_config_selectorImLb1EEEZNS1_14transform_implILb1ES3_S5_PmPiNS0_8identityIvEEEE10hipError_tT2_T3_mT4_P12ihipStream_tbEUlT_E_NS1_11comp_targetILNS1_3genE3ELNS1_11target_archE908ELNS1_3gpuE7ELNS1_3repE0EEENS1_30default_config_static_selectorELNS0_4arch9wavefront6targetE0EEEvT1_, .Lfunc_end50-_ZN7rocprim17ROCPRIM_400000_NS6detail17trampoline_kernelINS0_14default_configENS1_25transform_config_selectorImLb1EEEZNS1_14transform_implILb1ES3_S5_PmPiNS0_8identityIvEEEE10hipError_tT2_T3_mT4_P12ihipStream_tbEUlT_E_NS1_11comp_targetILNS1_3genE3ELNS1_11target_archE908ELNS1_3gpuE7ELNS1_3repE0EEENS1_30default_config_static_selectorELNS0_4arch9wavefront6targetE0EEEvT1_
                                        ; -- End function
	.set _ZN7rocprim17ROCPRIM_400000_NS6detail17trampoline_kernelINS0_14default_configENS1_25transform_config_selectorImLb1EEEZNS1_14transform_implILb1ES3_S5_PmPiNS0_8identityIvEEEE10hipError_tT2_T3_mT4_P12ihipStream_tbEUlT_E_NS1_11comp_targetILNS1_3genE3ELNS1_11target_archE908ELNS1_3gpuE7ELNS1_3repE0EEENS1_30default_config_static_selectorELNS0_4arch9wavefront6targetE0EEEvT1_.num_vgpr, 0
	.set _ZN7rocprim17ROCPRIM_400000_NS6detail17trampoline_kernelINS0_14default_configENS1_25transform_config_selectorImLb1EEEZNS1_14transform_implILb1ES3_S5_PmPiNS0_8identityIvEEEE10hipError_tT2_T3_mT4_P12ihipStream_tbEUlT_E_NS1_11comp_targetILNS1_3genE3ELNS1_11target_archE908ELNS1_3gpuE7ELNS1_3repE0EEENS1_30default_config_static_selectorELNS0_4arch9wavefront6targetE0EEEvT1_.num_agpr, 0
	.set _ZN7rocprim17ROCPRIM_400000_NS6detail17trampoline_kernelINS0_14default_configENS1_25transform_config_selectorImLb1EEEZNS1_14transform_implILb1ES3_S5_PmPiNS0_8identityIvEEEE10hipError_tT2_T3_mT4_P12ihipStream_tbEUlT_E_NS1_11comp_targetILNS1_3genE3ELNS1_11target_archE908ELNS1_3gpuE7ELNS1_3repE0EEENS1_30default_config_static_selectorELNS0_4arch9wavefront6targetE0EEEvT1_.numbered_sgpr, 0
	.set _ZN7rocprim17ROCPRIM_400000_NS6detail17trampoline_kernelINS0_14default_configENS1_25transform_config_selectorImLb1EEEZNS1_14transform_implILb1ES3_S5_PmPiNS0_8identityIvEEEE10hipError_tT2_T3_mT4_P12ihipStream_tbEUlT_E_NS1_11comp_targetILNS1_3genE3ELNS1_11target_archE908ELNS1_3gpuE7ELNS1_3repE0EEENS1_30default_config_static_selectorELNS0_4arch9wavefront6targetE0EEEvT1_.num_named_barrier, 0
	.set _ZN7rocprim17ROCPRIM_400000_NS6detail17trampoline_kernelINS0_14default_configENS1_25transform_config_selectorImLb1EEEZNS1_14transform_implILb1ES3_S5_PmPiNS0_8identityIvEEEE10hipError_tT2_T3_mT4_P12ihipStream_tbEUlT_E_NS1_11comp_targetILNS1_3genE3ELNS1_11target_archE908ELNS1_3gpuE7ELNS1_3repE0EEENS1_30default_config_static_selectorELNS0_4arch9wavefront6targetE0EEEvT1_.private_seg_size, 0
	.set _ZN7rocprim17ROCPRIM_400000_NS6detail17trampoline_kernelINS0_14default_configENS1_25transform_config_selectorImLb1EEEZNS1_14transform_implILb1ES3_S5_PmPiNS0_8identityIvEEEE10hipError_tT2_T3_mT4_P12ihipStream_tbEUlT_E_NS1_11comp_targetILNS1_3genE3ELNS1_11target_archE908ELNS1_3gpuE7ELNS1_3repE0EEENS1_30default_config_static_selectorELNS0_4arch9wavefront6targetE0EEEvT1_.uses_vcc, 0
	.set _ZN7rocprim17ROCPRIM_400000_NS6detail17trampoline_kernelINS0_14default_configENS1_25transform_config_selectorImLb1EEEZNS1_14transform_implILb1ES3_S5_PmPiNS0_8identityIvEEEE10hipError_tT2_T3_mT4_P12ihipStream_tbEUlT_E_NS1_11comp_targetILNS1_3genE3ELNS1_11target_archE908ELNS1_3gpuE7ELNS1_3repE0EEENS1_30default_config_static_selectorELNS0_4arch9wavefront6targetE0EEEvT1_.uses_flat_scratch, 0
	.set _ZN7rocprim17ROCPRIM_400000_NS6detail17trampoline_kernelINS0_14default_configENS1_25transform_config_selectorImLb1EEEZNS1_14transform_implILb1ES3_S5_PmPiNS0_8identityIvEEEE10hipError_tT2_T3_mT4_P12ihipStream_tbEUlT_E_NS1_11comp_targetILNS1_3genE3ELNS1_11target_archE908ELNS1_3gpuE7ELNS1_3repE0EEENS1_30default_config_static_selectorELNS0_4arch9wavefront6targetE0EEEvT1_.has_dyn_sized_stack, 0
	.set _ZN7rocprim17ROCPRIM_400000_NS6detail17trampoline_kernelINS0_14default_configENS1_25transform_config_selectorImLb1EEEZNS1_14transform_implILb1ES3_S5_PmPiNS0_8identityIvEEEE10hipError_tT2_T3_mT4_P12ihipStream_tbEUlT_E_NS1_11comp_targetILNS1_3genE3ELNS1_11target_archE908ELNS1_3gpuE7ELNS1_3repE0EEENS1_30default_config_static_selectorELNS0_4arch9wavefront6targetE0EEEvT1_.has_recursion, 0
	.set _ZN7rocprim17ROCPRIM_400000_NS6detail17trampoline_kernelINS0_14default_configENS1_25transform_config_selectorImLb1EEEZNS1_14transform_implILb1ES3_S5_PmPiNS0_8identityIvEEEE10hipError_tT2_T3_mT4_P12ihipStream_tbEUlT_E_NS1_11comp_targetILNS1_3genE3ELNS1_11target_archE908ELNS1_3gpuE7ELNS1_3repE0EEENS1_30default_config_static_selectorELNS0_4arch9wavefront6targetE0EEEvT1_.has_indirect_call, 0
	.section	.AMDGPU.csdata,"",@progbits
; Kernel info:
; codeLenInByte = 0
; TotalNumSgprs: 0
; NumVgprs: 0
; ScratchSize: 0
; MemoryBound: 0
; FloatMode: 240
; IeeeMode: 1
; LDSByteSize: 0 bytes/workgroup (compile time only)
; SGPRBlocks: 0
; VGPRBlocks: 0
; NumSGPRsForWavesPerEU: 1
; NumVGPRsForWavesPerEU: 1
; Occupancy: 16
; WaveLimiterHint : 0
; COMPUTE_PGM_RSRC2:SCRATCH_EN: 0
; COMPUTE_PGM_RSRC2:USER_SGPR: 2
; COMPUTE_PGM_RSRC2:TRAP_HANDLER: 0
; COMPUTE_PGM_RSRC2:TGID_X_EN: 1
; COMPUTE_PGM_RSRC2:TGID_Y_EN: 0
; COMPUTE_PGM_RSRC2:TGID_Z_EN: 0
; COMPUTE_PGM_RSRC2:TIDIG_COMP_CNT: 0
	.section	.text._ZN7rocprim17ROCPRIM_400000_NS6detail17trampoline_kernelINS0_14default_configENS1_25transform_config_selectorImLb1EEEZNS1_14transform_implILb1ES3_S5_PmPiNS0_8identityIvEEEE10hipError_tT2_T3_mT4_P12ihipStream_tbEUlT_E_NS1_11comp_targetILNS1_3genE2ELNS1_11target_archE906ELNS1_3gpuE6ELNS1_3repE0EEENS1_30default_config_static_selectorELNS0_4arch9wavefront6targetE0EEEvT1_,"axG",@progbits,_ZN7rocprim17ROCPRIM_400000_NS6detail17trampoline_kernelINS0_14default_configENS1_25transform_config_selectorImLb1EEEZNS1_14transform_implILb1ES3_S5_PmPiNS0_8identityIvEEEE10hipError_tT2_T3_mT4_P12ihipStream_tbEUlT_E_NS1_11comp_targetILNS1_3genE2ELNS1_11target_archE906ELNS1_3gpuE6ELNS1_3repE0EEENS1_30default_config_static_selectorELNS0_4arch9wavefront6targetE0EEEvT1_,comdat
	.protected	_ZN7rocprim17ROCPRIM_400000_NS6detail17trampoline_kernelINS0_14default_configENS1_25transform_config_selectorImLb1EEEZNS1_14transform_implILb1ES3_S5_PmPiNS0_8identityIvEEEE10hipError_tT2_T3_mT4_P12ihipStream_tbEUlT_E_NS1_11comp_targetILNS1_3genE2ELNS1_11target_archE906ELNS1_3gpuE6ELNS1_3repE0EEENS1_30default_config_static_selectorELNS0_4arch9wavefront6targetE0EEEvT1_ ; -- Begin function _ZN7rocprim17ROCPRIM_400000_NS6detail17trampoline_kernelINS0_14default_configENS1_25transform_config_selectorImLb1EEEZNS1_14transform_implILb1ES3_S5_PmPiNS0_8identityIvEEEE10hipError_tT2_T3_mT4_P12ihipStream_tbEUlT_E_NS1_11comp_targetILNS1_3genE2ELNS1_11target_archE906ELNS1_3gpuE6ELNS1_3repE0EEENS1_30default_config_static_selectorELNS0_4arch9wavefront6targetE0EEEvT1_
	.globl	_ZN7rocprim17ROCPRIM_400000_NS6detail17trampoline_kernelINS0_14default_configENS1_25transform_config_selectorImLb1EEEZNS1_14transform_implILb1ES3_S5_PmPiNS0_8identityIvEEEE10hipError_tT2_T3_mT4_P12ihipStream_tbEUlT_E_NS1_11comp_targetILNS1_3genE2ELNS1_11target_archE906ELNS1_3gpuE6ELNS1_3repE0EEENS1_30default_config_static_selectorELNS0_4arch9wavefront6targetE0EEEvT1_
	.p2align	8
	.type	_ZN7rocprim17ROCPRIM_400000_NS6detail17trampoline_kernelINS0_14default_configENS1_25transform_config_selectorImLb1EEEZNS1_14transform_implILb1ES3_S5_PmPiNS0_8identityIvEEEE10hipError_tT2_T3_mT4_P12ihipStream_tbEUlT_E_NS1_11comp_targetILNS1_3genE2ELNS1_11target_archE906ELNS1_3gpuE6ELNS1_3repE0EEENS1_30default_config_static_selectorELNS0_4arch9wavefront6targetE0EEEvT1_,@function
_ZN7rocprim17ROCPRIM_400000_NS6detail17trampoline_kernelINS0_14default_configENS1_25transform_config_selectorImLb1EEEZNS1_14transform_implILb1ES3_S5_PmPiNS0_8identityIvEEEE10hipError_tT2_T3_mT4_P12ihipStream_tbEUlT_E_NS1_11comp_targetILNS1_3genE2ELNS1_11target_archE906ELNS1_3gpuE6ELNS1_3repE0EEENS1_30default_config_static_selectorELNS0_4arch9wavefront6targetE0EEEvT1_: ; @_ZN7rocprim17ROCPRIM_400000_NS6detail17trampoline_kernelINS0_14default_configENS1_25transform_config_selectorImLb1EEEZNS1_14transform_implILb1ES3_S5_PmPiNS0_8identityIvEEEE10hipError_tT2_T3_mT4_P12ihipStream_tbEUlT_E_NS1_11comp_targetILNS1_3genE2ELNS1_11target_archE906ELNS1_3gpuE6ELNS1_3repE0EEENS1_30default_config_static_selectorELNS0_4arch9wavefront6targetE0EEEvT1_
; %bb.0:
	.section	.rodata,"a",@progbits
	.p2align	6, 0x0
	.amdhsa_kernel _ZN7rocprim17ROCPRIM_400000_NS6detail17trampoline_kernelINS0_14default_configENS1_25transform_config_selectorImLb1EEEZNS1_14transform_implILb1ES3_S5_PmPiNS0_8identityIvEEEE10hipError_tT2_T3_mT4_P12ihipStream_tbEUlT_E_NS1_11comp_targetILNS1_3genE2ELNS1_11target_archE906ELNS1_3gpuE6ELNS1_3repE0EEENS1_30default_config_static_selectorELNS0_4arch9wavefront6targetE0EEEvT1_
		.amdhsa_group_segment_fixed_size 0
		.amdhsa_private_segment_fixed_size 0
		.amdhsa_kernarg_size 40
		.amdhsa_user_sgpr_count 2
		.amdhsa_user_sgpr_dispatch_ptr 0
		.amdhsa_user_sgpr_queue_ptr 0
		.amdhsa_user_sgpr_kernarg_segment_ptr 1
		.amdhsa_user_sgpr_dispatch_id 0
		.amdhsa_user_sgpr_private_segment_size 0
		.amdhsa_wavefront_size32 1
		.amdhsa_uses_dynamic_stack 0
		.amdhsa_enable_private_segment 0
		.amdhsa_system_sgpr_workgroup_id_x 1
		.amdhsa_system_sgpr_workgroup_id_y 0
		.amdhsa_system_sgpr_workgroup_id_z 0
		.amdhsa_system_sgpr_workgroup_info 0
		.amdhsa_system_vgpr_workitem_id 0
		.amdhsa_next_free_vgpr 1
		.amdhsa_next_free_sgpr 1
		.amdhsa_reserve_vcc 0
		.amdhsa_float_round_mode_32 0
		.amdhsa_float_round_mode_16_64 0
		.amdhsa_float_denorm_mode_32 3
		.amdhsa_float_denorm_mode_16_64 3
		.amdhsa_fp16_overflow 0
		.amdhsa_workgroup_processor_mode 1
		.amdhsa_memory_ordered 1
		.amdhsa_forward_progress 1
		.amdhsa_inst_pref_size 0
		.amdhsa_round_robin_scheduling 0
		.amdhsa_exception_fp_ieee_invalid_op 0
		.amdhsa_exception_fp_denorm_src 0
		.amdhsa_exception_fp_ieee_div_zero 0
		.amdhsa_exception_fp_ieee_overflow 0
		.amdhsa_exception_fp_ieee_underflow 0
		.amdhsa_exception_fp_ieee_inexact 0
		.amdhsa_exception_int_div_zero 0
	.end_amdhsa_kernel
	.section	.text._ZN7rocprim17ROCPRIM_400000_NS6detail17trampoline_kernelINS0_14default_configENS1_25transform_config_selectorImLb1EEEZNS1_14transform_implILb1ES3_S5_PmPiNS0_8identityIvEEEE10hipError_tT2_T3_mT4_P12ihipStream_tbEUlT_E_NS1_11comp_targetILNS1_3genE2ELNS1_11target_archE906ELNS1_3gpuE6ELNS1_3repE0EEENS1_30default_config_static_selectorELNS0_4arch9wavefront6targetE0EEEvT1_,"axG",@progbits,_ZN7rocprim17ROCPRIM_400000_NS6detail17trampoline_kernelINS0_14default_configENS1_25transform_config_selectorImLb1EEEZNS1_14transform_implILb1ES3_S5_PmPiNS0_8identityIvEEEE10hipError_tT2_T3_mT4_P12ihipStream_tbEUlT_E_NS1_11comp_targetILNS1_3genE2ELNS1_11target_archE906ELNS1_3gpuE6ELNS1_3repE0EEENS1_30default_config_static_selectorELNS0_4arch9wavefront6targetE0EEEvT1_,comdat
.Lfunc_end51:
	.size	_ZN7rocprim17ROCPRIM_400000_NS6detail17trampoline_kernelINS0_14default_configENS1_25transform_config_selectorImLb1EEEZNS1_14transform_implILb1ES3_S5_PmPiNS0_8identityIvEEEE10hipError_tT2_T3_mT4_P12ihipStream_tbEUlT_E_NS1_11comp_targetILNS1_3genE2ELNS1_11target_archE906ELNS1_3gpuE6ELNS1_3repE0EEENS1_30default_config_static_selectorELNS0_4arch9wavefront6targetE0EEEvT1_, .Lfunc_end51-_ZN7rocprim17ROCPRIM_400000_NS6detail17trampoline_kernelINS0_14default_configENS1_25transform_config_selectorImLb1EEEZNS1_14transform_implILb1ES3_S5_PmPiNS0_8identityIvEEEE10hipError_tT2_T3_mT4_P12ihipStream_tbEUlT_E_NS1_11comp_targetILNS1_3genE2ELNS1_11target_archE906ELNS1_3gpuE6ELNS1_3repE0EEENS1_30default_config_static_selectorELNS0_4arch9wavefront6targetE0EEEvT1_
                                        ; -- End function
	.set _ZN7rocprim17ROCPRIM_400000_NS6detail17trampoline_kernelINS0_14default_configENS1_25transform_config_selectorImLb1EEEZNS1_14transform_implILb1ES3_S5_PmPiNS0_8identityIvEEEE10hipError_tT2_T3_mT4_P12ihipStream_tbEUlT_E_NS1_11comp_targetILNS1_3genE2ELNS1_11target_archE906ELNS1_3gpuE6ELNS1_3repE0EEENS1_30default_config_static_selectorELNS0_4arch9wavefront6targetE0EEEvT1_.num_vgpr, 0
	.set _ZN7rocprim17ROCPRIM_400000_NS6detail17trampoline_kernelINS0_14default_configENS1_25transform_config_selectorImLb1EEEZNS1_14transform_implILb1ES3_S5_PmPiNS0_8identityIvEEEE10hipError_tT2_T3_mT4_P12ihipStream_tbEUlT_E_NS1_11comp_targetILNS1_3genE2ELNS1_11target_archE906ELNS1_3gpuE6ELNS1_3repE0EEENS1_30default_config_static_selectorELNS0_4arch9wavefront6targetE0EEEvT1_.num_agpr, 0
	.set _ZN7rocprim17ROCPRIM_400000_NS6detail17trampoline_kernelINS0_14default_configENS1_25transform_config_selectorImLb1EEEZNS1_14transform_implILb1ES3_S5_PmPiNS0_8identityIvEEEE10hipError_tT2_T3_mT4_P12ihipStream_tbEUlT_E_NS1_11comp_targetILNS1_3genE2ELNS1_11target_archE906ELNS1_3gpuE6ELNS1_3repE0EEENS1_30default_config_static_selectorELNS0_4arch9wavefront6targetE0EEEvT1_.numbered_sgpr, 0
	.set _ZN7rocprim17ROCPRIM_400000_NS6detail17trampoline_kernelINS0_14default_configENS1_25transform_config_selectorImLb1EEEZNS1_14transform_implILb1ES3_S5_PmPiNS0_8identityIvEEEE10hipError_tT2_T3_mT4_P12ihipStream_tbEUlT_E_NS1_11comp_targetILNS1_3genE2ELNS1_11target_archE906ELNS1_3gpuE6ELNS1_3repE0EEENS1_30default_config_static_selectorELNS0_4arch9wavefront6targetE0EEEvT1_.num_named_barrier, 0
	.set _ZN7rocprim17ROCPRIM_400000_NS6detail17trampoline_kernelINS0_14default_configENS1_25transform_config_selectorImLb1EEEZNS1_14transform_implILb1ES3_S5_PmPiNS0_8identityIvEEEE10hipError_tT2_T3_mT4_P12ihipStream_tbEUlT_E_NS1_11comp_targetILNS1_3genE2ELNS1_11target_archE906ELNS1_3gpuE6ELNS1_3repE0EEENS1_30default_config_static_selectorELNS0_4arch9wavefront6targetE0EEEvT1_.private_seg_size, 0
	.set _ZN7rocprim17ROCPRIM_400000_NS6detail17trampoline_kernelINS0_14default_configENS1_25transform_config_selectorImLb1EEEZNS1_14transform_implILb1ES3_S5_PmPiNS0_8identityIvEEEE10hipError_tT2_T3_mT4_P12ihipStream_tbEUlT_E_NS1_11comp_targetILNS1_3genE2ELNS1_11target_archE906ELNS1_3gpuE6ELNS1_3repE0EEENS1_30default_config_static_selectorELNS0_4arch9wavefront6targetE0EEEvT1_.uses_vcc, 0
	.set _ZN7rocprim17ROCPRIM_400000_NS6detail17trampoline_kernelINS0_14default_configENS1_25transform_config_selectorImLb1EEEZNS1_14transform_implILb1ES3_S5_PmPiNS0_8identityIvEEEE10hipError_tT2_T3_mT4_P12ihipStream_tbEUlT_E_NS1_11comp_targetILNS1_3genE2ELNS1_11target_archE906ELNS1_3gpuE6ELNS1_3repE0EEENS1_30default_config_static_selectorELNS0_4arch9wavefront6targetE0EEEvT1_.uses_flat_scratch, 0
	.set _ZN7rocprim17ROCPRIM_400000_NS6detail17trampoline_kernelINS0_14default_configENS1_25transform_config_selectorImLb1EEEZNS1_14transform_implILb1ES3_S5_PmPiNS0_8identityIvEEEE10hipError_tT2_T3_mT4_P12ihipStream_tbEUlT_E_NS1_11comp_targetILNS1_3genE2ELNS1_11target_archE906ELNS1_3gpuE6ELNS1_3repE0EEENS1_30default_config_static_selectorELNS0_4arch9wavefront6targetE0EEEvT1_.has_dyn_sized_stack, 0
	.set _ZN7rocprim17ROCPRIM_400000_NS6detail17trampoline_kernelINS0_14default_configENS1_25transform_config_selectorImLb1EEEZNS1_14transform_implILb1ES3_S5_PmPiNS0_8identityIvEEEE10hipError_tT2_T3_mT4_P12ihipStream_tbEUlT_E_NS1_11comp_targetILNS1_3genE2ELNS1_11target_archE906ELNS1_3gpuE6ELNS1_3repE0EEENS1_30default_config_static_selectorELNS0_4arch9wavefront6targetE0EEEvT1_.has_recursion, 0
	.set _ZN7rocprim17ROCPRIM_400000_NS6detail17trampoline_kernelINS0_14default_configENS1_25transform_config_selectorImLb1EEEZNS1_14transform_implILb1ES3_S5_PmPiNS0_8identityIvEEEE10hipError_tT2_T3_mT4_P12ihipStream_tbEUlT_E_NS1_11comp_targetILNS1_3genE2ELNS1_11target_archE906ELNS1_3gpuE6ELNS1_3repE0EEENS1_30default_config_static_selectorELNS0_4arch9wavefront6targetE0EEEvT1_.has_indirect_call, 0
	.section	.AMDGPU.csdata,"",@progbits
; Kernel info:
; codeLenInByte = 0
; TotalNumSgprs: 0
; NumVgprs: 0
; ScratchSize: 0
; MemoryBound: 0
; FloatMode: 240
; IeeeMode: 1
; LDSByteSize: 0 bytes/workgroup (compile time only)
; SGPRBlocks: 0
; VGPRBlocks: 0
; NumSGPRsForWavesPerEU: 1
; NumVGPRsForWavesPerEU: 1
; Occupancy: 16
; WaveLimiterHint : 0
; COMPUTE_PGM_RSRC2:SCRATCH_EN: 0
; COMPUTE_PGM_RSRC2:USER_SGPR: 2
; COMPUTE_PGM_RSRC2:TRAP_HANDLER: 0
; COMPUTE_PGM_RSRC2:TGID_X_EN: 1
; COMPUTE_PGM_RSRC2:TGID_Y_EN: 0
; COMPUTE_PGM_RSRC2:TGID_Z_EN: 0
; COMPUTE_PGM_RSRC2:TIDIG_COMP_CNT: 0
	.section	.text._ZN7rocprim17ROCPRIM_400000_NS6detail17trampoline_kernelINS0_14default_configENS1_25transform_config_selectorImLb1EEEZNS1_14transform_implILb1ES3_S5_PmPiNS0_8identityIvEEEE10hipError_tT2_T3_mT4_P12ihipStream_tbEUlT_E_NS1_11comp_targetILNS1_3genE9ELNS1_11target_archE1100ELNS1_3gpuE3ELNS1_3repE0EEENS1_30default_config_static_selectorELNS0_4arch9wavefront6targetE0EEEvT1_,"axG",@progbits,_ZN7rocprim17ROCPRIM_400000_NS6detail17trampoline_kernelINS0_14default_configENS1_25transform_config_selectorImLb1EEEZNS1_14transform_implILb1ES3_S5_PmPiNS0_8identityIvEEEE10hipError_tT2_T3_mT4_P12ihipStream_tbEUlT_E_NS1_11comp_targetILNS1_3genE9ELNS1_11target_archE1100ELNS1_3gpuE3ELNS1_3repE0EEENS1_30default_config_static_selectorELNS0_4arch9wavefront6targetE0EEEvT1_,comdat
	.protected	_ZN7rocprim17ROCPRIM_400000_NS6detail17trampoline_kernelINS0_14default_configENS1_25transform_config_selectorImLb1EEEZNS1_14transform_implILb1ES3_S5_PmPiNS0_8identityIvEEEE10hipError_tT2_T3_mT4_P12ihipStream_tbEUlT_E_NS1_11comp_targetILNS1_3genE9ELNS1_11target_archE1100ELNS1_3gpuE3ELNS1_3repE0EEENS1_30default_config_static_selectorELNS0_4arch9wavefront6targetE0EEEvT1_ ; -- Begin function _ZN7rocprim17ROCPRIM_400000_NS6detail17trampoline_kernelINS0_14default_configENS1_25transform_config_selectorImLb1EEEZNS1_14transform_implILb1ES3_S5_PmPiNS0_8identityIvEEEE10hipError_tT2_T3_mT4_P12ihipStream_tbEUlT_E_NS1_11comp_targetILNS1_3genE9ELNS1_11target_archE1100ELNS1_3gpuE3ELNS1_3repE0EEENS1_30default_config_static_selectorELNS0_4arch9wavefront6targetE0EEEvT1_
	.globl	_ZN7rocprim17ROCPRIM_400000_NS6detail17trampoline_kernelINS0_14default_configENS1_25transform_config_selectorImLb1EEEZNS1_14transform_implILb1ES3_S5_PmPiNS0_8identityIvEEEE10hipError_tT2_T3_mT4_P12ihipStream_tbEUlT_E_NS1_11comp_targetILNS1_3genE9ELNS1_11target_archE1100ELNS1_3gpuE3ELNS1_3repE0EEENS1_30default_config_static_selectorELNS0_4arch9wavefront6targetE0EEEvT1_
	.p2align	8
	.type	_ZN7rocprim17ROCPRIM_400000_NS6detail17trampoline_kernelINS0_14default_configENS1_25transform_config_selectorImLb1EEEZNS1_14transform_implILb1ES3_S5_PmPiNS0_8identityIvEEEE10hipError_tT2_T3_mT4_P12ihipStream_tbEUlT_E_NS1_11comp_targetILNS1_3genE9ELNS1_11target_archE1100ELNS1_3gpuE3ELNS1_3repE0EEENS1_30default_config_static_selectorELNS0_4arch9wavefront6targetE0EEEvT1_,@function
_ZN7rocprim17ROCPRIM_400000_NS6detail17trampoline_kernelINS0_14default_configENS1_25transform_config_selectorImLb1EEEZNS1_14transform_implILb1ES3_S5_PmPiNS0_8identityIvEEEE10hipError_tT2_T3_mT4_P12ihipStream_tbEUlT_E_NS1_11comp_targetILNS1_3genE9ELNS1_11target_archE1100ELNS1_3gpuE3ELNS1_3repE0EEENS1_30default_config_static_selectorELNS0_4arch9wavefront6targetE0EEEvT1_: ; @_ZN7rocprim17ROCPRIM_400000_NS6detail17trampoline_kernelINS0_14default_configENS1_25transform_config_selectorImLb1EEEZNS1_14transform_implILb1ES3_S5_PmPiNS0_8identityIvEEEE10hipError_tT2_T3_mT4_P12ihipStream_tbEUlT_E_NS1_11comp_targetILNS1_3genE9ELNS1_11target_archE1100ELNS1_3gpuE3ELNS1_3repE0EEENS1_30default_config_static_selectorELNS0_4arch9wavefront6targetE0EEEvT1_
; %bb.0:
	.section	.rodata,"a",@progbits
	.p2align	6, 0x0
	.amdhsa_kernel _ZN7rocprim17ROCPRIM_400000_NS6detail17trampoline_kernelINS0_14default_configENS1_25transform_config_selectorImLb1EEEZNS1_14transform_implILb1ES3_S5_PmPiNS0_8identityIvEEEE10hipError_tT2_T3_mT4_P12ihipStream_tbEUlT_E_NS1_11comp_targetILNS1_3genE9ELNS1_11target_archE1100ELNS1_3gpuE3ELNS1_3repE0EEENS1_30default_config_static_selectorELNS0_4arch9wavefront6targetE0EEEvT1_
		.amdhsa_group_segment_fixed_size 0
		.amdhsa_private_segment_fixed_size 0
		.amdhsa_kernarg_size 40
		.amdhsa_user_sgpr_count 2
		.amdhsa_user_sgpr_dispatch_ptr 0
		.amdhsa_user_sgpr_queue_ptr 0
		.amdhsa_user_sgpr_kernarg_segment_ptr 1
		.amdhsa_user_sgpr_dispatch_id 0
		.amdhsa_user_sgpr_private_segment_size 0
		.amdhsa_wavefront_size32 1
		.amdhsa_uses_dynamic_stack 0
		.amdhsa_enable_private_segment 0
		.amdhsa_system_sgpr_workgroup_id_x 1
		.amdhsa_system_sgpr_workgroup_id_y 0
		.amdhsa_system_sgpr_workgroup_id_z 0
		.amdhsa_system_sgpr_workgroup_info 0
		.amdhsa_system_vgpr_workitem_id 0
		.amdhsa_next_free_vgpr 1
		.amdhsa_next_free_sgpr 1
		.amdhsa_reserve_vcc 0
		.amdhsa_float_round_mode_32 0
		.amdhsa_float_round_mode_16_64 0
		.amdhsa_float_denorm_mode_32 3
		.amdhsa_float_denorm_mode_16_64 3
		.amdhsa_fp16_overflow 0
		.amdhsa_workgroup_processor_mode 1
		.amdhsa_memory_ordered 1
		.amdhsa_forward_progress 1
		.amdhsa_inst_pref_size 0
		.amdhsa_round_robin_scheduling 0
		.amdhsa_exception_fp_ieee_invalid_op 0
		.amdhsa_exception_fp_denorm_src 0
		.amdhsa_exception_fp_ieee_div_zero 0
		.amdhsa_exception_fp_ieee_overflow 0
		.amdhsa_exception_fp_ieee_underflow 0
		.amdhsa_exception_fp_ieee_inexact 0
		.amdhsa_exception_int_div_zero 0
	.end_amdhsa_kernel
	.section	.text._ZN7rocprim17ROCPRIM_400000_NS6detail17trampoline_kernelINS0_14default_configENS1_25transform_config_selectorImLb1EEEZNS1_14transform_implILb1ES3_S5_PmPiNS0_8identityIvEEEE10hipError_tT2_T3_mT4_P12ihipStream_tbEUlT_E_NS1_11comp_targetILNS1_3genE9ELNS1_11target_archE1100ELNS1_3gpuE3ELNS1_3repE0EEENS1_30default_config_static_selectorELNS0_4arch9wavefront6targetE0EEEvT1_,"axG",@progbits,_ZN7rocprim17ROCPRIM_400000_NS6detail17trampoline_kernelINS0_14default_configENS1_25transform_config_selectorImLb1EEEZNS1_14transform_implILb1ES3_S5_PmPiNS0_8identityIvEEEE10hipError_tT2_T3_mT4_P12ihipStream_tbEUlT_E_NS1_11comp_targetILNS1_3genE9ELNS1_11target_archE1100ELNS1_3gpuE3ELNS1_3repE0EEENS1_30default_config_static_selectorELNS0_4arch9wavefront6targetE0EEEvT1_,comdat
.Lfunc_end52:
	.size	_ZN7rocprim17ROCPRIM_400000_NS6detail17trampoline_kernelINS0_14default_configENS1_25transform_config_selectorImLb1EEEZNS1_14transform_implILb1ES3_S5_PmPiNS0_8identityIvEEEE10hipError_tT2_T3_mT4_P12ihipStream_tbEUlT_E_NS1_11comp_targetILNS1_3genE9ELNS1_11target_archE1100ELNS1_3gpuE3ELNS1_3repE0EEENS1_30default_config_static_selectorELNS0_4arch9wavefront6targetE0EEEvT1_, .Lfunc_end52-_ZN7rocprim17ROCPRIM_400000_NS6detail17trampoline_kernelINS0_14default_configENS1_25transform_config_selectorImLb1EEEZNS1_14transform_implILb1ES3_S5_PmPiNS0_8identityIvEEEE10hipError_tT2_T3_mT4_P12ihipStream_tbEUlT_E_NS1_11comp_targetILNS1_3genE9ELNS1_11target_archE1100ELNS1_3gpuE3ELNS1_3repE0EEENS1_30default_config_static_selectorELNS0_4arch9wavefront6targetE0EEEvT1_
                                        ; -- End function
	.set _ZN7rocprim17ROCPRIM_400000_NS6detail17trampoline_kernelINS0_14default_configENS1_25transform_config_selectorImLb1EEEZNS1_14transform_implILb1ES3_S5_PmPiNS0_8identityIvEEEE10hipError_tT2_T3_mT4_P12ihipStream_tbEUlT_E_NS1_11comp_targetILNS1_3genE9ELNS1_11target_archE1100ELNS1_3gpuE3ELNS1_3repE0EEENS1_30default_config_static_selectorELNS0_4arch9wavefront6targetE0EEEvT1_.num_vgpr, 0
	.set _ZN7rocprim17ROCPRIM_400000_NS6detail17trampoline_kernelINS0_14default_configENS1_25transform_config_selectorImLb1EEEZNS1_14transform_implILb1ES3_S5_PmPiNS0_8identityIvEEEE10hipError_tT2_T3_mT4_P12ihipStream_tbEUlT_E_NS1_11comp_targetILNS1_3genE9ELNS1_11target_archE1100ELNS1_3gpuE3ELNS1_3repE0EEENS1_30default_config_static_selectorELNS0_4arch9wavefront6targetE0EEEvT1_.num_agpr, 0
	.set _ZN7rocprim17ROCPRIM_400000_NS6detail17trampoline_kernelINS0_14default_configENS1_25transform_config_selectorImLb1EEEZNS1_14transform_implILb1ES3_S5_PmPiNS0_8identityIvEEEE10hipError_tT2_T3_mT4_P12ihipStream_tbEUlT_E_NS1_11comp_targetILNS1_3genE9ELNS1_11target_archE1100ELNS1_3gpuE3ELNS1_3repE0EEENS1_30default_config_static_selectorELNS0_4arch9wavefront6targetE0EEEvT1_.numbered_sgpr, 0
	.set _ZN7rocprim17ROCPRIM_400000_NS6detail17trampoline_kernelINS0_14default_configENS1_25transform_config_selectorImLb1EEEZNS1_14transform_implILb1ES3_S5_PmPiNS0_8identityIvEEEE10hipError_tT2_T3_mT4_P12ihipStream_tbEUlT_E_NS1_11comp_targetILNS1_3genE9ELNS1_11target_archE1100ELNS1_3gpuE3ELNS1_3repE0EEENS1_30default_config_static_selectorELNS0_4arch9wavefront6targetE0EEEvT1_.num_named_barrier, 0
	.set _ZN7rocprim17ROCPRIM_400000_NS6detail17trampoline_kernelINS0_14default_configENS1_25transform_config_selectorImLb1EEEZNS1_14transform_implILb1ES3_S5_PmPiNS0_8identityIvEEEE10hipError_tT2_T3_mT4_P12ihipStream_tbEUlT_E_NS1_11comp_targetILNS1_3genE9ELNS1_11target_archE1100ELNS1_3gpuE3ELNS1_3repE0EEENS1_30default_config_static_selectorELNS0_4arch9wavefront6targetE0EEEvT1_.private_seg_size, 0
	.set _ZN7rocprim17ROCPRIM_400000_NS6detail17trampoline_kernelINS0_14default_configENS1_25transform_config_selectorImLb1EEEZNS1_14transform_implILb1ES3_S5_PmPiNS0_8identityIvEEEE10hipError_tT2_T3_mT4_P12ihipStream_tbEUlT_E_NS1_11comp_targetILNS1_3genE9ELNS1_11target_archE1100ELNS1_3gpuE3ELNS1_3repE0EEENS1_30default_config_static_selectorELNS0_4arch9wavefront6targetE0EEEvT1_.uses_vcc, 0
	.set _ZN7rocprim17ROCPRIM_400000_NS6detail17trampoline_kernelINS0_14default_configENS1_25transform_config_selectorImLb1EEEZNS1_14transform_implILb1ES3_S5_PmPiNS0_8identityIvEEEE10hipError_tT2_T3_mT4_P12ihipStream_tbEUlT_E_NS1_11comp_targetILNS1_3genE9ELNS1_11target_archE1100ELNS1_3gpuE3ELNS1_3repE0EEENS1_30default_config_static_selectorELNS0_4arch9wavefront6targetE0EEEvT1_.uses_flat_scratch, 0
	.set _ZN7rocprim17ROCPRIM_400000_NS6detail17trampoline_kernelINS0_14default_configENS1_25transform_config_selectorImLb1EEEZNS1_14transform_implILb1ES3_S5_PmPiNS0_8identityIvEEEE10hipError_tT2_T3_mT4_P12ihipStream_tbEUlT_E_NS1_11comp_targetILNS1_3genE9ELNS1_11target_archE1100ELNS1_3gpuE3ELNS1_3repE0EEENS1_30default_config_static_selectorELNS0_4arch9wavefront6targetE0EEEvT1_.has_dyn_sized_stack, 0
	.set _ZN7rocprim17ROCPRIM_400000_NS6detail17trampoline_kernelINS0_14default_configENS1_25transform_config_selectorImLb1EEEZNS1_14transform_implILb1ES3_S5_PmPiNS0_8identityIvEEEE10hipError_tT2_T3_mT4_P12ihipStream_tbEUlT_E_NS1_11comp_targetILNS1_3genE9ELNS1_11target_archE1100ELNS1_3gpuE3ELNS1_3repE0EEENS1_30default_config_static_selectorELNS0_4arch9wavefront6targetE0EEEvT1_.has_recursion, 0
	.set _ZN7rocprim17ROCPRIM_400000_NS6detail17trampoline_kernelINS0_14default_configENS1_25transform_config_selectorImLb1EEEZNS1_14transform_implILb1ES3_S5_PmPiNS0_8identityIvEEEE10hipError_tT2_T3_mT4_P12ihipStream_tbEUlT_E_NS1_11comp_targetILNS1_3genE9ELNS1_11target_archE1100ELNS1_3gpuE3ELNS1_3repE0EEENS1_30default_config_static_selectorELNS0_4arch9wavefront6targetE0EEEvT1_.has_indirect_call, 0
	.section	.AMDGPU.csdata,"",@progbits
; Kernel info:
; codeLenInByte = 0
; TotalNumSgprs: 0
; NumVgprs: 0
; ScratchSize: 0
; MemoryBound: 0
; FloatMode: 240
; IeeeMode: 1
; LDSByteSize: 0 bytes/workgroup (compile time only)
; SGPRBlocks: 0
; VGPRBlocks: 0
; NumSGPRsForWavesPerEU: 1
; NumVGPRsForWavesPerEU: 1
; Occupancy: 16
; WaveLimiterHint : 0
; COMPUTE_PGM_RSRC2:SCRATCH_EN: 0
; COMPUTE_PGM_RSRC2:USER_SGPR: 2
; COMPUTE_PGM_RSRC2:TRAP_HANDLER: 0
; COMPUTE_PGM_RSRC2:TGID_X_EN: 1
; COMPUTE_PGM_RSRC2:TGID_Y_EN: 0
; COMPUTE_PGM_RSRC2:TGID_Z_EN: 0
; COMPUTE_PGM_RSRC2:TIDIG_COMP_CNT: 0
	.section	.text._ZN7rocprim17ROCPRIM_400000_NS6detail17trampoline_kernelINS0_14default_configENS1_25transform_config_selectorImLb1EEEZNS1_14transform_implILb1ES3_S5_PmPiNS0_8identityIvEEEE10hipError_tT2_T3_mT4_P12ihipStream_tbEUlT_E_NS1_11comp_targetILNS1_3genE8ELNS1_11target_archE1030ELNS1_3gpuE2ELNS1_3repE0EEENS1_30default_config_static_selectorELNS0_4arch9wavefront6targetE0EEEvT1_,"axG",@progbits,_ZN7rocprim17ROCPRIM_400000_NS6detail17trampoline_kernelINS0_14default_configENS1_25transform_config_selectorImLb1EEEZNS1_14transform_implILb1ES3_S5_PmPiNS0_8identityIvEEEE10hipError_tT2_T3_mT4_P12ihipStream_tbEUlT_E_NS1_11comp_targetILNS1_3genE8ELNS1_11target_archE1030ELNS1_3gpuE2ELNS1_3repE0EEENS1_30default_config_static_selectorELNS0_4arch9wavefront6targetE0EEEvT1_,comdat
	.protected	_ZN7rocprim17ROCPRIM_400000_NS6detail17trampoline_kernelINS0_14default_configENS1_25transform_config_selectorImLb1EEEZNS1_14transform_implILb1ES3_S5_PmPiNS0_8identityIvEEEE10hipError_tT2_T3_mT4_P12ihipStream_tbEUlT_E_NS1_11comp_targetILNS1_3genE8ELNS1_11target_archE1030ELNS1_3gpuE2ELNS1_3repE0EEENS1_30default_config_static_selectorELNS0_4arch9wavefront6targetE0EEEvT1_ ; -- Begin function _ZN7rocprim17ROCPRIM_400000_NS6detail17trampoline_kernelINS0_14default_configENS1_25transform_config_selectorImLb1EEEZNS1_14transform_implILb1ES3_S5_PmPiNS0_8identityIvEEEE10hipError_tT2_T3_mT4_P12ihipStream_tbEUlT_E_NS1_11comp_targetILNS1_3genE8ELNS1_11target_archE1030ELNS1_3gpuE2ELNS1_3repE0EEENS1_30default_config_static_selectorELNS0_4arch9wavefront6targetE0EEEvT1_
	.globl	_ZN7rocprim17ROCPRIM_400000_NS6detail17trampoline_kernelINS0_14default_configENS1_25transform_config_selectorImLb1EEEZNS1_14transform_implILb1ES3_S5_PmPiNS0_8identityIvEEEE10hipError_tT2_T3_mT4_P12ihipStream_tbEUlT_E_NS1_11comp_targetILNS1_3genE8ELNS1_11target_archE1030ELNS1_3gpuE2ELNS1_3repE0EEENS1_30default_config_static_selectorELNS0_4arch9wavefront6targetE0EEEvT1_
	.p2align	8
	.type	_ZN7rocprim17ROCPRIM_400000_NS6detail17trampoline_kernelINS0_14default_configENS1_25transform_config_selectorImLb1EEEZNS1_14transform_implILb1ES3_S5_PmPiNS0_8identityIvEEEE10hipError_tT2_T3_mT4_P12ihipStream_tbEUlT_E_NS1_11comp_targetILNS1_3genE8ELNS1_11target_archE1030ELNS1_3gpuE2ELNS1_3repE0EEENS1_30default_config_static_selectorELNS0_4arch9wavefront6targetE0EEEvT1_,@function
_ZN7rocprim17ROCPRIM_400000_NS6detail17trampoline_kernelINS0_14default_configENS1_25transform_config_selectorImLb1EEEZNS1_14transform_implILb1ES3_S5_PmPiNS0_8identityIvEEEE10hipError_tT2_T3_mT4_P12ihipStream_tbEUlT_E_NS1_11comp_targetILNS1_3genE8ELNS1_11target_archE1030ELNS1_3gpuE2ELNS1_3repE0EEENS1_30default_config_static_selectorELNS0_4arch9wavefront6targetE0EEEvT1_: ; @_ZN7rocprim17ROCPRIM_400000_NS6detail17trampoline_kernelINS0_14default_configENS1_25transform_config_selectorImLb1EEEZNS1_14transform_implILb1ES3_S5_PmPiNS0_8identityIvEEEE10hipError_tT2_T3_mT4_P12ihipStream_tbEUlT_E_NS1_11comp_targetILNS1_3genE8ELNS1_11target_archE1030ELNS1_3gpuE2ELNS1_3repE0EEENS1_30default_config_static_selectorELNS0_4arch9wavefront6targetE0EEEvT1_
; %bb.0:
	.section	.rodata,"a",@progbits
	.p2align	6, 0x0
	.amdhsa_kernel _ZN7rocprim17ROCPRIM_400000_NS6detail17trampoline_kernelINS0_14default_configENS1_25transform_config_selectorImLb1EEEZNS1_14transform_implILb1ES3_S5_PmPiNS0_8identityIvEEEE10hipError_tT2_T3_mT4_P12ihipStream_tbEUlT_E_NS1_11comp_targetILNS1_3genE8ELNS1_11target_archE1030ELNS1_3gpuE2ELNS1_3repE0EEENS1_30default_config_static_selectorELNS0_4arch9wavefront6targetE0EEEvT1_
		.amdhsa_group_segment_fixed_size 0
		.amdhsa_private_segment_fixed_size 0
		.amdhsa_kernarg_size 40
		.amdhsa_user_sgpr_count 2
		.amdhsa_user_sgpr_dispatch_ptr 0
		.amdhsa_user_sgpr_queue_ptr 0
		.amdhsa_user_sgpr_kernarg_segment_ptr 1
		.amdhsa_user_sgpr_dispatch_id 0
		.amdhsa_user_sgpr_private_segment_size 0
		.amdhsa_wavefront_size32 1
		.amdhsa_uses_dynamic_stack 0
		.amdhsa_enable_private_segment 0
		.amdhsa_system_sgpr_workgroup_id_x 1
		.amdhsa_system_sgpr_workgroup_id_y 0
		.amdhsa_system_sgpr_workgroup_id_z 0
		.amdhsa_system_sgpr_workgroup_info 0
		.amdhsa_system_vgpr_workitem_id 0
		.amdhsa_next_free_vgpr 1
		.amdhsa_next_free_sgpr 1
		.amdhsa_reserve_vcc 0
		.amdhsa_float_round_mode_32 0
		.amdhsa_float_round_mode_16_64 0
		.amdhsa_float_denorm_mode_32 3
		.amdhsa_float_denorm_mode_16_64 3
		.amdhsa_fp16_overflow 0
		.amdhsa_workgroup_processor_mode 1
		.amdhsa_memory_ordered 1
		.amdhsa_forward_progress 1
		.amdhsa_inst_pref_size 0
		.amdhsa_round_robin_scheduling 0
		.amdhsa_exception_fp_ieee_invalid_op 0
		.amdhsa_exception_fp_denorm_src 0
		.amdhsa_exception_fp_ieee_div_zero 0
		.amdhsa_exception_fp_ieee_overflow 0
		.amdhsa_exception_fp_ieee_underflow 0
		.amdhsa_exception_fp_ieee_inexact 0
		.amdhsa_exception_int_div_zero 0
	.end_amdhsa_kernel
	.section	.text._ZN7rocprim17ROCPRIM_400000_NS6detail17trampoline_kernelINS0_14default_configENS1_25transform_config_selectorImLb1EEEZNS1_14transform_implILb1ES3_S5_PmPiNS0_8identityIvEEEE10hipError_tT2_T3_mT4_P12ihipStream_tbEUlT_E_NS1_11comp_targetILNS1_3genE8ELNS1_11target_archE1030ELNS1_3gpuE2ELNS1_3repE0EEENS1_30default_config_static_selectorELNS0_4arch9wavefront6targetE0EEEvT1_,"axG",@progbits,_ZN7rocprim17ROCPRIM_400000_NS6detail17trampoline_kernelINS0_14default_configENS1_25transform_config_selectorImLb1EEEZNS1_14transform_implILb1ES3_S5_PmPiNS0_8identityIvEEEE10hipError_tT2_T3_mT4_P12ihipStream_tbEUlT_E_NS1_11comp_targetILNS1_3genE8ELNS1_11target_archE1030ELNS1_3gpuE2ELNS1_3repE0EEENS1_30default_config_static_selectorELNS0_4arch9wavefront6targetE0EEEvT1_,comdat
.Lfunc_end53:
	.size	_ZN7rocprim17ROCPRIM_400000_NS6detail17trampoline_kernelINS0_14default_configENS1_25transform_config_selectorImLb1EEEZNS1_14transform_implILb1ES3_S5_PmPiNS0_8identityIvEEEE10hipError_tT2_T3_mT4_P12ihipStream_tbEUlT_E_NS1_11comp_targetILNS1_3genE8ELNS1_11target_archE1030ELNS1_3gpuE2ELNS1_3repE0EEENS1_30default_config_static_selectorELNS0_4arch9wavefront6targetE0EEEvT1_, .Lfunc_end53-_ZN7rocprim17ROCPRIM_400000_NS6detail17trampoline_kernelINS0_14default_configENS1_25transform_config_selectorImLb1EEEZNS1_14transform_implILb1ES3_S5_PmPiNS0_8identityIvEEEE10hipError_tT2_T3_mT4_P12ihipStream_tbEUlT_E_NS1_11comp_targetILNS1_3genE8ELNS1_11target_archE1030ELNS1_3gpuE2ELNS1_3repE0EEENS1_30default_config_static_selectorELNS0_4arch9wavefront6targetE0EEEvT1_
                                        ; -- End function
	.set _ZN7rocprim17ROCPRIM_400000_NS6detail17trampoline_kernelINS0_14default_configENS1_25transform_config_selectorImLb1EEEZNS1_14transform_implILb1ES3_S5_PmPiNS0_8identityIvEEEE10hipError_tT2_T3_mT4_P12ihipStream_tbEUlT_E_NS1_11comp_targetILNS1_3genE8ELNS1_11target_archE1030ELNS1_3gpuE2ELNS1_3repE0EEENS1_30default_config_static_selectorELNS0_4arch9wavefront6targetE0EEEvT1_.num_vgpr, 0
	.set _ZN7rocprim17ROCPRIM_400000_NS6detail17trampoline_kernelINS0_14default_configENS1_25transform_config_selectorImLb1EEEZNS1_14transform_implILb1ES3_S5_PmPiNS0_8identityIvEEEE10hipError_tT2_T3_mT4_P12ihipStream_tbEUlT_E_NS1_11comp_targetILNS1_3genE8ELNS1_11target_archE1030ELNS1_3gpuE2ELNS1_3repE0EEENS1_30default_config_static_selectorELNS0_4arch9wavefront6targetE0EEEvT1_.num_agpr, 0
	.set _ZN7rocprim17ROCPRIM_400000_NS6detail17trampoline_kernelINS0_14default_configENS1_25transform_config_selectorImLb1EEEZNS1_14transform_implILb1ES3_S5_PmPiNS0_8identityIvEEEE10hipError_tT2_T3_mT4_P12ihipStream_tbEUlT_E_NS1_11comp_targetILNS1_3genE8ELNS1_11target_archE1030ELNS1_3gpuE2ELNS1_3repE0EEENS1_30default_config_static_selectorELNS0_4arch9wavefront6targetE0EEEvT1_.numbered_sgpr, 0
	.set _ZN7rocprim17ROCPRIM_400000_NS6detail17trampoline_kernelINS0_14default_configENS1_25transform_config_selectorImLb1EEEZNS1_14transform_implILb1ES3_S5_PmPiNS0_8identityIvEEEE10hipError_tT2_T3_mT4_P12ihipStream_tbEUlT_E_NS1_11comp_targetILNS1_3genE8ELNS1_11target_archE1030ELNS1_3gpuE2ELNS1_3repE0EEENS1_30default_config_static_selectorELNS0_4arch9wavefront6targetE0EEEvT1_.num_named_barrier, 0
	.set _ZN7rocprim17ROCPRIM_400000_NS6detail17trampoline_kernelINS0_14default_configENS1_25transform_config_selectorImLb1EEEZNS1_14transform_implILb1ES3_S5_PmPiNS0_8identityIvEEEE10hipError_tT2_T3_mT4_P12ihipStream_tbEUlT_E_NS1_11comp_targetILNS1_3genE8ELNS1_11target_archE1030ELNS1_3gpuE2ELNS1_3repE0EEENS1_30default_config_static_selectorELNS0_4arch9wavefront6targetE0EEEvT1_.private_seg_size, 0
	.set _ZN7rocprim17ROCPRIM_400000_NS6detail17trampoline_kernelINS0_14default_configENS1_25transform_config_selectorImLb1EEEZNS1_14transform_implILb1ES3_S5_PmPiNS0_8identityIvEEEE10hipError_tT2_T3_mT4_P12ihipStream_tbEUlT_E_NS1_11comp_targetILNS1_3genE8ELNS1_11target_archE1030ELNS1_3gpuE2ELNS1_3repE0EEENS1_30default_config_static_selectorELNS0_4arch9wavefront6targetE0EEEvT1_.uses_vcc, 0
	.set _ZN7rocprim17ROCPRIM_400000_NS6detail17trampoline_kernelINS0_14default_configENS1_25transform_config_selectorImLb1EEEZNS1_14transform_implILb1ES3_S5_PmPiNS0_8identityIvEEEE10hipError_tT2_T3_mT4_P12ihipStream_tbEUlT_E_NS1_11comp_targetILNS1_3genE8ELNS1_11target_archE1030ELNS1_3gpuE2ELNS1_3repE0EEENS1_30default_config_static_selectorELNS0_4arch9wavefront6targetE0EEEvT1_.uses_flat_scratch, 0
	.set _ZN7rocprim17ROCPRIM_400000_NS6detail17trampoline_kernelINS0_14default_configENS1_25transform_config_selectorImLb1EEEZNS1_14transform_implILb1ES3_S5_PmPiNS0_8identityIvEEEE10hipError_tT2_T3_mT4_P12ihipStream_tbEUlT_E_NS1_11comp_targetILNS1_3genE8ELNS1_11target_archE1030ELNS1_3gpuE2ELNS1_3repE0EEENS1_30default_config_static_selectorELNS0_4arch9wavefront6targetE0EEEvT1_.has_dyn_sized_stack, 0
	.set _ZN7rocprim17ROCPRIM_400000_NS6detail17trampoline_kernelINS0_14default_configENS1_25transform_config_selectorImLb1EEEZNS1_14transform_implILb1ES3_S5_PmPiNS0_8identityIvEEEE10hipError_tT2_T3_mT4_P12ihipStream_tbEUlT_E_NS1_11comp_targetILNS1_3genE8ELNS1_11target_archE1030ELNS1_3gpuE2ELNS1_3repE0EEENS1_30default_config_static_selectorELNS0_4arch9wavefront6targetE0EEEvT1_.has_recursion, 0
	.set _ZN7rocprim17ROCPRIM_400000_NS6detail17trampoline_kernelINS0_14default_configENS1_25transform_config_selectorImLb1EEEZNS1_14transform_implILb1ES3_S5_PmPiNS0_8identityIvEEEE10hipError_tT2_T3_mT4_P12ihipStream_tbEUlT_E_NS1_11comp_targetILNS1_3genE8ELNS1_11target_archE1030ELNS1_3gpuE2ELNS1_3repE0EEENS1_30default_config_static_selectorELNS0_4arch9wavefront6targetE0EEEvT1_.has_indirect_call, 0
	.section	.AMDGPU.csdata,"",@progbits
; Kernel info:
; codeLenInByte = 0
; TotalNumSgprs: 0
; NumVgprs: 0
; ScratchSize: 0
; MemoryBound: 0
; FloatMode: 240
; IeeeMode: 1
; LDSByteSize: 0 bytes/workgroup (compile time only)
; SGPRBlocks: 0
; VGPRBlocks: 0
; NumSGPRsForWavesPerEU: 1
; NumVGPRsForWavesPerEU: 1
; Occupancy: 16
; WaveLimiterHint : 0
; COMPUTE_PGM_RSRC2:SCRATCH_EN: 0
; COMPUTE_PGM_RSRC2:USER_SGPR: 2
; COMPUTE_PGM_RSRC2:TRAP_HANDLER: 0
; COMPUTE_PGM_RSRC2:TGID_X_EN: 1
; COMPUTE_PGM_RSRC2:TGID_Y_EN: 0
; COMPUTE_PGM_RSRC2:TGID_Z_EN: 0
; COMPUTE_PGM_RSRC2:TIDIG_COMP_CNT: 0
	.section	.text._ZN7rocprim17ROCPRIM_400000_NS6detail31init_lookback_scan_state_kernelINS1_19lookback_scan_stateImLb1ELb1EEENS1_16block_id_wrapperIjLb1EEEEEvT_jT0_jPNS7_10value_typeE,"axG",@progbits,_ZN7rocprim17ROCPRIM_400000_NS6detail31init_lookback_scan_state_kernelINS1_19lookback_scan_stateImLb1ELb1EEENS1_16block_id_wrapperIjLb1EEEEEvT_jT0_jPNS7_10value_typeE,comdat
	.protected	_ZN7rocprim17ROCPRIM_400000_NS6detail31init_lookback_scan_state_kernelINS1_19lookback_scan_stateImLb1ELb1EEENS1_16block_id_wrapperIjLb1EEEEEvT_jT0_jPNS7_10value_typeE ; -- Begin function _ZN7rocprim17ROCPRIM_400000_NS6detail31init_lookback_scan_state_kernelINS1_19lookback_scan_stateImLb1ELb1EEENS1_16block_id_wrapperIjLb1EEEEEvT_jT0_jPNS7_10value_typeE
	.globl	_ZN7rocprim17ROCPRIM_400000_NS6detail31init_lookback_scan_state_kernelINS1_19lookback_scan_stateImLb1ELb1EEENS1_16block_id_wrapperIjLb1EEEEEvT_jT0_jPNS7_10value_typeE
	.p2align	8
	.type	_ZN7rocprim17ROCPRIM_400000_NS6detail31init_lookback_scan_state_kernelINS1_19lookback_scan_stateImLb1ELb1EEENS1_16block_id_wrapperIjLb1EEEEEvT_jT0_jPNS7_10value_typeE,@function
_ZN7rocprim17ROCPRIM_400000_NS6detail31init_lookback_scan_state_kernelINS1_19lookback_scan_stateImLb1ELb1EEENS1_16block_id_wrapperIjLb1EEEEEvT_jT0_jPNS7_10value_typeE: ; @_ZN7rocprim17ROCPRIM_400000_NS6detail31init_lookback_scan_state_kernelINS1_19lookback_scan_stateImLb1ELb1EEENS1_16block_id_wrapperIjLb1EEEEEvT_jT0_jPNS7_10value_typeE
; %bb.0:
	s_clause 0x2
	s_load_b32 s7, s[0:1], 0x34
	s_load_b64 s[2:3], s[0:1], 0x20
	s_load_b96 s[4:6], s[0:1], 0x0
	s_wait_kmcnt 0x0
	s_and_b32 s7, s7, 0xffff
	s_cmp_eq_u64 s[2:3], 0
	v_mad_co_u64_u32 v[0:1], null, ttmp9, s7, v[0:1]
	s_cbranch_scc1 .LBB54_10
; %bb.1:
	s_load_b32 s8, s[0:1], 0x18
	s_mov_b32 s9, 0
	s_wait_kmcnt 0x0
	s_cmp_lt_u32 s8, s6
	s_cselect_b32 s7, s8, 0
	s_wait_alu 0xfffe
	v_cmp_eq_u32_e32 vcc_lo, s7, v0
	s_and_saveexec_b32 s7, vcc_lo
	s_cbranch_execz .LBB54_9
; %bb.2:
	s_add_co_i32 s8, s8, 32
	s_mov_b32 s10, exec_lo
	s_lshl_b64 s[8:9], s[8:9], 4
	v_mov_b32_e32 v5, 0
	s_add_nc_u64 s[8:9], s[4:5], s[8:9]
	s_delay_alu instid0(SALU_CYCLE_1) | instskip(SKIP_2) | instid1(VALU_DEP_1)
	v_dual_mov_b32 v1, s8 :: v_dual_mov_b32 v2, s9
	;;#ASMSTART
	global_load_b128 v[1:4], v[1:2] off scope:SCOPE_DEV	
s_wait_loadcnt 0x0
	;;#ASMEND
	v_and_b32_e32 v4, 0xff, v3
	v_cmpx_eq_u64_e32 0, v[4:5]
	s_cbranch_execz .LBB54_8
; %bb.3:
	v_dual_mov_b32 v6, s8 :: v_dual_mov_b32 v7, s9
	s_mov_b32 s9, 1
	s_mov_b32 s8, 0
.LBB54_4:                               ; =>This Loop Header: Depth=1
                                        ;     Child Loop BB54_5 Depth 2
	s_wait_alu 0xfffe
	s_mov_b32 s11, s9
.LBB54_5:                               ;   Parent Loop BB54_4 Depth=1
                                        ; =>  This Inner Loop Header: Depth=2
	s_delay_alu instid0(SALU_CYCLE_1)
	s_add_co_i32 s11, s11, -1
	s_sleep 1
	s_cmp_eq_u32 s11, 0
	s_cbranch_scc0 .LBB54_5
; %bb.6:                                ;   in Loop: Header=BB54_4 Depth=1
	;;#ASMSTART
	global_load_b128 v[1:4], v[6:7] off scope:SCOPE_DEV	
s_wait_loadcnt 0x0
	;;#ASMEND
	v_and_b32_e32 v4, 0xff, v3
	s_cmp_lt_u32 s9, 32
	s_cselect_b32 s11, -1, 0
	s_delay_alu instid0(SALU_CYCLE_1) | instskip(NEXT) | instid1(VALU_DEP_1)
	s_cmp_lg_u32 s11, 0
	v_cmp_ne_u64_e32 vcc_lo, 0, v[4:5]
	s_add_co_ci_u32 s9, s9, 0
	s_or_b32 s8, vcc_lo, s8
	s_wait_alu 0xfffe
	s_and_not1_b32 exec_lo, exec_lo, s8
	s_cbranch_execnz .LBB54_4
; %bb.7:
	s_or_b32 exec_lo, exec_lo, s8
.LBB54_8:
	s_delay_alu instid0(SALU_CYCLE_1)
	s_or_b32 exec_lo, exec_lo, s10
	v_mov_b32_e32 v3, 0
	global_store_b64 v3, v[1:2], s[2:3]
.LBB54_9:
	s_wait_alu 0xfffe
	s_or_b32 exec_lo, exec_lo, s7
.LBB54_10:
	s_delay_alu instid0(SALU_CYCLE_1)
	s_mov_b32 s2, exec_lo
	v_cmpx_eq_u32_e32 0, v0
	s_cbranch_execz .LBB54_12
; %bb.11:
	s_load_b64 s[0:1], s[0:1], 0x10
	v_mov_b32_e32 v1, 0
	s_wait_kmcnt 0x0
	global_store_b32 v1, v1, s[0:1]
.LBB54_12:
	s_or_b32 exec_lo, exec_lo, s2
	s_delay_alu instid0(SALU_CYCLE_1)
	s_mov_b32 s0, exec_lo
	v_cmpx_gt_u32_e64 s6, v0
	s_cbranch_execz .LBB54_14
; %bb.13:
	v_dual_mov_b32 v2, 0 :: v_dual_add_nc_u32 v1, 32, v0
	s_delay_alu instid0(VALU_DEP_1) | instskip(SKIP_2) | instid1(VALU_DEP_3)
	v_lshlrev_b64_e32 v[4:5], 4, v[1:2]
	v_mov_b32_e32 v1, v2
	v_mov_b32_e32 v3, v2
	v_add_co_u32 v6, vcc_lo, s4, v4
	s_delay_alu instid0(VALU_DEP_1)
	v_add_co_ci_u32_e64 v7, null, s5, v5, vcc_lo
	v_mov_b32_e32 v4, v2
	global_store_b128 v[6:7], v[1:4], off
.LBB54_14:
	s_wait_alu 0xfffe
	s_or_b32 exec_lo, exec_lo, s0
	s_delay_alu instid0(SALU_CYCLE_1)
	s_mov_b32 s0, exec_lo
	v_cmpx_gt_u32_e32 32, v0
	s_cbranch_execz .LBB54_16
; %bb.15:
	v_dual_mov_b32 v1, 0 :: v_dual_mov_b32 v2, 0xff
	s_delay_alu instid0(VALU_DEP_1) | instskip(SKIP_1) | instid1(VALU_DEP_2)
	v_lshlrev_b64_e32 v[3:4], 4, v[0:1]
	v_mov_b32_e32 v0, v1
	v_add_co_u32 v5, vcc_lo, s4, v3
	s_wait_alu 0xfffd
	s_delay_alu instid0(VALU_DEP_3)
	v_add_co_ci_u32_e64 v6, null, s5, v4, vcc_lo
	v_mov_b32_e32 v3, v1
	global_store_b128 v[5:6], v[0:3], off
.LBB54_16:
	s_endpgm
	.section	.rodata,"a",@progbits
	.p2align	6, 0x0
	.amdhsa_kernel _ZN7rocprim17ROCPRIM_400000_NS6detail31init_lookback_scan_state_kernelINS1_19lookback_scan_stateImLb1ELb1EEENS1_16block_id_wrapperIjLb1EEEEEvT_jT0_jPNS7_10value_typeE
		.amdhsa_group_segment_fixed_size 0
		.amdhsa_private_segment_fixed_size 0
		.amdhsa_kernarg_size 296
		.amdhsa_user_sgpr_count 2
		.amdhsa_user_sgpr_dispatch_ptr 0
		.amdhsa_user_sgpr_queue_ptr 0
		.amdhsa_user_sgpr_kernarg_segment_ptr 1
		.amdhsa_user_sgpr_dispatch_id 0
		.amdhsa_user_sgpr_private_segment_size 0
		.amdhsa_wavefront_size32 1
		.amdhsa_uses_dynamic_stack 0
		.amdhsa_enable_private_segment 0
		.amdhsa_system_sgpr_workgroup_id_x 1
		.amdhsa_system_sgpr_workgroup_id_y 0
		.amdhsa_system_sgpr_workgroup_id_z 0
		.amdhsa_system_sgpr_workgroup_info 0
		.amdhsa_system_vgpr_workitem_id 0
		.amdhsa_next_free_vgpr 8
		.amdhsa_next_free_sgpr 12
		.amdhsa_reserve_vcc 1
		.amdhsa_float_round_mode_32 0
		.amdhsa_float_round_mode_16_64 0
		.amdhsa_float_denorm_mode_32 3
		.amdhsa_float_denorm_mode_16_64 3
		.amdhsa_fp16_overflow 0
		.amdhsa_workgroup_processor_mode 1
		.amdhsa_memory_ordered 1
		.amdhsa_forward_progress 1
		.amdhsa_inst_pref_size 4
		.amdhsa_round_robin_scheduling 0
		.amdhsa_exception_fp_ieee_invalid_op 0
		.amdhsa_exception_fp_denorm_src 0
		.amdhsa_exception_fp_ieee_div_zero 0
		.amdhsa_exception_fp_ieee_overflow 0
		.amdhsa_exception_fp_ieee_underflow 0
		.amdhsa_exception_fp_ieee_inexact 0
		.amdhsa_exception_int_div_zero 0
	.end_amdhsa_kernel
	.section	.text._ZN7rocprim17ROCPRIM_400000_NS6detail31init_lookback_scan_state_kernelINS1_19lookback_scan_stateImLb1ELb1EEENS1_16block_id_wrapperIjLb1EEEEEvT_jT0_jPNS7_10value_typeE,"axG",@progbits,_ZN7rocprim17ROCPRIM_400000_NS6detail31init_lookback_scan_state_kernelINS1_19lookback_scan_stateImLb1ELb1EEENS1_16block_id_wrapperIjLb1EEEEEvT_jT0_jPNS7_10value_typeE,comdat
.Lfunc_end54:
	.size	_ZN7rocprim17ROCPRIM_400000_NS6detail31init_lookback_scan_state_kernelINS1_19lookback_scan_stateImLb1ELb1EEENS1_16block_id_wrapperIjLb1EEEEEvT_jT0_jPNS7_10value_typeE, .Lfunc_end54-_ZN7rocprim17ROCPRIM_400000_NS6detail31init_lookback_scan_state_kernelINS1_19lookback_scan_stateImLb1ELb1EEENS1_16block_id_wrapperIjLb1EEEEEvT_jT0_jPNS7_10value_typeE
                                        ; -- End function
	.set _ZN7rocprim17ROCPRIM_400000_NS6detail31init_lookback_scan_state_kernelINS1_19lookback_scan_stateImLb1ELb1EEENS1_16block_id_wrapperIjLb1EEEEEvT_jT0_jPNS7_10value_typeE.num_vgpr, 8
	.set _ZN7rocprim17ROCPRIM_400000_NS6detail31init_lookback_scan_state_kernelINS1_19lookback_scan_stateImLb1ELb1EEENS1_16block_id_wrapperIjLb1EEEEEvT_jT0_jPNS7_10value_typeE.num_agpr, 0
	.set _ZN7rocprim17ROCPRIM_400000_NS6detail31init_lookback_scan_state_kernelINS1_19lookback_scan_stateImLb1ELb1EEENS1_16block_id_wrapperIjLb1EEEEEvT_jT0_jPNS7_10value_typeE.numbered_sgpr, 12
	.set _ZN7rocprim17ROCPRIM_400000_NS6detail31init_lookback_scan_state_kernelINS1_19lookback_scan_stateImLb1ELb1EEENS1_16block_id_wrapperIjLb1EEEEEvT_jT0_jPNS7_10value_typeE.num_named_barrier, 0
	.set _ZN7rocprim17ROCPRIM_400000_NS6detail31init_lookback_scan_state_kernelINS1_19lookback_scan_stateImLb1ELb1EEENS1_16block_id_wrapperIjLb1EEEEEvT_jT0_jPNS7_10value_typeE.private_seg_size, 0
	.set _ZN7rocprim17ROCPRIM_400000_NS6detail31init_lookback_scan_state_kernelINS1_19lookback_scan_stateImLb1ELb1EEENS1_16block_id_wrapperIjLb1EEEEEvT_jT0_jPNS7_10value_typeE.uses_vcc, 1
	.set _ZN7rocprim17ROCPRIM_400000_NS6detail31init_lookback_scan_state_kernelINS1_19lookback_scan_stateImLb1ELb1EEENS1_16block_id_wrapperIjLb1EEEEEvT_jT0_jPNS7_10value_typeE.uses_flat_scratch, 0
	.set _ZN7rocprim17ROCPRIM_400000_NS6detail31init_lookback_scan_state_kernelINS1_19lookback_scan_stateImLb1ELb1EEENS1_16block_id_wrapperIjLb1EEEEEvT_jT0_jPNS7_10value_typeE.has_dyn_sized_stack, 0
	.set _ZN7rocprim17ROCPRIM_400000_NS6detail31init_lookback_scan_state_kernelINS1_19lookback_scan_stateImLb1ELb1EEENS1_16block_id_wrapperIjLb1EEEEEvT_jT0_jPNS7_10value_typeE.has_recursion, 0
	.set _ZN7rocprim17ROCPRIM_400000_NS6detail31init_lookback_scan_state_kernelINS1_19lookback_scan_stateImLb1ELb1EEENS1_16block_id_wrapperIjLb1EEEEEvT_jT0_jPNS7_10value_typeE.has_indirect_call, 0
	.section	.AMDGPU.csdata,"",@progbits
; Kernel info:
; codeLenInByte = 492
; TotalNumSgprs: 14
; NumVgprs: 8
; ScratchSize: 0
; MemoryBound: 0
; FloatMode: 240
; IeeeMode: 1
; LDSByteSize: 0 bytes/workgroup (compile time only)
; SGPRBlocks: 0
; VGPRBlocks: 0
; NumSGPRsForWavesPerEU: 14
; NumVGPRsForWavesPerEU: 8
; Occupancy: 16
; WaveLimiterHint : 0
; COMPUTE_PGM_RSRC2:SCRATCH_EN: 0
; COMPUTE_PGM_RSRC2:USER_SGPR: 2
; COMPUTE_PGM_RSRC2:TRAP_HANDLER: 0
; COMPUTE_PGM_RSRC2:TGID_X_EN: 1
; COMPUTE_PGM_RSRC2:TGID_Y_EN: 0
; COMPUTE_PGM_RSRC2:TGID_Z_EN: 0
; COMPUTE_PGM_RSRC2:TIDIG_COMP_CNT: 0
	.section	.text._ZN7rocprim17ROCPRIM_400000_NS6detail17trampoline_kernelINS0_14default_configENS1_25partition_config_selectorILNS1_17partition_subalgoE5ElNS0_10empty_typeEbEEZZNS1_14partition_implILS5_5ELb0ES3_mN6hipcub16HIPCUB_304000_NS21CountingInputIteratorIllEEPS6_NSA_22TransformInputIteratorIbN2at6native12_GLOBAL__N_19NonZeroOpIhEEPKhlEENS0_5tupleIJPlS6_EEENSN_IJSD_SD_EEES6_PiJS6_EEE10hipError_tPvRmT3_T4_T5_T6_T7_T9_mT8_P12ihipStream_tbDpT10_ENKUlT_T0_E_clISt17integral_constantIbLb1EES1B_EEDaS16_S17_EUlS16_E_NS1_11comp_targetILNS1_3genE0ELNS1_11target_archE4294967295ELNS1_3gpuE0ELNS1_3repE0EEENS1_30default_config_static_selectorELNS0_4arch9wavefront6targetE0EEEvT1_,"axG",@progbits,_ZN7rocprim17ROCPRIM_400000_NS6detail17trampoline_kernelINS0_14default_configENS1_25partition_config_selectorILNS1_17partition_subalgoE5ElNS0_10empty_typeEbEEZZNS1_14partition_implILS5_5ELb0ES3_mN6hipcub16HIPCUB_304000_NS21CountingInputIteratorIllEEPS6_NSA_22TransformInputIteratorIbN2at6native12_GLOBAL__N_19NonZeroOpIhEEPKhlEENS0_5tupleIJPlS6_EEENSN_IJSD_SD_EEES6_PiJS6_EEE10hipError_tPvRmT3_T4_T5_T6_T7_T9_mT8_P12ihipStream_tbDpT10_ENKUlT_T0_E_clISt17integral_constantIbLb1EES1B_EEDaS16_S17_EUlS16_E_NS1_11comp_targetILNS1_3genE0ELNS1_11target_archE4294967295ELNS1_3gpuE0ELNS1_3repE0EEENS1_30default_config_static_selectorELNS0_4arch9wavefront6targetE0EEEvT1_,comdat
	.globl	_ZN7rocprim17ROCPRIM_400000_NS6detail17trampoline_kernelINS0_14default_configENS1_25partition_config_selectorILNS1_17partition_subalgoE5ElNS0_10empty_typeEbEEZZNS1_14partition_implILS5_5ELb0ES3_mN6hipcub16HIPCUB_304000_NS21CountingInputIteratorIllEEPS6_NSA_22TransformInputIteratorIbN2at6native12_GLOBAL__N_19NonZeroOpIhEEPKhlEENS0_5tupleIJPlS6_EEENSN_IJSD_SD_EEES6_PiJS6_EEE10hipError_tPvRmT3_T4_T5_T6_T7_T9_mT8_P12ihipStream_tbDpT10_ENKUlT_T0_E_clISt17integral_constantIbLb1EES1B_EEDaS16_S17_EUlS16_E_NS1_11comp_targetILNS1_3genE0ELNS1_11target_archE4294967295ELNS1_3gpuE0ELNS1_3repE0EEENS1_30default_config_static_selectorELNS0_4arch9wavefront6targetE0EEEvT1_ ; -- Begin function _ZN7rocprim17ROCPRIM_400000_NS6detail17trampoline_kernelINS0_14default_configENS1_25partition_config_selectorILNS1_17partition_subalgoE5ElNS0_10empty_typeEbEEZZNS1_14partition_implILS5_5ELb0ES3_mN6hipcub16HIPCUB_304000_NS21CountingInputIteratorIllEEPS6_NSA_22TransformInputIteratorIbN2at6native12_GLOBAL__N_19NonZeroOpIhEEPKhlEENS0_5tupleIJPlS6_EEENSN_IJSD_SD_EEES6_PiJS6_EEE10hipError_tPvRmT3_T4_T5_T6_T7_T9_mT8_P12ihipStream_tbDpT10_ENKUlT_T0_E_clISt17integral_constantIbLb1EES1B_EEDaS16_S17_EUlS16_E_NS1_11comp_targetILNS1_3genE0ELNS1_11target_archE4294967295ELNS1_3gpuE0ELNS1_3repE0EEENS1_30default_config_static_selectorELNS0_4arch9wavefront6targetE0EEEvT1_
	.p2align	8
	.type	_ZN7rocprim17ROCPRIM_400000_NS6detail17trampoline_kernelINS0_14default_configENS1_25partition_config_selectorILNS1_17partition_subalgoE5ElNS0_10empty_typeEbEEZZNS1_14partition_implILS5_5ELb0ES3_mN6hipcub16HIPCUB_304000_NS21CountingInputIteratorIllEEPS6_NSA_22TransformInputIteratorIbN2at6native12_GLOBAL__N_19NonZeroOpIhEEPKhlEENS0_5tupleIJPlS6_EEENSN_IJSD_SD_EEES6_PiJS6_EEE10hipError_tPvRmT3_T4_T5_T6_T7_T9_mT8_P12ihipStream_tbDpT10_ENKUlT_T0_E_clISt17integral_constantIbLb1EES1B_EEDaS16_S17_EUlS16_E_NS1_11comp_targetILNS1_3genE0ELNS1_11target_archE4294967295ELNS1_3gpuE0ELNS1_3repE0EEENS1_30default_config_static_selectorELNS0_4arch9wavefront6targetE0EEEvT1_,@function
_ZN7rocprim17ROCPRIM_400000_NS6detail17trampoline_kernelINS0_14default_configENS1_25partition_config_selectorILNS1_17partition_subalgoE5ElNS0_10empty_typeEbEEZZNS1_14partition_implILS5_5ELb0ES3_mN6hipcub16HIPCUB_304000_NS21CountingInputIteratorIllEEPS6_NSA_22TransformInputIteratorIbN2at6native12_GLOBAL__N_19NonZeroOpIhEEPKhlEENS0_5tupleIJPlS6_EEENSN_IJSD_SD_EEES6_PiJS6_EEE10hipError_tPvRmT3_T4_T5_T6_T7_T9_mT8_P12ihipStream_tbDpT10_ENKUlT_T0_E_clISt17integral_constantIbLb1EES1B_EEDaS16_S17_EUlS16_E_NS1_11comp_targetILNS1_3genE0ELNS1_11target_archE4294967295ELNS1_3gpuE0ELNS1_3repE0EEENS1_30default_config_static_selectorELNS0_4arch9wavefront6targetE0EEEvT1_: ; @_ZN7rocprim17ROCPRIM_400000_NS6detail17trampoline_kernelINS0_14default_configENS1_25partition_config_selectorILNS1_17partition_subalgoE5ElNS0_10empty_typeEbEEZZNS1_14partition_implILS5_5ELb0ES3_mN6hipcub16HIPCUB_304000_NS21CountingInputIteratorIllEEPS6_NSA_22TransformInputIteratorIbN2at6native12_GLOBAL__N_19NonZeroOpIhEEPKhlEENS0_5tupleIJPlS6_EEENSN_IJSD_SD_EEES6_PiJS6_EEE10hipError_tPvRmT3_T4_T5_T6_T7_T9_mT8_P12ihipStream_tbDpT10_ENKUlT_T0_E_clISt17integral_constantIbLb1EES1B_EEDaS16_S17_EUlS16_E_NS1_11comp_targetILNS1_3genE0ELNS1_11target_archE4294967295ELNS1_3gpuE0ELNS1_3repE0EEENS1_30default_config_static_selectorELNS0_4arch9wavefront6targetE0EEEvT1_
; %bb.0:
	.section	.rodata,"a",@progbits
	.p2align	6, 0x0
	.amdhsa_kernel _ZN7rocprim17ROCPRIM_400000_NS6detail17trampoline_kernelINS0_14default_configENS1_25partition_config_selectorILNS1_17partition_subalgoE5ElNS0_10empty_typeEbEEZZNS1_14partition_implILS5_5ELb0ES3_mN6hipcub16HIPCUB_304000_NS21CountingInputIteratorIllEEPS6_NSA_22TransformInputIteratorIbN2at6native12_GLOBAL__N_19NonZeroOpIhEEPKhlEENS0_5tupleIJPlS6_EEENSN_IJSD_SD_EEES6_PiJS6_EEE10hipError_tPvRmT3_T4_T5_T6_T7_T9_mT8_P12ihipStream_tbDpT10_ENKUlT_T0_E_clISt17integral_constantIbLb1EES1B_EEDaS16_S17_EUlS16_E_NS1_11comp_targetILNS1_3genE0ELNS1_11target_archE4294967295ELNS1_3gpuE0ELNS1_3repE0EEENS1_30default_config_static_selectorELNS0_4arch9wavefront6targetE0EEEvT1_
		.amdhsa_group_segment_fixed_size 0
		.amdhsa_private_segment_fixed_size 0
		.amdhsa_kernarg_size 136
		.amdhsa_user_sgpr_count 2
		.amdhsa_user_sgpr_dispatch_ptr 0
		.amdhsa_user_sgpr_queue_ptr 0
		.amdhsa_user_sgpr_kernarg_segment_ptr 1
		.amdhsa_user_sgpr_dispatch_id 0
		.amdhsa_user_sgpr_private_segment_size 0
		.amdhsa_wavefront_size32 1
		.amdhsa_uses_dynamic_stack 0
		.amdhsa_enable_private_segment 0
		.amdhsa_system_sgpr_workgroup_id_x 1
		.amdhsa_system_sgpr_workgroup_id_y 0
		.amdhsa_system_sgpr_workgroup_id_z 0
		.amdhsa_system_sgpr_workgroup_info 0
		.amdhsa_system_vgpr_workitem_id 0
		.amdhsa_next_free_vgpr 1
		.amdhsa_next_free_sgpr 1
		.amdhsa_reserve_vcc 0
		.amdhsa_float_round_mode_32 0
		.amdhsa_float_round_mode_16_64 0
		.amdhsa_float_denorm_mode_32 3
		.amdhsa_float_denorm_mode_16_64 3
		.amdhsa_fp16_overflow 0
		.amdhsa_workgroup_processor_mode 1
		.amdhsa_memory_ordered 1
		.amdhsa_forward_progress 1
		.amdhsa_inst_pref_size 0
		.amdhsa_round_robin_scheduling 0
		.amdhsa_exception_fp_ieee_invalid_op 0
		.amdhsa_exception_fp_denorm_src 0
		.amdhsa_exception_fp_ieee_div_zero 0
		.amdhsa_exception_fp_ieee_overflow 0
		.amdhsa_exception_fp_ieee_underflow 0
		.amdhsa_exception_fp_ieee_inexact 0
		.amdhsa_exception_int_div_zero 0
	.end_amdhsa_kernel
	.section	.text._ZN7rocprim17ROCPRIM_400000_NS6detail17trampoline_kernelINS0_14default_configENS1_25partition_config_selectorILNS1_17partition_subalgoE5ElNS0_10empty_typeEbEEZZNS1_14partition_implILS5_5ELb0ES3_mN6hipcub16HIPCUB_304000_NS21CountingInputIteratorIllEEPS6_NSA_22TransformInputIteratorIbN2at6native12_GLOBAL__N_19NonZeroOpIhEEPKhlEENS0_5tupleIJPlS6_EEENSN_IJSD_SD_EEES6_PiJS6_EEE10hipError_tPvRmT3_T4_T5_T6_T7_T9_mT8_P12ihipStream_tbDpT10_ENKUlT_T0_E_clISt17integral_constantIbLb1EES1B_EEDaS16_S17_EUlS16_E_NS1_11comp_targetILNS1_3genE0ELNS1_11target_archE4294967295ELNS1_3gpuE0ELNS1_3repE0EEENS1_30default_config_static_selectorELNS0_4arch9wavefront6targetE0EEEvT1_,"axG",@progbits,_ZN7rocprim17ROCPRIM_400000_NS6detail17trampoline_kernelINS0_14default_configENS1_25partition_config_selectorILNS1_17partition_subalgoE5ElNS0_10empty_typeEbEEZZNS1_14partition_implILS5_5ELb0ES3_mN6hipcub16HIPCUB_304000_NS21CountingInputIteratorIllEEPS6_NSA_22TransformInputIteratorIbN2at6native12_GLOBAL__N_19NonZeroOpIhEEPKhlEENS0_5tupleIJPlS6_EEENSN_IJSD_SD_EEES6_PiJS6_EEE10hipError_tPvRmT3_T4_T5_T6_T7_T9_mT8_P12ihipStream_tbDpT10_ENKUlT_T0_E_clISt17integral_constantIbLb1EES1B_EEDaS16_S17_EUlS16_E_NS1_11comp_targetILNS1_3genE0ELNS1_11target_archE4294967295ELNS1_3gpuE0ELNS1_3repE0EEENS1_30default_config_static_selectorELNS0_4arch9wavefront6targetE0EEEvT1_,comdat
.Lfunc_end55:
	.size	_ZN7rocprim17ROCPRIM_400000_NS6detail17trampoline_kernelINS0_14default_configENS1_25partition_config_selectorILNS1_17partition_subalgoE5ElNS0_10empty_typeEbEEZZNS1_14partition_implILS5_5ELb0ES3_mN6hipcub16HIPCUB_304000_NS21CountingInputIteratorIllEEPS6_NSA_22TransformInputIteratorIbN2at6native12_GLOBAL__N_19NonZeroOpIhEEPKhlEENS0_5tupleIJPlS6_EEENSN_IJSD_SD_EEES6_PiJS6_EEE10hipError_tPvRmT3_T4_T5_T6_T7_T9_mT8_P12ihipStream_tbDpT10_ENKUlT_T0_E_clISt17integral_constantIbLb1EES1B_EEDaS16_S17_EUlS16_E_NS1_11comp_targetILNS1_3genE0ELNS1_11target_archE4294967295ELNS1_3gpuE0ELNS1_3repE0EEENS1_30default_config_static_selectorELNS0_4arch9wavefront6targetE0EEEvT1_, .Lfunc_end55-_ZN7rocprim17ROCPRIM_400000_NS6detail17trampoline_kernelINS0_14default_configENS1_25partition_config_selectorILNS1_17partition_subalgoE5ElNS0_10empty_typeEbEEZZNS1_14partition_implILS5_5ELb0ES3_mN6hipcub16HIPCUB_304000_NS21CountingInputIteratorIllEEPS6_NSA_22TransformInputIteratorIbN2at6native12_GLOBAL__N_19NonZeroOpIhEEPKhlEENS0_5tupleIJPlS6_EEENSN_IJSD_SD_EEES6_PiJS6_EEE10hipError_tPvRmT3_T4_T5_T6_T7_T9_mT8_P12ihipStream_tbDpT10_ENKUlT_T0_E_clISt17integral_constantIbLb1EES1B_EEDaS16_S17_EUlS16_E_NS1_11comp_targetILNS1_3genE0ELNS1_11target_archE4294967295ELNS1_3gpuE0ELNS1_3repE0EEENS1_30default_config_static_selectorELNS0_4arch9wavefront6targetE0EEEvT1_
                                        ; -- End function
	.set _ZN7rocprim17ROCPRIM_400000_NS6detail17trampoline_kernelINS0_14default_configENS1_25partition_config_selectorILNS1_17partition_subalgoE5ElNS0_10empty_typeEbEEZZNS1_14partition_implILS5_5ELb0ES3_mN6hipcub16HIPCUB_304000_NS21CountingInputIteratorIllEEPS6_NSA_22TransformInputIteratorIbN2at6native12_GLOBAL__N_19NonZeroOpIhEEPKhlEENS0_5tupleIJPlS6_EEENSN_IJSD_SD_EEES6_PiJS6_EEE10hipError_tPvRmT3_T4_T5_T6_T7_T9_mT8_P12ihipStream_tbDpT10_ENKUlT_T0_E_clISt17integral_constantIbLb1EES1B_EEDaS16_S17_EUlS16_E_NS1_11comp_targetILNS1_3genE0ELNS1_11target_archE4294967295ELNS1_3gpuE0ELNS1_3repE0EEENS1_30default_config_static_selectorELNS0_4arch9wavefront6targetE0EEEvT1_.num_vgpr, 0
	.set _ZN7rocprim17ROCPRIM_400000_NS6detail17trampoline_kernelINS0_14default_configENS1_25partition_config_selectorILNS1_17partition_subalgoE5ElNS0_10empty_typeEbEEZZNS1_14partition_implILS5_5ELb0ES3_mN6hipcub16HIPCUB_304000_NS21CountingInputIteratorIllEEPS6_NSA_22TransformInputIteratorIbN2at6native12_GLOBAL__N_19NonZeroOpIhEEPKhlEENS0_5tupleIJPlS6_EEENSN_IJSD_SD_EEES6_PiJS6_EEE10hipError_tPvRmT3_T4_T5_T6_T7_T9_mT8_P12ihipStream_tbDpT10_ENKUlT_T0_E_clISt17integral_constantIbLb1EES1B_EEDaS16_S17_EUlS16_E_NS1_11comp_targetILNS1_3genE0ELNS1_11target_archE4294967295ELNS1_3gpuE0ELNS1_3repE0EEENS1_30default_config_static_selectorELNS0_4arch9wavefront6targetE0EEEvT1_.num_agpr, 0
	.set _ZN7rocprim17ROCPRIM_400000_NS6detail17trampoline_kernelINS0_14default_configENS1_25partition_config_selectorILNS1_17partition_subalgoE5ElNS0_10empty_typeEbEEZZNS1_14partition_implILS5_5ELb0ES3_mN6hipcub16HIPCUB_304000_NS21CountingInputIteratorIllEEPS6_NSA_22TransformInputIteratorIbN2at6native12_GLOBAL__N_19NonZeroOpIhEEPKhlEENS0_5tupleIJPlS6_EEENSN_IJSD_SD_EEES6_PiJS6_EEE10hipError_tPvRmT3_T4_T5_T6_T7_T9_mT8_P12ihipStream_tbDpT10_ENKUlT_T0_E_clISt17integral_constantIbLb1EES1B_EEDaS16_S17_EUlS16_E_NS1_11comp_targetILNS1_3genE0ELNS1_11target_archE4294967295ELNS1_3gpuE0ELNS1_3repE0EEENS1_30default_config_static_selectorELNS0_4arch9wavefront6targetE0EEEvT1_.numbered_sgpr, 0
	.set _ZN7rocprim17ROCPRIM_400000_NS6detail17trampoline_kernelINS0_14default_configENS1_25partition_config_selectorILNS1_17partition_subalgoE5ElNS0_10empty_typeEbEEZZNS1_14partition_implILS5_5ELb0ES3_mN6hipcub16HIPCUB_304000_NS21CountingInputIteratorIllEEPS6_NSA_22TransformInputIteratorIbN2at6native12_GLOBAL__N_19NonZeroOpIhEEPKhlEENS0_5tupleIJPlS6_EEENSN_IJSD_SD_EEES6_PiJS6_EEE10hipError_tPvRmT3_T4_T5_T6_T7_T9_mT8_P12ihipStream_tbDpT10_ENKUlT_T0_E_clISt17integral_constantIbLb1EES1B_EEDaS16_S17_EUlS16_E_NS1_11comp_targetILNS1_3genE0ELNS1_11target_archE4294967295ELNS1_3gpuE0ELNS1_3repE0EEENS1_30default_config_static_selectorELNS0_4arch9wavefront6targetE0EEEvT1_.num_named_barrier, 0
	.set _ZN7rocprim17ROCPRIM_400000_NS6detail17trampoline_kernelINS0_14default_configENS1_25partition_config_selectorILNS1_17partition_subalgoE5ElNS0_10empty_typeEbEEZZNS1_14partition_implILS5_5ELb0ES3_mN6hipcub16HIPCUB_304000_NS21CountingInputIteratorIllEEPS6_NSA_22TransformInputIteratorIbN2at6native12_GLOBAL__N_19NonZeroOpIhEEPKhlEENS0_5tupleIJPlS6_EEENSN_IJSD_SD_EEES6_PiJS6_EEE10hipError_tPvRmT3_T4_T5_T6_T7_T9_mT8_P12ihipStream_tbDpT10_ENKUlT_T0_E_clISt17integral_constantIbLb1EES1B_EEDaS16_S17_EUlS16_E_NS1_11comp_targetILNS1_3genE0ELNS1_11target_archE4294967295ELNS1_3gpuE0ELNS1_3repE0EEENS1_30default_config_static_selectorELNS0_4arch9wavefront6targetE0EEEvT1_.private_seg_size, 0
	.set _ZN7rocprim17ROCPRIM_400000_NS6detail17trampoline_kernelINS0_14default_configENS1_25partition_config_selectorILNS1_17partition_subalgoE5ElNS0_10empty_typeEbEEZZNS1_14partition_implILS5_5ELb0ES3_mN6hipcub16HIPCUB_304000_NS21CountingInputIteratorIllEEPS6_NSA_22TransformInputIteratorIbN2at6native12_GLOBAL__N_19NonZeroOpIhEEPKhlEENS0_5tupleIJPlS6_EEENSN_IJSD_SD_EEES6_PiJS6_EEE10hipError_tPvRmT3_T4_T5_T6_T7_T9_mT8_P12ihipStream_tbDpT10_ENKUlT_T0_E_clISt17integral_constantIbLb1EES1B_EEDaS16_S17_EUlS16_E_NS1_11comp_targetILNS1_3genE0ELNS1_11target_archE4294967295ELNS1_3gpuE0ELNS1_3repE0EEENS1_30default_config_static_selectorELNS0_4arch9wavefront6targetE0EEEvT1_.uses_vcc, 0
	.set _ZN7rocprim17ROCPRIM_400000_NS6detail17trampoline_kernelINS0_14default_configENS1_25partition_config_selectorILNS1_17partition_subalgoE5ElNS0_10empty_typeEbEEZZNS1_14partition_implILS5_5ELb0ES3_mN6hipcub16HIPCUB_304000_NS21CountingInputIteratorIllEEPS6_NSA_22TransformInputIteratorIbN2at6native12_GLOBAL__N_19NonZeroOpIhEEPKhlEENS0_5tupleIJPlS6_EEENSN_IJSD_SD_EEES6_PiJS6_EEE10hipError_tPvRmT3_T4_T5_T6_T7_T9_mT8_P12ihipStream_tbDpT10_ENKUlT_T0_E_clISt17integral_constantIbLb1EES1B_EEDaS16_S17_EUlS16_E_NS1_11comp_targetILNS1_3genE0ELNS1_11target_archE4294967295ELNS1_3gpuE0ELNS1_3repE0EEENS1_30default_config_static_selectorELNS0_4arch9wavefront6targetE0EEEvT1_.uses_flat_scratch, 0
	.set _ZN7rocprim17ROCPRIM_400000_NS6detail17trampoline_kernelINS0_14default_configENS1_25partition_config_selectorILNS1_17partition_subalgoE5ElNS0_10empty_typeEbEEZZNS1_14partition_implILS5_5ELb0ES3_mN6hipcub16HIPCUB_304000_NS21CountingInputIteratorIllEEPS6_NSA_22TransformInputIteratorIbN2at6native12_GLOBAL__N_19NonZeroOpIhEEPKhlEENS0_5tupleIJPlS6_EEENSN_IJSD_SD_EEES6_PiJS6_EEE10hipError_tPvRmT3_T4_T5_T6_T7_T9_mT8_P12ihipStream_tbDpT10_ENKUlT_T0_E_clISt17integral_constantIbLb1EES1B_EEDaS16_S17_EUlS16_E_NS1_11comp_targetILNS1_3genE0ELNS1_11target_archE4294967295ELNS1_3gpuE0ELNS1_3repE0EEENS1_30default_config_static_selectorELNS0_4arch9wavefront6targetE0EEEvT1_.has_dyn_sized_stack, 0
	.set _ZN7rocprim17ROCPRIM_400000_NS6detail17trampoline_kernelINS0_14default_configENS1_25partition_config_selectorILNS1_17partition_subalgoE5ElNS0_10empty_typeEbEEZZNS1_14partition_implILS5_5ELb0ES3_mN6hipcub16HIPCUB_304000_NS21CountingInputIteratorIllEEPS6_NSA_22TransformInputIteratorIbN2at6native12_GLOBAL__N_19NonZeroOpIhEEPKhlEENS0_5tupleIJPlS6_EEENSN_IJSD_SD_EEES6_PiJS6_EEE10hipError_tPvRmT3_T4_T5_T6_T7_T9_mT8_P12ihipStream_tbDpT10_ENKUlT_T0_E_clISt17integral_constantIbLb1EES1B_EEDaS16_S17_EUlS16_E_NS1_11comp_targetILNS1_3genE0ELNS1_11target_archE4294967295ELNS1_3gpuE0ELNS1_3repE0EEENS1_30default_config_static_selectorELNS0_4arch9wavefront6targetE0EEEvT1_.has_recursion, 0
	.set _ZN7rocprim17ROCPRIM_400000_NS6detail17trampoline_kernelINS0_14default_configENS1_25partition_config_selectorILNS1_17partition_subalgoE5ElNS0_10empty_typeEbEEZZNS1_14partition_implILS5_5ELb0ES3_mN6hipcub16HIPCUB_304000_NS21CountingInputIteratorIllEEPS6_NSA_22TransformInputIteratorIbN2at6native12_GLOBAL__N_19NonZeroOpIhEEPKhlEENS0_5tupleIJPlS6_EEENSN_IJSD_SD_EEES6_PiJS6_EEE10hipError_tPvRmT3_T4_T5_T6_T7_T9_mT8_P12ihipStream_tbDpT10_ENKUlT_T0_E_clISt17integral_constantIbLb1EES1B_EEDaS16_S17_EUlS16_E_NS1_11comp_targetILNS1_3genE0ELNS1_11target_archE4294967295ELNS1_3gpuE0ELNS1_3repE0EEENS1_30default_config_static_selectorELNS0_4arch9wavefront6targetE0EEEvT1_.has_indirect_call, 0
	.section	.AMDGPU.csdata,"",@progbits
; Kernel info:
; codeLenInByte = 0
; TotalNumSgprs: 0
; NumVgprs: 0
; ScratchSize: 0
; MemoryBound: 0
; FloatMode: 240
; IeeeMode: 1
; LDSByteSize: 0 bytes/workgroup (compile time only)
; SGPRBlocks: 0
; VGPRBlocks: 0
; NumSGPRsForWavesPerEU: 1
; NumVGPRsForWavesPerEU: 1
; Occupancy: 16
; WaveLimiterHint : 0
; COMPUTE_PGM_RSRC2:SCRATCH_EN: 0
; COMPUTE_PGM_RSRC2:USER_SGPR: 2
; COMPUTE_PGM_RSRC2:TRAP_HANDLER: 0
; COMPUTE_PGM_RSRC2:TGID_X_EN: 1
; COMPUTE_PGM_RSRC2:TGID_Y_EN: 0
; COMPUTE_PGM_RSRC2:TGID_Z_EN: 0
; COMPUTE_PGM_RSRC2:TIDIG_COMP_CNT: 0
	.section	.text._ZN7rocprim17ROCPRIM_400000_NS6detail17trampoline_kernelINS0_14default_configENS1_25partition_config_selectorILNS1_17partition_subalgoE5ElNS0_10empty_typeEbEEZZNS1_14partition_implILS5_5ELb0ES3_mN6hipcub16HIPCUB_304000_NS21CountingInputIteratorIllEEPS6_NSA_22TransformInputIteratorIbN2at6native12_GLOBAL__N_19NonZeroOpIhEEPKhlEENS0_5tupleIJPlS6_EEENSN_IJSD_SD_EEES6_PiJS6_EEE10hipError_tPvRmT3_T4_T5_T6_T7_T9_mT8_P12ihipStream_tbDpT10_ENKUlT_T0_E_clISt17integral_constantIbLb1EES1B_EEDaS16_S17_EUlS16_E_NS1_11comp_targetILNS1_3genE5ELNS1_11target_archE942ELNS1_3gpuE9ELNS1_3repE0EEENS1_30default_config_static_selectorELNS0_4arch9wavefront6targetE0EEEvT1_,"axG",@progbits,_ZN7rocprim17ROCPRIM_400000_NS6detail17trampoline_kernelINS0_14default_configENS1_25partition_config_selectorILNS1_17partition_subalgoE5ElNS0_10empty_typeEbEEZZNS1_14partition_implILS5_5ELb0ES3_mN6hipcub16HIPCUB_304000_NS21CountingInputIteratorIllEEPS6_NSA_22TransformInputIteratorIbN2at6native12_GLOBAL__N_19NonZeroOpIhEEPKhlEENS0_5tupleIJPlS6_EEENSN_IJSD_SD_EEES6_PiJS6_EEE10hipError_tPvRmT3_T4_T5_T6_T7_T9_mT8_P12ihipStream_tbDpT10_ENKUlT_T0_E_clISt17integral_constantIbLb1EES1B_EEDaS16_S17_EUlS16_E_NS1_11comp_targetILNS1_3genE5ELNS1_11target_archE942ELNS1_3gpuE9ELNS1_3repE0EEENS1_30default_config_static_selectorELNS0_4arch9wavefront6targetE0EEEvT1_,comdat
	.globl	_ZN7rocprim17ROCPRIM_400000_NS6detail17trampoline_kernelINS0_14default_configENS1_25partition_config_selectorILNS1_17partition_subalgoE5ElNS0_10empty_typeEbEEZZNS1_14partition_implILS5_5ELb0ES3_mN6hipcub16HIPCUB_304000_NS21CountingInputIteratorIllEEPS6_NSA_22TransformInputIteratorIbN2at6native12_GLOBAL__N_19NonZeroOpIhEEPKhlEENS0_5tupleIJPlS6_EEENSN_IJSD_SD_EEES6_PiJS6_EEE10hipError_tPvRmT3_T4_T5_T6_T7_T9_mT8_P12ihipStream_tbDpT10_ENKUlT_T0_E_clISt17integral_constantIbLb1EES1B_EEDaS16_S17_EUlS16_E_NS1_11comp_targetILNS1_3genE5ELNS1_11target_archE942ELNS1_3gpuE9ELNS1_3repE0EEENS1_30default_config_static_selectorELNS0_4arch9wavefront6targetE0EEEvT1_ ; -- Begin function _ZN7rocprim17ROCPRIM_400000_NS6detail17trampoline_kernelINS0_14default_configENS1_25partition_config_selectorILNS1_17partition_subalgoE5ElNS0_10empty_typeEbEEZZNS1_14partition_implILS5_5ELb0ES3_mN6hipcub16HIPCUB_304000_NS21CountingInputIteratorIllEEPS6_NSA_22TransformInputIteratorIbN2at6native12_GLOBAL__N_19NonZeroOpIhEEPKhlEENS0_5tupleIJPlS6_EEENSN_IJSD_SD_EEES6_PiJS6_EEE10hipError_tPvRmT3_T4_T5_T6_T7_T9_mT8_P12ihipStream_tbDpT10_ENKUlT_T0_E_clISt17integral_constantIbLb1EES1B_EEDaS16_S17_EUlS16_E_NS1_11comp_targetILNS1_3genE5ELNS1_11target_archE942ELNS1_3gpuE9ELNS1_3repE0EEENS1_30default_config_static_selectorELNS0_4arch9wavefront6targetE0EEEvT1_
	.p2align	8
	.type	_ZN7rocprim17ROCPRIM_400000_NS6detail17trampoline_kernelINS0_14default_configENS1_25partition_config_selectorILNS1_17partition_subalgoE5ElNS0_10empty_typeEbEEZZNS1_14partition_implILS5_5ELb0ES3_mN6hipcub16HIPCUB_304000_NS21CountingInputIteratorIllEEPS6_NSA_22TransformInputIteratorIbN2at6native12_GLOBAL__N_19NonZeroOpIhEEPKhlEENS0_5tupleIJPlS6_EEENSN_IJSD_SD_EEES6_PiJS6_EEE10hipError_tPvRmT3_T4_T5_T6_T7_T9_mT8_P12ihipStream_tbDpT10_ENKUlT_T0_E_clISt17integral_constantIbLb1EES1B_EEDaS16_S17_EUlS16_E_NS1_11comp_targetILNS1_3genE5ELNS1_11target_archE942ELNS1_3gpuE9ELNS1_3repE0EEENS1_30default_config_static_selectorELNS0_4arch9wavefront6targetE0EEEvT1_,@function
_ZN7rocprim17ROCPRIM_400000_NS6detail17trampoline_kernelINS0_14default_configENS1_25partition_config_selectorILNS1_17partition_subalgoE5ElNS0_10empty_typeEbEEZZNS1_14partition_implILS5_5ELb0ES3_mN6hipcub16HIPCUB_304000_NS21CountingInputIteratorIllEEPS6_NSA_22TransformInputIteratorIbN2at6native12_GLOBAL__N_19NonZeroOpIhEEPKhlEENS0_5tupleIJPlS6_EEENSN_IJSD_SD_EEES6_PiJS6_EEE10hipError_tPvRmT3_T4_T5_T6_T7_T9_mT8_P12ihipStream_tbDpT10_ENKUlT_T0_E_clISt17integral_constantIbLb1EES1B_EEDaS16_S17_EUlS16_E_NS1_11comp_targetILNS1_3genE5ELNS1_11target_archE942ELNS1_3gpuE9ELNS1_3repE0EEENS1_30default_config_static_selectorELNS0_4arch9wavefront6targetE0EEEvT1_: ; @_ZN7rocprim17ROCPRIM_400000_NS6detail17trampoline_kernelINS0_14default_configENS1_25partition_config_selectorILNS1_17partition_subalgoE5ElNS0_10empty_typeEbEEZZNS1_14partition_implILS5_5ELb0ES3_mN6hipcub16HIPCUB_304000_NS21CountingInputIteratorIllEEPS6_NSA_22TransformInputIteratorIbN2at6native12_GLOBAL__N_19NonZeroOpIhEEPKhlEENS0_5tupleIJPlS6_EEENSN_IJSD_SD_EEES6_PiJS6_EEE10hipError_tPvRmT3_T4_T5_T6_T7_T9_mT8_P12ihipStream_tbDpT10_ENKUlT_T0_E_clISt17integral_constantIbLb1EES1B_EEDaS16_S17_EUlS16_E_NS1_11comp_targetILNS1_3genE5ELNS1_11target_archE942ELNS1_3gpuE9ELNS1_3repE0EEENS1_30default_config_static_selectorELNS0_4arch9wavefront6targetE0EEEvT1_
; %bb.0:
	.section	.rodata,"a",@progbits
	.p2align	6, 0x0
	.amdhsa_kernel _ZN7rocprim17ROCPRIM_400000_NS6detail17trampoline_kernelINS0_14default_configENS1_25partition_config_selectorILNS1_17partition_subalgoE5ElNS0_10empty_typeEbEEZZNS1_14partition_implILS5_5ELb0ES3_mN6hipcub16HIPCUB_304000_NS21CountingInputIteratorIllEEPS6_NSA_22TransformInputIteratorIbN2at6native12_GLOBAL__N_19NonZeroOpIhEEPKhlEENS0_5tupleIJPlS6_EEENSN_IJSD_SD_EEES6_PiJS6_EEE10hipError_tPvRmT3_T4_T5_T6_T7_T9_mT8_P12ihipStream_tbDpT10_ENKUlT_T0_E_clISt17integral_constantIbLb1EES1B_EEDaS16_S17_EUlS16_E_NS1_11comp_targetILNS1_3genE5ELNS1_11target_archE942ELNS1_3gpuE9ELNS1_3repE0EEENS1_30default_config_static_selectorELNS0_4arch9wavefront6targetE0EEEvT1_
		.amdhsa_group_segment_fixed_size 0
		.amdhsa_private_segment_fixed_size 0
		.amdhsa_kernarg_size 136
		.amdhsa_user_sgpr_count 2
		.amdhsa_user_sgpr_dispatch_ptr 0
		.amdhsa_user_sgpr_queue_ptr 0
		.amdhsa_user_sgpr_kernarg_segment_ptr 1
		.amdhsa_user_sgpr_dispatch_id 0
		.amdhsa_user_sgpr_private_segment_size 0
		.amdhsa_wavefront_size32 1
		.amdhsa_uses_dynamic_stack 0
		.amdhsa_enable_private_segment 0
		.amdhsa_system_sgpr_workgroup_id_x 1
		.amdhsa_system_sgpr_workgroup_id_y 0
		.amdhsa_system_sgpr_workgroup_id_z 0
		.amdhsa_system_sgpr_workgroup_info 0
		.amdhsa_system_vgpr_workitem_id 0
		.amdhsa_next_free_vgpr 1
		.amdhsa_next_free_sgpr 1
		.amdhsa_reserve_vcc 0
		.amdhsa_float_round_mode_32 0
		.amdhsa_float_round_mode_16_64 0
		.amdhsa_float_denorm_mode_32 3
		.amdhsa_float_denorm_mode_16_64 3
		.amdhsa_fp16_overflow 0
		.amdhsa_workgroup_processor_mode 1
		.amdhsa_memory_ordered 1
		.amdhsa_forward_progress 1
		.amdhsa_inst_pref_size 0
		.amdhsa_round_robin_scheduling 0
		.amdhsa_exception_fp_ieee_invalid_op 0
		.amdhsa_exception_fp_denorm_src 0
		.amdhsa_exception_fp_ieee_div_zero 0
		.amdhsa_exception_fp_ieee_overflow 0
		.amdhsa_exception_fp_ieee_underflow 0
		.amdhsa_exception_fp_ieee_inexact 0
		.amdhsa_exception_int_div_zero 0
	.end_amdhsa_kernel
	.section	.text._ZN7rocprim17ROCPRIM_400000_NS6detail17trampoline_kernelINS0_14default_configENS1_25partition_config_selectorILNS1_17partition_subalgoE5ElNS0_10empty_typeEbEEZZNS1_14partition_implILS5_5ELb0ES3_mN6hipcub16HIPCUB_304000_NS21CountingInputIteratorIllEEPS6_NSA_22TransformInputIteratorIbN2at6native12_GLOBAL__N_19NonZeroOpIhEEPKhlEENS0_5tupleIJPlS6_EEENSN_IJSD_SD_EEES6_PiJS6_EEE10hipError_tPvRmT3_T4_T5_T6_T7_T9_mT8_P12ihipStream_tbDpT10_ENKUlT_T0_E_clISt17integral_constantIbLb1EES1B_EEDaS16_S17_EUlS16_E_NS1_11comp_targetILNS1_3genE5ELNS1_11target_archE942ELNS1_3gpuE9ELNS1_3repE0EEENS1_30default_config_static_selectorELNS0_4arch9wavefront6targetE0EEEvT1_,"axG",@progbits,_ZN7rocprim17ROCPRIM_400000_NS6detail17trampoline_kernelINS0_14default_configENS1_25partition_config_selectorILNS1_17partition_subalgoE5ElNS0_10empty_typeEbEEZZNS1_14partition_implILS5_5ELb0ES3_mN6hipcub16HIPCUB_304000_NS21CountingInputIteratorIllEEPS6_NSA_22TransformInputIteratorIbN2at6native12_GLOBAL__N_19NonZeroOpIhEEPKhlEENS0_5tupleIJPlS6_EEENSN_IJSD_SD_EEES6_PiJS6_EEE10hipError_tPvRmT3_T4_T5_T6_T7_T9_mT8_P12ihipStream_tbDpT10_ENKUlT_T0_E_clISt17integral_constantIbLb1EES1B_EEDaS16_S17_EUlS16_E_NS1_11comp_targetILNS1_3genE5ELNS1_11target_archE942ELNS1_3gpuE9ELNS1_3repE0EEENS1_30default_config_static_selectorELNS0_4arch9wavefront6targetE0EEEvT1_,comdat
.Lfunc_end56:
	.size	_ZN7rocprim17ROCPRIM_400000_NS6detail17trampoline_kernelINS0_14default_configENS1_25partition_config_selectorILNS1_17partition_subalgoE5ElNS0_10empty_typeEbEEZZNS1_14partition_implILS5_5ELb0ES3_mN6hipcub16HIPCUB_304000_NS21CountingInputIteratorIllEEPS6_NSA_22TransformInputIteratorIbN2at6native12_GLOBAL__N_19NonZeroOpIhEEPKhlEENS0_5tupleIJPlS6_EEENSN_IJSD_SD_EEES6_PiJS6_EEE10hipError_tPvRmT3_T4_T5_T6_T7_T9_mT8_P12ihipStream_tbDpT10_ENKUlT_T0_E_clISt17integral_constantIbLb1EES1B_EEDaS16_S17_EUlS16_E_NS1_11comp_targetILNS1_3genE5ELNS1_11target_archE942ELNS1_3gpuE9ELNS1_3repE0EEENS1_30default_config_static_selectorELNS0_4arch9wavefront6targetE0EEEvT1_, .Lfunc_end56-_ZN7rocprim17ROCPRIM_400000_NS6detail17trampoline_kernelINS0_14default_configENS1_25partition_config_selectorILNS1_17partition_subalgoE5ElNS0_10empty_typeEbEEZZNS1_14partition_implILS5_5ELb0ES3_mN6hipcub16HIPCUB_304000_NS21CountingInputIteratorIllEEPS6_NSA_22TransformInputIteratorIbN2at6native12_GLOBAL__N_19NonZeroOpIhEEPKhlEENS0_5tupleIJPlS6_EEENSN_IJSD_SD_EEES6_PiJS6_EEE10hipError_tPvRmT3_T4_T5_T6_T7_T9_mT8_P12ihipStream_tbDpT10_ENKUlT_T0_E_clISt17integral_constantIbLb1EES1B_EEDaS16_S17_EUlS16_E_NS1_11comp_targetILNS1_3genE5ELNS1_11target_archE942ELNS1_3gpuE9ELNS1_3repE0EEENS1_30default_config_static_selectorELNS0_4arch9wavefront6targetE0EEEvT1_
                                        ; -- End function
	.set _ZN7rocprim17ROCPRIM_400000_NS6detail17trampoline_kernelINS0_14default_configENS1_25partition_config_selectorILNS1_17partition_subalgoE5ElNS0_10empty_typeEbEEZZNS1_14partition_implILS5_5ELb0ES3_mN6hipcub16HIPCUB_304000_NS21CountingInputIteratorIllEEPS6_NSA_22TransformInputIteratorIbN2at6native12_GLOBAL__N_19NonZeroOpIhEEPKhlEENS0_5tupleIJPlS6_EEENSN_IJSD_SD_EEES6_PiJS6_EEE10hipError_tPvRmT3_T4_T5_T6_T7_T9_mT8_P12ihipStream_tbDpT10_ENKUlT_T0_E_clISt17integral_constantIbLb1EES1B_EEDaS16_S17_EUlS16_E_NS1_11comp_targetILNS1_3genE5ELNS1_11target_archE942ELNS1_3gpuE9ELNS1_3repE0EEENS1_30default_config_static_selectorELNS0_4arch9wavefront6targetE0EEEvT1_.num_vgpr, 0
	.set _ZN7rocprim17ROCPRIM_400000_NS6detail17trampoline_kernelINS0_14default_configENS1_25partition_config_selectorILNS1_17partition_subalgoE5ElNS0_10empty_typeEbEEZZNS1_14partition_implILS5_5ELb0ES3_mN6hipcub16HIPCUB_304000_NS21CountingInputIteratorIllEEPS6_NSA_22TransformInputIteratorIbN2at6native12_GLOBAL__N_19NonZeroOpIhEEPKhlEENS0_5tupleIJPlS6_EEENSN_IJSD_SD_EEES6_PiJS6_EEE10hipError_tPvRmT3_T4_T5_T6_T7_T9_mT8_P12ihipStream_tbDpT10_ENKUlT_T0_E_clISt17integral_constantIbLb1EES1B_EEDaS16_S17_EUlS16_E_NS1_11comp_targetILNS1_3genE5ELNS1_11target_archE942ELNS1_3gpuE9ELNS1_3repE0EEENS1_30default_config_static_selectorELNS0_4arch9wavefront6targetE0EEEvT1_.num_agpr, 0
	.set _ZN7rocprim17ROCPRIM_400000_NS6detail17trampoline_kernelINS0_14default_configENS1_25partition_config_selectorILNS1_17partition_subalgoE5ElNS0_10empty_typeEbEEZZNS1_14partition_implILS5_5ELb0ES3_mN6hipcub16HIPCUB_304000_NS21CountingInputIteratorIllEEPS6_NSA_22TransformInputIteratorIbN2at6native12_GLOBAL__N_19NonZeroOpIhEEPKhlEENS0_5tupleIJPlS6_EEENSN_IJSD_SD_EEES6_PiJS6_EEE10hipError_tPvRmT3_T4_T5_T6_T7_T9_mT8_P12ihipStream_tbDpT10_ENKUlT_T0_E_clISt17integral_constantIbLb1EES1B_EEDaS16_S17_EUlS16_E_NS1_11comp_targetILNS1_3genE5ELNS1_11target_archE942ELNS1_3gpuE9ELNS1_3repE0EEENS1_30default_config_static_selectorELNS0_4arch9wavefront6targetE0EEEvT1_.numbered_sgpr, 0
	.set _ZN7rocprim17ROCPRIM_400000_NS6detail17trampoline_kernelINS0_14default_configENS1_25partition_config_selectorILNS1_17partition_subalgoE5ElNS0_10empty_typeEbEEZZNS1_14partition_implILS5_5ELb0ES3_mN6hipcub16HIPCUB_304000_NS21CountingInputIteratorIllEEPS6_NSA_22TransformInputIteratorIbN2at6native12_GLOBAL__N_19NonZeroOpIhEEPKhlEENS0_5tupleIJPlS6_EEENSN_IJSD_SD_EEES6_PiJS6_EEE10hipError_tPvRmT3_T4_T5_T6_T7_T9_mT8_P12ihipStream_tbDpT10_ENKUlT_T0_E_clISt17integral_constantIbLb1EES1B_EEDaS16_S17_EUlS16_E_NS1_11comp_targetILNS1_3genE5ELNS1_11target_archE942ELNS1_3gpuE9ELNS1_3repE0EEENS1_30default_config_static_selectorELNS0_4arch9wavefront6targetE0EEEvT1_.num_named_barrier, 0
	.set _ZN7rocprim17ROCPRIM_400000_NS6detail17trampoline_kernelINS0_14default_configENS1_25partition_config_selectorILNS1_17partition_subalgoE5ElNS0_10empty_typeEbEEZZNS1_14partition_implILS5_5ELb0ES3_mN6hipcub16HIPCUB_304000_NS21CountingInputIteratorIllEEPS6_NSA_22TransformInputIteratorIbN2at6native12_GLOBAL__N_19NonZeroOpIhEEPKhlEENS0_5tupleIJPlS6_EEENSN_IJSD_SD_EEES6_PiJS6_EEE10hipError_tPvRmT3_T4_T5_T6_T7_T9_mT8_P12ihipStream_tbDpT10_ENKUlT_T0_E_clISt17integral_constantIbLb1EES1B_EEDaS16_S17_EUlS16_E_NS1_11comp_targetILNS1_3genE5ELNS1_11target_archE942ELNS1_3gpuE9ELNS1_3repE0EEENS1_30default_config_static_selectorELNS0_4arch9wavefront6targetE0EEEvT1_.private_seg_size, 0
	.set _ZN7rocprim17ROCPRIM_400000_NS6detail17trampoline_kernelINS0_14default_configENS1_25partition_config_selectorILNS1_17partition_subalgoE5ElNS0_10empty_typeEbEEZZNS1_14partition_implILS5_5ELb0ES3_mN6hipcub16HIPCUB_304000_NS21CountingInputIteratorIllEEPS6_NSA_22TransformInputIteratorIbN2at6native12_GLOBAL__N_19NonZeroOpIhEEPKhlEENS0_5tupleIJPlS6_EEENSN_IJSD_SD_EEES6_PiJS6_EEE10hipError_tPvRmT3_T4_T5_T6_T7_T9_mT8_P12ihipStream_tbDpT10_ENKUlT_T0_E_clISt17integral_constantIbLb1EES1B_EEDaS16_S17_EUlS16_E_NS1_11comp_targetILNS1_3genE5ELNS1_11target_archE942ELNS1_3gpuE9ELNS1_3repE0EEENS1_30default_config_static_selectorELNS0_4arch9wavefront6targetE0EEEvT1_.uses_vcc, 0
	.set _ZN7rocprim17ROCPRIM_400000_NS6detail17trampoline_kernelINS0_14default_configENS1_25partition_config_selectorILNS1_17partition_subalgoE5ElNS0_10empty_typeEbEEZZNS1_14partition_implILS5_5ELb0ES3_mN6hipcub16HIPCUB_304000_NS21CountingInputIteratorIllEEPS6_NSA_22TransformInputIteratorIbN2at6native12_GLOBAL__N_19NonZeroOpIhEEPKhlEENS0_5tupleIJPlS6_EEENSN_IJSD_SD_EEES6_PiJS6_EEE10hipError_tPvRmT3_T4_T5_T6_T7_T9_mT8_P12ihipStream_tbDpT10_ENKUlT_T0_E_clISt17integral_constantIbLb1EES1B_EEDaS16_S17_EUlS16_E_NS1_11comp_targetILNS1_3genE5ELNS1_11target_archE942ELNS1_3gpuE9ELNS1_3repE0EEENS1_30default_config_static_selectorELNS0_4arch9wavefront6targetE0EEEvT1_.uses_flat_scratch, 0
	.set _ZN7rocprim17ROCPRIM_400000_NS6detail17trampoline_kernelINS0_14default_configENS1_25partition_config_selectorILNS1_17partition_subalgoE5ElNS0_10empty_typeEbEEZZNS1_14partition_implILS5_5ELb0ES3_mN6hipcub16HIPCUB_304000_NS21CountingInputIteratorIllEEPS6_NSA_22TransformInputIteratorIbN2at6native12_GLOBAL__N_19NonZeroOpIhEEPKhlEENS0_5tupleIJPlS6_EEENSN_IJSD_SD_EEES6_PiJS6_EEE10hipError_tPvRmT3_T4_T5_T6_T7_T9_mT8_P12ihipStream_tbDpT10_ENKUlT_T0_E_clISt17integral_constantIbLb1EES1B_EEDaS16_S17_EUlS16_E_NS1_11comp_targetILNS1_3genE5ELNS1_11target_archE942ELNS1_3gpuE9ELNS1_3repE0EEENS1_30default_config_static_selectorELNS0_4arch9wavefront6targetE0EEEvT1_.has_dyn_sized_stack, 0
	.set _ZN7rocprim17ROCPRIM_400000_NS6detail17trampoline_kernelINS0_14default_configENS1_25partition_config_selectorILNS1_17partition_subalgoE5ElNS0_10empty_typeEbEEZZNS1_14partition_implILS5_5ELb0ES3_mN6hipcub16HIPCUB_304000_NS21CountingInputIteratorIllEEPS6_NSA_22TransformInputIteratorIbN2at6native12_GLOBAL__N_19NonZeroOpIhEEPKhlEENS0_5tupleIJPlS6_EEENSN_IJSD_SD_EEES6_PiJS6_EEE10hipError_tPvRmT3_T4_T5_T6_T7_T9_mT8_P12ihipStream_tbDpT10_ENKUlT_T0_E_clISt17integral_constantIbLb1EES1B_EEDaS16_S17_EUlS16_E_NS1_11comp_targetILNS1_3genE5ELNS1_11target_archE942ELNS1_3gpuE9ELNS1_3repE0EEENS1_30default_config_static_selectorELNS0_4arch9wavefront6targetE0EEEvT1_.has_recursion, 0
	.set _ZN7rocprim17ROCPRIM_400000_NS6detail17trampoline_kernelINS0_14default_configENS1_25partition_config_selectorILNS1_17partition_subalgoE5ElNS0_10empty_typeEbEEZZNS1_14partition_implILS5_5ELb0ES3_mN6hipcub16HIPCUB_304000_NS21CountingInputIteratorIllEEPS6_NSA_22TransformInputIteratorIbN2at6native12_GLOBAL__N_19NonZeroOpIhEEPKhlEENS0_5tupleIJPlS6_EEENSN_IJSD_SD_EEES6_PiJS6_EEE10hipError_tPvRmT3_T4_T5_T6_T7_T9_mT8_P12ihipStream_tbDpT10_ENKUlT_T0_E_clISt17integral_constantIbLb1EES1B_EEDaS16_S17_EUlS16_E_NS1_11comp_targetILNS1_3genE5ELNS1_11target_archE942ELNS1_3gpuE9ELNS1_3repE0EEENS1_30default_config_static_selectorELNS0_4arch9wavefront6targetE0EEEvT1_.has_indirect_call, 0
	.section	.AMDGPU.csdata,"",@progbits
; Kernel info:
; codeLenInByte = 0
; TotalNumSgprs: 0
; NumVgprs: 0
; ScratchSize: 0
; MemoryBound: 0
; FloatMode: 240
; IeeeMode: 1
; LDSByteSize: 0 bytes/workgroup (compile time only)
; SGPRBlocks: 0
; VGPRBlocks: 0
; NumSGPRsForWavesPerEU: 1
; NumVGPRsForWavesPerEU: 1
; Occupancy: 16
; WaveLimiterHint : 0
; COMPUTE_PGM_RSRC2:SCRATCH_EN: 0
; COMPUTE_PGM_RSRC2:USER_SGPR: 2
; COMPUTE_PGM_RSRC2:TRAP_HANDLER: 0
; COMPUTE_PGM_RSRC2:TGID_X_EN: 1
; COMPUTE_PGM_RSRC2:TGID_Y_EN: 0
; COMPUTE_PGM_RSRC2:TGID_Z_EN: 0
; COMPUTE_PGM_RSRC2:TIDIG_COMP_CNT: 0
	.section	.text._ZN7rocprim17ROCPRIM_400000_NS6detail17trampoline_kernelINS0_14default_configENS1_25partition_config_selectorILNS1_17partition_subalgoE5ElNS0_10empty_typeEbEEZZNS1_14partition_implILS5_5ELb0ES3_mN6hipcub16HIPCUB_304000_NS21CountingInputIteratorIllEEPS6_NSA_22TransformInputIteratorIbN2at6native12_GLOBAL__N_19NonZeroOpIhEEPKhlEENS0_5tupleIJPlS6_EEENSN_IJSD_SD_EEES6_PiJS6_EEE10hipError_tPvRmT3_T4_T5_T6_T7_T9_mT8_P12ihipStream_tbDpT10_ENKUlT_T0_E_clISt17integral_constantIbLb1EES1B_EEDaS16_S17_EUlS16_E_NS1_11comp_targetILNS1_3genE4ELNS1_11target_archE910ELNS1_3gpuE8ELNS1_3repE0EEENS1_30default_config_static_selectorELNS0_4arch9wavefront6targetE0EEEvT1_,"axG",@progbits,_ZN7rocprim17ROCPRIM_400000_NS6detail17trampoline_kernelINS0_14default_configENS1_25partition_config_selectorILNS1_17partition_subalgoE5ElNS0_10empty_typeEbEEZZNS1_14partition_implILS5_5ELb0ES3_mN6hipcub16HIPCUB_304000_NS21CountingInputIteratorIllEEPS6_NSA_22TransformInputIteratorIbN2at6native12_GLOBAL__N_19NonZeroOpIhEEPKhlEENS0_5tupleIJPlS6_EEENSN_IJSD_SD_EEES6_PiJS6_EEE10hipError_tPvRmT3_T4_T5_T6_T7_T9_mT8_P12ihipStream_tbDpT10_ENKUlT_T0_E_clISt17integral_constantIbLb1EES1B_EEDaS16_S17_EUlS16_E_NS1_11comp_targetILNS1_3genE4ELNS1_11target_archE910ELNS1_3gpuE8ELNS1_3repE0EEENS1_30default_config_static_selectorELNS0_4arch9wavefront6targetE0EEEvT1_,comdat
	.globl	_ZN7rocprim17ROCPRIM_400000_NS6detail17trampoline_kernelINS0_14default_configENS1_25partition_config_selectorILNS1_17partition_subalgoE5ElNS0_10empty_typeEbEEZZNS1_14partition_implILS5_5ELb0ES3_mN6hipcub16HIPCUB_304000_NS21CountingInputIteratorIllEEPS6_NSA_22TransformInputIteratorIbN2at6native12_GLOBAL__N_19NonZeroOpIhEEPKhlEENS0_5tupleIJPlS6_EEENSN_IJSD_SD_EEES6_PiJS6_EEE10hipError_tPvRmT3_T4_T5_T6_T7_T9_mT8_P12ihipStream_tbDpT10_ENKUlT_T0_E_clISt17integral_constantIbLb1EES1B_EEDaS16_S17_EUlS16_E_NS1_11comp_targetILNS1_3genE4ELNS1_11target_archE910ELNS1_3gpuE8ELNS1_3repE0EEENS1_30default_config_static_selectorELNS0_4arch9wavefront6targetE0EEEvT1_ ; -- Begin function _ZN7rocprim17ROCPRIM_400000_NS6detail17trampoline_kernelINS0_14default_configENS1_25partition_config_selectorILNS1_17partition_subalgoE5ElNS0_10empty_typeEbEEZZNS1_14partition_implILS5_5ELb0ES3_mN6hipcub16HIPCUB_304000_NS21CountingInputIteratorIllEEPS6_NSA_22TransformInputIteratorIbN2at6native12_GLOBAL__N_19NonZeroOpIhEEPKhlEENS0_5tupleIJPlS6_EEENSN_IJSD_SD_EEES6_PiJS6_EEE10hipError_tPvRmT3_T4_T5_T6_T7_T9_mT8_P12ihipStream_tbDpT10_ENKUlT_T0_E_clISt17integral_constantIbLb1EES1B_EEDaS16_S17_EUlS16_E_NS1_11comp_targetILNS1_3genE4ELNS1_11target_archE910ELNS1_3gpuE8ELNS1_3repE0EEENS1_30default_config_static_selectorELNS0_4arch9wavefront6targetE0EEEvT1_
	.p2align	8
	.type	_ZN7rocprim17ROCPRIM_400000_NS6detail17trampoline_kernelINS0_14default_configENS1_25partition_config_selectorILNS1_17partition_subalgoE5ElNS0_10empty_typeEbEEZZNS1_14partition_implILS5_5ELb0ES3_mN6hipcub16HIPCUB_304000_NS21CountingInputIteratorIllEEPS6_NSA_22TransformInputIteratorIbN2at6native12_GLOBAL__N_19NonZeroOpIhEEPKhlEENS0_5tupleIJPlS6_EEENSN_IJSD_SD_EEES6_PiJS6_EEE10hipError_tPvRmT3_T4_T5_T6_T7_T9_mT8_P12ihipStream_tbDpT10_ENKUlT_T0_E_clISt17integral_constantIbLb1EES1B_EEDaS16_S17_EUlS16_E_NS1_11comp_targetILNS1_3genE4ELNS1_11target_archE910ELNS1_3gpuE8ELNS1_3repE0EEENS1_30default_config_static_selectorELNS0_4arch9wavefront6targetE0EEEvT1_,@function
_ZN7rocprim17ROCPRIM_400000_NS6detail17trampoline_kernelINS0_14default_configENS1_25partition_config_selectorILNS1_17partition_subalgoE5ElNS0_10empty_typeEbEEZZNS1_14partition_implILS5_5ELb0ES3_mN6hipcub16HIPCUB_304000_NS21CountingInputIteratorIllEEPS6_NSA_22TransformInputIteratorIbN2at6native12_GLOBAL__N_19NonZeroOpIhEEPKhlEENS0_5tupleIJPlS6_EEENSN_IJSD_SD_EEES6_PiJS6_EEE10hipError_tPvRmT3_T4_T5_T6_T7_T9_mT8_P12ihipStream_tbDpT10_ENKUlT_T0_E_clISt17integral_constantIbLb1EES1B_EEDaS16_S17_EUlS16_E_NS1_11comp_targetILNS1_3genE4ELNS1_11target_archE910ELNS1_3gpuE8ELNS1_3repE0EEENS1_30default_config_static_selectorELNS0_4arch9wavefront6targetE0EEEvT1_: ; @_ZN7rocprim17ROCPRIM_400000_NS6detail17trampoline_kernelINS0_14default_configENS1_25partition_config_selectorILNS1_17partition_subalgoE5ElNS0_10empty_typeEbEEZZNS1_14partition_implILS5_5ELb0ES3_mN6hipcub16HIPCUB_304000_NS21CountingInputIteratorIllEEPS6_NSA_22TransformInputIteratorIbN2at6native12_GLOBAL__N_19NonZeroOpIhEEPKhlEENS0_5tupleIJPlS6_EEENSN_IJSD_SD_EEES6_PiJS6_EEE10hipError_tPvRmT3_T4_T5_T6_T7_T9_mT8_P12ihipStream_tbDpT10_ENKUlT_T0_E_clISt17integral_constantIbLb1EES1B_EEDaS16_S17_EUlS16_E_NS1_11comp_targetILNS1_3genE4ELNS1_11target_archE910ELNS1_3gpuE8ELNS1_3repE0EEENS1_30default_config_static_selectorELNS0_4arch9wavefront6targetE0EEEvT1_
; %bb.0:
	.section	.rodata,"a",@progbits
	.p2align	6, 0x0
	.amdhsa_kernel _ZN7rocprim17ROCPRIM_400000_NS6detail17trampoline_kernelINS0_14default_configENS1_25partition_config_selectorILNS1_17partition_subalgoE5ElNS0_10empty_typeEbEEZZNS1_14partition_implILS5_5ELb0ES3_mN6hipcub16HIPCUB_304000_NS21CountingInputIteratorIllEEPS6_NSA_22TransformInputIteratorIbN2at6native12_GLOBAL__N_19NonZeroOpIhEEPKhlEENS0_5tupleIJPlS6_EEENSN_IJSD_SD_EEES6_PiJS6_EEE10hipError_tPvRmT3_T4_T5_T6_T7_T9_mT8_P12ihipStream_tbDpT10_ENKUlT_T0_E_clISt17integral_constantIbLb1EES1B_EEDaS16_S17_EUlS16_E_NS1_11comp_targetILNS1_3genE4ELNS1_11target_archE910ELNS1_3gpuE8ELNS1_3repE0EEENS1_30default_config_static_selectorELNS0_4arch9wavefront6targetE0EEEvT1_
		.amdhsa_group_segment_fixed_size 0
		.amdhsa_private_segment_fixed_size 0
		.amdhsa_kernarg_size 136
		.amdhsa_user_sgpr_count 2
		.amdhsa_user_sgpr_dispatch_ptr 0
		.amdhsa_user_sgpr_queue_ptr 0
		.amdhsa_user_sgpr_kernarg_segment_ptr 1
		.amdhsa_user_sgpr_dispatch_id 0
		.amdhsa_user_sgpr_private_segment_size 0
		.amdhsa_wavefront_size32 1
		.amdhsa_uses_dynamic_stack 0
		.amdhsa_enable_private_segment 0
		.amdhsa_system_sgpr_workgroup_id_x 1
		.amdhsa_system_sgpr_workgroup_id_y 0
		.amdhsa_system_sgpr_workgroup_id_z 0
		.amdhsa_system_sgpr_workgroup_info 0
		.amdhsa_system_vgpr_workitem_id 0
		.amdhsa_next_free_vgpr 1
		.amdhsa_next_free_sgpr 1
		.amdhsa_reserve_vcc 0
		.amdhsa_float_round_mode_32 0
		.amdhsa_float_round_mode_16_64 0
		.amdhsa_float_denorm_mode_32 3
		.amdhsa_float_denorm_mode_16_64 3
		.amdhsa_fp16_overflow 0
		.amdhsa_workgroup_processor_mode 1
		.amdhsa_memory_ordered 1
		.amdhsa_forward_progress 1
		.amdhsa_inst_pref_size 0
		.amdhsa_round_robin_scheduling 0
		.amdhsa_exception_fp_ieee_invalid_op 0
		.amdhsa_exception_fp_denorm_src 0
		.amdhsa_exception_fp_ieee_div_zero 0
		.amdhsa_exception_fp_ieee_overflow 0
		.amdhsa_exception_fp_ieee_underflow 0
		.amdhsa_exception_fp_ieee_inexact 0
		.amdhsa_exception_int_div_zero 0
	.end_amdhsa_kernel
	.section	.text._ZN7rocprim17ROCPRIM_400000_NS6detail17trampoline_kernelINS0_14default_configENS1_25partition_config_selectorILNS1_17partition_subalgoE5ElNS0_10empty_typeEbEEZZNS1_14partition_implILS5_5ELb0ES3_mN6hipcub16HIPCUB_304000_NS21CountingInputIteratorIllEEPS6_NSA_22TransformInputIteratorIbN2at6native12_GLOBAL__N_19NonZeroOpIhEEPKhlEENS0_5tupleIJPlS6_EEENSN_IJSD_SD_EEES6_PiJS6_EEE10hipError_tPvRmT3_T4_T5_T6_T7_T9_mT8_P12ihipStream_tbDpT10_ENKUlT_T0_E_clISt17integral_constantIbLb1EES1B_EEDaS16_S17_EUlS16_E_NS1_11comp_targetILNS1_3genE4ELNS1_11target_archE910ELNS1_3gpuE8ELNS1_3repE0EEENS1_30default_config_static_selectorELNS0_4arch9wavefront6targetE0EEEvT1_,"axG",@progbits,_ZN7rocprim17ROCPRIM_400000_NS6detail17trampoline_kernelINS0_14default_configENS1_25partition_config_selectorILNS1_17partition_subalgoE5ElNS0_10empty_typeEbEEZZNS1_14partition_implILS5_5ELb0ES3_mN6hipcub16HIPCUB_304000_NS21CountingInputIteratorIllEEPS6_NSA_22TransformInputIteratorIbN2at6native12_GLOBAL__N_19NonZeroOpIhEEPKhlEENS0_5tupleIJPlS6_EEENSN_IJSD_SD_EEES6_PiJS6_EEE10hipError_tPvRmT3_T4_T5_T6_T7_T9_mT8_P12ihipStream_tbDpT10_ENKUlT_T0_E_clISt17integral_constantIbLb1EES1B_EEDaS16_S17_EUlS16_E_NS1_11comp_targetILNS1_3genE4ELNS1_11target_archE910ELNS1_3gpuE8ELNS1_3repE0EEENS1_30default_config_static_selectorELNS0_4arch9wavefront6targetE0EEEvT1_,comdat
.Lfunc_end57:
	.size	_ZN7rocprim17ROCPRIM_400000_NS6detail17trampoline_kernelINS0_14default_configENS1_25partition_config_selectorILNS1_17partition_subalgoE5ElNS0_10empty_typeEbEEZZNS1_14partition_implILS5_5ELb0ES3_mN6hipcub16HIPCUB_304000_NS21CountingInputIteratorIllEEPS6_NSA_22TransformInputIteratorIbN2at6native12_GLOBAL__N_19NonZeroOpIhEEPKhlEENS0_5tupleIJPlS6_EEENSN_IJSD_SD_EEES6_PiJS6_EEE10hipError_tPvRmT3_T4_T5_T6_T7_T9_mT8_P12ihipStream_tbDpT10_ENKUlT_T0_E_clISt17integral_constantIbLb1EES1B_EEDaS16_S17_EUlS16_E_NS1_11comp_targetILNS1_3genE4ELNS1_11target_archE910ELNS1_3gpuE8ELNS1_3repE0EEENS1_30default_config_static_selectorELNS0_4arch9wavefront6targetE0EEEvT1_, .Lfunc_end57-_ZN7rocprim17ROCPRIM_400000_NS6detail17trampoline_kernelINS0_14default_configENS1_25partition_config_selectorILNS1_17partition_subalgoE5ElNS0_10empty_typeEbEEZZNS1_14partition_implILS5_5ELb0ES3_mN6hipcub16HIPCUB_304000_NS21CountingInputIteratorIllEEPS6_NSA_22TransformInputIteratorIbN2at6native12_GLOBAL__N_19NonZeroOpIhEEPKhlEENS0_5tupleIJPlS6_EEENSN_IJSD_SD_EEES6_PiJS6_EEE10hipError_tPvRmT3_T4_T5_T6_T7_T9_mT8_P12ihipStream_tbDpT10_ENKUlT_T0_E_clISt17integral_constantIbLb1EES1B_EEDaS16_S17_EUlS16_E_NS1_11comp_targetILNS1_3genE4ELNS1_11target_archE910ELNS1_3gpuE8ELNS1_3repE0EEENS1_30default_config_static_selectorELNS0_4arch9wavefront6targetE0EEEvT1_
                                        ; -- End function
	.set _ZN7rocprim17ROCPRIM_400000_NS6detail17trampoline_kernelINS0_14default_configENS1_25partition_config_selectorILNS1_17partition_subalgoE5ElNS0_10empty_typeEbEEZZNS1_14partition_implILS5_5ELb0ES3_mN6hipcub16HIPCUB_304000_NS21CountingInputIteratorIllEEPS6_NSA_22TransformInputIteratorIbN2at6native12_GLOBAL__N_19NonZeroOpIhEEPKhlEENS0_5tupleIJPlS6_EEENSN_IJSD_SD_EEES6_PiJS6_EEE10hipError_tPvRmT3_T4_T5_T6_T7_T9_mT8_P12ihipStream_tbDpT10_ENKUlT_T0_E_clISt17integral_constantIbLb1EES1B_EEDaS16_S17_EUlS16_E_NS1_11comp_targetILNS1_3genE4ELNS1_11target_archE910ELNS1_3gpuE8ELNS1_3repE0EEENS1_30default_config_static_selectorELNS0_4arch9wavefront6targetE0EEEvT1_.num_vgpr, 0
	.set _ZN7rocprim17ROCPRIM_400000_NS6detail17trampoline_kernelINS0_14default_configENS1_25partition_config_selectorILNS1_17partition_subalgoE5ElNS0_10empty_typeEbEEZZNS1_14partition_implILS5_5ELb0ES3_mN6hipcub16HIPCUB_304000_NS21CountingInputIteratorIllEEPS6_NSA_22TransformInputIteratorIbN2at6native12_GLOBAL__N_19NonZeroOpIhEEPKhlEENS0_5tupleIJPlS6_EEENSN_IJSD_SD_EEES6_PiJS6_EEE10hipError_tPvRmT3_T4_T5_T6_T7_T9_mT8_P12ihipStream_tbDpT10_ENKUlT_T0_E_clISt17integral_constantIbLb1EES1B_EEDaS16_S17_EUlS16_E_NS1_11comp_targetILNS1_3genE4ELNS1_11target_archE910ELNS1_3gpuE8ELNS1_3repE0EEENS1_30default_config_static_selectorELNS0_4arch9wavefront6targetE0EEEvT1_.num_agpr, 0
	.set _ZN7rocprim17ROCPRIM_400000_NS6detail17trampoline_kernelINS0_14default_configENS1_25partition_config_selectorILNS1_17partition_subalgoE5ElNS0_10empty_typeEbEEZZNS1_14partition_implILS5_5ELb0ES3_mN6hipcub16HIPCUB_304000_NS21CountingInputIteratorIllEEPS6_NSA_22TransformInputIteratorIbN2at6native12_GLOBAL__N_19NonZeroOpIhEEPKhlEENS0_5tupleIJPlS6_EEENSN_IJSD_SD_EEES6_PiJS6_EEE10hipError_tPvRmT3_T4_T5_T6_T7_T9_mT8_P12ihipStream_tbDpT10_ENKUlT_T0_E_clISt17integral_constantIbLb1EES1B_EEDaS16_S17_EUlS16_E_NS1_11comp_targetILNS1_3genE4ELNS1_11target_archE910ELNS1_3gpuE8ELNS1_3repE0EEENS1_30default_config_static_selectorELNS0_4arch9wavefront6targetE0EEEvT1_.numbered_sgpr, 0
	.set _ZN7rocprim17ROCPRIM_400000_NS6detail17trampoline_kernelINS0_14default_configENS1_25partition_config_selectorILNS1_17partition_subalgoE5ElNS0_10empty_typeEbEEZZNS1_14partition_implILS5_5ELb0ES3_mN6hipcub16HIPCUB_304000_NS21CountingInputIteratorIllEEPS6_NSA_22TransformInputIteratorIbN2at6native12_GLOBAL__N_19NonZeroOpIhEEPKhlEENS0_5tupleIJPlS6_EEENSN_IJSD_SD_EEES6_PiJS6_EEE10hipError_tPvRmT3_T4_T5_T6_T7_T9_mT8_P12ihipStream_tbDpT10_ENKUlT_T0_E_clISt17integral_constantIbLb1EES1B_EEDaS16_S17_EUlS16_E_NS1_11comp_targetILNS1_3genE4ELNS1_11target_archE910ELNS1_3gpuE8ELNS1_3repE0EEENS1_30default_config_static_selectorELNS0_4arch9wavefront6targetE0EEEvT1_.num_named_barrier, 0
	.set _ZN7rocprim17ROCPRIM_400000_NS6detail17trampoline_kernelINS0_14default_configENS1_25partition_config_selectorILNS1_17partition_subalgoE5ElNS0_10empty_typeEbEEZZNS1_14partition_implILS5_5ELb0ES3_mN6hipcub16HIPCUB_304000_NS21CountingInputIteratorIllEEPS6_NSA_22TransformInputIteratorIbN2at6native12_GLOBAL__N_19NonZeroOpIhEEPKhlEENS0_5tupleIJPlS6_EEENSN_IJSD_SD_EEES6_PiJS6_EEE10hipError_tPvRmT3_T4_T5_T6_T7_T9_mT8_P12ihipStream_tbDpT10_ENKUlT_T0_E_clISt17integral_constantIbLb1EES1B_EEDaS16_S17_EUlS16_E_NS1_11comp_targetILNS1_3genE4ELNS1_11target_archE910ELNS1_3gpuE8ELNS1_3repE0EEENS1_30default_config_static_selectorELNS0_4arch9wavefront6targetE0EEEvT1_.private_seg_size, 0
	.set _ZN7rocprim17ROCPRIM_400000_NS6detail17trampoline_kernelINS0_14default_configENS1_25partition_config_selectorILNS1_17partition_subalgoE5ElNS0_10empty_typeEbEEZZNS1_14partition_implILS5_5ELb0ES3_mN6hipcub16HIPCUB_304000_NS21CountingInputIteratorIllEEPS6_NSA_22TransformInputIteratorIbN2at6native12_GLOBAL__N_19NonZeroOpIhEEPKhlEENS0_5tupleIJPlS6_EEENSN_IJSD_SD_EEES6_PiJS6_EEE10hipError_tPvRmT3_T4_T5_T6_T7_T9_mT8_P12ihipStream_tbDpT10_ENKUlT_T0_E_clISt17integral_constantIbLb1EES1B_EEDaS16_S17_EUlS16_E_NS1_11comp_targetILNS1_3genE4ELNS1_11target_archE910ELNS1_3gpuE8ELNS1_3repE0EEENS1_30default_config_static_selectorELNS0_4arch9wavefront6targetE0EEEvT1_.uses_vcc, 0
	.set _ZN7rocprim17ROCPRIM_400000_NS6detail17trampoline_kernelINS0_14default_configENS1_25partition_config_selectorILNS1_17partition_subalgoE5ElNS0_10empty_typeEbEEZZNS1_14partition_implILS5_5ELb0ES3_mN6hipcub16HIPCUB_304000_NS21CountingInputIteratorIllEEPS6_NSA_22TransformInputIteratorIbN2at6native12_GLOBAL__N_19NonZeroOpIhEEPKhlEENS0_5tupleIJPlS6_EEENSN_IJSD_SD_EEES6_PiJS6_EEE10hipError_tPvRmT3_T4_T5_T6_T7_T9_mT8_P12ihipStream_tbDpT10_ENKUlT_T0_E_clISt17integral_constantIbLb1EES1B_EEDaS16_S17_EUlS16_E_NS1_11comp_targetILNS1_3genE4ELNS1_11target_archE910ELNS1_3gpuE8ELNS1_3repE0EEENS1_30default_config_static_selectorELNS0_4arch9wavefront6targetE0EEEvT1_.uses_flat_scratch, 0
	.set _ZN7rocprim17ROCPRIM_400000_NS6detail17trampoline_kernelINS0_14default_configENS1_25partition_config_selectorILNS1_17partition_subalgoE5ElNS0_10empty_typeEbEEZZNS1_14partition_implILS5_5ELb0ES3_mN6hipcub16HIPCUB_304000_NS21CountingInputIteratorIllEEPS6_NSA_22TransformInputIteratorIbN2at6native12_GLOBAL__N_19NonZeroOpIhEEPKhlEENS0_5tupleIJPlS6_EEENSN_IJSD_SD_EEES6_PiJS6_EEE10hipError_tPvRmT3_T4_T5_T6_T7_T9_mT8_P12ihipStream_tbDpT10_ENKUlT_T0_E_clISt17integral_constantIbLb1EES1B_EEDaS16_S17_EUlS16_E_NS1_11comp_targetILNS1_3genE4ELNS1_11target_archE910ELNS1_3gpuE8ELNS1_3repE0EEENS1_30default_config_static_selectorELNS0_4arch9wavefront6targetE0EEEvT1_.has_dyn_sized_stack, 0
	.set _ZN7rocprim17ROCPRIM_400000_NS6detail17trampoline_kernelINS0_14default_configENS1_25partition_config_selectorILNS1_17partition_subalgoE5ElNS0_10empty_typeEbEEZZNS1_14partition_implILS5_5ELb0ES3_mN6hipcub16HIPCUB_304000_NS21CountingInputIteratorIllEEPS6_NSA_22TransformInputIteratorIbN2at6native12_GLOBAL__N_19NonZeroOpIhEEPKhlEENS0_5tupleIJPlS6_EEENSN_IJSD_SD_EEES6_PiJS6_EEE10hipError_tPvRmT3_T4_T5_T6_T7_T9_mT8_P12ihipStream_tbDpT10_ENKUlT_T0_E_clISt17integral_constantIbLb1EES1B_EEDaS16_S17_EUlS16_E_NS1_11comp_targetILNS1_3genE4ELNS1_11target_archE910ELNS1_3gpuE8ELNS1_3repE0EEENS1_30default_config_static_selectorELNS0_4arch9wavefront6targetE0EEEvT1_.has_recursion, 0
	.set _ZN7rocprim17ROCPRIM_400000_NS6detail17trampoline_kernelINS0_14default_configENS1_25partition_config_selectorILNS1_17partition_subalgoE5ElNS0_10empty_typeEbEEZZNS1_14partition_implILS5_5ELb0ES3_mN6hipcub16HIPCUB_304000_NS21CountingInputIteratorIllEEPS6_NSA_22TransformInputIteratorIbN2at6native12_GLOBAL__N_19NonZeroOpIhEEPKhlEENS0_5tupleIJPlS6_EEENSN_IJSD_SD_EEES6_PiJS6_EEE10hipError_tPvRmT3_T4_T5_T6_T7_T9_mT8_P12ihipStream_tbDpT10_ENKUlT_T0_E_clISt17integral_constantIbLb1EES1B_EEDaS16_S17_EUlS16_E_NS1_11comp_targetILNS1_3genE4ELNS1_11target_archE910ELNS1_3gpuE8ELNS1_3repE0EEENS1_30default_config_static_selectorELNS0_4arch9wavefront6targetE0EEEvT1_.has_indirect_call, 0
	.section	.AMDGPU.csdata,"",@progbits
; Kernel info:
; codeLenInByte = 0
; TotalNumSgprs: 0
; NumVgprs: 0
; ScratchSize: 0
; MemoryBound: 0
; FloatMode: 240
; IeeeMode: 1
; LDSByteSize: 0 bytes/workgroup (compile time only)
; SGPRBlocks: 0
; VGPRBlocks: 0
; NumSGPRsForWavesPerEU: 1
; NumVGPRsForWavesPerEU: 1
; Occupancy: 16
; WaveLimiterHint : 0
; COMPUTE_PGM_RSRC2:SCRATCH_EN: 0
; COMPUTE_PGM_RSRC2:USER_SGPR: 2
; COMPUTE_PGM_RSRC2:TRAP_HANDLER: 0
; COMPUTE_PGM_RSRC2:TGID_X_EN: 1
; COMPUTE_PGM_RSRC2:TGID_Y_EN: 0
; COMPUTE_PGM_RSRC2:TGID_Z_EN: 0
; COMPUTE_PGM_RSRC2:TIDIG_COMP_CNT: 0
	.section	.text._ZN7rocprim17ROCPRIM_400000_NS6detail17trampoline_kernelINS0_14default_configENS1_25partition_config_selectorILNS1_17partition_subalgoE5ElNS0_10empty_typeEbEEZZNS1_14partition_implILS5_5ELb0ES3_mN6hipcub16HIPCUB_304000_NS21CountingInputIteratorIllEEPS6_NSA_22TransformInputIteratorIbN2at6native12_GLOBAL__N_19NonZeroOpIhEEPKhlEENS0_5tupleIJPlS6_EEENSN_IJSD_SD_EEES6_PiJS6_EEE10hipError_tPvRmT3_T4_T5_T6_T7_T9_mT8_P12ihipStream_tbDpT10_ENKUlT_T0_E_clISt17integral_constantIbLb1EES1B_EEDaS16_S17_EUlS16_E_NS1_11comp_targetILNS1_3genE3ELNS1_11target_archE908ELNS1_3gpuE7ELNS1_3repE0EEENS1_30default_config_static_selectorELNS0_4arch9wavefront6targetE0EEEvT1_,"axG",@progbits,_ZN7rocprim17ROCPRIM_400000_NS6detail17trampoline_kernelINS0_14default_configENS1_25partition_config_selectorILNS1_17partition_subalgoE5ElNS0_10empty_typeEbEEZZNS1_14partition_implILS5_5ELb0ES3_mN6hipcub16HIPCUB_304000_NS21CountingInputIteratorIllEEPS6_NSA_22TransformInputIteratorIbN2at6native12_GLOBAL__N_19NonZeroOpIhEEPKhlEENS0_5tupleIJPlS6_EEENSN_IJSD_SD_EEES6_PiJS6_EEE10hipError_tPvRmT3_T4_T5_T6_T7_T9_mT8_P12ihipStream_tbDpT10_ENKUlT_T0_E_clISt17integral_constantIbLb1EES1B_EEDaS16_S17_EUlS16_E_NS1_11comp_targetILNS1_3genE3ELNS1_11target_archE908ELNS1_3gpuE7ELNS1_3repE0EEENS1_30default_config_static_selectorELNS0_4arch9wavefront6targetE0EEEvT1_,comdat
	.globl	_ZN7rocprim17ROCPRIM_400000_NS6detail17trampoline_kernelINS0_14default_configENS1_25partition_config_selectorILNS1_17partition_subalgoE5ElNS0_10empty_typeEbEEZZNS1_14partition_implILS5_5ELb0ES3_mN6hipcub16HIPCUB_304000_NS21CountingInputIteratorIllEEPS6_NSA_22TransformInputIteratorIbN2at6native12_GLOBAL__N_19NonZeroOpIhEEPKhlEENS0_5tupleIJPlS6_EEENSN_IJSD_SD_EEES6_PiJS6_EEE10hipError_tPvRmT3_T4_T5_T6_T7_T9_mT8_P12ihipStream_tbDpT10_ENKUlT_T0_E_clISt17integral_constantIbLb1EES1B_EEDaS16_S17_EUlS16_E_NS1_11comp_targetILNS1_3genE3ELNS1_11target_archE908ELNS1_3gpuE7ELNS1_3repE0EEENS1_30default_config_static_selectorELNS0_4arch9wavefront6targetE0EEEvT1_ ; -- Begin function _ZN7rocprim17ROCPRIM_400000_NS6detail17trampoline_kernelINS0_14default_configENS1_25partition_config_selectorILNS1_17partition_subalgoE5ElNS0_10empty_typeEbEEZZNS1_14partition_implILS5_5ELb0ES3_mN6hipcub16HIPCUB_304000_NS21CountingInputIteratorIllEEPS6_NSA_22TransformInputIteratorIbN2at6native12_GLOBAL__N_19NonZeroOpIhEEPKhlEENS0_5tupleIJPlS6_EEENSN_IJSD_SD_EEES6_PiJS6_EEE10hipError_tPvRmT3_T4_T5_T6_T7_T9_mT8_P12ihipStream_tbDpT10_ENKUlT_T0_E_clISt17integral_constantIbLb1EES1B_EEDaS16_S17_EUlS16_E_NS1_11comp_targetILNS1_3genE3ELNS1_11target_archE908ELNS1_3gpuE7ELNS1_3repE0EEENS1_30default_config_static_selectorELNS0_4arch9wavefront6targetE0EEEvT1_
	.p2align	8
	.type	_ZN7rocprim17ROCPRIM_400000_NS6detail17trampoline_kernelINS0_14default_configENS1_25partition_config_selectorILNS1_17partition_subalgoE5ElNS0_10empty_typeEbEEZZNS1_14partition_implILS5_5ELb0ES3_mN6hipcub16HIPCUB_304000_NS21CountingInputIteratorIllEEPS6_NSA_22TransformInputIteratorIbN2at6native12_GLOBAL__N_19NonZeroOpIhEEPKhlEENS0_5tupleIJPlS6_EEENSN_IJSD_SD_EEES6_PiJS6_EEE10hipError_tPvRmT3_T4_T5_T6_T7_T9_mT8_P12ihipStream_tbDpT10_ENKUlT_T0_E_clISt17integral_constantIbLb1EES1B_EEDaS16_S17_EUlS16_E_NS1_11comp_targetILNS1_3genE3ELNS1_11target_archE908ELNS1_3gpuE7ELNS1_3repE0EEENS1_30default_config_static_selectorELNS0_4arch9wavefront6targetE0EEEvT1_,@function
_ZN7rocprim17ROCPRIM_400000_NS6detail17trampoline_kernelINS0_14default_configENS1_25partition_config_selectorILNS1_17partition_subalgoE5ElNS0_10empty_typeEbEEZZNS1_14partition_implILS5_5ELb0ES3_mN6hipcub16HIPCUB_304000_NS21CountingInputIteratorIllEEPS6_NSA_22TransformInputIteratorIbN2at6native12_GLOBAL__N_19NonZeroOpIhEEPKhlEENS0_5tupleIJPlS6_EEENSN_IJSD_SD_EEES6_PiJS6_EEE10hipError_tPvRmT3_T4_T5_T6_T7_T9_mT8_P12ihipStream_tbDpT10_ENKUlT_T0_E_clISt17integral_constantIbLb1EES1B_EEDaS16_S17_EUlS16_E_NS1_11comp_targetILNS1_3genE3ELNS1_11target_archE908ELNS1_3gpuE7ELNS1_3repE0EEENS1_30default_config_static_selectorELNS0_4arch9wavefront6targetE0EEEvT1_: ; @_ZN7rocprim17ROCPRIM_400000_NS6detail17trampoline_kernelINS0_14default_configENS1_25partition_config_selectorILNS1_17partition_subalgoE5ElNS0_10empty_typeEbEEZZNS1_14partition_implILS5_5ELb0ES3_mN6hipcub16HIPCUB_304000_NS21CountingInputIteratorIllEEPS6_NSA_22TransformInputIteratorIbN2at6native12_GLOBAL__N_19NonZeroOpIhEEPKhlEENS0_5tupleIJPlS6_EEENSN_IJSD_SD_EEES6_PiJS6_EEE10hipError_tPvRmT3_T4_T5_T6_T7_T9_mT8_P12ihipStream_tbDpT10_ENKUlT_T0_E_clISt17integral_constantIbLb1EES1B_EEDaS16_S17_EUlS16_E_NS1_11comp_targetILNS1_3genE3ELNS1_11target_archE908ELNS1_3gpuE7ELNS1_3repE0EEENS1_30default_config_static_selectorELNS0_4arch9wavefront6targetE0EEEvT1_
; %bb.0:
	.section	.rodata,"a",@progbits
	.p2align	6, 0x0
	.amdhsa_kernel _ZN7rocprim17ROCPRIM_400000_NS6detail17trampoline_kernelINS0_14default_configENS1_25partition_config_selectorILNS1_17partition_subalgoE5ElNS0_10empty_typeEbEEZZNS1_14partition_implILS5_5ELb0ES3_mN6hipcub16HIPCUB_304000_NS21CountingInputIteratorIllEEPS6_NSA_22TransformInputIteratorIbN2at6native12_GLOBAL__N_19NonZeroOpIhEEPKhlEENS0_5tupleIJPlS6_EEENSN_IJSD_SD_EEES6_PiJS6_EEE10hipError_tPvRmT3_T4_T5_T6_T7_T9_mT8_P12ihipStream_tbDpT10_ENKUlT_T0_E_clISt17integral_constantIbLb1EES1B_EEDaS16_S17_EUlS16_E_NS1_11comp_targetILNS1_3genE3ELNS1_11target_archE908ELNS1_3gpuE7ELNS1_3repE0EEENS1_30default_config_static_selectorELNS0_4arch9wavefront6targetE0EEEvT1_
		.amdhsa_group_segment_fixed_size 0
		.amdhsa_private_segment_fixed_size 0
		.amdhsa_kernarg_size 136
		.amdhsa_user_sgpr_count 2
		.amdhsa_user_sgpr_dispatch_ptr 0
		.amdhsa_user_sgpr_queue_ptr 0
		.amdhsa_user_sgpr_kernarg_segment_ptr 1
		.amdhsa_user_sgpr_dispatch_id 0
		.amdhsa_user_sgpr_private_segment_size 0
		.amdhsa_wavefront_size32 1
		.amdhsa_uses_dynamic_stack 0
		.amdhsa_enable_private_segment 0
		.amdhsa_system_sgpr_workgroup_id_x 1
		.amdhsa_system_sgpr_workgroup_id_y 0
		.amdhsa_system_sgpr_workgroup_id_z 0
		.amdhsa_system_sgpr_workgroup_info 0
		.amdhsa_system_vgpr_workitem_id 0
		.amdhsa_next_free_vgpr 1
		.amdhsa_next_free_sgpr 1
		.amdhsa_reserve_vcc 0
		.amdhsa_float_round_mode_32 0
		.amdhsa_float_round_mode_16_64 0
		.amdhsa_float_denorm_mode_32 3
		.amdhsa_float_denorm_mode_16_64 3
		.amdhsa_fp16_overflow 0
		.amdhsa_workgroup_processor_mode 1
		.amdhsa_memory_ordered 1
		.amdhsa_forward_progress 1
		.amdhsa_inst_pref_size 0
		.amdhsa_round_robin_scheduling 0
		.amdhsa_exception_fp_ieee_invalid_op 0
		.amdhsa_exception_fp_denorm_src 0
		.amdhsa_exception_fp_ieee_div_zero 0
		.amdhsa_exception_fp_ieee_overflow 0
		.amdhsa_exception_fp_ieee_underflow 0
		.amdhsa_exception_fp_ieee_inexact 0
		.amdhsa_exception_int_div_zero 0
	.end_amdhsa_kernel
	.section	.text._ZN7rocprim17ROCPRIM_400000_NS6detail17trampoline_kernelINS0_14default_configENS1_25partition_config_selectorILNS1_17partition_subalgoE5ElNS0_10empty_typeEbEEZZNS1_14partition_implILS5_5ELb0ES3_mN6hipcub16HIPCUB_304000_NS21CountingInputIteratorIllEEPS6_NSA_22TransformInputIteratorIbN2at6native12_GLOBAL__N_19NonZeroOpIhEEPKhlEENS0_5tupleIJPlS6_EEENSN_IJSD_SD_EEES6_PiJS6_EEE10hipError_tPvRmT3_T4_T5_T6_T7_T9_mT8_P12ihipStream_tbDpT10_ENKUlT_T0_E_clISt17integral_constantIbLb1EES1B_EEDaS16_S17_EUlS16_E_NS1_11comp_targetILNS1_3genE3ELNS1_11target_archE908ELNS1_3gpuE7ELNS1_3repE0EEENS1_30default_config_static_selectorELNS0_4arch9wavefront6targetE0EEEvT1_,"axG",@progbits,_ZN7rocprim17ROCPRIM_400000_NS6detail17trampoline_kernelINS0_14default_configENS1_25partition_config_selectorILNS1_17partition_subalgoE5ElNS0_10empty_typeEbEEZZNS1_14partition_implILS5_5ELb0ES3_mN6hipcub16HIPCUB_304000_NS21CountingInputIteratorIllEEPS6_NSA_22TransformInputIteratorIbN2at6native12_GLOBAL__N_19NonZeroOpIhEEPKhlEENS0_5tupleIJPlS6_EEENSN_IJSD_SD_EEES6_PiJS6_EEE10hipError_tPvRmT3_T4_T5_T6_T7_T9_mT8_P12ihipStream_tbDpT10_ENKUlT_T0_E_clISt17integral_constantIbLb1EES1B_EEDaS16_S17_EUlS16_E_NS1_11comp_targetILNS1_3genE3ELNS1_11target_archE908ELNS1_3gpuE7ELNS1_3repE0EEENS1_30default_config_static_selectorELNS0_4arch9wavefront6targetE0EEEvT1_,comdat
.Lfunc_end58:
	.size	_ZN7rocprim17ROCPRIM_400000_NS6detail17trampoline_kernelINS0_14default_configENS1_25partition_config_selectorILNS1_17partition_subalgoE5ElNS0_10empty_typeEbEEZZNS1_14partition_implILS5_5ELb0ES3_mN6hipcub16HIPCUB_304000_NS21CountingInputIteratorIllEEPS6_NSA_22TransformInputIteratorIbN2at6native12_GLOBAL__N_19NonZeroOpIhEEPKhlEENS0_5tupleIJPlS6_EEENSN_IJSD_SD_EEES6_PiJS6_EEE10hipError_tPvRmT3_T4_T5_T6_T7_T9_mT8_P12ihipStream_tbDpT10_ENKUlT_T0_E_clISt17integral_constantIbLb1EES1B_EEDaS16_S17_EUlS16_E_NS1_11comp_targetILNS1_3genE3ELNS1_11target_archE908ELNS1_3gpuE7ELNS1_3repE0EEENS1_30default_config_static_selectorELNS0_4arch9wavefront6targetE0EEEvT1_, .Lfunc_end58-_ZN7rocprim17ROCPRIM_400000_NS6detail17trampoline_kernelINS0_14default_configENS1_25partition_config_selectorILNS1_17partition_subalgoE5ElNS0_10empty_typeEbEEZZNS1_14partition_implILS5_5ELb0ES3_mN6hipcub16HIPCUB_304000_NS21CountingInputIteratorIllEEPS6_NSA_22TransformInputIteratorIbN2at6native12_GLOBAL__N_19NonZeroOpIhEEPKhlEENS0_5tupleIJPlS6_EEENSN_IJSD_SD_EEES6_PiJS6_EEE10hipError_tPvRmT3_T4_T5_T6_T7_T9_mT8_P12ihipStream_tbDpT10_ENKUlT_T0_E_clISt17integral_constantIbLb1EES1B_EEDaS16_S17_EUlS16_E_NS1_11comp_targetILNS1_3genE3ELNS1_11target_archE908ELNS1_3gpuE7ELNS1_3repE0EEENS1_30default_config_static_selectorELNS0_4arch9wavefront6targetE0EEEvT1_
                                        ; -- End function
	.set _ZN7rocprim17ROCPRIM_400000_NS6detail17trampoline_kernelINS0_14default_configENS1_25partition_config_selectorILNS1_17partition_subalgoE5ElNS0_10empty_typeEbEEZZNS1_14partition_implILS5_5ELb0ES3_mN6hipcub16HIPCUB_304000_NS21CountingInputIteratorIllEEPS6_NSA_22TransformInputIteratorIbN2at6native12_GLOBAL__N_19NonZeroOpIhEEPKhlEENS0_5tupleIJPlS6_EEENSN_IJSD_SD_EEES6_PiJS6_EEE10hipError_tPvRmT3_T4_T5_T6_T7_T9_mT8_P12ihipStream_tbDpT10_ENKUlT_T0_E_clISt17integral_constantIbLb1EES1B_EEDaS16_S17_EUlS16_E_NS1_11comp_targetILNS1_3genE3ELNS1_11target_archE908ELNS1_3gpuE7ELNS1_3repE0EEENS1_30default_config_static_selectorELNS0_4arch9wavefront6targetE0EEEvT1_.num_vgpr, 0
	.set _ZN7rocprim17ROCPRIM_400000_NS6detail17trampoline_kernelINS0_14default_configENS1_25partition_config_selectorILNS1_17partition_subalgoE5ElNS0_10empty_typeEbEEZZNS1_14partition_implILS5_5ELb0ES3_mN6hipcub16HIPCUB_304000_NS21CountingInputIteratorIllEEPS6_NSA_22TransformInputIteratorIbN2at6native12_GLOBAL__N_19NonZeroOpIhEEPKhlEENS0_5tupleIJPlS6_EEENSN_IJSD_SD_EEES6_PiJS6_EEE10hipError_tPvRmT3_T4_T5_T6_T7_T9_mT8_P12ihipStream_tbDpT10_ENKUlT_T0_E_clISt17integral_constantIbLb1EES1B_EEDaS16_S17_EUlS16_E_NS1_11comp_targetILNS1_3genE3ELNS1_11target_archE908ELNS1_3gpuE7ELNS1_3repE0EEENS1_30default_config_static_selectorELNS0_4arch9wavefront6targetE0EEEvT1_.num_agpr, 0
	.set _ZN7rocprim17ROCPRIM_400000_NS6detail17trampoline_kernelINS0_14default_configENS1_25partition_config_selectorILNS1_17partition_subalgoE5ElNS0_10empty_typeEbEEZZNS1_14partition_implILS5_5ELb0ES3_mN6hipcub16HIPCUB_304000_NS21CountingInputIteratorIllEEPS6_NSA_22TransformInputIteratorIbN2at6native12_GLOBAL__N_19NonZeroOpIhEEPKhlEENS0_5tupleIJPlS6_EEENSN_IJSD_SD_EEES6_PiJS6_EEE10hipError_tPvRmT3_T4_T5_T6_T7_T9_mT8_P12ihipStream_tbDpT10_ENKUlT_T0_E_clISt17integral_constantIbLb1EES1B_EEDaS16_S17_EUlS16_E_NS1_11comp_targetILNS1_3genE3ELNS1_11target_archE908ELNS1_3gpuE7ELNS1_3repE0EEENS1_30default_config_static_selectorELNS0_4arch9wavefront6targetE0EEEvT1_.numbered_sgpr, 0
	.set _ZN7rocprim17ROCPRIM_400000_NS6detail17trampoline_kernelINS0_14default_configENS1_25partition_config_selectorILNS1_17partition_subalgoE5ElNS0_10empty_typeEbEEZZNS1_14partition_implILS5_5ELb0ES3_mN6hipcub16HIPCUB_304000_NS21CountingInputIteratorIllEEPS6_NSA_22TransformInputIteratorIbN2at6native12_GLOBAL__N_19NonZeroOpIhEEPKhlEENS0_5tupleIJPlS6_EEENSN_IJSD_SD_EEES6_PiJS6_EEE10hipError_tPvRmT3_T4_T5_T6_T7_T9_mT8_P12ihipStream_tbDpT10_ENKUlT_T0_E_clISt17integral_constantIbLb1EES1B_EEDaS16_S17_EUlS16_E_NS1_11comp_targetILNS1_3genE3ELNS1_11target_archE908ELNS1_3gpuE7ELNS1_3repE0EEENS1_30default_config_static_selectorELNS0_4arch9wavefront6targetE0EEEvT1_.num_named_barrier, 0
	.set _ZN7rocprim17ROCPRIM_400000_NS6detail17trampoline_kernelINS0_14default_configENS1_25partition_config_selectorILNS1_17partition_subalgoE5ElNS0_10empty_typeEbEEZZNS1_14partition_implILS5_5ELb0ES3_mN6hipcub16HIPCUB_304000_NS21CountingInputIteratorIllEEPS6_NSA_22TransformInputIteratorIbN2at6native12_GLOBAL__N_19NonZeroOpIhEEPKhlEENS0_5tupleIJPlS6_EEENSN_IJSD_SD_EEES6_PiJS6_EEE10hipError_tPvRmT3_T4_T5_T6_T7_T9_mT8_P12ihipStream_tbDpT10_ENKUlT_T0_E_clISt17integral_constantIbLb1EES1B_EEDaS16_S17_EUlS16_E_NS1_11comp_targetILNS1_3genE3ELNS1_11target_archE908ELNS1_3gpuE7ELNS1_3repE0EEENS1_30default_config_static_selectorELNS0_4arch9wavefront6targetE0EEEvT1_.private_seg_size, 0
	.set _ZN7rocprim17ROCPRIM_400000_NS6detail17trampoline_kernelINS0_14default_configENS1_25partition_config_selectorILNS1_17partition_subalgoE5ElNS0_10empty_typeEbEEZZNS1_14partition_implILS5_5ELb0ES3_mN6hipcub16HIPCUB_304000_NS21CountingInputIteratorIllEEPS6_NSA_22TransformInputIteratorIbN2at6native12_GLOBAL__N_19NonZeroOpIhEEPKhlEENS0_5tupleIJPlS6_EEENSN_IJSD_SD_EEES6_PiJS6_EEE10hipError_tPvRmT3_T4_T5_T6_T7_T9_mT8_P12ihipStream_tbDpT10_ENKUlT_T0_E_clISt17integral_constantIbLb1EES1B_EEDaS16_S17_EUlS16_E_NS1_11comp_targetILNS1_3genE3ELNS1_11target_archE908ELNS1_3gpuE7ELNS1_3repE0EEENS1_30default_config_static_selectorELNS0_4arch9wavefront6targetE0EEEvT1_.uses_vcc, 0
	.set _ZN7rocprim17ROCPRIM_400000_NS6detail17trampoline_kernelINS0_14default_configENS1_25partition_config_selectorILNS1_17partition_subalgoE5ElNS0_10empty_typeEbEEZZNS1_14partition_implILS5_5ELb0ES3_mN6hipcub16HIPCUB_304000_NS21CountingInputIteratorIllEEPS6_NSA_22TransformInputIteratorIbN2at6native12_GLOBAL__N_19NonZeroOpIhEEPKhlEENS0_5tupleIJPlS6_EEENSN_IJSD_SD_EEES6_PiJS6_EEE10hipError_tPvRmT3_T4_T5_T6_T7_T9_mT8_P12ihipStream_tbDpT10_ENKUlT_T0_E_clISt17integral_constantIbLb1EES1B_EEDaS16_S17_EUlS16_E_NS1_11comp_targetILNS1_3genE3ELNS1_11target_archE908ELNS1_3gpuE7ELNS1_3repE0EEENS1_30default_config_static_selectorELNS0_4arch9wavefront6targetE0EEEvT1_.uses_flat_scratch, 0
	.set _ZN7rocprim17ROCPRIM_400000_NS6detail17trampoline_kernelINS0_14default_configENS1_25partition_config_selectorILNS1_17partition_subalgoE5ElNS0_10empty_typeEbEEZZNS1_14partition_implILS5_5ELb0ES3_mN6hipcub16HIPCUB_304000_NS21CountingInputIteratorIllEEPS6_NSA_22TransformInputIteratorIbN2at6native12_GLOBAL__N_19NonZeroOpIhEEPKhlEENS0_5tupleIJPlS6_EEENSN_IJSD_SD_EEES6_PiJS6_EEE10hipError_tPvRmT3_T4_T5_T6_T7_T9_mT8_P12ihipStream_tbDpT10_ENKUlT_T0_E_clISt17integral_constantIbLb1EES1B_EEDaS16_S17_EUlS16_E_NS1_11comp_targetILNS1_3genE3ELNS1_11target_archE908ELNS1_3gpuE7ELNS1_3repE0EEENS1_30default_config_static_selectorELNS0_4arch9wavefront6targetE0EEEvT1_.has_dyn_sized_stack, 0
	.set _ZN7rocprim17ROCPRIM_400000_NS6detail17trampoline_kernelINS0_14default_configENS1_25partition_config_selectorILNS1_17partition_subalgoE5ElNS0_10empty_typeEbEEZZNS1_14partition_implILS5_5ELb0ES3_mN6hipcub16HIPCUB_304000_NS21CountingInputIteratorIllEEPS6_NSA_22TransformInputIteratorIbN2at6native12_GLOBAL__N_19NonZeroOpIhEEPKhlEENS0_5tupleIJPlS6_EEENSN_IJSD_SD_EEES6_PiJS6_EEE10hipError_tPvRmT3_T4_T5_T6_T7_T9_mT8_P12ihipStream_tbDpT10_ENKUlT_T0_E_clISt17integral_constantIbLb1EES1B_EEDaS16_S17_EUlS16_E_NS1_11comp_targetILNS1_3genE3ELNS1_11target_archE908ELNS1_3gpuE7ELNS1_3repE0EEENS1_30default_config_static_selectorELNS0_4arch9wavefront6targetE0EEEvT1_.has_recursion, 0
	.set _ZN7rocprim17ROCPRIM_400000_NS6detail17trampoline_kernelINS0_14default_configENS1_25partition_config_selectorILNS1_17partition_subalgoE5ElNS0_10empty_typeEbEEZZNS1_14partition_implILS5_5ELb0ES3_mN6hipcub16HIPCUB_304000_NS21CountingInputIteratorIllEEPS6_NSA_22TransformInputIteratorIbN2at6native12_GLOBAL__N_19NonZeroOpIhEEPKhlEENS0_5tupleIJPlS6_EEENSN_IJSD_SD_EEES6_PiJS6_EEE10hipError_tPvRmT3_T4_T5_T6_T7_T9_mT8_P12ihipStream_tbDpT10_ENKUlT_T0_E_clISt17integral_constantIbLb1EES1B_EEDaS16_S17_EUlS16_E_NS1_11comp_targetILNS1_3genE3ELNS1_11target_archE908ELNS1_3gpuE7ELNS1_3repE0EEENS1_30default_config_static_selectorELNS0_4arch9wavefront6targetE0EEEvT1_.has_indirect_call, 0
	.section	.AMDGPU.csdata,"",@progbits
; Kernel info:
; codeLenInByte = 0
; TotalNumSgprs: 0
; NumVgprs: 0
; ScratchSize: 0
; MemoryBound: 0
; FloatMode: 240
; IeeeMode: 1
; LDSByteSize: 0 bytes/workgroup (compile time only)
; SGPRBlocks: 0
; VGPRBlocks: 0
; NumSGPRsForWavesPerEU: 1
; NumVGPRsForWavesPerEU: 1
; Occupancy: 16
; WaveLimiterHint : 0
; COMPUTE_PGM_RSRC2:SCRATCH_EN: 0
; COMPUTE_PGM_RSRC2:USER_SGPR: 2
; COMPUTE_PGM_RSRC2:TRAP_HANDLER: 0
; COMPUTE_PGM_RSRC2:TGID_X_EN: 1
; COMPUTE_PGM_RSRC2:TGID_Y_EN: 0
; COMPUTE_PGM_RSRC2:TGID_Z_EN: 0
; COMPUTE_PGM_RSRC2:TIDIG_COMP_CNT: 0
	.section	.text._ZN7rocprim17ROCPRIM_400000_NS6detail17trampoline_kernelINS0_14default_configENS1_25partition_config_selectorILNS1_17partition_subalgoE5ElNS0_10empty_typeEbEEZZNS1_14partition_implILS5_5ELb0ES3_mN6hipcub16HIPCUB_304000_NS21CountingInputIteratorIllEEPS6_NSA_22TransformInputIteratorIbN2at6native12_GLOBAL__N_19NonZeroOpIhEEPKhlEENS0_5tupleIJPlS6_EEENSN_IJSD_SD_EEES6_PiJS6_EEE10hipError_tPvRmT3_T4_T5_T6_T7_T9_mT8_P12ihipStream_tbDpT10_ENKUlT_T0_E_clISt17integral_constantIbLb1EES1B_EEDaS16_S17_EUlS16_E_NS1_11comp_targetILNS1_3genE2ELNS1_11target_archE906ELNS1_3gpuE6ELNS1_3repE0EEENS1_30default_config_static_selectorELNS0_4arch9wavefront6targetE0EEEvT1_,"axG",@progbits,_ZN7rocprim17ROCPRIM_400000_NS6detail17trampoline_kernelINS0_14default_configENS1_25partition_config_selectorILNS1_17partition_subalgoE5ElNS0_10empty_typeEbEEZZNS1_14partition_implILS5_5ELb0ES3_mN6hipcub16HIPCUB_304000_NS21CountingInputIteratorIllEEPS6_NSA_22TransformInputIteratorIbN2at6native12_GLOBAL__N_19NonZeroOpIhEEPKhlEENS0_5tupleIJPlS6_EEENSN_IJSD_SD_EEES6_PiJS6_EEE10hipError_tPvRmT3_T4_T5_T6_T7_T9_mT8_P12ihipStream_tbDpT10_ENKUlT_T0_E_clISt17integral_constantIbLb1EES1B_EEDaS16_S17_EUlS16_E_NS1_11comp_targetILNS1_3genE2ELNS1_11target_archE906ELNS1_3gpuE6ELNS1_3repE0EEENS1_30default_config_static_selectorELNS0_4arch9wavefront6targetE0EEEvT1_,comdat
	.globl	_ZN7rocprim17ROCPRIM_400000_NS6detail17trampoline_kernelINS0_14default_configENS1_25partition_config_selectorILNS1_17partition_subalgoE5ElNS0_10empty_typeEbEEZZNS1_14partition_implILS5_5ELb0ES3_mN6hipcub16HIPCUB_304000_NS21CountingInputIteratorIllEEPS6_NSA_22TransformInputIteratorIbN2at6native12_GLOBAL__N_19NonZeroOpIhEEPKhlEENS0_5tupleIJPlS6_EEENSN_IJSD_SD_EEES6_PiJS6_EEE10hipError_tPvRmT3_T4_T5_T6_T7_T9_mT8_P12ihipStream_tbDpT10_ENKUlT_T0_E_clISt17integral_constantIbLb1EES1B_EEDaS16_S17_EUlS16_E_NS1_11comp_targetILNS1_3genE2ELNS1_11target_archE906ELNS1_3gpuE6ELNS1_3repE0EEENS1_30default_config_static_selectorELNS0_4arch9wavefront6targetE0EEEvT1_ ; -- Begin function _ZN7rocprim17ROCPRIM_400000_NS6detail17trampoline_kernelINS0_14default_configENS1_25partition_config_selectorILNS1_17partition_subalgoE5ElNS0_10empty_typeEbEEZZNS1_14partition_implILS5_5ELb0ES3_mN6hipcub16HIPCUB_304000_NS21CountingInputIteratorIllEEPS6_NSA_22TransformInputIteratorIbN2at6native12_GLOBAL__N_19NonZeroOpIhEEPKhlEENS0_5tupleIJPlS6_EEENSN_IJSD_SD_EEES6_PiJS6_EEE10hipError_tPvRmT3_T4_T5_T6_T7_T9_mT8_P12ihipStream_tbDpT10_ENKUlT_T0_E_clISt17integral_constantIbLb1EES1B_EEDaS16_S17_EUlS16_E_NS1_11comp_targetILNS1_3genE2ELNS1_11target_archE906ELNS1_3gpuE6ELNS1_3repE0EEENS1_30default_config_static_selectorELNS0_4arch9wavefront6targetE0EEEvT1_
	.p2align	8
	.type	_ZN7rocprim17ROCPRIM_400000_NS6detail17trampoline_kernelINS0_14default_configENS1_25partition_config_selectorILNS1_17partition_subalgoE5ElNS0_10empty_typeEbEEZZNS1_14partition_implILS5_5ELb0ES3_mN6hipcub16HIPCUB_304000_NS21CountingInputIteratorIllEEPS6_NSA_22TransformInputIteratorIbN2at6native12_GLOBAL__N_19NonZeroOpIhEEPKhlEENS0_5tupleIJPlS6_EEENSN_IJSD_SD_EEES6_PiJS6_EEE10hipError_tPvRmT3_T4_T5_T6_T7_T9_mT8_P12ihipStream_tbDpT10_ENKUlT_T0_E_clISt17integral_constantIbLb1EES1B_EEDaS16_S17_EUlS16_E_NS1_11comp_targetILNS1_3genE2ELNS1_11target_archE906ELNS1_3gpuE6ELNS1_3repE0EEENS1_30default_config_static_selectorELNS0_4arch9wavefront6targetE0EEEvT1_,@function
_ZN7rocprim17ROCPRIM_400000_NS6detail17trampoline_kernelINS0_14default_configENS1_25partition_config_selectorILNS1_17partition_subalgoE5ElNS0_10empty_typeEbEEZZNS1_14partition_implILS5_5ELb0ES3_mN6hipcub16HIPCUB_304000_NS21CountingInputIteratorIllEEPS6_NSA_22TransformInputIteratorIbN2at6native12_GLOBAL__N_19NonZeroOpIhEEPKhlEENS0_5tupleIJPlS6_EEENSN_IJSD_SD_EEES6_PiJS6_EEE10hipError_tPvRmT3_T4_T5_T6_T7_T9_mT8_P12ihipStream_tbDpT10_ENKUlT_T0_E_clISt17integral_constantIbLb1EES1B_EEDaS16_S17_EUlS16_E_NS1_11comp_targetILNS1_3genE2ELNS1_11target_archE906ELNS1_3gpuE6ELNS1_3repE0EEENS1_30default_config_static_selectorELNS0_4arch9wavefront6targetE0EEEvT1_: ; @_ZN7rocprim17ROCPRIM_400000_NS6detail17trampoline_kernelINS0_14default_configENS1_25partition_config_selectorILNS1_17partition_subalgoE5ElNS0_10empty_typeEbEEZZNS1_14partition_implILS5_5ELb0ES3_mN6hipcub16HIPCUB_304000_NS21CountingInputIteratorIllEEPS6_NSA_22TransformInputIteratorIbN2at6native12_GLOBAL__N_19NonZeroOpIhEEPKhlEENS0_5tupleIJPlS6_EEENSN_IJSD_SD_EEES6_PiJS6_EEE10hipError_tPvRmT3_T4_T5_T6_T7_T9_mT8_P12ihipStream_tbDpT10_ENKUlT_T0_E_clISt17integral_constantIbLb1EES1B_EEDaS16_S17_EUlS16_E_NS1_11comp_targetILNS1_3genE2ELNS1_11target_archE906ELNS1_3gpuE6ELNS1_3repE0EEENS1_30default_config_static_selectorELNS0_4arch9wavefront6targetE0EEEvT1_
; %bb.0:
	.section	.rodata,"a",@progbits
	.p2align	6, 0x0
	.amdhsa_kernel _ZN7rocprim17ROCPRIM_400000_NS6detail17trampoline_kernelINS0_14default_configENS1_25partition_config_selectorILNS1_17partition_subalgoE5ElNS0_10empty_typeEbEEZZNS1_14partition_implILS5_5ELb0ES3_mN6hipcub16HIPCUB_304000_NS21CountingInputIteratorIllEEPS6_NSA_22TransformInputIteratorIbN2at6native12_GLOBAL__N_19NonZeroOpIhEEPKhlEENS0_5tupleIJPlS6_EEENSN_IJSD_SD_EEES6_PiJS6_EEE10hipError_tPvRmT3_T4_T5_T6_T7_T9_mT8_P12ihipStream_tbDpT10_ENKUlT_T0_E_clISt17integral_constantIbLb1EES1B_EEDaS16_S17_EUlS16_E_NS1_11comp_targetILNS1_3genE2ELNS1_11target_archE906ELNS1_3gpuE6ELNS1_3repE0EEENS1_30default_config_static_selectorELNS0_4arch9wavefront6targetE0EEEvT1_
		.amdhsa_group_segment_fixed_size 0
		.amdhsa_private_segment_fixed_size 0
		.amdhsa_kernarg_size 136
		.amdhsa_user_sgpr_count 2
		.amdhsa_user_sgpr_dispatch_ptr 0
		.amdhsa_user_sgpr_queue_ptr 0
		.amdhsa_user_sgpr_kernarg_segment_ptr 1
		.amdhsa_user_sgpr_dispatch_id 0
		.amdhsa_user_sgpr_private_segment_size 0
		.amdhsa_wavefront_size32 1
		.amdhsa_uses_dynamic_stack 0
		.amdhsa_enable_private_segment 0
		.amdhsa_system_sgpr_workgroup_id_x 1
		.amdhsa_system_sgpr_workgroup_id_y 0
		.amdhsa_system_sgpr_workgroup_id_z 0
		.amdhsa_system_sgpr_workgroup_info 0
		.amdhsa_system_vgpr_workitem_id 0
		.amdhsa_next_free_vgpr 1
		.amdhsa_next_free_sgpr 1
		.amdhsa_reserve_vcc 0
		.amdhsa_float_round_mode_32 0
		.amdhsa_float_round_mode_16_64 0
		.amdhsa_float_denorm_mode_32 3
		.amdhsa_float_denorm_mode_16_64 3
		.amdhsa_fp16_overflow 0
		.amdhsa_workgroup_processor_mode 1
		.amdhsa_memory_ordered 1
		.amdhsa_forward_progress 1
		.amdhsa_inst_pref_size 0
		.amdhsa_round_robin_scheduling 0
		.amdhsa_exception_fp_ieee_invalid_op 0
		.amdhsa_exception_fp_denorm_src 0
		.amdhsa_exception_fp_ieee_div_zero 0
		.amdhsa_exception_fp_ieee_overflow 0
		.amdhsa_exception_fp_ieee_underflow 0
		.amdhsa_exception_fp_ieee_inexact 0
		.amdhsa_exception_int_div_zero 0
	.end_amdhsa_kernel
	.section	.text._ZN7rocprim17ROCPRIM_400000_NS6detail17trampoline_kernelINS0_14default_configENS1_25partition_config_selectorILNS1_17partition_subalgoE5ElNS0_10empty_typeEbEEZZNS1_14partition_implILS5_5ELb0ES3_mN6hipcub16HIPCUB_304000_NS21CountingInputIteratorIllEEPS6_NSA_22TransformInputIteratorIbN2at6native12_GLOBAL__N_19NonZeroOpIhEEPKhlEENS0_5tupleIJPlS6_EEENSN_IJSD_SD_EEES6_PiJS6_EEE10hipError_tPvRmT3_T4_T5_T6_T7_T9_mT8_P12ihipStream_tbDpT10_ENKUlT_T0_E_clISt17integral_constantIbLb1EES1B_EEDaS16_S17_EUlS16_E_NS1_11comp_targetILNS1_3genE2ELNS1_11target_archE906ELNS1_3gpuE6ELNS1_3repE0EEENS1_30default_config_static_selectorELNS0_4arch9wavefront6targetE0EEEvT1_,"axG",@progbits,_ZN7rocprim17ROCPRIM_400000_NS6detail17trampoline_kernelINS0_14default_configENS1_25partition_config_selectorILNS1_17partition_subalgoE5ElNS0_10empty_typeEbEEZZNS1_14partition_implILS5_5ELb0ES3_mN6hipcub16HIPCUB_304000_NS21CountingInputIteratorIllEEPS6_NSA_22TransformInputIteratorIbN2at6native12_GLOBAL__N_19NonZeroOpIhEEPKhlEENS0_5tupleIJPlS6_EEENSN_IJSD_SD_EEES6_PiJS6_EEE10hipError_tPvRmT3_T4_T5_T6_T7_T9_mT8_P12ihipStream_tbDpT10_ENKUlT_T0_E_clISt17integral_constantIbLb1EES1B_EEDaS16_S17_EUlS16_E_NS1_11comp_targetILNS1_3genE2ELNS1_11target_archE906ELNS1_3gpuE6ELNS1_3repE0EEENS1_30default_config_static_selectorELNS0_4arch9wavefront6targetE0EEEvT1_,comdat
.Lfunc_end59:
	.size	_ZN7rocprim17ROCPRIM_400000_NS6detail17trampoline_kernelINS0_14default_configENS1_25partition_config_selectorILNS1_17partition_subalgoE5ElNS0_10empty_typeEbEEZZNS1_14partition_implILS5_5ELb0ES3_mN6hipcub16HIPCUB_304000_NS21CountingInputIteratorIllEEPS6_NSA_22TransformInputIteratorIbN2at6native12_GLOBAL__N_19NonZeroOpIhEEPKhlEENS0_5tupleIJPlS6_EEENSN_IJSD_SD_EEES6_PiJS6_EEE10hipError_tPvRmT3_T4_T5_T6_T7_T9_mT8_P12ihipStream_tbDpT10_ENKUlT_T0_E_clISt17integral_constantIbLb1EES1B_EEDaS16_S17_EUlS16_E_NS1_11comp_targetILNS1_3genE2ELNS1_11target_archE906ELNS1_3gpuE6ELNS1_3repE0EEENS1_30default_config_static_selectorELNS0_4arch9wavefront6targetE0EEEvT1_, .Lfunc_end59-_ZN7rocprim17ROCPRIM_400000_NS6detail17trampoline_kernelINS0_14default_configENS1_25partition_config_selectorILNS1_17partition_subalgoE5ElNS0_10empty_typeEbEEZZNS1_14partition_implILS5_5ELb0ES3_mN6hipcub16HIPCUB_304000_NS21CountingInputIteratorIllEEPS6_NSA_22TransformInputIteratorIbN2at6native12_GLOBAL__N_19NonZeroOpIhEEPKhlEENS0_5tupleIJPlS6_EEENSN_IJSD_SD_EEES6_PiJS6_EEE10hipError_tPvRmT3_T4_T5_T6_T7_T9_mT8_P12ihipStream_tbDpT10_ENKUlT_T0_E_clISt17integral_constantIbLb1EES1B_EEDaS16_S17_EUlS16_E_NS1_11comp_targetILNS1_3genE2ELNS1_11target_archE906ELNS1_3gpuE6ELNS1_3repE0EEENS1_30default_config_static_selectorELNS0_4arch9wavefront6targetE0EEEvT1_
                                        ; -- End function
	.set _ZN7rocprim17ROCPRIM_400000_NS6detail17trampoline_kernelINS0_14default_configENS1_25partition_config_selectorILNS1_17partition_subalgoE5ElNS0_10empty_typeEbEEZZNS1_14partition_implILS5_5ELb0ES3_mN6hipcub16HIPCUB_304000_NS21CountingInputIteratorIllEEPS6_NSA_22TransformInputIteratorIbN2at6native12_GLOBAL__N_19NonZeroOpIhEEPKhlEENS0_5tupleIJPlS6_EEENSN_IJSD_SD_EEES6_PiJS6_EEE10hipError_tPvRmT3_T4_T5_T6_T7_T9_mT8_P12ihipStream_tbDpT10_ENKUlT_T0_E_clISt17integral_constantIbLb1EES1B_EEDaS16_S17_EUlS16_E_NS1_11comp_targetILNS1_3genE2ELNS1_11target_archE906ELNS1_3gpuE6ELNS1_3repE0EEENS1_30default_config_static_selectorELNS0_4arch9wavefront6targetE0EEEvT1_.num_vgpr, 0
	.set _ZN7rocprim17ROCPRIM_400000_NS6detail17trampoline_kernelINS0_14default_configENS1_25partition_config_selectorILNS1_17partition_subalgoE5ElNS0_10empty_typeEbEEZZNS1_14partition_implILS5_5ELb0ES3_mN6hipcub16HIPCUB_304000_NS21CountingInputIteratorIllEEPS6_NSA_22TransformInputIteratorIbN2at6native12_GLOBAL__N_19NonZeroOpIhEEPKhlEENS0_5tupleIJPlS6_EEENSN_IJSD_SD_EEES6_PiJS6_EEE10hipError_tPvRmT3_T4_T5_T6_T7_T9_mT8_P12ihipStream_tbDpT10_ENKUlT_T0_E_clISt17integral_constantIbLb1EES1B_EEDaS16_S17_EUlS16_E_NS1_11comp_targetILNS1_3genE2ELNS1_11target_archE906ELNS1_3gpuE6ELNS1_3repE0EEENS1_30default_config_static_selectorELNS0_4arch9wavefront6targetE0EEEvT1_.num_agpr, 0
	.set _ZN7rocprim17ROCPRIM_400000_NS6detail17trampoline_kernelINS0_14default_configENS1_25partition_config_selectorILNS1_17partition_subalgoE5ElNS0_10empty_typeEbEEZZNS1_14partition_implILS5_5ELb0ES3_mN6hipcub16HIPCUB_304000_NS21CountingInputIteratorIllEEPS6_NSA_22TransformInputIteratorIbN2at6native12_GLOBAL__N_19NonZeroOpIhEEPKhlEENS0_5tupleIJPlS6_EEENSN_IJSD_SD_EEES6_PiJS6_EEE10hipError_tPvRmT3_T4_T5_T6_T7_T9_mT8_P12ihipStream_tbDpT10_ENKUlT_T0_E_clISt17integral_constantIbLb1EES1B_EEDaS16_S17_EUlS16_E_NS1_11comp_targetILNS1_3genE2ELNS1_11target_archE906ELNS1_3gpuE6ELNS1_3repE0EEENS1_30default_config_static_selectorELNS0_4arch9wavefront6targetE0EEEvT1_.numbered_sgpr, 0
	.set _ZN7rocprim17ROCPRIM_400000_NS6detail17trampoline_kernelINS0_14default_configENS1_25partition_config_selectorILNS1_17partition_subalgoE5ElNS0_10empty_typeEbEEZZNS1_14partition_implILS5_5ELb0ES3_mN6hipcub16HIPCUB_304000_NS21CountingInputIteratorIllEEPS6_NSA_22TransformInputIteratorIbN2at6native12_GLOBAL__N_19NonZeroOpIhEEPKhlEENS0_5tupleIJPlS6_EEENSN_IJSD_SD_EEES6_PiJS6_EEE10hipError_tPvRmT3_T4_T5_T6_T7_T9_mT8_P12ihipStream_tbDpT10_ENKUlT_T0_E_clISt17integral_constantIbLb1EES1B_EEDaS16_S17_EUlS16_E_NS1_11comp_targetILNS1_3genE2ELNS1_11target_archE906ELNS1_3gpuE6ELNS1_3repE0EEENS1_30default_config_static_selectorELNS0_4arch9wavefront6targetE0EEEvT1_.num_named_barrier, 0
	.set _ZN7rocprim17ROCPRIM_400000_NS6detail17trampoline_kernelINS0_14default_configENS1_25partition_config_selectorILNS1_17partition_subalgoE5ElNS0_10empty_typeEbEEZZNS1_14partition_implILS5_5ELb0ES3_mN6hipcub16HIPCUB_304000_NS21CountingInputIteratorIllEEPS6_NSA_22TransformInputIteratorIbN2at6native12_GLOBAL__N_19NonZeroOpIhEEPKhlEENS0_5tupleIJPlS6_EEENSN_IJSD_SD_EEES6_PiJS6_EEE10hipError_tPvRmT3_T4_T5_T6_T7_T9_mT8_P12ihipStream_tbDpT10_ENKUlT_T0_E_clISt17integral_constantIbLb1EES1B_EEDaS16_S17_EUlS16_E_NS1_11comp_targetILNS1_3genE2ELNS1_11target_archE906ELNS1_3gpuE6ELNS1_3repE0EEENS1_30default_config_static_selectorELNS0_4arch9wavefront6targetE0EEEvT1_.private_seg_size, 0
	.set _ZN7rocprim17ROCPRIM_400000_NS6detail17trampoline_kernelINS0_14default_configENS1_25partition_config_selectorILNS1_17partition_subalgoE5ElNS0_10empty_typeEbEEZZNS1_14partition_implILS5_5ELb0ES3_mN6hipcub16HIPCUB_304000_NS21CountingInputIteratorIllEEPS6_NSA_22TransformInputIteratorIbN2at6native12_GLOBAL__N_19NonZeroOpIhEEPKhlEENS0_5tupleIJPlS6_EEENSN_IJSD_SD_EEES6_PiJS6_EEE10hipError_tPvRmT3_T4_T5_T6_T7_T9_mT8_P12ihipStream_tbDpT10_ENKUlT_T0_E_clISt17integral_constantIbLb1EES1B_EEDaS16_S17_EUlS16_E_NS1_11comp_targetILNS1_3genE2ELNS1_11target_archE906ELNS1_3gpuE6ELNS1_3repE0EEENS1_30default_config_static_selectorELNS0_4arch9wavefront6targetE0EEEvT1_.uses_vcc, 0
	.set _ZN7rocprim17ROCPRIM_400000_NS6detail17trampoline_kernelINS0_14default_configENS1_25partition_config_selectorILNS1_17partition_subalgoE5ElNS0_10empty_typeEbEEZZNS1_14partition_implILS5_5ELb0ES3_mN6hipcub16HIPCUB_304000_NS21CountingInputIteratorIllEEPS6_NSA_22TransformInputIteratorIbN2at6native12_GLOBAL__N_19NonZeroOpIhEEPKhlEENS0_5tupleIJPlS6_EEENSN_IJSD_SD_EEES6_PiJS6_EEE10hipError_tPvRmT3_T4_T5_T6_T7_T9_mT8_P12ihipStream_tbDpT10_ENKUlT_T0_E_clISt17integral_constantIbLb1EES1B_EEDaS16_S17_EUlS16_E_NS1_11comp_targetILNS1_3genE2ELNS1_11target_archE906ELNS1_3gpuE6ELNS1_3repE0EEENS1_30default_config_static_selectorELNS0_4arch9wavefront6targetE0EEEvT1_.uses_flat_scratch, 0
	.set _ZN7rocprim17ROCPRIM_400000_NS6detail17trampoline_kernelINS0_14default_configENS1_25partition_config_selectorILNS1_17partition_subalgoE5ElNS0_10empty_typeEbEEZZNS1_14partition_implILS5_5ELb0ES3_mN6hipcub16HIPCUB_304000_NS21CountingInputIteratorIllEEPS6_NSA_22TransformInputIteratorIbN2at6native12_GLOBAL__N_19NonZeroOpIhEEPKhlEENS0_5tupleIJPlS6_EEENSN_IJSD_SD_EEES6_PiJS6_EEE10hipError_tPvRmT3_T4_T5_T6_T7_T9_mT8_P12ihipStream_tbDpT10_ENKUlT_T0_E_clISt17integral_constantIbLb1EES1B_EEDaS16_S17_EUlS16_E_NS1_11comp_targetILNS1_3genE2ELNS1_11target_archE906ELNS1_3gpuE6ELNS1_3repE0EEENS1_30default_config_static_selectorELNS0_4arch9wavefront6targetE0EEEvT1_.has_dyn_sized_stack, 0
	.set _ZN7rocprim17ROCPRIM_400000_NS6detail17trampoline_kernelINS0_14default_configENS1_25partition_config_selectorILNS1_17partition_subalgoE5ElNS0_10empty_typeEbEEZZNS1_14partition_implILS5_5ELb0ES3_mN6hipcub16HIPCUB_304000_NS21CountingInputIteratorIllEEPS6_NSA_22TransformInputIteratorIbN2at6native12_GLOBAL__N_19NonZeroOpIhEEPKhlEENS0_5tupleIJPlS6_EEENSN_IJSD_SD_EEES6_PiJS6_EEE10hipError_tPvRmT3_T4_T5_T6_T7_T9_mT8_P12ihipStream_tbDpT10_ENKUlT_T0_E_clISt17integral_constantIbLb1EES1B_EEDaS16_S17_EUlS16_E_NS1_11comp_targetILNS1_3genE2ELNS1_11target_archE906ELNS1_3gpuE6ELNS1_3repE0EEENS1_30default_config_static_selectorELNS0_4arch9wavefront6targetE0EEEvT1_.has_recursion, 0
	.set _ZN7rocprim17ROCPRIM_400000_NS6detail17trampoline_kernelINS0_14default_configENS1_25partition_config_selectorILNS1_17partition_subalgoE5ElNS0_10empty_typeEbEEZZNS1_14partition_implILS5_5ELb0ES3_mN6hipcub16HIPCUB_304000_NS21CountingInputIteratorIllEEPS6_NSA_22TransformInputIteratorIbN2at6native12_GLOBAL__N_19NonZeroOpIhEEPKhlEENS0_5tupleIJPlS6_EEENSN_IJSD_SD_EEES6_PiJS6_EEE10hipError_tPvRmT3_T4_T5_T6_T7_T9_mT8_P12ihipStream_tbDpT10_ENKUlT_T0_E_clISt17integral_constantIbLb1EES1B_EEDaS16_S17_EUlS16_E_NS1_11comp_targetILNS1_3genE2ELNS1_11target_archE906ELNS1_3gpuE6ELNS1_3repE0EEENS1_30default_config_static_selectorELNS0_4arch9wavefront6targetE0EEEvT1_.has_indirect_call, 0
	.section	.AMDGPU.csdata,"",@progbits
; Kernel info:
; codeLenInByte = 0
; TotalNumSgprs: 0
; NumVgprs: 0
; ScratchSize: 0
; MemoryBound: 0
; FloatMode: 240
; IeeeMode: 1
; LDSByteSize: 0 bytes/workgroup (compile time only)
; SGPRBlocks: 0
; VGPRBlocks: 0
; NumSGPRsForWavesPerEU: 1
; NumVGPRsForWavesPerEU: 1
; Occupancy: 16
; WaveLimiterHint : 0
; COMPUTE_PGM_RSRC2:SCRATCH_EN: 0
; COMPUTE_PGM_RSRC2:USER_SGPR: 2
; COMPUTE_PGM_RSRC2:TRAP_HANDLER: 0
; COMPUTE_PGM_RSRC2:TGID_X_EN: 1
; COMPUTE_PGM_RSRC2:TGID_Y_EN: 0
; COMPUTE_PGM_RSRC2:TGID_Z_EN: 0
; COMPUTE_PGM_RSRC2:TIDIG_COMP_CNT: 0
	.section	.text._ZN7rocprim17ROCPRIM_400000_NS6detail17trampoline_kernelINS0_14default_configENS1_25partition_config_selectorILNS1_17partition_subalgoE5ElNS0_10empty_typeEbEEZZNS1_14partition_implILS5_5ELb0ES3_mN6hipcub16HIPCUB_304000_NS21CountingInputIteratorIllEEPS6_NSA_22TransformInputIteratorIbN2at6native12_GLOBAL__N_19NonZeroOpIhEEPKhlEENS0_5tupleIJPlS6_EEENSN_IJSD_SD_EEES6_PiJS6_EEE10hipError_tPvRmT3_T4_T5_T6_T7_T9_mT8_P12ihipStream_tbDpT10_ENKUlT_T0_E_clISt17integral_constantIbLb1EES1B_EEDaS16_S17_EUlS16_E_NS1_11comp_targetILNS1_3genE10ELNS1_11target_archE1200ELNS1_3gpuE4ELNS1_3repE0EEENS1_30default_config_static_selectorELNS0_4arch9wavefront6targetE0EEEvT1_,"axG",@progbits,_ZN7rocprim17ROCPRIM_400000_NS6detail17trampoline_kernelINS0_14default_configENS1_25partition_config_selectorILNS1_17partition_subalgoE5ElNS0_10empty_typeEbEEZZNS1_14partition_implILS5_5ELb0ES3_mN6hipcub16HIPCUB_304000_NS21CountingInputIteratorIllEEPS6_NSA_22TransformInputIteratorIbN2at6native12_GLOBAL__N_19NonZeroOpIhEEPKhlEENS0_5tupleIJPlS6_EEENSN_IJSD_SD_EEES6_PiJS6_EEE10hipError_tPvRmT3_T4_T5_T6_T7_T9_mT8_P12ihipStream_tbDpT10_ENKUlT_T0_E_clISt17integral_constantIbLb1EES1B_EEDaS16_S17_EUlS16_E_NS1_11comp_targetILNS1_3genE10ELNS1_11target_archE1200ELNS1_3gpuE4ELNS1_3repE0EEENS1_30default_config_static_selectorELNS0_4arch9wavefront6targetE0EEEvT1_,comdat
	.globl	_ZN7rocprim17ROCPRIM_400000_NS6detail17trampoline_kernelINS0_14default_configENS1_25partition_config_selectorILNS1_17partition_subalgoE5ElNS0_10empty_typeEbEEZZNS1_14partition_implILS5_5ELb0ES3_mN6hipcub16HIPCUB_304000_NS21CountingInputIteratorIllEEPS6_NSA_22TransformInputIteratorIbN2at6native12_GLOBAL__N_19NonZeroOpIhEEPKhlEENS0_5tupleIJPlS6_EEENSN_IJSD_SD_EEES6_PiJS6_EEE10hipError_tPvRmT3_T4_T5_T6_T7_T9_mT8_P12ihipStream_tbDpT10_ENKUlT_T0_E_clISt17integral_constantIbLb1EES1B_EEDaS16_S17_EUlS16_E_NS1_11comp_targetILNS1_3genE10ELNS1_11target_archE1200ELNS1_3gpuE4ELNS1_3repE0EEENS1_30default_config_static_selectorELNS0_4arch9wavefront6targetE0EEEvT1_ ; -- Begin function _ZN7rocprim17ROCPRIM_400000_NS6detail17trampoline_kernelINS0_14default_configENS1_25partition_config_selectorILNS1_17partition_subalgoE5ElNS0_10empty_typeEbEEZZNS1_14partition_implILS5_5ELb0ES3_mN6hipcub16HIPCUB_304000_NS21CountingInputIteratorIllEEPS6_NSA_22TransformInputIteratorIbN2at6native12_GLOBAL__N_19NonZeroOpIhEEPKhlEENS0_5tupleIJPlS6_EEENSN_IJSD_SD_EEES6_PiJS6_EEE10hipError_tPvRmT3_T4_T5_T6_T7_T9_mT8_P12ihipStream_tbDpT10_ENKUlT_T0_E_clISt17integral_constantIbLb1EES1B_EEDaS16_S17_EUlS16_E_NS1_11comp_targetILNS1_3genE10ELNS1_11target_archE1200ELNS1_3gpuE4ELNS1_3repE0EEENS1_30default_config_static_selectorELNS0_4arch9wavefront6targetE0EEEvT1_
	.p2align	8
	.type	_ZN7rocprim17ROCPRIM_400000_NS6detail17trampoline_kernelINS0_14default_configENS1_25partition_config_selectorILNS1_17partition_subalgoE5ElNS0_10empty_typeEbEEZZNS1_14partition_implILS5_5ELb0ES3_mN6hipcub16HIPCUB_304000_NS21CountingInputIteratorIllEEPS6_NSA_22TransformInputIteratorIbN2at6native12_GLOBAL__N_19NonZeroOpIhEEPKhlEENS0_5tupleIJPlS6_EEENSN_IJSD_SD_EEES6_PiJS6_EEE10hipError_tPvRmT3_T4_T5_T6_T7_T9_mT8_P12ihipStream_tbDpT10_ENKUlT_T0_E_clISt17integral_constantIbLb1EES1B_EEDaS16_S17_EUlS16_E_NS1_11comp_targetILNS1_3genE10ELNS1_11target_archE1200ELNS1_3gpuE4ELNS1_3repE0EEENS1_30default_config_static_selectorELNS0_4arch9wavefront6targetE0EEEvT1_,@function
_ZN7rocprim17ROCPRIM_400000_NS6detail17trampoline_kernelINS0_14default_configENS1_25partition_config_selectorILNS1_17partition_subalgoE5ElNS0_10empty_typeEbEEZZNS1_14partition_implILS5_5ELb0ES3_mN6hipcub16HIPCUB_304000_NS21CountingInputIteratorIllEEPS6_NSA_22TransformInputIteratorIbN2at6native12_GLOBAL__N_19NonZeroOpIhEEPKhlEENS0_5tupleIJPlS6_EEENSN_IJSD_SD_EEES6_PiJS6_EEE10hipError_tPvRmT3_T4_T5_T6_T7_T9_mT8_P12ihipStream_tbDpT10_ENKUlT_T0_E_clISt17integral_constantIbLb1EES1B_EEDaS16_S17_EUlS16_E_NS1_11comp_targetILNS1_3genE10ELNS1_11target_archE1200ELNS1_3gpuE4ELNS1_3repE0EEENS1_30default_config_static_selectorELNS0_4arch9wavefront6targetE0EEEvT1_: ; @_ZN7rocprim17ROCPRIM_400000_NS6detail17trampoline_kernelINS0_14default_configENS1_25partition_config_selectorILNS1_17partition_subalgoE5ElNS0_10empty_typeEbEEZZNS1_14partition_implILS5_5ELb0ES3_mN6hipcub16HIPCUB_304000_NS21CountingInputIteratorIllEEPS6_NSA_22TransformInputIteratorIbN2at6native12_GLOBAL__N_19NonZeroOpIhEEPKhlEENS0_5tupleIJPlS6_EEENSN_IJSD_SD_EEES6_PiJS6_EEE10hipError_tPvRmT3_T4_T5_T6_T7_T9_mT8_P12ihipStream_tbDpT10_ENKUlT_T0_E_clISt17integral_constantIbLb1EES1B_EEDaS16_S17_EUlS16_E_NS1_11comp_targetILNS1_3genE10ELNS1_11target_archE1200ELNS1_3gpuE4ELNS1_3repE0EEENS1_30default_config_static_selectorELNS0_4arch9wavefront6targetE0EEEvT1_
; %bb.0:
	s_endpgm
	.section	.rodata,"a",@progbits
	.p2align	6, 0x0
	.amdhsa_kernel _ZN7rocprim17ROCPRIM_400000_NS6detail17trampoline_kernelINS0_14default_configENS1_25partition_config_selectorILNS1_17partition_subalgoE5ElNS0_10empty_typeEbEEZZNS1_14partition_implILS5_5ELb0ES3_mN6hipcub16HIPCUB_304000_NS21CountingInputIteratorIllEEPS6_NSA_22TransformInputIteratorIbN2at6native12_GLOBAL__N_19NonZeroOpIhEEPKhlEENS0_5tupleIJPlS6_EEENSN_IJSD_SD_EEES6_PiJS6_EEE10hipError_tPvRmT3_T4_T5_T6_T7_T9_mT8_P12ihipStream_tbDpT10_ENKUlT_T0_E_clISt17integral_constantIbLb1EES1B_EEDaS16_S17_EUlS16_E_NS1_11comp_targetILNS1_3genE10ELNS1_11target_archE1200ELNS1_3gpuE4ELNS1_3repE0EEENS1_30default_config_static_selectorELNS0_4arch9wavefront6targetE0EEEvT1_
		.amdhsa_group_segment_fixed_size 0
		.amdhsa_private_segment_fixed_size 0
		.amdhsa_kernarg_size 136
		.amdhsa_user_sgpr_count 2
		.amdhsa_user_sgpr_dispatch_ptr 0
		.amdhsa_user_sgpr_queue_ptr 0
		.amdhsa_user_sgpr_kernarg_segment_ptr 1
		.amdhsa_user_sgpr_dispatch_id 0
		.amdhsa_user_sgpr_private_segment_size 0
		.amdhsa_wavefront_size32 1
		.amdhsa_uses_dynamic_stack 0
		.amdhsa_enable_private_segment 0
		.amdhsa_system_sgpr_workgroup_id_x 1
		.amdhsa_system_sgpr_workgroup_id_y 0
		.amdhsa_system_sgpr_workgroup_id_z 0
		.amdhsa_system_sgpr_workgroup_info 0
		.amdhsa_system_vgpr_workitem_id 0
		.amdhsa_next_free_vgpr 1
		.amdhsa_next_free_sgpr 1
		.amdhsa_reserve_vcc 0
		.amdhsa_float_round_mode_32 0
		.amdhsa_float_round_mode_16_64 0
		.amdhsa_float_denorm_mode_32 3
		.amdhsa_float_denorm_mode_16_64 3
		.amdhsa_fp16_overflow 0
		.amdhsa_workgroup_processor_mode 1
		.amdhsa_memory_ordered 1
		.amdhsa_forward_progress 1
		.amdhsa_inst_pref_size 1
		.amdhsa_round_robin_scheduling 0
		.amdhsa_exception_fp_ieee_invalid_op 0
		.amdhsa_exception_fp_denorm_src 0
		.amdhsa_exception_fp_ieee_div_zero 0
		.amdhsa_exception_fp_ieee_overflow 0
		.amdhsa_exception_fp_ieee_underflow 0
		.amdhsa_exception_fp_ieee_inexact 0
		.amdhsa_exception_int_div_zero 0
	.end_amdhsa_kernel
	.section	.text._ZN7rocprim17ROCPRIM_400000_NS6detail17trampoline_kernelINS0_14default_configENS1_25partition_config_selectorILNS1_17partition_subalgoE5ElNS0_10empty_typeEbEEZZNS1_14partition_implILS5_5ELb0ES3_mN6hipcub16HIPCUB_304000_NS21CountingInputIteratorIllEEPS6_NSA_22TransformInputIteratorIbN2at6native12_GLOBAL__N_19NonZeroOpIhEEPKhlEENS0_5tupleIJPlS6_EEENSN_IJSD_SD_EEES6_PiJS6_EEE10hipError_tPvRmT3_T4_T5_T6_T7_T9_mT8_P12ihipStream_tbDpT10_ENKUlT_T0_E_clISt17integral_constantIbLb1EES1B_EEDaS16_S17_EUlS16_E_NS1_11comp_targetILNS1_3genE10ELNS1_11target_archE1200ELNS1_3gpuE4ELNS1_3repE0EEENS1_30default_config_static_selectorELNS0_4arch9wavefront6targetE0EEEvT1_,"axG",@progbits,_ZN7rocprim17ROCPRIM_400000_NS6detail17trampoline_kernelINS0_14default_configENS1_25partition_config_selectorILNS1_17partition_subalgoE5ElNS0_10empty_typeEbEEZZNS1_14partition_implILS5_5ELb0ES3_mN6hipcub16HIPCUB_304000_NS21CountingInputIteratorIllEEPS6_NSA_22TransformInputIteratorIbN2at6native12_GLOBAL__N_19NonZeroOpIhEEPKhlEENS0_5tupleIJPlS6_EEENSN_IJSD_SD_EEES6_PiJS6_EEE10hipError_tPvRmT3_T4_T5_T6_T7_T9_mT8_P12ihipStream_tbDpT10_ENKUlT_T0_E_clISt17integral_constantIbLb1EES1B_EEDaS16_S17_EUlS16_E_NS1_11comp_targetILNS1_3genE10ELNS1_11target_archE1200ELNS1_3gpuE4ELNS1_3repE0EEENS1_30default_config_static_selectorELNS0_4arch9wavefront6targetE0EEEvT1_,comdat
.Lfunc_end60:
	.size	_ZN7rocprim17ROCPRIM_400000_NS6detail17trampoline_kernelINS0_14default_configENS1_25partition_config_selectorILNS1_17partition_subalgoE5ElNS0_10empty_typeEbEEZZNS1_14partition_implILS5_5ELb0ES3_mN6hipcub16HIPCUB_304000_NS21CountingInputIteratorIllEEPS6_NSA_22TransformInputIteratorIbN2at6native12_GLOBAL__N_19NonZeroOpIhEEPKhlEENS0_5tupleIJPlS6_EEENSN_IJSD_SD_EEES6_PiJS6_EEE10hipError_tPvRmT3_T4_T5_T6_T7_T9_mT8_P12ihipStream_tbDpT10_ENKUlT_T0_E_clISt17integral_constantIbLb1EES1B_EEDaS16_S17_EUlS16_E_NS1_11comp_targetILNS1_3genE10ELNS1_11target_archE1200ELNS1_3gpuE4ELNS1_3repE0EEENS1_30default_config_static_selectorELNS0_4arch9wavefront6targetE0EEEvT1_, .Lfunc_end60-_ZN7rocprim17ROCPRIM_400000_NS6detail17trampoline_kernelINS0_14default_configENS1_25partition_config_selectorILNS1_17partition_subalgoE5ElNS0_10empty_typeEbEEZZNS1_14partition_implILS5_5ELb0ES3_mN6hipcub16HIPCUB_304000_NS21CountingInputIteratorIllEEPS6_NSA_22TransformInputIteratorIbN2at6native12_GLOBAL__N_19NonZeroOpIhEEPKhlEENS0_5tupleIJPlS6_EEENSN_IJSD_SD_EEES6_PiJS6_EEE10hipError_tPvRmT3_T4_T5_T6_T7_T9_mT8_P12ihipStream_tbDpT10_ENKUlT_T0_E_clISt17integral_constantIbLb1EES1B_EEDaS16_S17_EUlS16_E_NS1_11comp_targetILNS1_3genE10ELNS1_11target_archE1200ELNS1_3gpuE4ELNS1_3repE0EEENS1_30default_config_static_selectorELNS0_4arch9wavefront6targetE0EEEvT1_
                                        ; -- End function
	.set _ZN7rocprim17ROCPRIM_400000_NS6detail17trampoline_kernelINS0_14default_configENS1_25partition_config_selectorILNS1_17partition_subalgoE5ElNS0_10empty_typeEbEEZZNS1_14partition_implILS5_5ELb0ES3_mN6hipcub16HIPCUB_304000_NS21CountingInputIteratorIllEEPS6_NSA_22TransformInputIteratorIbN2at6native12_GLOBAL__N_19NonZeroOpIhEEPKhlEENS0_5tupleIJPlS6_EEENSN_IJSD_SD_EEES6_PiJS6_EEE10hipError_tPvRmT3_T4_T5_T6_T7_T9_mT8_P12ihipStream_tbDpT10_ENKUlT_T0_E_clISt17integral_constantIbLb1EES1B_EEDaS16_S17_EUlS16_E_NS1_11comp_targetILNS1_3genE10ELNS1_11target_archE1200ELNS1_3gpuE4ELNS1_3repE0EEENS1_30default_config_static_selectorELNS0_4arch9wavefront6targetE0EEEvT1_.num_vgpr, 0
	.set _ZN7rocprim17ROCPRIM_400000_NS6detail17trampoline_kernelINS0_14default_configENS1_25partition_config_selectorILNS1_17partition_subalgoE5ElNS0_10empty_typeEbEEZZNS1_14partition_implILS5_5ELb0ES3_mN6hipcub16HIPCUB_304000_NS21CountingInputIteratorIllEEPS6_NSA_22TransformInputIteratorIbN2at6native12_GLOBAL__N_19NonZeroOpIhEEPKhlEENS0_5tupleIJPlS6_EEENSN_IJSD_SD_EEES6_PiJS6_EEE10hipError_tPvRmT3_T4_T5_T6_T7_T9_mT8_P12ihipStream_tbDpT10_ENKUlT_T0_E_clISt17integral_constantIbLb1EES1B_EEDaS16_S17_EUlS16_E_NS1_11comp_targetILNS1_3genE10ELNS1_11target_archE1200ELNS1_3gpuE4ELNS1_3repE0EEENS1_30default_config_static_selectorELNS0_4arch9wavefront6targetE0EEEvT1_.num_agpr, 0
	.set _ZN7rocprim17ROCPRIM_400000_NS6detail17trampoline_kernelINS0_14default_configENS1_25partition_config_selectorILNS1_17partition_subalgoE5ElNS0_10empty_typeEbEEZZNS1_14partition_implILS5_5ELb0ES3_mN6hipcub16HIPCUB_304000_NS21CountingInputIteratorIllEEPS6_NSA_22TransformInputIteratorIbN2at6native12_GLOBAL__N_19NonZeroOpIhEEPKhlEENS0_5tupleIJPlS6_EEENSN_IJSD_SD_EEES6_PiJS6_EEE10hipError_tPvRmT3_T4_T5_T6_T7_T9_mT8_P12ihipStream_tbDpT10_ENKUlT_T0_E_clISt17integral_constantIbLb1EES1B_EEDaS16_S17_EUlS16_E_NS1_11comp_targetILNS1_3genE10ELNS1_11target_archE1200ELNS1_3gpuE4ELNS1_3repE0EEENS1_30default_config_static_selectorELNS0_4arch9wavefront6targetE0EEEvT1_.numbered_sgpr, 0
	.set _ZN7rocprim17ROCPRIM_400000_NS6detail17trampoline_kernelINS0_14default_configENS1_25partition_config_selectorILNS1_17partition_subalgoE5ElNS0_10empty_typeEbEEZZNS1_14partition_implILS5_5ELb0ES3_mN6hipcub16HIPCUB_304000_NS21CountingInputIteratorIllEEPS6_NSA_22TransformInputIteratorIbN2at6native12_GLOBAL__N_19NonZeroOpIhEEPKhlEENS0_5tupleIJPlS6_EEENSN_IJSD_SD_EEES6_PiJS6_EEE10hipError_tPvRmT3_T4_T5_T6_T7_T9_mT8_P12ihipStream_tbDpT10_ENKUlT_T0_E_clISt17integral_constantIbLb1EES1B_EEDaS16_S17_EUlS16_E_NS1_11comp_targetILNS1_3genE10ELNS1_11target_archE1200ELNS1_3gpuE4ELNS1_3repE0EEENS1_30default_config_static_selectorELNS0_4arch9wavefront6targetE0EEEvT1_.num_named_barrier, 0
	.set _ZN7rocprim17ROCPRIM_400000_NS6detail17trampoline_kernelINS0_14default_configENS1_25partition_config_selectorILNS1_17partition_subalgoE5ElNS0_10empty_typeEbEEZZNS1_14partition_implILS5_5ELb0ES3_mN6hipcub16HIPCUB_304000_NS21CountingInputIteratorIllEEPS6_NSA_22TransformInputIteratorIbN2at6native12_GLOBAL__N_19NonZeroOpIhEEPKhlEENS0_5tupleIJPlS6_EEENSN_IJSD_SD_EEES6_PiJS6_EEE10hipError_tPvRmT3_T4_T5_T6_T7_T9_mT8_P12ihipStream_tbDpT10_ENKUlT_T0_E_clISt17integral_constantIbLb1EES1B_EEDaS16_S17_EUlS16_E_NS1_11comp_targetILNS1_3genE10ELNS1_11target_archE1200ELNS1_3gpuE4ELNS1_3repE0EEENS1_30default_config_static_selectorELNS0_4arch9wavefront6targetE0EEEvT1_.private_seg_size, 0
	.set _ZN7rocprim17ROCPRIM_400000_NS6detail17trampoline_kernelINS0_14default_configENS1_25partition_config_selectorILNS1_17partition_subalgoE5ElNS0_10empty_typeEbEEZZNS1_14partition_implILS5_5ELb0ES3_mN6hipcub16HIPCUB_304000_NS21CountingInputIteratorIllEEPS6_NSA_22TransformInputIteratorIbN2at6native12_GLOBAL__N_19NonZeroOpIhEEPKhlEENS0_5tupleIJPlS6_EEENSN_IJSD_SD_EEES6_PiJS6_EEE10hipError_tPvRmT3_T4_T5_T6_T7_T9_mT8_P12ihipStream_tbDpT10_ENKUlT_T0_E_clISt17integral_constantIbLb1EES1B_EEDaS16_S17_EUlS16_E_NS1_11comp_targetILNS1_3genE10ELNS1_11target_archE1200ELNS1_3gpuE4ELNS1_3repE0EEENS1_30default_config_static_selectorELNS0_4arch9wavefront6targetE0EEEvT1_.uses_vcc, 0
	.set _ZN7rocprim17ROCPRIM_400000_NS6detail17trampoline_kernelINS0_14default_configENS1_25partition_config_selectorILNS1_17partition_subalgoE5ElNS0_10empty_typeEbEEZZNS1_14partition_implILS5_5ELb0ES3_mN6hipcub16HIPCUB_304000_NS21CountingInputIteratorIllEEPS6_NSA_22TransformInputIteratorIbN2at6native12_GLOBAL__N_19NonZeroOpIhEEPKhlEENS0_5tupleIJPlS6_EEENSN_IJSD_SD_EEES6_PiJS6_EEE10hipError_tPvRmT3_T4_T5_T6_T7_T9_mT8_P12ihipStream_tbDpT10_ENKUlT_T0_E_clISt17integral_constantIbLb1EES1B_EEDaS16_S17_EUlS16_E_NS1_11comp_targetILNS1_3genE10ELNS1_11target_archE1200ELNS1_3gpuE4ELNS1_3repE0EEENS1_30default_config_static_selectorELNS0_4arch9wavefront6targetE0EEEvT1_.uses_flat_scratch, 0
	.set _ZN7rocprim17ROCPRIM_400000_NS6detail17trampoline_kernelINS0_14default_configENS1_25partition_config_selectorILNS1_17partition_subalgoE5ElNS0_10empty_typeEbEEZZNS1_14partition_implILS5_5ELb0ES3_mN6hipcub16HIPCUB_304000_NS21CountingInputIteratorIllEEPS6_NSA_22TransformInputIteratorIbN2at6native12_GLOBAL__N_19NonZeroOpIhEEPKhlEENS0_5tupleIJPlS6_EEENSN_IJSD_SD_EEES6_PiJS6_EEE10hipError_tPvRmT3_T4_T5_T6_T7_T9_mT8_P12ihipStream_tbDpT10_ENKUlT_T0_E_clISt17integral_constantIbLb1EES1B_EEDaS16_S17_EUlS16_E_NS1_11comp_targetILNS1_3genE10ELNS1_11target_archE1200ELNS1_3gpuE4ELNS1_3repE0EEENS1_30default_config_static_selectorELNS0_4arch9wavefront6targetE0EEEvT1_.has_dyn_sized_stack, 0
	.set _ZN7rocprim17ROCPRIM_400000_NS6detail17trampoline_kernelINS0_14default_configENS1_25partition_config_selectorILNS1_17partition_subalgoE5ElNS0_10empty_typeEbEEZZNS1_14partition_implILS5_5ELb0ES3_mN6hipcub16HIPCUB_304000_NS21CountingInputIteratorIllEEPS6_NSA_22TransformInputIteratorIbN2at6native12_GLOBAL__N_19NonZeroOpIhEEPKhlEENS0_5tupleIJPlS6_EEENSN_IJSD_SD_EEES6_PiJS6_EEE10hipError_tPvRmT3_T4_T5_T6_T7_T9_mT8_P12ihipStream_tbDpT10_ENKUlT_T0_E_clISt17integral_constantIbLb1EES1B_EEDaS16_S17_EUlS16_E_NS1_11comp_targetILNS1_3genE10ELNS1_11target_archE1200ELNS1_3gpuE4ELNS1_3repE0EEENS1_30default_config_static_selectorELNS0_4arch9wavefront6targetE0EEEvT1_.has_recursion, 0
	.set _ZN7rocprim17ROCPRIM_400000_NS6detail17trampoline_kernelINS0_14default_configENS1_25partition_config_selectorILNS1_17partition_subalgoE5ElNS0_10empty_typeEbEEZZNS1_14partition_implILS5_5ELb0ES3_mN6hipcub16HIPCUB_304000_NS21CountingInputIteratorIllEEPS6_NSA_22TransformInputIteratorIbN2at6native12_GLOBAL__N_19NonZeroOpIhEEPKhlEENS0_5tupleIJPlS6_EEENSN_IJSD_SD_EEES6_PiJS6_EEE10hipError_tPvRmT3_T4_T5_T6_T7_T9_mT8_P12ihipStream_tbDpT10_ENKUlT_T0_E_clISt17integral_constantIbLb1EES1B_EEDaS16_S17_EUlS16_E_NS1_11comp_targetILNS1_3genE10ELNS1_11target_archE1200ELNS1_3gpuE4ELNS1_3repE0EEENS1_30default_config_static_selectorELNS0_4arch9wavefront6targetE0EEEvT1_.has_indirect_call, 0
	.section	.AMDGPU.csdata,"",@progbits
; Kernel info:
; codeLenInByte = 4
; TotalNumSgprs: 0
; NumVgprs: 0
; ScratchSize: 0
; MemoryBound: 0
; FloatMode: 240
; IeeeMode: 1
; LDSByteSize: 0 bytes/workgroup (compile time only)
; SGPRBlocks: 0
; VGPRBlocks: 0
; NumSGPRsForWavesPerEU: 1
; NumVGPRsForWavesPerEU: 1
; Occupancy: 16
; WaveLimiterHint : 0
; COMPUTE_PGM_RSRC2:SCRATCH_EN: 0
; COMPUTE_PGM_RSRC2:USER_SGPR: 2
; COMPUTE_PGM_RSRC2:TRAP_HANDLER: 0
; COMPUTE_PGM_RSRC2:TGID_X_EN: 1
; COMPUTE_PGM_RSRC2:TGID_Y_EN: 0
; COMPUTE_PGM_RSRC2:TGID_Z_EN: 0
; COMPUTE_PGM_RSRC2:TIDIG_COMP_CNT: 0
	.section	.text._ZN7rocprim17ROCPRIM_400000_NS6detail17trampoline_kernelINS0_14default_configENS1_25partition_config_selectorILNS1_17partition_subalgoE5ElNS0_10empty_typeEbEEZZNS1_14partition_implILS5_5ELb0ES3_mN6hipcub16HIPCUB_304000_NS21CountingInputIteratorIllEEPS6_NSA_22TransformInputIteratorIbN2at6native12_GLOBAL__N_19NonZeroOpIhEEPKhlEENS0_5tupleIJPlS6_EEENSN_IJSD_SD_EEES6_PiJS6_EEE10hipError_tPvRmT3_T4_T5_T6_T7_T9_mT8_P12ihipStream_tbDpT10_ENKUlT_T0_E_clISt17integral_constantIbLb1EES1B_EEDaS16_S17_EUlS16_E_NS1_11comp_targetILNS1_3genE9ELNS1_11target_archE1100ELNS1_3gpuE3ELNS1_3repE0EEENS1_30default_config_static_selectorELNS0_4arch9wavefront6targetE0EEEvT1_,"axG",@progbits,_ZN7rocprim17ROCPRIM_400000_NS6detail17trampoline_kernelINS0_14default_configENS1_25partition_config_selectorILNS1_17partition_subalgoE5ElNS0_10empty_typeEbEEZZNS1_14partition_implILS5_5ELb0ES3_mN6hipcub16HIPCUB_304000_NS21CountingInputIteratorIllEEPS6_NSA_22TransformInputIteratorIbN2at6native12_GLOBAL__N_19NonZeroOpIhEEPKhlEENS0_5tupleIJPlS6_EEENSN_IJSD_SD_EEES6_PiJS6_EEE10hipError_tPvRmT3_T4_T5_T6_T7_T9_mT8_P12ihipStream_tbDpT10_ENKUlT_T0_E_clISt17integral_constantIbLb1EES1B_EEDaS16_S17_EUlS16_E_NS1_11comp_targetILNS1_3genE9ELNS1_11target_archE1100ELNS1_3gpuE3ELNS1_3repE0EEENS1_30default_config_static_selectorELNS0_4arch9wavefront6targetE0EEEvT1_,comdat
	.globl	_ZN7rocprim17ROCPRIM_400000_NS6detail17trampoline_kernelINS0_14default_configENS1_25partition_config_selectorILNS1_17partition_subalgoE5ElNS0_10empty_typeEbEEZZNS1_14partition_implILS5_5ELb0ES3_mN6hipcub16HIPCUB_304000_NS21CountingInputIteratorIllEEPS6_NSA_22TransformInputIteratorIbN2at6native12_GLOBAL__N_19NonZeroOpIhEEPKhlEENS0_5tupleIJPlS6_EEENSN_IJSD_SD_EEES6_PiJS6_EEE10hipError_tPvRmT3_T4_T5_T6_T7_T9_mT8_P12ihipStream_tbDpT10_ENKUlT_T0_E_clISt17integral_constantIbLb1EES1B_EEDaS16_S17_EUlS16_E_NS1_11comp_targetILNS1_3genE9ELNS1_11target_archE1100ELNS1_3gpuE3ELNS1_3repE0EEENS1_30default_config_static_selectorELNS0_4arch9wavefront6targetE0EEEvT1_ ; -- Begin function _ZN7rocprim17ROCPRIM_400000_NS6detail17trampoline_kernelINS0_14default_configENS1_25partition_config_selectorILNS1_17partition_subalgoE5ElNS0_10empty_typeEbEEZZNS1_14partition_implILS5_5ELb0ES3_mN6hipcub16HIPCUB_304000_NS21CountingInputIteratorIllEEPS6_NSA_22TransformInputIteratorIbN2at6native12_GLOBAL__N_19NonZeroOpIhEEPKhlEENS0_5tupleIJPlS6_EEENSN_IJSD_SD_EEES6_PiJS6_EEE10hipError_tPvRmT3_T4_T5_T6_T7_T9_mT8_P12ihipStream_tbDpT10_ENKUlT_T0_E_clISt17integral_constantIbLb1EES1B_EEDaS16_S17_EUlS16_E_NS1_11comp_targetILNS1_3genE9ELNS1_11target_archE1100ELNS1_3gpuE3ELNS1_3repE0EEENS1_30default_config_static_selectorELNS0_4arch9wavefront6targetE0EEEvT1_
	.p2align	8
	.type	_ZN7rocprim17ROCPRIM_400000_NS6detail17trampoline_kernelINS0_14default_configENS1_25partition_config_selectorILNS1_17partition_subalgoE5ElNS0_10empty_typeEbEEZZNS1_14partition_implILS5_5ELb0ES3_mN6hipcub16HIPCUB_304000_NS21CountingInputIteratorIllEEPS6_NSA_22TransformInputIteratorIbN2at6native12_GLOBAL__N_19NonZeroOpIhEEPKhlEENS0_5tupleIJPlS6_EEENSN_IJSD_SD_EEES6_PiJS6_EEE10hipError_tPvRmT3_T4_T5_T6_T7_T9_mT8_P12ihipStream_tbDpT10_ENKUlT_T0_E_clISt17integral_constantIbLb1EES1B_EEDaS16_S17_EUlS16_E_NS1_11comp_targetILNS1_3genE9ELNS1_11target_archE1100ELNS1_3gpuE3ELNS1_3repE0EEENS1_30default_config_static_selectorELNS0_4arch9wavefront6targetE0EEEvT1_,@function
_ZN7rocprim17ROCPRIM_400000_NS6detail17trampoline_kernelINS0_14default_configENS1_25partition_config_selectorILNS1_17partition_subalgoE5ElNS0_10empty_typeEbEEZZNS1_14partition_implILS5_5ELb0ES3_mN6hipcub16HIPCUB_304000_NS21CountingInputIteratorIllEEPS6_NSA_22TransformInputIteratorIbN2at6native12_GLOBAL__N_19NonZeroOpIhEEPKhlEENS0_5tupleIJPlS6_EEENSN_IJSD_SD_EEES6_PiJS6_EEE10hipError_tPvRmT3_T4_T5_T6_T7_T9_mT8_P12ihipStream_tbDpT10_ENKUlT_T0_E_clISt17integral_constantIbLb1EES1B_EEDaS16_S17_EUlS16_E_NS1_11comp_targetILNS1_3genE9ELNS1_11target_archE1100ELNS1_3gpuE3ELNS1_3repE0EEENS1_30default_config_static_selectorELNS0_4arch9wavefront6targetE0EEEvT1_: ; @_ZN7rocprim17ROCPRIM_400000_NS6detail17trampoline_kernelINS0_14default_configENS1_25partition_config_selectorILNS1_17partition_subalgoE5ElNS0_10empty_typeEbEEZZNS1_14partition_implILS5_5ELb0ES3_mN6hipcub16HIPCUB_304000_NS21CountingInputIteratorIllEEPS6_NSA_22TransformInputIteratorIbN2at6native12_GLOBAL__N_19NonZeroOpIhEEPKhlEENS0_5tupleIJPlS6_EEENSN_IJSD_SD_EEES6_PiJS6_EEE10hipError_tPvRmT3_T4_T5_T6_T7_T9_mT8_P12ihipStream_tbDpT10_ENKUlT_T0_E_clISt17integral_constantIbLb1EES1B_EEDaS16_S17_EUlS16_E_NS1_11comp_targetILNS1_3genE9ELNS1_11target_archE1100ELNS1_3gpuE3ELNS1_3repE0EEENS1_30default_config_static_selectorELNS0_4arch9wavefront6targetE0EEEvT1_
; %bb.0:
	.section	.rodata,"a",@progbits
	.p2align	6, 0x0
	.amdhsa_kernel _ZN7rocprim17ROCPRIM_400000_NS6detail17trampoline_kernelINS0_14default_configENS1_25partition_config_selectorILNS1_17partition_subalgoE5ElNS0_10empty_typeEbEEZZNS1_14partition_implILS5_5ELb0ES3_mN6hipcub16HIPCUB_304000_NS21CountingInputIteratorIllEEPS6_NSA_22TransformInputIteratorIbN2at6native12_GLOBAL__N_19NonZeroOpIhEEPKhlEENS0_5tupleIJPlS6_EEENSN_IJSD_SD_EEES6_PiJS6_EEE10hipError_tPvRmT3_T4_T5_T6_T7_T9_mT8_P12ihipStream_tbDpT10_ENKUlT_T0_E_clISt17integral_constantIbLb1EES1B_EEDaS16_S17_EUlS16_E_NS1_11comp_targetILNS1_3genE9ELNS1_11target_archE1100ELNS1_3gpuE3ELNS1_3repE0EEENS1_30default_config_static_selectorELNS0_4arch9wavefront6targetE0EEEvT1_
		.amdhsa_group_segment_fixed_size 0
		.amdhsa_private_segment_fixed_size 0
		.amdhsa_kernarg_size 136
		.amdhsa_user_sgpr_count 2
		.amdhsa_user_sgpr_dispatch_ptr 0
		.amdhsa_user_sgpr_queue_ptr 0
		.amdhsa_user_sgpr_kernarg_segment_ptr 1
		.amdhsa_user_sgpr_dispatch_id 0
		.amdhsa_user_sgpr_private_segment_size 0
		.amdhsa_wavefront_size32 1
		.amdhsa_uses_dynamic_stack 0
		.amdhsa_enable_private_segment 0
		.amdhsa_system_sgpr_workgroup_id_x 1
		.amdhsa_system_sgpr_workgroup_id_y 0
		.amdhsa_system_sgpr_workgroup_id_z 0
		.amdhsa_system_sgpr_workgroup_info 0
		.amdhsa_system_vgpr_workitem_id 0
		.amdhsa_next_free_vgpr 1
		.amdhsa_next_free_sgpr 1
		.amdhsa_reserve_vcc 0
		.amdhsa_float_round_mode_32 0
		.amdhsa_float_round_mode_16_64 0
		.amdhsa_float_denorm_mode_32 3
		.amdhsa_float_denorm_mode_16_64 3
		.amdhsa_fp16_overflow 0
		.amdhsa_workgroup_processor_mode 1
		.amdhsa_memory_ordered 1
		.amdhsa_forward_progress 1
		.amdhsa_inst_pref_size 0
		.amdhsa_round_robin_scheduling 0
		.amdhsa_exception_fp_ieee_invalid_op 0
		.amdhsa_exception_fp_denorm_src 0
		.amdhsa_exception_fp_ieee_div_zero 0
		.amdhsa_exception_fp_ieee_overflow 0
		.amdhsa_exception_fp_ieee_underflow 0
		.amdhsa_exception_fp_ieee_inexact 0
		.amdhsa_exception_int_div_zero 0
	.end_amdhsa_kernel
	.section	.text._ZN7rocprim17ROCPRIM_400000_NS6detail17trampoline_kernelINS0_14default_configENS1_25partition_config_selectorILNS1_17partition_subalgoE5ElNS0_10empty_typeEbEEZZNS1_14partition_implILS5_5ELb0ES3_mN6hipcub16HIPCUB_304000_NS21CountingInputIteratorIllEEPS6_NSA_22TransformInputIteratorIbN2at6native12_GLOBAL__N_19NonZeroOpIhEEPKhlEENS0_5tupleIJPlS6_EEENSN_IJSD_SD_EEES6_PiJS6_EEE10hipError_tPvRmT3_T4_T5_T6_T7_T9_mT8_P12ihipStream_tbDpT10_ENKUlT_T0_E_clISt17integral_constantIbLb1EES1B_EEDaS16_S17_EUlS16_E_NS1_11comp_targetILNS1_3genE9ELNS1_11target_archE1100ELNS1_3gpuE3ELNS1_3repE0EEENS1_30default_config_static_selectorELNS0_4arch9wavefront6targetE0EEEvT1_,"axG",@progbits,_ZN7rocprim17ROCPRIM_400000_NS6detail17trampoline_kernelINS0_14default_configENS1_25partition_config_selectorILNS1_17partition_subalgoE5ElNS0_10empty_typeEbEEZZNS1_14partition_implILS5_5ELb0ES3_mN6hipcub16HIPCUB_304000_NS21CountingInputIteratorIllEEPS6_NSA_22TransformInputIteratorIbN2at6native12_GLOBAL__N_19NonZeroOpIhEEPKhlEENS0_5tupleIJPlS6_EEENSN_IJSD_SD_EEES6_PiJS6_EEE10hipError_tPvRmT3_T4_T5_T6_T7_T9_mT8_P12ihipStream_tbDpT10_ENKUlT_T0_E_clISt17integral_constantIbLb1EES1B_EEDaS16_S17_EUlS16_E_NS1_11comp_targetILNS1_3genE9ELNS1_11target_archE1100ELNS1_3gpuE3ELNS1_3repE0EEENS1_30default_config_static_selectorELNS0_4arch9wavefront6targetE0EEEvT1_,comdat
.Lfunc_end61:
	.size	_ZN7rocprim17ROCPRIM_400000_NS6detail17trampoline_kernelINS0_14default_configENS1_25partition_config_selectorILNS1_17partition_subalgoE5ElNS0_10empty_typeEbEEZZNS1_14partition_implILS5_5ELb0ES3_mN6hipcub16HIPCUB_304000_NS21CountingInputIteratorIllEEPS6_NSA_22TransformInputIteratorIbN2at6native12_GLOBAL__N_19NonZeroOpIhEEPKhlEENS0_5tupleIJPlS6_EEENSN_IJSD_SD_EEES6_PiJS6_EEE10hipError_tPvRmT3_T4_T5_T6_T7_T9_mT8_P12ihipStream_tbDpT10_ENKUlT_T0_E_clISt17integral_constantIbLb1EES1B_EEDaS16_S17_EUlS16_E_NS1_11comp_targetILNS1_3genE9ELNS1_11target_archE1100ELNS1_3gpuE3ELNS1_3repE0EEENS1_30default_config_static_selectorELNS0_4arch9wavefront6targetE0EEEvT1_, .Lfunc_end61-_ZN7rocprim17ROCPRIM_400000_NS6detail17trampoline_kernelINS0_14default_configENS1_25partition_config_selectorILNS1_17partition_subalgoE5ElNS0_10empty_typeEbEEZZNS1_14partition_implILS5_5ELb0ES3_mN6hipcub16HIPCUB_304000_NS21CountingInputIteratorIllEEPS6_NSA_22TransformInputIteratorIbN2at6native12_GLOBAL__N_19NonZeroOpIhEEPKhlEENS0_5tupleIJPlS6_EEENSN_IJSD_SD_EEES6_PiJS6_EEE10hipError_tPvRmT3_T4_T5_T6_T7_T9_mT8_P12ihipStream_tbDpT10_ENKUlT_T0_E_clISt17integral_constantIbLb1EES1B_EEDaS16_S17_EUlS16_E_NS1_11comp_targetILNS1_3genE9ELNS1_11target_archE1100ELNS1_3gpuE3ELNS1_3repE0EEENS1_30default_config_static_selectorELNS0_4arch9wavefront6targetE0EEEvT1_
                                        ; -- End function
	.set _ZN7rocprim17ROCPRIM_400000_NS6detail17trampoline_kernelINS0_14default_configENS1_25partition_config_selectorILNS1_17partition_subalgoE5ElNS0_10empty_typeEbEEZZNS1_14partition_implILS5_5ELb0ES3_mN6hipcub16HIPCUB_304000_NS21CountingInputIteratorIllEEPS6_NSA_22TransformInputIteratorIbN2at6native12_GLOBAL__N_19NonZeroOpIhEEPKhlEENS0_5tupleIJPlS6_EEENSN_IJSD_SD_EEES6_PiJS6_EEE10hipError_tPvRmT3_T4_T5_T6_T7_T9_mT8_P12ihipStream_tbDpT10_ENKUlT_T0_E_clISt17integral_constantIbLb1EES1B_EEDaS16_S17_EUlS16_E_NS1_11comp_targetILNS1_3genE9ELNS1_11target_archE1100ELNS1_3gpuE3ELNS1_3repE0EEENS1_30default_config_static_selectorELNS0_4arch9wavefront6targetE0EEEvT1_.num_vgpr, 0
	.set _ZN7rocprim17ROCPRIM_400000_NS6detail17trampoline_kernelINS0_14default_configENS1_25partition_config_selectorILNS1_17partition_subalgoE5ElNS0_10empty_typeEbEEZZNS1_14partition_implILS5_5ELb0ES3_mN6hipcub16HIPCUB_304000_NS21CountingInputIteratorIllEEPS6_NSA_22TransformInputIteratorIbN2at6native12_GLOBAL__N_19NonZeroOpIhEEPKhlEENS0_5tupleIJPlS6_EEENSN_IJSD_SD_EEES6_PiJS6_EEE10hipError_tPvRmT3_T4_T5_T6_T7_T9_mT8_P12ihipStream_tbDpT10_ENKUlT_T0_E_clISt17integral_constantIbLb1EES1B_EEDaS16_S17_EUlS16_E_NS1_11comp_targetILNS1_3genE9ELNS1_11target_archE1100ELNS1_3gpuE3ELNS1_3repE0EEENS1_30default_config_static_selectorELNS0_4arch9wavefront6targetE0EEEvT1_.num_agpr, 0
	.set _ZN7rocprim17ROCPRIM_400000_NS6detail17trampoline_kernelINS0_14default_configENS1_25partition_config_selectorILNS1_17partition_subalgoE5ElNS0_10empty_typeEbEEZZNS1_14partition_implILS5_5ELb0ES3_mN6hipcub16HIPCUB_304000_NS21CountingInputIteratorIllEEPS6_NSA_22TransformInputIteratorIbN2at6native12_GLOBAL__N_19NonZeroOpIhEEPKhlEENS0_5tupleIJPlS6_EEENSN_IJSD_SD_EEES6_PiJS6_EEE10hipError_tPvRmT3_T4_T5_T6_T7_T9_mT8_P12ihipStream_tbDpT10_ENKUlT_T0_E_clISt17integral_constantIbLb1EES1B_EEDaS16_S17_EUlS16_E_NS1_11comp_targetILNS1_3genE9ELNS1_11target_archE1100ELNS1_3gpuE3ELNS1_3repE0EEENS1_30default_config_static_selectorELNS0_4arch9wavefront6targetE0EEEvT1_.numbered_sgpr, 0
	.set _ZN7rocprim17ROCPRIM_400000_NS6detail17trampoline_kernelINS0_14default_configENS1_25partition_config_selectorILNS1_17partition_subalgoE5ElNS0_10empty_typeEbEEZZNS1_14partition_implILS5_5ELb0ES3_mN6hipcub16HIPCUB_304000_NS21CountingInputIteratorIllEEPS6_NSA_22TransformInputIteratorIbN2at6native12_GLOBAL__N_19NonZeroOpIhEEPKhlEENS0_5tupleIJPlS6_EEENSN_IJSD_SD_EEES6_PiJS6_EEE10hipError_tPvRmT3_T4_T5_T6_T7_T9_mT8_P12ihipStream_tbDpT10_ENKUlT_T0_E_clISt17integral_constantIbLb1EES1B_EEDaS16_S17_EUlS16_E_NS1_11comp_targetILNS1_3genE9ELNS1_11target_archE1100ELNS1_3gpuE3ELNS1_3repE0EEENS1_30default_config_static_selectorELNS0_4arch9wavefront6targetE0EEEvT1_.num_named_barrier, 0
	.set _ZN7rocprim17ROCPRIM_400000_NS6detail17trampoline_kernelINS0_14default_configENS1_25partition_config_selectorILNS1_17partition_subalgoE5ElNS0_10empty_typeEbEEZZNS1_14partition_implILS5_5ELb0ES3_mN6hipcub16HIPCUB_304000_NS21CountingInputIteratorIllEEPS6_NSA_22TransformInputIteratorIbN2at6native12_GLOBAL__N_19NonZeroOpIhEEPKhlEENS0_5tupleIJPlS6_EEENSN_IJSD_SD_EEES6_PiJS6_EEE10hipError_tPvRmT3_T4_T5_T6_T7_T9_mT8_P12ihipStream_tbDpT10_ENKUlT_T0_E_clISt17integral_constantIbLb1EES1B_EEDaS16_S17_EUlS16_E_NS1_11comp_targetILNS1_3genE9ELNS1_11target_archE1100ELNS1_3gpuE3ELNS1_3repE0EEENS1_30default_config_static_selectorELNS0_4arch9wavefront6targetE0EEEvT1_.private_seg_size, 0
	.set _ZN7rocprim17ROCPRIM_400000_NS6detail17trampoline_kernelINS0_14default_configENS1_25partition_config_selectorILNS1_17partition_subalgoE5ElNS0_10empty_typeEbEEZZNS1_14partition_implILS5_5ELb0ES3_mN6hipcub16HIPCUB_304000_NS21CountingInputIteratorIllEEPS6_NSA_22TransformInputIteratorIbN2at6native12_GLOBAL__N_19NonZeroOpIhEEPKhlEENS0_5tupleIJPlS6_EEENSN_IJSD_SD_EEES6_PiJS6_EEE10hipError_tPvRmT3_T4_T5_T6_T7_T9_mT8_P12ihipStream_tbDpT10_ENKUlT_T0_E_clISt17integral_constantIbLb1EES1B_EEDaS16_S17_EUlS16_E_NS1_11comp_targetILNS1_3genE9ELNS1_11target_archE1100ELNS1_3gpuE3ELNS1_3repE0EEENS1_30default_config_static_selectorELNS0_4arch9wavefront6targetE0EEEvT1_.uses_vcc, 0
	.set _ZN7rocprim17ROCPRIM_400000_NS6detail17trampoline_kernelINS0_14default_configENS1_25partition_config_selectorILNS1_17partition_subalgoE5ElNS0_10empty_typeEbEEZZNS1_14partition_implILS5_5ELb0ES3_mN6hipcub16HIPCUB_304000_NS21CountingInputIteratorIllEEPS6_NSA_22TransformInputIteratorIbN2at6native12_GLOBAL__N_19NonZeroOpIhEEPKhlEENS0_5tupleIJPlS6_EEENSN_IJSD_SD_EEES6_PiJS6_EEE10hipError_tPvRmT3_T4_T5_T6_T7_T9_mT8_P12ihipStream_tbDpT10_ENKUlT_T0_E_clISt17integral_constantIbLb1EES1B_EEDaS16_S17_EUlS16_E_NS1_11comp_targetILNS1_3genE9ELNS1_11target_archE1100ELNS1_3gpuE3ELNS1_3repE0EEENS1_30default_config_static_selectorELNS0_4arch9wavefront6targetE0EEEvT1_.uses_flat_scratch, 0
	.set _ZN7rocprim17ROCPRIM_400000_NS6detail17trampoline_kernelINS0_14default_configENS1_25partition_config_selectorILNS1_17partition_subalgoE5ElNS0_10empty_typeEbEEZZNS1_14partition_implILS5_5ELb0ES3_mN6hipcub16HIPCUB_304000_NS21CountingInputIteratorIllEEPS6_NSA_22TransformInputIteratorIbN2at6native12_GLOBAL__N_19NonZeroOpIhEEPKhlEENS0_5tupleIJPlS6_EEENSN_IJSD_SD_EEES6_PiJS6_EEE10hipError_tPvRmT3_T4_T5_T6_T7_T9_mT8_P12ihipStream_tbDpT10_ENKUlT_T0_E_clISt17integral_constantIbLb1EES1B_EEDaS16_S17_EUlS16_E_NS1_11comp_targetILNS1_3genE9ELNS1_11target_archE1100ELNS1_3gpuE3ELNS1_3repE0EEENS1_30default_config_static_selectorELNS0_4arch9wavefront6targetE0EEEvT1_.has_dyn_sized_stack, 0
	.set _ZN7rocprim17ROCPRIM_400000_NS6detail17trampoline_kernelINS0_14default_configENS1_25partition_config_selectorILNS1_17partition_subalgoE5ElNS0_10empty_typeEbEEZZNS1_14partition_implILS5_5ELb0ES3_mN6hipcub16HIPCUB_304000_NS21CountingInputIteratorIllEEPS6_NSA_22TransformInputIteratorIbN2at6native12_GLOBAL__N_19NonZeroOpIhEEPKhlEENS0_5tupleIJPlS6_EEENSN_IJSD_SD_EEES6_PiJS6_EEE10hipError_tPvRmT3_T4_T5_T6_T7_T9_mT8_P12ihipStream_tbDpT10_ENKUlT_T0_E_clISt17integral_constantIbLb1EES1B_EEDaS16_S17_EUlS16_E_NS1_11comp_targetILNS1_3genE9ELNS1_11target_archE1100ELNS1_3gpuE3ELNS1_3repE0EEENS1_30default_config_static_selectorELNS0_4arch9wavefront6targetE0EEEvT1_.has_recursion, 0
	.set _ZN7rocprim17ROCPRIM_400000_NS6detail17trampoline_kernelINS0_14default_configENS1_25partition_config_selectorILNS1_17partition_subalgoE5ElNS0_10empty_typeEbEEZZNS1_14partition_implILS5_5ELb0ES3_mN6hipcub16HIPCUB_304000_NS21CountingInputIteratorIllEEPS6_NSA_22TransformInputIteratorIbN2at6native12_GLOBAL__N_19NonZeroOpIhEEPKhlEENS0_5tupleIJPlS6_EEENSN_IJSD_SD_EEES6_PiJS6_EEE10hipError_tPvRmT3_T4_T5_T6_T7_T9_mT8_P12ihipStream_tbDpT10_ENKUlT_T0_E_clISt17integral_constantIbLb1EES1B_EEDaS16_S17_EUlS16_E_NS1_11comp_targetILNS1_3genE9ELNS1_11target_archE1100ELNS1_3gpuE3ELNS1_3repE0EEENS1_30default_config_static_selectorELNS0_4arch9wavefront6targetE0EEEvT1_.has_indirect_call, 0
	.section	.AMDGPU.csdata,"",@progbits
; Kernel info:
; codeLenInByte = 0
; TotalNumSgprs: 0
; NumVgprs: 0
; ScratchSize: 0
; MemoryBound: 0
; FloatMode: 240
; IeeeMode: 1
; LDSByteSize: 0 bytes/workgroup (compile time only)
; SGPRBlocks: 0
; VGPRBlocks: 0
; NumSGPRsForWavesPerEU: 1
; NumVGPRsForWavesPerEU: 1
; Occupancy: 16
; WaveLimiterHint : 0
; COMPUTE_PGM_RSRC2:SCRATCH_EN: 0
; COMPUTE_PGM_RSRC2:USER_SGPR: 2
; COMPUTE_PGM_RSRC2:TRAP_HANDLER: 0
; COMPUTE_PGM_RSRC2:TGID_X_EN: 1
; COMPUTE_PGM_RSRC2:TGID_Y_EN: 0
; COMPUTE_PGM_RSRC2:TGID_Z_EN: 0
; COMPUTE_PGM_RSRC2:TIDIG_COMP_CNT: 0
	.section	.text._ZN7rocprim17ROCPRIM_400000_NS6detail17trampoline_kernelINS0_14default_configENS1_25partition_config_selectorILNS1_17partition_subalgoE5ElNS0_10empty_typeEbEEZZNS1_14partition_implILS5_5ELb0ES3_mN6hipcub16HIPCUB_304000_NS21CountingInputIteratorIllEEPS6_NSA_22TransformInputIteratorIbN2at6native12_GLOBAL__N_19NonZeroOpIhEEPKhlEENS0_5tupleIJPlS6_EEENSN_IJSD_SD_EEES6_PiJS6_EEE10hipError_tPvRmT3_T4_T5_T6_T7_T9_mT8_P12ihipStream_tbDpT10_ENKUlT_T0_E_clISt17integral_constantIbLb1EES1B_EEDaS16_S17_EUlS16_E_NS1_11comp_targetILNS1_3genE8ELNS1_11target_archE1030ELNS1_3gpuE2ELNS1_3repE0EEENS1_30default_config_static_selectorELNS0_4arch9wavefront6targetE0EEEvT1_,"axG",@progbits,_ZN7rocprim17ROCPRIM_400000_NS6detail17trampoline_kernelINS0_14default_configENS1_25partition_config_selectorILNS1_17partition_subalgoE5ElNS0_10empty_typeEbEEZZNS1_14partition_implILS5_5ELb0ES3_mN6hipcub16HIPCUB_304000_NS21CountingInputIteratorIllEEPS6_NSA_22TransformInputIteratorIbN2at6native12_GLOBAL__N_19NonZeroOpIhEEPKhlEENS0_5tupleIJPlS6_EEENSN_IJSD_SD_EEES6_PiJS6_EEE10hipError_tPvRmT3_T4_T5_T6_T7_T9_mT8_P12ihipStream_tbDpT10_ENKUlT_T0_E_clISt17integral_constantIbLb1EES1B_EEDaS16_S17_EUlS16_E_NS1_11comp_targetILNS1_3genE8ELNS1_11target_archE1030ELNS1_3gpuE2ELNS1_3repE0EEENS1_30default_config_static_selectorELNS0_4arch9wavefront6targetE0EEEvT1_,comdat
	.globl	_ZN7rocprim17ROCPRIM_400000_NS6detail17trampoline_kernelINS0_14default_configENS1_25partition_config_selectorILNS1_17partition_subalgoE5ElNS0_10empty_typeEbEEZZNS1_14partition_implILS5_5ELb0ES3_mN6hipcub16HIPCUB_304000_NS21CountingInputIteratorIllEEPS6_NSA_22TransformInputIteratorIbN2at6native12_GLOBAL__N_19NonZeroOpIhEEPKhlEENS0_5tupleIJPlS6_EEENSN_IJSD_SD_EEES6_PiJS6_EEE10hipError_tPvRmT3_T4_T5_T6_T7_T9_mT8_P12ihipStream_tbDpT10_ENKUlT_T0_E_clISt17integral_constantIbLb1EES1B_EEDaS16_S17_EUlS16_E_NS1_11comp_targetILNS1_3genE8ELNS1_11target_archE1030ELNS1_3gpuE2ELNS1_3repE0EEENS1_30default_config_static_selectorELNS0_4arch9wavefront6targetE0EEEvT1_ ; -- Begin function _ZN7rocprim17ROCPRIM_400000_NS6detail17trampoline_kernelINS0_14default_configENS1_25partition_config_selectorILNS1_17partition_subalgoE5ElNS0_10empty_typeEbEEZZNS1_14partition_implILS5_5ELb0ES3_mN6hipcub16HIPCUB_304000_NS21CountingInputIteratorIllEEPS6_NSA_22TransformInputIteratorIbN2at6native12_GLOBAL__N_19NonZeroOpIhEEPKhlEENS0_5tupleIJPlS6_EEENSN_IJSD_SD_EEES6_PiJS6_EEE10hipError_tPvRmT3_T4_T5_T6_T7_T9_mT8_P12ihipStream_tbDpT10_ENKUlT_T0_E_clISt17integral_constantIbLb1EES1B_EEDaS16_S17_EUlS16_E_NS1_11comp_targetILNS1_3genE8ELNS1_11target_archE1030ELNS1_3gpuE2ELNS1_3repE0EEENS1_30default_config_static_selectorELNS0_4arch9wavefront6targetE0EEEvT1_
	.p2align	8
	.type	_ZN7rocprim17ROCPRIM_400000_NS6detail17trampoline_kernelINS0_14default_configENS1_25partition_config_selectorILNS1_17partition_subalgoE5ElNS0_10empty_typeEbEEZZNS1_14partition_implILS5_5ELb0ES3_mN6hipcub16HIPCUB_304000_NS21CountingInputIteratorIllEEPS6_NSA_22TransformInputIteratorIbN2at6native12_GLOBAL__N_19NonZeroOpIhEEPKhlEENS0_5tupleIJPlS6_EEENSN_IJSD_SD_EEES6_PiJS6_EEE10hipError_tPvRmT3_T4_T5_T6_T7_T9_mT8_P12ihipStream_tbDpT10_ENKUlT_T0_E_clISt17integral_constantIbLb1EES1B_EEDaS16_S17_EUlS16_E_NS1_11comp_targetILNS1_3genE8ELNS1_11target_archE1030ELNS1_3gpuE2ELNS1_3repE0EEENS1_30default_config_static_selectorELNS0_4arch9wavefront6targetE0EEEvT1_,@function
_ZN7rocprim17ROCPRIM_400000_NS6detail17trampoline_kernelINS0_14default_configENS1_25partition_config_selectorILNS1_17partition_subalgoE5ElNS0_10empty_typeEbEEZZNS1_14partition_implILS5_5ELb0ES3_mN6hipcub16HIPCUB_304000_NS21CountingInputIteratorIllEEPS6_NSA_22TransformInputIteratorIbN2at6native12_GLOBAL__N_19NonZeroOpIhEEPKhlEENS0_5tupleIJPlS6_EEENSN_IJSD_SD_EEES6_PiJS6_EEE10hipError_tPvRmT3_T4_T5_T6_T7_T9_mT8_P12ihipStream_tbDpT10_ENKUlT_T0_E_clISt17integral_constantIbLb1EES1B_EEDaS16_S17_EUlS16_E_NS1_11comp_targetILNS1_3genE8ELNS1_11target_archE1030ELNS1_3gpuE2ELNS1_3repE0EEENS1_30default_config_static_selectorELNS0_4arch9wavefront6targetE0EEEvT1_: ; @_ZN7rocprim17ROCPRIM_400000_NS6detail17trampoline_kernelINS0_14default_configENS1_25partition_config_selectorILNS1_17partition_subalgoE5ElNS0_10empty_typeEbEEZZNS1_14partition_implILS5_5ELb0ES3_mN6hipcub16HIPCUB_304000_NS21CountingInputIteratorIllEEPS6_NSA_22TransformInputIteratorIbN2at6native12_GLOBAL__N_19NonZeroOpIhEEPKhlEENS0_5tupleIJPlS6_EEENSN_IJSD_SD_EEES6_PiJS6_EEE10hipError_tPvRmT3_T4_T5_T6_T7_T9_mT8_P12ihipStream_tbDpT10_ENKUlT_T0_E_clISt17integral_constantIbLb1EES1B_EEDaS16_S17_EUlS16_E_NS1_11comp_targetILNS1_3genE8ELNS1_11target_archE1030ELNS1_3gpuE2ELNS1_3repE0EEENS1_30default_config_static_selectorELNS0_4arch9wavefront6targetE0EEEvT1_
; %bb.0:
	.section	.rodata,"a",@progbits
	.p2align	6, 0x0
	.amdhsa_kernel _ZN7rocprim17ROCPRIM_400000_NS6detail17trampoline_kernelINS0_14default_configENS1_25partition_config_selectorILNS1_17partition_subalgoE5ElNS0_10empty_typeEbEEZZNS1_14partition_implILS5_5ELb0ES3_mN6hipcub16HIPCUB_304000_NS21CountingInputIteratorIllEEPS6_NSA_22TransformInputIteratorIbN2at6native12_GLOBAL__N_19NonZeroOpIhEEPKhlEENS0_5tupleIJPlS6_EEENSN_IJSD_SD_EEES6_PiJS6_EEE10hipError_tPvRmT3_T4_T5_T6_T7_T9_mT8_P12ihipStream_tbDpT10_ENKUlT_T0_E_clISt17integral_constantIbLb1EES1B_EEDaS16_S17_EUlS16_E_NS1_11comp_targetILNS1_3genE8ELNS1_11target_archE1030ELNS1_3gpuE2ELNS1_3repE0EEENS1_30default_config_static_selectorELNS0_4arch9wavefront6targetE0EEEvT1_
		.amdhsa_group_segment_fixed_size 0
		.amdhsa_private_segment_fixed_size 0
		.amdhsa_kernarg_size 136
		.amdhsa_user_sgpr_count 2
		.amdhsa_user_sgpr_dispatch_ptr 0
		.amdhsa_user_sgpr_queue_ptr 0
		.amdhsa_user_sgpr_kernarg_segment_ptr 1
		.amdhsa_user_sgpr_dispatch_id 0
		.amdhsa_user_sgpr_private_segment_size 0
		.amdhsa_wavefront_size32 1
		.amdhsa_uses_dynamic_stack 0
		.amdhsa_enable_private_segment 0
		.amdhsa_system_sgpr_workgroup_id_x 1
		.amdhsa_system_sgpr_workgroup_id_y 0
		.amdhsa_system_sgpr_workgroup_id_z 0
		.amdhsa_system_sgpr_workgroup_info 0
		.amdhsa_system_vgpr_workitem_id 0
		.amdhsa_next_free_vgpr 1
		.amdhsa_next_free_sgpr 1
		.amdhsa_reserve_vcc 0
		.amdhsa_float_round_mode_32 0
		.amdhsa_float_round_mode_16_64 0
		.amdhsa_float_denorm_mode_32 3
		.amdhsa_float_denorm_mode_16_64 3
		.amdhsa_fp16_overflow 0
		.amdhsa_workgroup_processor_mode 1
		.amdhsa_memory_ordered 1
		.amdhsa_forward_progress 1
		.amdhsa_inst_pref_size 0
		.amdhsa_round_robin_scheduling 0
		.amdhsa_exception_fp_ieee_invalid_op 0
		.amdhsa_exception_fp_denorm_src 0
		.amdhsa_exception_fp_ieee_div_zero 0
		.amdhsa_exception_fp_ieee_overflow 0
		.amdhsa_exception_fp_ieee_underflow 0
		.amdhsa_exception_fp_ieee_inexact 0
		.amdhsa_exception_int_div_zero 0
	.end_amdhsa_kernel
	.section	.text._ZN7rocprim17ROCPRIM_400000_NS6detail17trampoline_kernelINS0_14default_configENS1_25partition_config_selectorILNS1_17partition_subalgoE5ElNS0_10empty_typeEbEEZZNS1_14partition_implILS5_5ELb0ES3_mN6hipcub16HIPCUB_304000_NS21CountingInputIteratorIllEEPS6_NSA_22TransformInputIteratorIbN2at6native12_GLOBAL__N_19NonZeroOpIhEEPKhlEENS0_5tupleIJPlS6_EEENSN_IJSD_SD_EEES6_PiJS6_EEE10hipError_tPvRmT3_T4_T5_T6_T7_T9_mT8_P12ihipStream_tbDpT10_ENKUlT_T0_E_clISt17integral_constantIbLb1EES1B_EEDaS16_S17_EUlS16_E_NS1_11comp_targetILNS1_3genE8ELNS1_11target_archE1030ELNS1_3gpuE2ELNS1_3repE0EEENS1_30default_config_static_selectorELNS0_4arch9wavefront6targetE0EEEvT1_,"axG",@progbits,_ZN7rocprim17ROCPRIM_400000_NS6detail17trampoline_kernelINS0_14default_configENS1_25partition_config_selectorILNS1_17partition_subalgoE5ElNS0_10empty_typeEbEEZZNS1_14partition_implILS5_5ELb0ES3_mN6hipcub16HIPCUB_304000_NS21CountingInputIteratorIllEEPS6_NSA_22TransformInputIteratorIbN2at6native12_GLOBAL__N_19NonZeroOpIhEEPKhlEENS0_5tupleIJPlS6_EEENSN_IJSD_SD_EEES6_PiJS6_EEE10hipError_tPvRmT3_T4_T5_T6_T7_T9_mT8_P12ihipStream_tbDpT10_ENKUlT_T0_E_clISt17integral_constantIbLb1EES1B_EEDaS16_S17_EUlS16_E_NS1_11comp_targetILNS1_3genE8ELNS1_11target_archE1030ELNS1_3gpuE2ELNS1_3repE0EEENS1_30default_config_static_selectorELNS0_4arch9wavefront6targetE0EEEvT1_,comdat
.Lfunc_end62:
	.size	_ZN7rocprim17ROCPRIM_400000_NS6detail17trampoline_kernelINS0_14default_configENS1_25partition_config_selectorILNS1_17partition_subalgoE5ElNS0_10empty_typeEbEEZZNS1_14partition_implILS5_5ELb0ES3_mN6hipcub16HIPCUB_304000_NS21CountingInputIteratorIllEEPS6_NSA_22TransformInputIteratorIbN2at6native12_GLOBAL__N_19NonZeroOpIhEEPKhlEENS0_5tupleIJPlS6_EEENSN_IJSD_SD_EEES6_PiJS6_EEE10hipError_tPvRmT3_T4_T5_T6_T7_T9_mT8_P12ihipStream_tbDpT10_ENKUlT_T0_E_clISt17integral_constantIbLb1EES1B_EEDaS16_S17_EUlS16_E_NS1_11comp_targetILNS1_3genE8ELNS1_11target_archE1030ELNS1_3gpuE2ELNS1_3repE0EEENS1_30default_config_static_selectorELNS0_4arch9wavefront6targetE0EEEvT1_, .Lfunc_end62-_ZN7rocprim17ROCPRIM_400000_NS6detail17trampoline_kernelINS0_14default_configENS1_25partition_config_selectorILNS1_17partition_subalgoE5ElNS0_10empty_typeEbEEZZNS1_14partition_implILS5_5ELb0ES3_mN6hipcub16HIPCUB_304000_NS21CountingInputIteratorIllEEPS6_NSA_22TransformInputIteratorIbN2at6native12_GLOBAL__N_19NonZeroOpIhEEPKhlEENS0_5tupleIJPlS6_EEENSN_IJSD_SD_EEES6_PiJS6_EEE10hipError_tPvRmT3_T4_T5_T6_T7_T9_mT8_P12ihipStream_tbDpT10_ENKUlT_T0_E_clISt17integral_constantIbLb1EES1B_EEDaS16_S17_EUlS16_E_NS1_11comp_targetILNS1_3genE8ELNS1_11target_archE1030ELNS1_3gpuE2ELNS1_3repE0EEENS1_30default_config_static_selectorELNS0_4arch9wavefront6targetE0EEEvT1_
                                        ; -- End function
	.set _ZN7rocprim17ROCPRIM_400000_NS6detail17trampoline_kernelINS0_14default_configENS1_25partition_config_selectorILNS1_17partition_subalgoE5ElNS0_10empty_typeEbEEZZNS1_14partition_implILS5_5ELb0ES3_mN6hipcub16HIPCUB_304000_NS21CountingInputIteratorIllEEPS6_NSA_22TransformInputIteratorIbN2at6native12_GLOBAL__N_19NonZeroOpIhEEPKhlEENS0_5tupleIJPlS6_EEENSN_IJSD_SD_EEES6_PiJS6_EEE10hipError_tPvRmT3_T4_T5_T6_T7_T9_mT8_P12ihipStream_tbDpT10_ENKUlT_T0_E_clISt17integral_constantIbLb1EES1B_EEDaS16_S17_EUlS16_E_NS1_11comp_targetILNS1_3genE8ELNS1_11target_archE1030ELNS1_3gpuE2ELNS1_3repE0EEENS1_30default_config_static_selectorELNS0_4arch9wavefront6targetE0EEEvT1_.num_vgpr, 0
	.set _ZN7rocprim17ROCPRIM_400000_NS6detail17trampoline_kernelINS0_14default_configENS1_25partition_config_selectorILNS1_17partition_subalgoE5ElNS0_10empty_typeEbEEZZNS1_14partition_implILS5_5ELb0ES3_mN6hipcub16HIPCUB_304000_NS21CountingInputIteratorIllEEPS6_NSA_22TransformInputIteratorIbN2at6native12_GLOBAL__N_19NonZeroOpIhEEPKhlEENS0_5tupleIJPlS6_EEENSN_IJSD_SD_EEES6_PiJS6_EEE10hipError_tPvRmT3_T4_T5_T6_T7_T9_mT8_P12ihipStream_tbDpT10_ENKUlT_T0_E_clISt17integral_constantIbLb1EES1B_EEDaS16_S17_EUlS16_E_NS1_11comp_targetILNS1_3genE8ELNS1_11target_archE1030ELNS1_3gpuE2ELNS1_3repE0EEENS1_30default_config_static_selectorELNS0_4arch9wavefront6targetE0EEEvT1_.num_agpr, 0
	.set _ZN7rocprim17ROCPRIM_400000_NS6detail17trampoline_kernelINS0_14default_configENS1_25partition_config_selectorILNS1_17partition_subalgoE5ElNS0_10empty_typeEbEEZZNS1_14partition_implILS5_5ELb0ES3_mN6hipcub16HIPCUB_304000_NS21CountingInputIteratorIllEEPS6_NSA_22TransformInputIteratorIbN2at6native12_GLOBAL__N_19NonZeroOpIhEEPKhlEENS0_5tupleIJPlS6_EEENSN_IJSD_SD_EEES6_PiJS6_EEE10hipError_tPvRmT3_T4_T5_T6_T7_T9_mT8_P12ihipStream_tbDpT10_ENKUlT_T0_E_clISt17integral_constantIbLb1EES1B_EEDaS16_S17_EUlS16_E_NS1_11comp_targetILNS1_3genE8ELNS1_11target_archE1030ELNS1_3gpuE2ELNS1_3repE0EEENS1_30default_config_static_selectorELNS0_4arch9wavefront6targetE0EEEvT1_.numbered_sgpr, 0
	.set _ZN7rocprim17ROCPRIM_400000_NS6detail17trampoline_kernelINS0_14default_configENS1_25partition_config_selectorILNS1_17partition_subalgoE5ElNS0_10empty_typeEbEEZZNS1_14partition_implILS5_5ELb0ES3_mN6hipcub16HIPCUB_304000_NS21CountingInputIteratorIllEEPS6_NSA_22TransformInputIteratorIbN2at6native12_GLOBAL__N_19NonZeroOpIhEEPKhlEENS0_5tupleIJPlS6_EEENSN_IJSD_SD_EEES6_PiJS6_EEE10hipError_tPvRmT3_T4_T5_T6_T7_T9_mT8_P12ihipStream_tbDpT10_ENKUlT_T0_E_clISt17integral_constantIbLb1EES1B_EEDaS16_S17_EUlS16_E_NS1_11comp_targetILNS1_3genE8ELNS1_11target_archE1030ELNS1_3gpuE2ELNS1_3repE0EEENS1_30default_config_static_selectorELNS0_4arch9wavefront6targetE0EEEvT1_.num_named_barrier, 0
	.set _ZN7rocprim17ROCPRIM_400000_NS6detail17trampoline_kernelINS0_14default_configENS1_25partition_config_selectorILNS1_17partition_subalgoE5ElNS0_10empty_typeEbEEZZNS1_14partition_implILS5_5ELb0ES3_mN6hipcub16HIPCUB_304000_NS21CountingInputIteratorIllEEPS6_NSA_22TransformInputIteratorIbN2at6native12_GLOBAL__N_19NonZeroOpIhEEPKhlEENS0_5tupleIJPlS6_EEENSN_IJSD_SD_EEES6_PiJS6_EEE10hipError_tPvRmT3_T4_T5_T6_T7_T9_mT8_P12ihipStream_tbDpT10_ENKUlT_T0_E_clISt17integral_constantIbLb1EES1B_EEDaS16_S17_EUlS16_E_NS1_11comp_targetILNS1_3genE8ELNS1_11target_archE1030ELNS1_3gpuE2ELNS1_3repE0EEENS1_30default_config_static_selectorELNS0_4arch9wavefront6targetE0EEEvT1_.private_seg_size, 0
	.set _ZN7rocprim17ROCPRIM_400000_NS6detail17trampoline_kernelINS0_14default_configENS1_25partition_config_selectorILNS1_17partition_subalgoE5ElNS0_10empty_typeEbEEZZNS1_14partition_implILS5_5ELb0ES3_mN6hipcub16HIPCUB_304000_NS21CountingInputIteratorIllEEPS6_NSA_22TransformInputIteratorIbN2at6native12_GLOBAL__N_19NonZeroOpIhEEPKhlEENS0_5tupleIJPlS6_EEENSN_IJSD_SD_EEES6_PiJS6_EEE10hipError_tPvRmT3_T4_T5_T6_T7_T9_mT8_P12ihipStream_tbDpT10_ENKUlT_T0_E_clISt17integral_constantIbLb1EES1B_EEDaS16_S17_EUlS16_E_NS1_11comp_targetILNS1_3genE8ELNS1_11target_archE1030ELNS1_3gpuE2ELNS1_3repE0EEENS1_30default_config_static_selectorELNS0_4arch9wavefront6targetE0EEEvT1_.uses_vcc, 0
	.set _ZN7rocprim17ROCPRIM_400000_NS6detail17trampoline_kernelINS0_14default_configENS1_25partition_config_selectorILNS1_17partition_subalgoE5ElNS0_10empty_typeEbEEZZNS1_14partition_implILS5_5ELb0ES3_mN6hipcub16HIPCUB_304000_NS21CountingInputIteratorIllEEPS6_NSA_22TransformInputIteratorIbN2at6native12_GLOBAL__N_19NonZeroOpIhEEPKhlEENS0_5tupleIJPlS6_EEENSN_IJSD_SD_EEES6_PiJS6_EEE10hipError_tPvRmT3_T4_T5_T6_T7_T9_mT8_P12ihipStream_tbDpT10_ENKUlT_T0_E_clISt17integral_constantIbLb1EES1B_EEDaS16_S17_EUlS16_E_NS1_11comp_targetILNS1_3genE8ELNS1_11target_archE1030ELNS1_3gpuE2ELNS1_3repE0EEENS1_30default_config_static_selectorELNS0_4arch9wavefront6targetE0EEEvT1_.uses_flat_scratch, 0
	.set _ZN7rocprim17ROCPRIM_400000_NS6detail17trampoline_kernelINS0_14default_configENS1_25partition_config_selectorILNS1_17partition_subalgoE5ElNS0_10empty_typeEbEEZZNS1_14partition_implILS5_5ELb0ES3_mN6hipcub16HIPCUB_304000_NS21CountingInputIteratorIllEEPS6_NSA_22TransformInputIteratorIbN2at6native12_GLOBAL__N_19NonZeroOpIhEEPKhlEENS0_5tupleIJPlS6_EEENSN_IJSD_SD_EEES6_PiJS6_EEE10hipError_tPvRmT3_T4_T5_T6_T7_T9_mT8_P12ihipStream_tbDpT10_ENKUlT_T0_E_clISt17integral_constantIbLb1EES1B_EEDaS16_S17_EUlS16_E_NS1_11comp_targetILNS1_3genE8ELNS1_11target_archE1030ELNS1_3gpuE2ELNS1_3repE0EEENS1_30default_config_static_selectorELNS0_4arch9wavefront6targetE0EEEvT1_.has_dyn_sized_stack, 0
	.set _ZN7rocprim17ROCPRIM_400000_NS6detail17trampoline_kernelINS0_14default_configENS1_25partition_config_selectorILNS1_17partition_subalgoE5ElNS0_10empty_typeEbEEZZNS1_14partition_implILS5_5ELb0ES3_mN6hipcub16HIPCUB_304000_NS21CountingInputIteratorIllEEPS6_NSA_22TransformInputIteratorIbN2at6native12_GLOBAL__N_19NonZeroOpIhEEPKhlEENS0_5tupleIJPlS6_EEENSN_IJSD_SD_EEES6_PiJS6_EEE10hipError_tPvRmT3_T4_T5_T6_T7_T9_mT8_P12ihipStream_tbDpT10_ENKUlT_T0_E_clISt17integral_constantIbLb1EES1B_EEDaS16_S17_EUlS16_E_NS1_11comp_targetILNS1_3genE8ELNS1_11target_archE1030ELNS1_3gpuE2ELNS1_3repE0EEENS1_30default_config_static_selectorELNS0_4arch9wavefront6targetE0EEEvT1_.has_recursion, 0
	.set _ZN7rocprim17ROCPRIM_400000_NS6detail17trampoline_kernelINS0_14default_configENS1_25partition_config_selectorILNS1_17partition_subalgoE5ElNS0_10empty_typeEbEEZZNS1_14partition_implILS5_5ELb0ES3_mN6hipcub16HIPCUB_304000_NS21CountingInputIteratorIllEEPS6_NSA_22TransformInputIteratorIbN2at6native12_GLOBAL__N_19NonZeroOpIhEEPKhlEENS0_5tupleIJPlS6_EEENSN_IJSD_SD_EEES6_PiJS6_EEE10hipError_tPvRmT3_T4_T5_T6_T7_T9_mT8_P12ihipStream_tbDpT10_ENKUlT_T0_E_clISt17integral_constantIbLb1EES1B_EEDaS16_S17_EUlS16_E_NS1_11comp_targetILNS1_3genE8ELNS1_11target_archE1030ELNS1_3gpuE2ELNS1_3repE0EEENS1_30default_config_static_selectorELNS0_4arch9wavefront6targetE0EEEvT1_.has_indirect_call, 0
	.section	.AMDGPU.csdata,"",@progbits
; Kernel info:
; codeLenInByte = 0
; TotalNumSgprs: 0
; NumVgprs: 0
; ScratchSize: 0
; MemoryBound: 0
; FloatMode: 240
; IeeeMode: 1
; LDSByteSize: 0 bytes/workgroup (compile time only)
; SGPRBlocks: 0
; VGPRBlocks: 0
; NumSGPRsForWavesPerEU: 1
; NumVGPRsForWavesPerEU: 1
; Occupancy: 16
; WaveLimiterHint : 0
; COMPUTE_PGM_RSRC2:SCRATCH_EN: 0
; COMPUTE_PGM_RSRC2:USER_SGPR: 2
; COMPUTE_PGM_RSRC2:TRAP_HANDLER: 0
; COMPUTE_PGM_RSRC2:TGID_X_EN: 1
; COMPUTE_PGM_RSRC2:TGID_Y_EN: 0
; COMPUTE_PGM_RSRC2:TGID_Z_EN: 0
; COMPUTE_PGM_RSRC2:TIDIG_COMP_CNT: 0
	.section	.text._ZN7rocprim17ROCPRIM_400000_NS6detail31init_lookback_scan_state_kernelINS1_19lookback_scan_stateImLb1ELb1EEENS1_16block_id_wrapperIjLb0EEEEEvT_jT0_jPNS7_10value_typeE,"axG",@progbits,_ZN7rocprim17ROCPRIM_400000_NS6detail31init_lookback_scan_state_kernelINS1_19lookback_scan_stateImLb1ELb1EEENS1_16block_id_wrapperIjLb0EEEEEvT_jT0_jPNS7_10value_typeE,comdat
	.protected	_ZN7rocprim17ROCPRIM_400000_NS6detail31init_lookback_scan_state_kernelINS1_19lookback_scan_stateImLb1ELb1EEENS1_16block_id_wrapperIjLb0EEEEEvT_jT0_jPNS7_10value_typeE ; -- Begin function _ZN7rocprim17ROCPRIM_400000_NS6detail31init_lookback_scan_state_kernelINS1_19lookback_scan_stateImLb1ELb1EEENS1_16block_id_wrapperIjLb0EEEEEvT_jT0_jPNS7_10value_typeE
	.globl	_ZN7rocprim17ROCPRIM_400000_NS6detail31init_lookback_scan_state_kernelINS1_19lookback_scan_stateImLb1ELb1EEENS1_16block_id_wrapperIjLb0EEEEEvT_jT0_jPNS7_10value_typeE
	.p2align	8
	.type	_ZN7rocprim17ROCPRIM_400000_NS6detail31init_lookback_scan_state_kernelINS1_19lookback_scan_stateImLb1ELb1EEENS1_16block_id_wrapperIjLb0EEEEEvT_jT0_jPNS7_10value_typeE,@function
_ZN7rocprim17ROCPRIM_400000_NS6detail31init_lookback_scan_state_kernelINS1_19lookback_scan_stateImLb1ELb1EEENS1_16block_id_wrapperIjLb0EEEEEvT_jT0_jPNS7_10value_typeE: ; @_ZN7rocprim17ROCPRIM_400000_NS6detail31init_lookback_scan_state_kernelINS1_19lookback_scan_stateImLb1ELb1EEENS1_16block_id_wrapperIjLb0EEEEEvT_jT0_jPNS7_10value_typeE
; %bb.0:
	s_clause 0x2
	s_load_b32 s7, s[0:1], 0x2c
	s_load_b64 s[2:3], s[0:1], 0x18
	s_load_b96 s[4:6], s[0:1], 0x0
	s_wait_kmcnt 0x0
	s_and_b32 s7, s7, 0xffff
	s_cmp_eq_u64 s[2:3], 0
	v_mad_co_u64_u32 v[0:1], null, ttmp9, s7, v[0:1]
	s_cbranch_scc1 .LBB63_10
; %bb.1:
	s_load_b32 s0, s[0:1], 0x10
	s_wait_kmcnt 0x0
	s_cmp_lt_u32 s0, s6
	s_cselect_b32 s1, s0, 0
	s_wait_alu 0xfffe
	v_cmp_eq_u32_e32 vcc_lo, s1, v0
	s_mov_b32 s1, 0
	s_and_saveexec_b32 s7, vcc_lo
	s_cbranch_execz .LBB63_9
; %bb.2:
	s_add_co_i32 s0, s0, 32
	s_mov_b32 s8, exec_lo
	s_wait_alu 0xfffe
	s_lshl_b64 s[0:1], s[0:1], 4
	v_mov_b32_e32 v5, 0
	s_wait_alu 0xfffe
	s_add_nc_u64 s[0:1], s[4:5], s[0:1]
	s_wait_alu 0xfffe
	v_dual_mov_b32 v2, s1 :: v_dual_mov_b32 v1, s0
	;;#ASMSTART
	global_load_b128 v[1:4], v[1:2] off scope:SCOPE_DEV	
s_wait_loadcnt 0x0
	;;#ASMEND
	v_and_b32_e32 v4, 0xff, v3
	s_delay_alu instid0(VALU_DEP_1)
	v_cmpx_eq_u64_e32 0, v[4:5]
	s_cbranch_execz .LBB63_8
; %bb.3:
	v_dual_mov_b32 v7, s1 :: v_dual_mov_b32 v6, s0
	s_mov_b32 s1, 1
	s_mov_b32 s0, 0
.LBB63_4:                               ; =>This Loop Header: Depth=1
                                        ;     Child Loop BB63_5 Depth 2
	s_wait_alu 0xfffe
	s_mov_b32 s9, s1
.LBB63_5:                               ;   Parent Loop BB63_4 Depth=1
                                        ; =>  This Inner Loop Header: Depth=2
	s_delay_alu instid0(SALU_CYCLE_1)
	s_add_co_i32 s9, s9, -1
	s_sleep 1
	s_cmp_eq_u32 s9, 0
	s_cbranch_scc0 .LBB63_5
; %bb.6:                                ;   in Loop: Header=BB63_4 Depth=1
	;;#ASMSTART
	global_load_b128 v[1:4], v[6:7] off scope:SCOPE_DEV	
s_wait_loadcnt 0x0
	;;#ASMEND
	v_and_b32_e32 v4, 0xff, v3
	s_cmp_lt_u32 s1, 32
	s_cselect_b32 s9, -1, 0
	s_delay_alu instid0(SALU_CYCLE_1) | instskip(NEXT) | instid1(VALU_DEP_1)
	s_cmp_lg_u32 s9, 0
	v_cmp_ne_u64_e32 vcc_lo, 0, v[4:5]
	s_add_co_ci_u32 s1, s1, 0
	s_or_b32 s0, vcc_lo, s0
	s_wait_alu 0xfffe
	s_and_not1_b32 exec_lo, exec_lo, s0
	s_cbranch_execnz .LBB63_4
; %bb.7:
	s_or_b32 exec_lo, exec_lo, s0
.LBB63_8:
	s_delay_alu instid0(SALU_CYCLE_1)
	s_or_b32 exec_lo, exec_lo, s8
	v_mov_b32_e32 v3, 0
	global_store_b64 v3, v[1:2], s[2:3]
.LBB63_9:
	s_wait_alu 0xfffe
	s_or_b32 exec_lo, exec_lo, s7
.LBB63_10:
	s_delay_alu instid0(SALU_CYCLE_1)
	s_mov_b32 s0, exec_lo
	v_cmpx_gt_u32_e64 s6, v0
	s_cbranch_execz .LBB63_12
; %bb.11:
	v_dual_mov_b32 v2, 0 :: v_dual_add_nc_u32 v1, 32, v0
	s_delay_alu instid0(VALU_DEP_1) | instskip(SKIP_2) | instid1(VALU_DEP_3)
	v_lshlrev_b64_e32 v[4:5], 4, v[1:2]
	v_mov_b32_e32 v1, v2
	v_mov_b32_e32 v3, v2
	v_add_co_u32 v6, vcc_lo, s4, v4
	s_delay_alu instid0(VALU_DEP_1)
	v_add_co_ci_u32_e64 v7, null, s5, v5, vcc_lo
	v_mov_b32_e32 v4, v2
	global_store_b128 v[6:7], v[1:4], off
.LBB63_12:
	s_wait_alu 0xfffe
	s_or_b32 exec_lo, exec_lo, s0
	s_delay_alu instid0(SALU_CYCLE_1)
	s_mov_b32 s0, exec_lo
	v_cmpx_gt_u32_e32 32, v0
	s_cbranch_execz .LBB63_14
; %bb.13:
	v_dual_mov_b32 v1, 0 :: v_dual_mov_b32 v2, 0xff
	s_delay_alu instid0(VALU_DEP_1) | instskip(SKIP_1) | instid1(VALU_DEP_2)
	v_lshlrev_b64_e32 v[3:4], 4, v[0:1]
	v_mov_b32_e32 v0, v1
	v_add_co_u32 v5, vcc_lo, s4, v3
	s_wait_alu 0xfffd
	s_delay_alu instid0(VALU_DEP_3)
	v_add_co_ci_u32_e64 v6, null, s5, v4, vcc_lo
	v_mov_b32_e32 v3, v1
	global_store_b128 v[5:6], v[0:3], off
.LBB63_14:
	s_endpgm
	.section	.rodata,"a",@progbits
	.p2align	6, 0x0
	.amdhsa_kernel _ZN7rocprim17ROCPRIM_400000_NS6detail31init_lookback_scan_state_kernelINS1_19lookback_scan_stateImLb1ELb1EEENS1_16block_id_wrapperIjLb0EEEEEvT_jT0_jPNS7_10value_typeE
		.amdhsa_group_segment_fixed_size 0
		.amdhsa_private_segment_fixed_size 0
		.amdhsa_kernarg_size 288
		.amdhsa_user_sgpr_count 2
		.amdhsa_user_sgpr_dispatch_ptr 0
		.amdhsa_user_sgpr_queue_ptr 0
		.amdhsa_user_sgpr_kernarg_segment_ptr 1
		.amdhsa_user_sgpr_dispatch_id 0
		.amdhsa_user_sgpr_private_segment_size 0
		.amdhsa_wavefront_size32 1
		.amdhsa_uses_dynamic_stack 0
		.amdhsa_enable_private_segment 0
		.amdhsa_system_sgpr_workgroup_id_x 1
		.amdhsa_system_sgpr_workgroup_id_y 0
		.amdhsa_system_sgpr_workgroup_id_z 0
		.amdhsa_system_sgpr_workgroup_info 0
		.amdhsa_system_vgpr_workitem_id 0
		.amdhsa_next_free_vgpr 8
		.amdhsa_next_free_sgpr 10
		.amdhsa_reserve_vcc 1
		.amdhsa_float_round_mode_32 0
		.amdhsa_float_round_mode_16_64 0
		.amdhsa_float_denorm_mode_32 3
		.amdhsa_float_denorm_mode_16_64 3
		.amdhsa_fp16_overflow 0
		.amdhsa_workgroup_processor_mode 1
		.amdhsa_memory_ordered 1
		.amdhsa_forward_progress 1
		.amdhsa_inst_pref_size 4
		.amdhsa_round_robin_scheduling 0
		.amdhsa_exception_fp_ieee_invalid_op 0
		.amdhsa_exception_fp_denorm_src 0
		.amdhsa_exception_fp_ieee_div_zero 0
		.amdhsa_exception_fp_ieee_overflow 0
		.amdhsa_exception_fp_ieee_underflow 0
		.amdhsa_exception_fp_ieee_inexact 0
		.amdhsa_exception_int_div_zero 0
	.end_amdhsa_kernel
	.section	.text._ZN7rocprim17ROCPRIM_400000_NS6detail31init_lookback_scan_state_kernelINS1_19lookback_scan_stateImLb1ELb1EEENS1_16block_id_wrapperIjLb0EEEEEvT_jT0_jPNS7_10value_typeE,"axG",@progbits,_ZN7rocprim17ROCPRIM_400000_NS6detail31init_lookback_scan_state_kernelINS1_19lookback_scan_stateImLb1ELb1EEENS1_16block_id_wrapperIjLb0EEEEEvT_jT0_jPNS7_10value_typeE,comdat
.Lfunc_end63:
	.size	_ZN7rocprim17ROCPRIM_400000_NS6detail31init_lookback_scan_state_kernelINS1_19lookback_scan_stateImLb1ELb1EEENS1_16block_id_wrapperIjLb0EEEEEvT_jT0_jPNS7_10value_typeE, .Lfunc_end63-_ZN7rocprim17ROCPRIM_400000_NS6detail31init_lookback_scan_state_kernelINS1_19lookback_scan_stateImLb1ELb1EEENS1_16block_id_wrapperIjLb0EEEEEvT_jT0_jPNS7_10value_typeE
                                        ; -- End function
	.set _ZN7rocprim17ROCPRIM_400000_NS6detail31init_lookback_scan_state_kernelINS1_19lookback_scan_stateImLb1ELb1EEENS1_16block_id_wrapperIjLb0EEEEEvT_jT0_jPNS7_10value_typeE.num_vgpr, 8
	.set _ZN7rocprim17ROCPRIM_400000_NS6detail31init_lookback_scan_state_kernelINS1_19lookback_scan_stateImLb1ELb1EEENS1_16block_id_wrapperIjLb0EEEEEvT_jT0_jPNS7_10value_typeE.num_agpr, 0
	.set _ZN7rocprim17ROCPRIM_400000_NS6detail31init_lookback_scan_state_kernelINS1_19lookback_scan_stateImLb1ELb1EEENS1_16block_id_wrapperIjLb0EEEEEvT_jT0_jPNS7_10value_typeE.numbered_sgpr, 10
	.set _ZN7rocprim17ROCPRIM_400000_NS6detail31init_lookback_scan_state_kernelINS1_19lookback_scan_stateImLb1ELb1EEENS1_16block_id_wrapperIjLb0EEEEEvT_jT0_jPNS7_10value_typeE.num_named_barrier, 0
	.set _ZN7rocprim17ROCPRIM_400000_NS6detail31init_lookback_scan_state_kernelINS1_19lookback_scan_stateImLb1ELb1EEENS1_16block_id_wrapperIjLb0EEEEEvT_jT0_jPNS7_10value_typeE.private_seg_size, 0
	.set _ZN7rocprim17ROCPRIM_400000_NS6detail31init_lookback_scan_state_kernelINS1_19lookback_scan_stateImLb1ELb1EEENS1_16block_id_wrapperIjLb0EEEEEvT_jT0_jPNS7_10value_typeE.uses_vcc, 1
	.set _ZN7rocprim17ROCPRIM_400000_NS6detail31init_lookback_scan_state_kernelINS1_19lookback_scan_stateImLb1ELb1EEENS1_16block_id_wrapperIjLb0EEEEEvT_jT0_jPNS7_10value_typeE.uses_flat_scratch, 0
	.set _ZN7rocprim17ROCPRIM_400000_NS6detail31init_lookback_scan_state_kernelINS1_19lookback_scan_stateImLb1ELb1EEENS1_16block_id_wrapperIjLb0EEEEEvT_jT0_jPNS7_10value_typeE.has_dyn_sized_stack, 0
	.set _ZN7rocprim17ROCPRIM_400000_NS6detail31init_lookback_scan_state_kernelINS1_19lookback_scan_stateImLb1ELb1EEENS1_16block_id_wrapperIjLb0EEEEEvT_jT0_jPNS7_10value_typeE.has_recursion, 0
	.set _ZN7rocprim17ROCPRIM_400000_NS6detail31init_lookback_scan_state_kernelINS1_19lookback_scan_stateImLb1ELb1EEENS1_16block_id_wrapperIjLb0EEEEEvT_jT0_jPNS7_10value_typeE.has_indirect_call, 0
	.section	.AMDGPU.csdata,"",@progbits
; Kernel info:
; codeLenInByte = 456
; TotalNumSgprs: 12
; NumVgprs: 8
; ScratchSize: 0
; MemoryBound: 0
; FloatMode: 240
; IeeeMode: 1
; LDSByteSize: 0 bytes/workgroup (compile time only)
; SGPRBlocks: 0
; VGPRBlocks: 0
; NumSGPRsForWavesPerEU: 12
; NumVGPRsForWavesPerEU: 8
; Occupancy: 16
; WaveLimiterHint : 0
; COMPUTE_PGM_RSRC2:SCRATCH_EN: 0
; COMPUTE_PGM_RSRC2:USER_SGPR: 2
; COMPUTE_PGM_RSRC2:TRAP_HANDLER: 0
; COMPUTE_PGM_RSRC2:TGID_X_EN: 1
; COMPUTE_PGM_RSRC2:TGID_Y_EN: 0
; COMPUTE_PGM_RSRC2:TGID_Z_EN: 0
; COMPUTE_PGM_RSRC2:TIDIG_COMP_CNT: 0
	.section	.text._ZN7rocprim17ROCPRIM_400000_NS6detail17trampoline_kernelINS0_14default_configENS1_25partition_config_selectorILNS1_17partition_subalgoE5ElNS0_10empty_typeEbEEZZNS1_14partition_implILS5_5ELb0ES3_mN6hipcub16HIPCUB_304000_NS21CountingInputIteratorIllEEPS6_NSA_22TransformInputIteratorIbN2at6native12_GLOBAL__N_19NonZeroOpIhEEPKhlEENS0_5tupleIJPlS6_EEENSN_IJSD_SD_EEES6_PiJS6_EEE10hipError_tPvRmT3_T4_T5_T6_T7_T9_mT8_P12ihipStream_tbDpT10_ENKUlT_T0_E_clISt17integral_constantIbLb1EES1A_IbLb0EEEEDaS16_S17_EUlS16_E_NS1_11comp_targetILNS1_3genE0ELNS1_11target_archE4294967295ELNS1_3gpuE0ELNS1_3repE0EEENS1_30default_config_static_selectorELNS0_4arch9wavefront6targetE0EEEvT1_,"axG",@progbits,_ZN7rocprim17ROCPRIM_400000_NS6detail17trampoline_kernelINS0_14default_configENS1_25partition_config_selectorILNS1_17partition_subalgoE5ElNS0_10empty_typeEbEEZZNS1_14partition_implILS5_5ELb0ES3_mN6hipcub16HIPCUB_304000_NS21CountingInputIteratorIllEEPS6_NSA_22TransformInputIteratorIbN2at6native12_GLOBAL__N_19NonZeroOpIhEEPKhlEENS0_5tupleIJPlS6_EEENSN_IJSD_SD_EEES6_PiJS6_EEE10hipError_tPvRmT3_T4_T5_T6_T7_T9_mT8_P12ihipStream_tbDpT10_ENKUlT_T0_E_clISt17integral_constantIbLb1EES1A_IbLb0EEEEDaS16_S17_EUlS16_E_NS1_11comp_targetILNS1_3genE0ELNS1_11target_archE4294967295ELNS1_3gpuE0ELNS1_3repE0EEENS1_30default_config_static_selectorELNS0_4arch9wavefront6targetE0EEEvT1_,comdat
	.globl	_ZN7rocprim17ROCPRIM_400000_NS6detail17trampoline_kernelINS0_14default_configENS1_25partition_config_selectorILNS1_17partition_subalgoE5ElNS0_10empty_typeEbEEZZNS1_14partition_implILS5_5ELb0ES3_mN6hipcub16HIPCUB_304000_NS21CountingInputIteratorIllEEPS6_NSA_22TransformInputIteratorIbN2at6native12_GLOBAL__N_19NonZeroOpIhEEPKhlEENS0_5tupleIJPlS6_EEENSN_IJSD_SD_EEES6_PiJS6_EEE10hipError_tPvRmT3_T4_T5_T6_T7_T9_mT8_P12ihipStream_tbDpT10_ENKUlT_T0_E_clISt17integral_constantIbLb1EES1A_IbLb0EEEEDaS16_S17_EUlS16_E_NS1_11comp_targetILNS1_3genE0ELNS1_11target_archE4294967295ELNS1_3gpuE0ELNS1_3repE0EEENS1_30default_config_static_selectorELNS0_4arch9wavefront6targetE0EEEvT1_ ; -- Begin function _ZN7rocprim17ROCPRIM_400000_NS6detail17trampoline_kernelINS0_14default_configENS1_25partition_config_selectorILNS1_17partition_subalgoE5ElNS0_10empty_typeEbEEZZNS1_14partition_implILS5_5ELb0ES3_mN6hipcub16HIPCUB_304000_NS21CountingInputIteratorIllEEPS6_NSA_22TransformInputIteratorIbN2at6native12_GLOBAL__N_19NonZeroOpIhEEPKhlEENS0_5tupleIJPlS6_EEENSN_IJSD_SD_EEES6_PiJS6_EEE10hipError_tPvRmT3_T4_T5_T6_T7_T9_mT8_P12ihipStream_tbDpT10_ENKUlT_T0_E_clISt17integral_constantIbLb1EES1A_IbLb0EEEEDaS16_S17_EUlS16_E_NS1_11comp_targetILNS1_3genE0ELNS1_11target_archE4294967295ELNS1_3gpuE0ELNS1_3repE0EEENS1_30default_config_static_selectorELNS0_4arch9wavefront6targetE0EEEvT1_
	.p2align	8
	.type	_ZN7rocprim17ROCPRIM_400000_NS6detail17trampoline_kernelINS0_14default_configENS1_25partition_config_selectorILNS1_17partition_subalgoE5ElNS0_10empty_typeEbEEZZNS1_14partition_implILS5_5ELb0ES3_mN6hipcub16HIPCUB_304000_NS21CountingInputIteratorIllEEPS6_NSA_22TransformInputIteratorIbN2at6native12_GLOBAL__N_19NonZeroOpIhEEPKhlEENS0_5tupleIJPlS6_EEENSN_IJSD_SD_EEES6_PiJS6_EEE10hipError_tPvRmT3_T4_T5_T6_T7_T9_mT8_P12ihipStream_tbDpT10_ENKUlT_T0_E_clISt17integral_constantIbLb1EES1A_IbLb0EEEEDaS16_S17_EUlS16_E_NS1_11comp_targetILNS1_3genE0ELNS1_11target_archE4294967295ELNS1_3gpuE0ELNS1_3repE0EEENS1_30default_config_static_selectorELNS0_4arch9wavefront6targetE0EEEvT1_,@function
_ZN7rocprim17ROCPRIM_400000_NS6detail17trampoline_kernelINS0_14default_configENS1_25partition_config_selectorILNS1_17partition_subalgoE5ElNS0_10empty_typeEbEEZZNS1_14partition_implILS5_5ELb0ES3_mN6hipcub16HIPCUB_304000_NS21CountingInputIteratorIllEEPS6_NSA_22TransformInputIteratorIbN2at6native12_GLOBAL__N_19NonZeroOpIhEEPKhlEENS0_5tupleIJPlS6_EEENSN_IJSD_SD_EEES6_PiJS6_EEE10hipError_tPvRmT3_T4_T5_T6_T7_T9_mT8_P12ihipStream_tbDpT10_ENKUlT_T0_E_clISt17integral_constantIbLb1EES1A_IbLb0EEEEDaS16_S17_EUlS16_E_NS1_11comp_targetILNS1_3genE0ELNS1_11target_archE4294967295ELNS1_3gpuE0ELNS1_3repE0EEENS1_30default_config_static_selectorELNS0_4arch9wavefront6targetE0EEEvT1_: ; @_ZN7rocprim17ROCPRIM_400000_NS6detail17trampoline_kernelINS0_14default_configENS1_25partition_config_selectorILNS1_17partition_subalgoE5ElNS0_10empty_typeEbEEZZNS1_14partition_implILS5_5ELb0ES3_mN6hipcub16HIPCUB_304000_NS21CountingInputIteratorIllEEPS6_NSA_22TransformInputIteratorIbN2at6native12_GLOBAL__N_19NonZeroOpIhEEPKhlEENS0_5tupleIJPlS6_EEENSN_IJSD_SD_EEES6_PiJS6_EEE10hipError_tPvRmT3_T4_T5_T6_T7_T9_mT8_P12ihipStream_tbDpT10_ENKUlT_T0_E_clISt17integral_constantIbLb1EES1A_IbLb0EEEEDaS16_S17_EUlS16_E_NS1_11comp_targetILNS1_3genE0ELNS1_11target_archE4294967295ELNS1_3gpuE0ELNS1_3repE0EEENS1_30default_config_static_selectorELNS0_4arch9wavefront6targetE0EEEvT1_
; %bb.0:
	.section	.rodata,"a",@progbits
	.p2align	6, 0x0
	.amdhsa_kernel _ZN7rocprim17ROCPRIM_400000_NS6detail17trampoline_kernelINS0_14default_configENS1_25partition_config_selectorILNS1_17partition_subalgoE5ElNS0_10empty_typeEbEEZZNS1_14partition_implILS5_5ELb0ES3_mN6hipcub16HIPCUB_304000_NS21CountingInputIteratorIllEEPS6_NSA_22TransformInputIteratorIbN2at6native12_GLOBAL__N_19NonZeroOpIhEEPKhlEENS0_5tupleIJPlS6_EEENSN_IJSD_SD_EEES6_PiJS6_EEE10hipError_tPvRmT3_T4_T5_T6_T7_T9_mT8_P12ihipStream_tbDpT10_ENKUlT_T0_E_clISt17integral_constantIbLb1EES1A_IbLb0EEEEDaS16_S17_EUlS16_E_NS1_11comp_targetILNS1_3genE0ELNS1_11target_archE4294967295ELNS1_3gpuE0ELNS1_3repE0EEENS1_30default_config_static_selectorELNS0_4arch9wavefront6targetE0EEEvT1_
		.amdhsa_group_segment_fixed_size 0
		.amdhsa_private_segment_fixed_size 0
		.amdhsa_kernarg_size 120
		.amdhsa_user_sgpr_count 2
		.amdhsa_user_sgpr_dispatch_ptr 0
		.amdhsa_user_sgpr_queue_ptr 0
		.amdhsa_user_sgpr_kernarg_segment_ptr 1
		.amdhsa_user_sgpr_dispatch_id 0
		.amdhsa_user_sgpr_private_segment_size 0
		.amdhsa_wavefront_size32 1
		.amdhsa_uses_dynamic_stack 0
		.amdhsa_enable_private_segment 0
		.amdhsa_system_sgpr_workgroup_id_x 1
		.amdhsa_system_sgpr_workgroup_id_y 0
		.amdhsa_system_sgpr_workgroup_id_z 0
		.amdhsa_system_sgpr_workgroup_info 0
		.amdhsa_system_vgpr_workitem_id 0
		.amdhsa_next_free_vgpr 1
		.amdhsa_next_free_sgpr 1
		.amdhsa_reserve_vcc 0
		.amdhsa_float_round_mode_32 0
		.amdhsa_float_round_mode_16_64 0
		.amdhsa_float_denorm_mode_32 3
		.amdhsa_float_denorm_mode_16_64 3
		.amdhsa_fp16_overflow 0
		.amdhsa_workgroup_processor_mode 1
		.amdhsa_memory_ordered 1
		.amdhsa_forward_progress 1
		.amdhsa_inst_pref_size 0
		.amdhsa_round_robin_scheduling 0
		.amdhsa_exception_fp_ieee_invalid_op 0
		.amdhsa_exception_fp_denorm_src 0
		.amdhsa_exception_fp_ieee_div_zero 0
		.amdhsa_exception_fp_ieee_overflow 0
		.amdhsa_exception_fp_ieee_underflow 0
		.amdhsa_exception_fp_ieee_inexact 0
		.amdhsa_exception_int_div_zero 0
	.end_amdhsa_kernel
	.section	.text._ZN7rocprim17ROCPRIM_400000_NS6detail17trampoline_kernelINS0_14default_configENS1_25partition_config_selectorILNS1_17partition_subalgoE5ElNS0_10empty_typeEbEEZZNS1_14partition_implILS5_5ELb0ES3_mN6hipcub16HIPCUB_304000_NS21CountingInputIteratorIllEEPS6_NSA_22TransformInputIteratorIbN2at6native12_GLOBAL__N_19NonZeroOpIhEEPKhlEENS0_5tupleIJPlS6_EEENSN_IJSD_SD_EEES6_PiJS6_EEE10hipError_tPvRmT3_T4_T5_T6_T7_T9_mT8_P12ihipStream_tbDpT10_ENKUlT_T0_E_clISt17integral_constantIbLb1EES1A_IbLb0EEEEDaS16_S17_EUlS16_E_NS1_11comp_targetILNS1_3genE0ELNS1_11target_archE4294967295ELNS1_3gpuE0ELNS1_3repE0EEENS1_30default_config_static_selectorELNS0_4arch9wavefront6targetE0EEEvT1_,"axG",@progbits,_ZN7rocprim17ROCPRIM_400000_NS6detail17trampoline_kernelINS0_14default_configENS1_25partition_config_selectorILNS1_17partition_subalgoE5ElNS0_10empty_typeEbEEZZNS1_14partition_implILS5_5ELb0ES3_mN6hipcub16HIPCUB_304000_NS21CountingInputIteratorIllEEPS6_NSA_22TransformInputIteratorIbN2at6native12_GLOBAL__N_19NonZeroOpIhEEPKhlEENS0_5tupleIJPlS6_EEENSN_IJSD_SD_EEES6_PiJS6_EEE10hipError_tPvRmT3_T4_T5_T6_T7_T9_mT8_P12ihipStream_tbDpT10_ENKUlT_T0_E_clISt17integral_constantIbLb1EES1A_IbLb0EEEEDaS16_S17_EUlS16_E_NS1_11comp_targetILNS1_3genE0ELNS1_11target_archE4294967295ELNS1_3gpuE0ELNS1_3repE0EEENS1_30default_config_static_selectorELNS0_4arch9wavefront6targetE0EEEvT1_,comdat
.Lfunc_end64:
	.size	_ZN7rocprim17ROCPRIM_400000_NS6detail17trampoline_kernelINS0_14default_configENS1_25partition_config_selectorILNS1_17partition_subalgoE5ElNS0_10empty_typeEbEEZZNS1_14partition_implILS5_5ELb0ES3_mN6hipcub16HIPCUB_304000_NS21CountingInputIteratorIllEEPS6_NSA_22TransformInputIteratorIbN2at6native12_GLOBAL__N_19NonZeroOpIhEEPKhlEENS0_5tupleIJPlS6_EEENSN_IJSD_SD_EEES6_PiJS6_EEE10hipError_tPvRmT3_T4_T5_T6_T7_T9_mT8_P12ihipStream_tbDpT10_ENKUlT_T0_E_clISt17integral_constantIbLb1EES1A_IbLb0EEEEDaS16_S17_EUlS16_E_NS1_11comp_targetILNS1_3genE0ELNS1_11target_archE4294967295ELNS1_3gpuE0ELNS1_3repE0EEENS1_30default_config_static_selectorELNS0_4arch9wavefront6targetE0EEEvT1_, .Lfunc_end64-_ZN7rocprim17ROCPRIM_400000_NS6detail17trampoline_kernelINS0_14default_configENS1_25partition_config_selectorILNS1_17partition_subalgoE5ElNS0_10empty_typeEbEEZZNS1_14partition_implILS5_5ELb0ES3_mN6hipcub16HIPCUB_304000_NS21CountingInputIteratorIllEEPS6_NSA_22TransformInputIteratorIbN2at6native12_GLOBAL__N_19NonZeroOpIhEEPKhlEENS0_5tupleIJPlS6_EEENSN_IJSD_SD_EEES6_PiJS6_EEE10hipError_tPvRmT3_T4_T5_T6_T7_T9_mT8_P12ihipStream_tbDpT10_ENKUlT_T0_E_clISt17integral_constantIbLb1EES1A_IbLb0EEEEDaS16_S17_EUlS16_E_NS1_11comp_targetILNS1_3genE0ELNS1_11target_archE4294967295ELNS1_3gpuE0ELNS1_3repE0EEENS1_30default_config_static_selectorELNS0_4arch9wavefront6targetE0EEEvT1_
                                        ; -- End function
	.set _ZN7rocprim17ROCPRIM_400000_NS6detail17trampoline_kernelINS0_14default_configENS1_25partition_config_selectorILNS1_17partition_subalgoE5ElNS0_10empty_typeEbEEZZNS1_14partition_implILS5_5ELb0ES3_mN6hipcub16HIPCUB_304000_NS21CountingInputIteratorIllEEPS6_NSA_22TransformInputIteratorIbN2at6native12_GLOBAL__N_19NonZeroOpIhEEPKhlEENS0_5tupleIJPlS6_EEENSN_IJSD_SD_EEES6_PiJS6_EEE10hipError_tPvRmT3_T4_T5_T6_T7_T9_mT8_P12ihipStream_tbDpT10_ENKUlT_T0_E_clISt17integral_constantIbLb1EES1A_IbLb0EEEEDaS16_S17_EUlS16_E_NS1_11comp_targetILNS1_3genE0ELNS1_11target_archE4294967295ELNS1_3gpuE0ELNS1_3repE0EEENS1_30default_config_static_selectorELNS0_4arch9wavefront6targetE0EEEvT1_.num_vgpr, 0
	.set _ZN7rocprim17ROCPRIM_400000_NS6detail17trampoline_kernelINS0_14default_configENS1_25partition_config_selectorILNS1_17partition_subalgoE5ElNS0_10empty_typeEbEEZZNS1_14partition_implILS5_5ELb0ES3_mN6hipcub16HIPCUB_304000_NS21CountingInputIteratorIllEEPS6_NSA_22TransformInputIteratorIbN2at6native12_GLOBAL__N_19NonZeroOpIhEEPKhlEENS0_5tupleIJPlS6_EEENSN_IJSD_SD_EEES6_PiJS6_EEE10hipError_tPvRmT3_T4_T5_T6_T7_T9_mT8_P12ihipStream_tbDpT10_ENKUlT_T0_E_clISt17integral_constantIbLb1EES1A_IbLb0EEEEDaS16_S17_EUlS16_E_NS1_11comp_targetILNS1_3genE0ELNS1_11target_archE4294967295ELNS1_3gpuE0ELNS1_3repE0EEENS1_30default_config_static_selectorELNS0_4arch9wavefront6targetE0EEEvT1_.num_agpr, 0
	.set _ZN7rocprim17ROCPRIM_400000_NS6detail17trampoline_kernelINS0_14default_configENS1_25partition_config_selectorILNS1_17partition_subalgoE5ElNS0_10empty_typeEbEEZZNS1_14partition_implILS5_5ELb0ES3_mN6hipcub16HIPCUB_304000_NS21CountingInputIteratorIllEEPS6_NSA_22TransformInputIteratorIbN2at6native12_GLOBAL__N_19NonZeroOpIhEEPKhlEENS0_5tupleIJPlS6_EEENSN_IJSD_SD_EEES6_PiJS6_EEE10hipError_tPvRmT3_T4_T5_T6_T7_T9_mT8_P12ihipStream_tbDpT10_ENKUlT_T0_E_clISt17integral_constantIbLb1EES1A_IbLb0EEEEDaS16_S17_EUlS16_E_NS1_11comp_targetILNS1_3genE0ELNS1_11target_archE4294967295ELNS1_3gpuE0ELNS1_3repE0EEENS1_30default_config_static_selectorELNS0_4arch9wavefront6targetE0EEEvT1_.numbered_sgpr, 0
	.set _ZN7rocprim17ROCPRIM_400000_NS6detail17trampoline_kernelINS0_14default_configENS1_25partition_config_selectorILNS1_17partition_subalgoE5ElNS0_10empty_typeEbEEZZNS1_14partition_implILS5_5ELb0ES3_mN6hipcub16HIPCUB_304000_NS21CountingInputIteratorIllEEPS6_NSA_22TransformInputIteratorIbN2at6native12_GLOBAL__N_19NonZeroOpIhEEPKhlEENS0_5tupleIJPlS6_EEENSN_IJSD_SD_EEES6_PiJS6_EEE10hipError_tPvRmT3_T4_T5_T6_T7_T9_mT8_P12ihipStream_tbDpT10_ENKUlT_T0_E_clISt17integral_constantIbLb1EES1A_IbLb0EEEEDaS16_S17_EUlS16_E_NS1_11comp_targetILNS1_3genE0ELNS1_11target_archE4294967295ELNS1_3gpuE0ELNS1_3repE0EEENS1_30default_config_static_selectorELNS0_4arch9wavefront6targetE0EEEvT1_.num_named_barrier, 0
	.set _ZN7rocprim17ROCPRIM_400000_NS6detail17trampoline_kernelINS0_14default_configENS1_25partition_config_selectorILNS1_17partition_subalgoE5ElNS0_10empty_typeEbEEZZNS1_14partition_implILS5_5ELb0ES3_mN6hipcub16HIPCUB_304000_NS21CountingInputIteratorIllEEPS6_NSA_22TransformInputIteratorIbN2at6native12_GLOBAL__N_19NonZeroOpIhEEPKhlEENS0_5tupleIJPlS6_EEENSN_IJSD_SD_EEES6_PiJS6_EEE10hipError_tPvRmT3_T4_T5_T6_T7_T9_mT8_P12ihipStream_tbDpT10_ENKUlT_T0_E_clISt17integral_constantIbLb1EES1A_IbLb0EEEEDaS16_S17_EUlS16_E_NS1_11comp_targetILNS1_3genE0ELNS1_11target_archE4294967295ELNS1_3gpuE0ELNS1_3repE0EEENS1_30default_config_static_selectorELNS0_4arch9wavefront6targetE0EEEvT1_.private_seg_size, 0
	.set _ZN7rocprim17ROCPRIM_400000_NS6detail17trampoline_kernelINS0_14default_configENS1_25partition_config_selectorILNS1_17partition_subalgoE5ElNS0_10empty_typeEbEEZZNS1_14partition_implILS5_5ELb0ES3_mN6hipcub16HIPCUB_304000_NS21CountingInputIteratorIllEEPS6_NSA_22TransformInputIteratorIbN2at6native12_GLOBAL__N_19NonZeroOpIhEEPKhlEENS0_5tupleIJPlS6_EEENSN_IJSD_SD_EEES6_PiJS6_EEE10hipError_tPvRmT3_T4_T5_T6_T7_T9_mT8_P12ihipStream_tbDpT10_ENKUlT_T0_E_clISt17integral_constantIbLb1EES1A_IbLb0EEEEDaS16_S17_EUlS16_E_NS1_11comp_targetILNS1_3genE0ELNS1_11target_archE4294967295ELNS1_3gpuE0ELNS1_3repE0EEENS1_30default_config_static_selectorELNS0_4arch9wavefront6targetE0EEEvT1_.uses_vcc, 0
	.set _ZN7rocprim17ROCPRIM_400000_NS6detail17trampoline_kernelINS0_14default_configENS1_25partition_config_selectorILNS1_17partition_subalgoE5ElNS0_10empty_typeEbEEZZNS1_14partition_implILS5_5ELb0ES3_mN6hipcub16HIPCUB_304000_NS21CountingInputIteratorIllEEPS6_NSA_22TransformInputIteratorIbN2at6native12_GLOBAL__N_19NonZeroOpIhEEPKhlEENS0_5tupleIJPlS6_EEENSN_IJSD_SD_EEES6_PiJS6_EEE10hipError_tPvRmT3_T4_T5_T6_T7_T9_mT8_P12ihipStream_tbDpT10_ENKUlT_T0_E_clISt17integral_constantIbLb1EES1A_IbLb0EEEEDaS16_S17_EUlS16_E_NS1_11comp_targetILNS1_3genE0ELNS1_11target_archE4294967295ELNS1_3gpuE0ELNS1_3repE0EEENS1_30default_config_static_selectorELNS0_4arch9wavefront6targetE0EEEvT1_.uses_flat_scratch, 0
	.set _ZN7rocprim17ROCPRIM_400000_NS6detail17trampoline_kernelINS0_14default_configENS1_25partition_config_selectorILNS1_17partition_subalgoE5ElNS0_10empty_typeEbEEZZNS1_14partition_implILS5_5ELb0ES3_mN6hipcub16HIPCUB_304000_NS21CountingInputIteratorIllEEPS6_NSA_22TransformInputIteratorIbN2at6native12_GLOBAL__N_19NonZeroOpIhEEPKhlEENS0_5tupleIJPlS6_EEENSN_IJSD_SD_EEES6_PiJS6_EEE10hipError_tPvRmT3_T4_T5_T6_T7_T9_mT8_P12ihipStream_tbDpT10_ENKUlT_T0_E_clISt17integral_constantIbLb1EES1A_IbLb0EEEEDaS16_S17_EUlS16_E_NS1_11comp_targetILNS1_3genE0ELNS1_11target_archE4294967295ELNS1_3gpuE0ELNS1_3repE0EEENS1_30default_config_static_selectorELNS0_4arch9wavefront6targetE0EEEvT1_.has_dyn_sized_stack, 0
	.set _ZN7rocprim17ROCPRIM_400000_NS6detail17trampoline_kernelINS0_14default_configENS1_25partition_config_selectorILNS1_17partition_subalgoE5ElNS0_10empty_typeEbEEZZNS1_14partition_implILS5_5ELb0ES3_mN6hipcub16HIPCUB_304000_NS21CountingInputIteratorIllEEPS6_NSA_22TransformInputIteratorIbN2at6native12_GLOBAL__N_19NonZeroOpIhEEPKhlEENS0_5tupleIJPlS6_EEENSN_IJSD_SD_EEES6_PiJS6_EEE10hipError_tPvRmT3_T4_T5_T6_T7_T9_mT8_P12ihipStream_tbDpT10_ENKUlT_T0_E_clISt17integral_constantIbLb1EES1A_IbLb0EEEEDaS16_S17_EUlS16_E_NS1_11comp_targetILNS1_3genE0ELNS1_11target_archE4294967295ELNS1_3gpuE0ELNS1_3repE0EEENS1_30default_config_static_selectorELNS0_4arch9wavefront6targetE0EEEvT1_.has_recursion, 0
	.set _ZN7rocprim17ROCPRIM_400000_NS6detail17trampoline_kernelINS0_14default_configENS1_25partition_config_selectorILNS1_17partition_subalgoE5ElNS0_10empty_typeEbEEZZNS1_14partition_implILS5_5ELb0ES3_mN6hipcub16HIPCUB_304000_NS21CountingInputIteratorIllEEPS6_NSA_22TransformInputIteratorIbN2at6native12_GLOBAL__N_19NonZeroOpIhEEPKhlEENS0_5tupleIJPlS6_EEENSN_IJSD_SD_EEES6_PiJS6_EEE10hipError_tPvRmT3_T4_T5_T6_T7_T9_mT8_P12ihipStream_tbDpT10_ENKUlT_T0_E_clISt17integral_constantIbLb1EES1A_IbLb0EEEEDaS16_S17_EUlS16_E_NS1_11comp_targetILNS1_3genE0ELNS1_11target_archE4294967295ELNS1_3gpuE0ELNS1_3repE0EEENS1_30default_config_static_selectorELNS0_4arch9wavefront6targetE0EEEvT1_.has_indirect_call, 0
	.section	.AMDGPU.csdata,"",@progbits
; Kernel info:
; codeLenInByte = 0
; TotalNumSgprs: 0
; NumVgprs: 0
; ScratchSize: 0
; MemoryBound: 0
; FloatMode: 240
; IeeeMode: 1
; LDSByteSize: 0 bytes/workgroup (compile time only)
; SGPRBlocks: 0
; VGPRBlocks: 0
; NumSGPRsForWavesPerEU: 1
; NumVGPRsForWavesPerEU: 1
; Occupancy: 16
; WaveLimiterHint : 0
; COMPUTE_PGM_RSRC2:SCRATCH_EN: 0
; COMPUTE_PGM_RSRC2:USER_SGPR: 2
; COMPUTE_PGM_RSRC2:TRAP_HANDLER: 0
; COMPUTE_PGM_RSRC2:TGID_X_EN: 1
; COMPUTE_PGM_RSRC2:TGID_Y_EN: 0
; COMPUTE_PGM_RSRC2:TGID_Z_EN: 0
; COMPUTE_PGM_RSRC2:TIDIG_COMP_CNT: 0
	.section	.text._ZN7rocprim17ROCPRIM_400000_NS6detail17trampoline_kernelINS0_14default_configENS1_25partition_config_selectorILNS1_17partition_subalgoE5ElNS0_10empty_typeEbEEZZNS1_14partition_implILS5_5ELb0ES3_mN6hipcub16HIPCUB_304000_NS21CountingInputIteratorIllEEPS6_NSA_22TransformInputIteratorIbN2at6native12_GLOBAL__N_19NonZeroOpIhEEPKhlEENS0_5tupleIJPlS6_EEENSN_IJSD_SD_EEES6_PiJS6_EEE10hipError_tPvRmT3_T4_T5_T6_T7_T9_mT8_P12ihipStream_tbDpT10_ENKUlT_T0_E_clISt17integral_constantIbLb1EES1A_IbLb0EEEEDaS16_S17_EUlS16_E_NS1_11comp_targetILNS1_3genE5ELNS1_11target_archE942ELNS1_3gpuE9ELNS1_3repE0EEENS1_30default_config_static_selectorELNS0_4arch9wavefront6targetE0EEEvT1_,"axG",@progbits,_ZN7rocprim17ROCPRIM_400000_NS6detail17trampoline_kernelINS0_14default_configENS1_25partition_config_selectorILNS1_17partition_subalgoE5ElNS0_10empty_typeEbEEZZNS1_14partition_implILS5_5ELb0ES3_mN6hipcub16HIPCUB_304000_NS21CountingInputIteratorIllEEPS6_NSA_22TransformInputIteratorIbN2at6native12_GLOBAL__N_19NonZeroOpIhEEPKhlEENS0_5tupleIJPlS6_EEENSN_IJSD_SD_EEES6_PiJS6_EEE10hipError_tPvRmT3_T4_T5_T6_T7_T9_mT8_P12ihipStream_tbDpT10_ENKUlT_T0_E_clISt17integral_constantIbLb1EES1A_IbLb0EEEEDaS16_S17_EUlS16_E_NS1_11comp_targetILNS1_3genE5ELNS1_11target_archE942ELNS1_3gpuE9ELNS1_3repE0EEENS1_30default_config_static_selectorELNS0_4arch9wavefront6targetE0EEEvT1_,comdat
	.globl	_ZN7rocprim17ROCPRIM_400000_NS6detail17trampoline_kernelINS0_14default_configENS1_25partition_config_selectorILNS1_17partition_subalgoE5ElNS0_10empty_typeEbEEZZNS1_14partition_implILS5_5ELb0ES3_mN6hipcub16HIPCUB_304000_NS21CountingInputIteratorIllEEPS6_NSA_22TransformInputIteratorIbN2at6native12_GLOBAL__N_19NonZeroOpIhEEPKhlEENS0_5tupleIJPlS6_EEENSN_IJSD_SD_EEES6_PiJS6_EEE10hipError_tPvRmT3_T4_T5_T6_T7_T9_mT8_P12ihipStream_tbDpT10_ENKUlT_T0_E_clISt17integral_constantIbLb1EES1A_IbLb0EEEEDaS16_S17_EUlS16_E_NS1_11comp_targetILNS1_3genE5ELNS1_11target_archE942ELNS1_3gpuE9ELNS1_3repE0EEENS1_30default_config_static_selectorELNS0_4arch9wavefront6targetE0EEEvT1_ ; -- Begin function _ZN7rocprim17ROCPRIM_400000_NS6detail17trampoline_kernelINS0_14default_configENS1_25partition_config_selectorILNS1_17partition_subalgoE5ElNS0_10empty_typeEbEEZZNS1_14partition_implILS5_5ELb0ES3_mN6hipcub16HIPCUB_304000_NS21CountingInputIteratorIllEEPS6_NSA_22TransformInputIteratorIbN2at6native12_GLOBAL__N_19NonZeroOpIhEEPKhlEENS0_5tupleIJPlS6_EEENSN_IJSD_SD_EEES6_PiJS6_EEE10hipError_tPvRmT3_T4_T5_T6_T7_T9_mT8_P12ihipStream_tbDpT10_ENKUlT_T0_E_clISt17integral_constantIbLb1EES1A_IbLb0EEEEDaS16_S17_EUlS16_E_NS1_11comp_targetILNS1_3genE5ELNS1_11target_archE942ELNS1_3gpuE9ELNS1_3repE0EEENS1_30default_config_static_selectorELNS0_4arch9wavefront6targetE0EEEvT1_
	.p2align	8
	.type	_ZN7rocprim17ROCPRIM_400000_NS6detail17trampoline_kernelINS0_14default_configENS1_25partition_config_selectorILNS1_17partition_subalgoE5ElNS0_10empty_typeEbEEZZNS1_14partition_implILS5_5ELb0ES3_mN6hipcub16HIPCUB_304000_NS21CountingInputIteratorIllEEPS6_NSA_22TransformInputIteratorIbN2at6native12_GLOBAL__N_19NonZeroOpIhEEPKhlEENS0_5tupleIJPlS6_EEENSN_IJSD_SD_EEES6_PiJS6_EEE10hipError_tPvRmT3_T4_T5_T6_T7_T9_mT8_P12ihipStream_tbDpT10_ENKUlT_T0_E_clISt17integral_constantIbLb1EES1A_IbLb0EEEEDaS16_S17_EUlS16_E_NS1_11comp_targetILNS1_3genE5ELNS1_11target_archE942ELNS1_3gpuE9ELNS1_3repE0EEENS1_30default_config_static_selectorELNS0_4arch9wavefront6targetE0EEEvT1_,@function
_ZN7rocprim17ROCPRIM_400000_NS6detail17trampoline_kernelINS0_14default_configENS1_25partition_config_selectorILNS1_17partition_subalgoE5ElNS0_10empty_typeEbEEZZNS1_14partition_implILS5_5ELb0ES3_mN6hipcub16HIPCUB_304000_NS21CountingInputIteratorIllEEPS6_NSA_22TransformInputIteratorIbN2at6native12_GLOBAL__N_19NonZeroOpIhEEPKhlEENS0_5tupleIJPlS6_EEENSN_IJSD_SD_EEES6_PiJS6_EEE10hipError_tPvRmT3_T4_T5_T6_T7_T9_mT8_P12ihipStream_tbDpT10_ENKUlT_T0_E_clISt17integral_constantIbLb1EES1A_IbLb0EEEEDaS16_S17_EUlS16_E_NS1_11comp_targetILNS1_3genE5ELNS1_11target_archE942ELNS1_3gpuE9ELNS1_3repE0EEENS1_30default_config_static_selectorELNS0_4arch9wavefront6targetE0EEEvT1_: ; @_ZN7rocprim17ROCPRIM_400000_NS6detail17trampoline_kernelINS0_14default_configENS1_25partition_config_selectorILNS1_17partition_subalgoE5ElNS0_10empty_typeEbEEZZNS1_14partition_implILS5_5ELb0ES3_mN6hipcub16HIPCUB_304000_NS21CountingInputIteratorIllEEPS6_NSA_22TransformInputIteratorIbN2at6native12_GLOBAL__N_19NonZeroOpIhEEPKhlEENS0_5tupleIJPlS6_EEENSN_IJSD_SD_EEES6_PiJS6_EEE10hipError_tPvRmT3_T4_T5_T6_T7_T9_mT8_P12ihipStream_tbDpT10_ENKUlT_T0_E_clISt17integral_constantIbLb1EES1A_IbLb0EEEEDaS16_S17_EUlS16_E_NS1_11comp_targetILNS1_3genE5ELNS1_11target_archE942ELNS1_3gpuE9ELNS1_3repE0EEENS1_30default_config_static_selectorELNS0_4arch9wavefront6targetE0EEEvT1_
; %bb.0:
	.section	.rodata,"a",@progbits
	.p2align	6, 0x0
	.amdhsa_kernel _ZN7rocprim17ROCPRIM_400000_NS6detail17trampoline_kernelINS0_14default_configENS1_25partition_config_selectorILNS1_17partition_subalgoE5ElNS0_10empty_typeEbEEZZNS1_14partition_implILS5_5ELb0ES3_mN6hipcub16HIPCUB_304000_NS21CountingInputIteratorIllEEPS6_NSA_22TransformInputIteratorIbN2at6native12_GLOBAL__N_19NonZeroOpIhEEPKhlEENS0_5tupleIJPlS6_EEENSN_IJSD_SD_EEES6_PiJS6_EEE10hipError_tPvRmT3_T4_T5_T6_T7_T9_mT8_P12ihipStream_tbDpT10_ENKUlT_T0_E_clISt17integral_constantIbLb1EES1A_IbLb0EEEEDaS16_S17_EUlS16_E_NS1_11comp_targetILNS1_3genE5ELNS1_11target_archE942ELNS1_3gpuE9ELNS1_3repE0EEENS1_30default_config_static_selectorELNS0_4arch9wavefront6targetE0EEEvT1_
		.amdhsa_group_segment_fixed_size 0
		.amdhsa_private_segment_fixed_size 0
		.amdhsa_kernarg_size 120
		.amdhsa_user_sgpr_count 2
		.amdhsa_user_sgpr_dispatch_ptr 0
		.amdhsa_user_sgpr_queue_ptr 0
		.amdhsa_user_sgpr_kernarg_segment_ptr 1
		.amdhsa_user_sgpr_dispatch_id 0
		.amdhsa_user_sgpr_private_segment_size 0
		.amdhsa_wavefront_size32 1
		.amdhsa_uses_dynamic_stack 0
		.amdhsa_enable_private_segment 0
		.amdhsa_system_sgpr_workgroup_id_x 1
		.amdhsa_system_sgpr_workgroup_id_y 0
		.amdhsa_system_sgpr_workgroup_id_z 0
		.amdhsa_system_sgpr_workgroup_info 0
		.amdhsa_system_vgpr_workitem_id 0
		.amdhsa_next_free_vgpr 1
		.amdhsa_next_free_sgpr 1
		.amdhsa_reserve_vcc 0
		.amdhsa_float_round_mode_32 0
		.amdhsa_float_round_mode_16_64 0
		.amdhsa_float_denorm_mode_32 3
		.amdhsa_float_denorm_mode_16_64 3
		.amdhsa_fp16_overflow 0
		.amdhsa_workgroup_processor_mode 1
		.amdhsa_memory_ordered 1
		.amdhsa_forward_progress 1
		.amdhsa_inst_pref_size 0
		.amdhsa_round_robin_scheduling 0
		.amdhsa_exception_fp_ieee_invalid_op 0
		.amdhsa_exception_fp_denorm_src 0
		.amdhsa_exception_fp_ieee_div_zero 0
		.amdhsa_exception_fp_ieee_overflow 0
		.amdhsa_exception_fp_ieee_underflow 0
		.amdhsa_exception_fp_ieee_inexact 0
		.amdhsa_exception_int_div_zero 0
	.end_amdhsa_kernel
	.section	.text._ZN7rocprim17ROCPRIM_400000_NS6detail17trampoline_kernelINS0_14default_configENS1_25partition_config_selectorILNS1_17partition_subalgoE5ElNS0_10empty_typeEbEEZZNS1_14partition_implILS5_5ELb0ES3_mN6hipcub16HIPCUB_304000_NS21CountingInputIteratorIllEEPS6_NSA_22TransformInputIteratorIbN2at6native12_GLOBAL__N_19NonZeroOpIhEEPKhlEENS0_5tupleIJPlS6_EEENSN_IJSD_SD_EEES6_PiJS6_EEE10hipError_tPvRmT3_T4_T5_T6_T7_T9_mT8_P12ihipStream_tbDpT10_ENKUlT_T0_E_clISt17integral_constantIbLb1EES1A_IbLb0EEEEDaS16_S17_EUlS16_E_NS1_11comp_targetILNS1_3genE5ELNS1_11target_archE942ELNS1_3gpuE9ELNS1_3repE0EEENS1_30default_config_static_selectorELNS0_4arch9wavefront6targetE0EEEvT1_,"axG",@progbits,_ZN7rocprim17ROCPRIM_400000_NS6detail17trampoline_kernelINS0_14default_configENS1_25partition_config_selectorILNS1_17partition_subalgoE5ElNS0_10empty_typeEbEEZZNS1_14partition_implILS5_5ELb0ES3_mN6hipcub16HIPCUB_304000_NS21CountingInputIteratorIllEEPS6_NSA_22TransformInputIteratorIbN2at6native12_GLOBAL__N_19NonZeroOpIhEEPKhlEENS0_5tupleIJPlS6_EEENSN_IJSD_SD_EEES6_PiJS6_EEE10hipError_tPvRmT3_T4_T5_T6_T7_T9_mT8_P12ihipStream_tbDpT10_ENKUlT_T0_E_clISt17integral_constantIbLb1EES1A_IbLb0EEEEDaS16_S17_EUlS16_E_NS1_11comp_targetILNS1_3genE5ELNS1_11target_archE942ELNS1_3gpuE9ELNS1_3repE0EEENS1_30default_config_static_selectorELNS0_4arch9wavefront6targetE0EEEvT1_,comdat
.Lfunc_end65:
	.size	_ZN7rocprim17ROCPRIM_400000_NS6detail17trampoline_kernelINS0_14default_configENS1_25partition_config_selectorILNS1_17partition_subalgoE5ElNS0_10empty_typeEbEEZZNS1_14partition_implILS5_5ELb0ES3_mN6hipcub16HIPCUB_304000_NS21CountingInputIteratorIllEEPS6_NSA_22TransformInputIteratorIbN2at6native12_GLOBAL__N_19NonZeroOpIhEEPKhlEENS0_5tupleIJPlS6_EEENSN_IJSD_SD_EEES6_PiJS6_EEE10hipError_tPvRmT3_T4_T5_T6_T7_T9_mT8_P12ihipStream_tbDpT10_ENKUlT_T0_E_clISt17integral_constantIbLb1EES1A_IbLb0EEEEDaS16_S17_EUlS16_E_NS1_11comp_targetILNS1_3genE5ELNS1_11target_archE942ELNS1_3gpuE9ELNS1_3repE0EEENS1_30default_config_static_selectorELNS0_4arch9wavefront6targetE0EEEvT1_, .Lfunc_end65-_ZN7rocprim17ROCPRIM_400000_NS6detail17trampoline_kernelINS0_14default_configENS1_25partition_config_selectorILNS1_17partition_subalgoE5ElNS0_10empty_typeEbEEZZNS1_14partition_implILS5_5ELb0ES3_mN6hipcub16HIPCUB_304000_NS21CountingInputIteratorIllEEPS6_NSA_22TransformInputIteratorIbN2at6native12_GLOBAL__N_19NonZeroOpIhEEPKhlEENS0_5tupleIJPlS6_EEENSN_IJSD_SD_EEES6_PiJS6_EEE10hipError_tPvRmT3_T4_T5_T6_T7_T9_mT8_P12ihipStream_tbDpT10_ENKUlT_T0_E_clISt17integral_constantIbLb1EES1A_IbLb0EEEEDaS16_S17_EUlS16_E_NS1_11comp_targetILNS1_3genE5ELNS1_11target_archE942ELNS1_3gpuE9ELNS1_3repE0EEENS1_30default_config_static_selectorELNS0_4arch9wavefront6targetE0EEEvT1_
                                        ; -- End function
	.set _ZN7rocprim17ROCPRIM_400000_NS6detail17trampoline_kernelINS0_14default_configENS1_25partition_config_selectorILNS1_17partition_subalgoE5ElNS0_10empty_typeEbEEZZNS1_14partition_implILS5_5ELb0ES3_mN6hipcub16HIPCUB_304000_NS21CountingInputIteratorIllEEPS6_NSA_22TransformInputIteratorIbN2at6native12_GLOBAL__N_19NonZeroOpIhEEPKhlEENS0_5tupleIJPlS6_EEENSN_IJSD_SD_EEES6_PiJS6_EEE10hipError_tPvRmT3_T4_T5_T6_T7_T9_mT8_P12ihipStream_tbDpT10_ENKUlT_T0_E_clISt17integral_constantIbLb1EES1A_IbLb0EEEEDaS16_S17_EUlS16_E_NS1_11comp_targetILNS1_3genE5ELNS1_11target_archE942ELNS1_3gpuE9ELNS1_3repE0EEENS1_30default_config_static_selectorELNS0_4arch9wavefront6targetE0EEEvT1_.num_vgpr, 0
	.set _ZN7rocprim17ROCPRIM_400000_NS6detail17trampoline_kernelINS0_14default_configENS1_25partition_config_selectorILNS1_17partition_subalgoE5ElNS0_10empty_typeEbEEZZNS1_14partition_implILS5_5ELb0ES3_mN6hipcub16HIPCUB_304000_NS21CountingInputIteratorIllEEPS6_NSA_22TransformInputIteratorIbN2at6native12_GLOBAL__N_19NonZeroOpIhEEPKhlEENS0_5tupleIJPlS6_EEENSN_IJSD_SD_EEES6_PiJS6_EEE10hipError_tPvRmT3_T4_T5_T6_T7_T9_mT8_P12ihipStream_tbDpT10_ENKUlT_T0_E_clISt17integral_constantIbLb1EES1A_IbLb0EEEEDaS16_S17_EUlS16_E_NS1_11comp_targetILNS1_3genE5ELNS1_11target_archE942ELNS1_3gpuE9ELNS1_3repE0EEENS1_30default_config_static_selectorELNS0_4arch9wavefront6targetE0EEEvT1_.num_agpr, 0
	.set _ZN7rocprim17ROCPRIM_400000_NS6detail17trampoline_kernelINS0_14default_configENS1_25partition_config_selectorILNS1_17partition_subalgoE5ElNS0_10empty_typeEbEEZZNS1_14partition_implILS5_5ELb0ES3_mN6hipcub16HIPCUB_304000_NS21CountingInputIteratorIllEEPS6_NSA_22TransformInputIteratorIbN2at6native12_GLOBAL__N_19NonZeroOpIhEEPKhlEENS0_5tupleIJPlS6_EEENSN_IJSD_SD_EEES6_PiJS6_EEE10hipError_tPvRmT3_T4_T5_T6_T7_T9_mT8_P12ihipStream_tbDpT10_ENKUlT_T0_E_clISt17integral_constantIbLb1EES1A_IbLb0EEEEDaS16_S17_EUlS16_E_NS1_11comp_targetILNS1_3genE5ELNS1_11target_archE942ELNS1_3gpuE9ELNS1_3repE0EEENS1_30default_config_static_selectorELNS0_4arch9wavefront6targetE0EEEvT1_.numbered_sgpr, 0
	.set _ZN7rocprim17ROCPRIM_400000_NS6detail17trampoline_kernelINS0_14default_configENS1_25partition_config_selectorILNS1_17partition_subalgoE5ElNS0_10empty_typeEbEEZZNS1_14partition_implILS5_5ELb0ES3_mN6hipcub16HIPCUB_304000_NS21CountingInputIteratorIllEEPS6_NSA_22TransformInputIteratorIbN2at6native12_GLOBAL__N_19NonZeroOpIhEEPKhlEENS0_5tupleIJPlS6_EEENSN_IJSD_SD_EEES6_PiJS6_EEE10hipError_tPvRmT3_T4_T5_T6_T7_T9_mT8_P12ihipStream_tbDpT10_ENKUlT_T0_E_clISt17integral_constantIbLb1EES1A_IbLb0EEEEDaS16_S17_EUlS16_E_NS1_11comp_targetILNS1_3genE5ELNS1_11target_archE942ELNS1_3gpuE9ELNS1_3repE0EEENS1_30default_config_static_selectorELNS0_4arch9wavefront6targetE0EEEvT1_.num_named_barrier, 0
	.set _ZN7rocprim17ROCPRIM_400000_NS6detail17trampoline_kernelINS0_14default_configENS1_25partition_config_selectorILNS1_17partition_subalgoE5ElNS0_10empty_typeEbEEZZNS1_14partition_implILS5_5ELb0ES3_mN6hipcub16HIPCUB_304000_NS21CountingInputIteratorIllEEPS6_NSA_22TransformInputIteratorIbN2at6native12_GLOBAL__N_19NonZeroOpIhEEPKhlEENS0_5tupleIJPlS6_EEENSN_IJSD_SD_EEES6_PiJS6_EEE10hipError_tPvRmT3_T4_T5_T6_T7_T9_mT8_P12ihipStream_tbDpT10_ENKUlT_T0_E_clISt17integral_constantIbLb1EES1A_IbLb0EEEEDaS16_S17_EUlS16_E_NS1_11comp_targetILNS1_3genE5ELNS1_11target_archE942ELNS1_3gpuE9ELNS1_3repE0EEENS1_30default_config_static_selectorELNS0_4arch9wavefront6targetE0EEEvT1_.private_seg_size, 0
	.set _ZN7rocprim17ROCPRIM_400000_NS6detail17trampoline_kernelINS0_14default_configENS1_25partition_config_selectorILNS1_17partition_subalgoE5ElNS0_10empty_typeEbEEZZNS1_14partition_implILS5_5ELb0ES3_mN6hipcub16HIPCUB_304000_NS21CountingInputIteratorIllEEPS6_NSA_22TransformInputIteratorIbN2at6native12_GLOBAL__N_19NonZeroOpIhEEPKhlEENS0_5tupleIJPlS6_EEENSN_IJSD_SD_EEES6_PiJS6_EEE10hipError_tPvRmT3_T4_T5_T6_T7_T9_mT8_P12ihipStream_tbDpT10_ENKUlT_T0_E_clISt17integral_constantIbLb1EES1A_IbLb0EEEEDaS16_S17_EUlS16_E_NS1_11comp_targetILNS1_3genE5ELNS1_11target_archE942ELNS1_3gpuE9ELNS1_3repE0EEENS1_30default_config_static_selectorELNS0_4arch9wavefront6targetE0EEEvT1_.uses_vcc, 0
	.set _ZN7rocprim17ROCPRIM_400000_NS6detail17trampoline_kernelINS0_14default_configENS1_25partition_config_selectorILNS1_17partition_subalgoE5ElNS0_10empty_typeEbEEZZNS1_14partition_implILS5_5ELb0ES3_mN6hipcub16HIPCUB_304000_NS21CountingInputIteratorIllEEPS6_NSA_22TransformInputIteratorIbN2at6native12_GLOBAL__N_19NonZeroOpIhEEPKhlEENS0_5tupleIJPlS6_EEENSN_IJSD_SD_EEES6_PiJS6_EEE10hipError_tPvRmT3_T4_T5_T6_T7_T9_mT8_P12ihipStream_tbDpT10_ENKUlT_T0_E_clISt17integral_constantIbLb1EES1A_IbLb0EEEEDaS16_S17_EUlS16_E_NS1_11comp_targetILNS1_3genE5ELNS1_11target_archE942ELNS1_3gpuE9ELNS1_3repE0EEENS1_30default_config_static_selectorELNS0_4arch9wavefront6targetE0EEEvT1_.uses_flat_scratch, 0
	.set _ZN7rocprim17ROCPRIM_400000_NS6detail17trampoline_kernelINS0_14default_configENS1_25partition_config_selectorILNS1_17partition_subalgoE5ElNS0_10empty_typeEbEEZZNS1_14partition_implILS5_5ELb0ES3_mN6hipcub16HIPCUB_304000_NS21CountingInputIteratorIllEEPS6_NSA_22TransformInputIteratorIbN2at6native12_GLOBAL__N_19NonZeroOpIhEEPKhlEENS0_5tupleIJPlS6_EEENSN_IJSD_SD_EEES6_PiJS6_EEE10hipError_tPvRmT3_T4_T5_T6_T7_T9_mT8_P12ihipStream_tbDpT10_ENKUlT_T0_E_clISt17integral_constantIbLb1EES1A_IbLb0EEEEDaS16_S17_EUlS16_E_NS1_11comp_targetILNS1_3genE5ELNS1_11target_archE942ELNS1_3gpuE9ELNS1_3repE0EEENS1_30default_config_static_selectorELNS0_4arch9wavefront6targetE0EEEvT1_.has_dyn_sized_stack, 0
	.set _ZN7rocprim17ROCPRIM_400000_NS6detail17trampoline_kernelINS0_14default_configENS1_25partition_config_selectorILNS1_17partition_subalgoE5ElNS0_10empty_typeEbEEZZNS1_14partition_implILS5_5ELb0ES3_mN6hipcub16HIPCUB_304000_NS21CountingInputIteratorIllEEPS6_NSA_22TransformInputIteratorIbN2at6native12_GLOBAL__N_19NonZeroOpIhEEPKhlEENS0_5tupleIJPlS6_EEENSN_IJSD_SD_EEES6_PiJS6_EEE10hipError_tPvRmT3_T4_T5_T6_T7_T9_mT8_P12ihipStream_tbDpT10_ENKUlT_T0_E_clISt17integral_constantIbLb1EES1A_IbLb0EEEEDaS16_S17_EUlS16_E_NS1_11comp_targetILNS1_3genE5ELNS1_11target_archE942ELNS1_3gpuE9ELNS1_3repE0EEENS1_30default_config_static_selectorELNS0_4arch9wavefront6targetE0EEEvT1_.has_recursion, 0
	.set _ZN7rocprim17ROCPRIM_400000_NS6detail17trampoline_kernelINS0_14default_configENS1_25partition_config_selectorILNS1_17partition_subalgoE5ElNS0_10empty_typeEbEEZZNS1_14partition_implILS5_5ELb0ES3_mN6hipcub16HIPCUB_304000_NS21CountingInputIteratorIllEEPS6_NSA_22TransformInputIteratorIbN2at6native12_GLOBAL__N_19NonZeroOpIhEEPKhlEENS0_5tupleIJPlS6_EEENSN_IJSD_SD_EEES6_PiJS6_EEE10hipError_tPvRmT3_T4_T5_T6_T7_T9_mT8_P12ihipStream_tbDpT10_ENKUlT_T0_E_clISt17integral_constantIbLb1EES1A_IbLb0EEEEDaS16_S17_EUlS16_E_NS1_11comp_targetILNS1_3genE5ELNS1_11target_archE942ELNS1_3gpuE9ELNS1_3repE0EEENS1_30default_config_static_selectorELNS0_4arch9wavefront6targetE0EEEvT1_.has_indirect_call, 0
	.section	.AMDGPU.csdata,"",@progbits
; Kernel info:
; codeLenInByte = 0
; TotalNumSgprs: 0
; NumVgprs: 0
; ScratchSize: 0
; MemoryBound: 0
; FloatMode: 240
; IeeeMode: 1
; LDSByteSize: 0 bytes/workgroup (compile time only)
; SGPRBlocks: 0
; VGPRBlocks: 0
; NumSGPRsForWavesPerEU: 1
; NumVGPRsForWavesPerEU: 1
; Occupancy: 16
; WaveLimiterHint : 0
; COMPUTE_PGM_RSRC2:SCRATCH_EN: 0
; COMPUTE_PGM_RSRC2:USER_SGPR: 2
; COMPUTE_PGM_RSRC2:TRAP_HANDLER: 0
; COMPUTE_PGM_RSRC2:TGID_X_EN: 1
; COMPUTE_PGM_RSRC2:TGID_Y_EN: 0
; COMPUTE_PGM_RSRC2:TGID_Z_EN: 0
; COMPUTE_PGM_RSRC2:TIDIG_COMP_CNT: 0
	.section	.text._ZN7rocprim17ROCPRIM_400000_NS6detail17trampoline_kernelINS0_14default_configENS1_25partition_config_selectorILNS1_17partition_subalgoE5ElNS0_10empty_typeEbEEZZNS1_14partition_implILS5_5ELb0ES3_mN6hipcub16HIPCUB_304000_NS21CountingInputIteratorIllEEPS6_NSA_22TransformInputIteratorIbN2at6native12_GLOBAL__N_19NonZeroOpIhEEPKhlEENS0_5tupleIJPlS6_EEENSN_IJSD_SD_EEES6_PiJS6_EEE10hipError_tPvRmT3_T4_T5_T6_T7_T9_mT8_P12ihipStream_tbDpT10_ENKUlT_T0_E_clISt17integral_constantIbLb1EES1A_IbLb0EEEEDaS16_S17_EUlS16_E_NS1_11comp_targetILNS1_3genE4ELNS1_11target_archE910ELNS1_3gpuE8ELNS1_3repE0EEENS1_30default_config_static_selectorELNS0_4arch9wavefront6targetE0EEEvT1_,"axG",@progbits,_ZN7rocprim17ROCPRIM_400000_NS6detail17trampoline_kernelINS0_14default_configENS1_25partition_config_selectorILNS1_17partition_subalgoE5ElNS0_10empty_typeEbEEZZNS1_14partition_implILS5_5ELb0ES3_mN6hipcub16HIPCUB_304000_NS21CountingInputIteratorIllEEPS6_NSA_22TransformInputIteratorIbN2at6native12_GLOBAL__N_19NonZeroOpIhEEPKhlEENS0_5tupleIJPlS6_EEENSN_IJSD_SD_EEES6_PiJS6_EEE10hipError_tPvRmT3_T4_T5_T6_T7_T9_mT8_P12ihipStream_tbDpT10_ENKUlT_T0_E_clISt17integral_constantIbLb1EES1A_IbLb0EEEEDaS16_S17_EUlS16_E_NS1_11comp_targetILNS1_3genE4ELNS1_11target_archE910ELNS1_3gpuE8ELNS1_3repE0EEENS1_30default_config_static_selectorELNS0_4arch9wavefront6targetE0EEEvT1_,comdat
	.globl	_ZN7rocprim17ROCPRIM_400000_NS6detail17trampoline_kernelINS0_14default_configENS1_25partition_config_selectorILNS1_17partition_subalgoE5ElNS0_10empty_typeEbEEZZNS1_14partition_implILS5_5ELb0ES3_mN6hipcub16HIPCUB_304000_NS21CountingInputIteratorIllEEPS6_NSA_22TransformInputIteratorIbN2at6native12_GLOBAL__N_19NonZeroOpIhEEPKhlEENS0_5tupleIJPlS6_EEENSN_IJSD_SD_EEES6_PiJS6_EEE10hipError_tPvRmT3_T4_T5_T6_T7_T9_mT8_P12ihipStream_tbDpT10_ENKUlT_T0_E_clISt17integral_constantIbLb1EES1A_IbLb0EEEEDaS16_S17_EUlS16_E_NS1_11comp_targetILNS1_3genE4ELNS1_11target_archE910ELNS1_3gpuE8ELNS1_3repE0EEENS1_30default_config_static_selectorELNS0_4arch9wavefront6targetE0EEEvT1_ ; -- Begin function _ZN7rocprim17ROCPRIM_400000_NS6detail17trampoline_kernelINS0_14default_configENS1_25partition_config_selectorILNS1_17partition_subalgoE5ElNS0_10empty_typeEbEEZZNS1_14partition_implILS5_5ELb0ES3_mN6hipcub16HIPCUB_304000_NS21CountingInputIteratorIllEEPS6_NSA_22TransformInputIteratorIbN2at6native12_GLOBAL__N_19NonZeroOpIhEEPKhlEENS0_5tupleIJPlS6_EEENSN_IJSD_SD_EEES6_PiJS6_EEE10hipError_tPvRmT3_T4_T5_T6_T7_T9_mT8_P12ihipStream_tbDpT10_ENKUlT_T0_E_clISt17integral_constantIbLb1EES1A_IbLb0EEEEDaS16_S17_EUlS16_E_NS1_11comp_targetILNS1_3genE4ELNS1_11target_archE910ELNS1_3gpuE8ELNS1_3repE0EEENS1_30default_config_static_selectorELNS0_4arch9wavefront6targetE0EEEvT1_
	.p2align	8
	.type	_ZN7rocprim17ROCPRIM_400000_NS6detail17trampoline_kernelINS0_14default_configENS1_25partition_config_selectorILNS1_17partition_subalgoE5ElNS0_10empty_typeEbEEZZNS1_14partition_implILS5_5ELb0ES3_mN6hipcub16HIPCUB_304000_NS21CountingInputIteratorIllEEPS6_NSA_22TransformInputIteratorIbN2at6native12_GLOBAL__N_19NonZeroOpIhEEPKhlEENS0_5tupleIJPlS6_EEENSN_IJSD_SD_EEES6_PiJS6_EEE10hipError_tPvRmT3_T4_T5_T6_T7_T9_mT8_P12ihipStream_tbDpT10_ENKUlT_T0_E_clISt17integral_constantIbLb1EES1A_IbLb0EEEEDaS16_S17_EUlS16_E_NS1_11comp_targetILNS1_3genE4ELNS1_11target_archE910ELNS1_3gpuE8ELNS1_3repE0EEENS1_30default_config_static_selectorELNS0_4arch9wavefront6targetE0EEEvT1_,@function
_ZN7rocprim17ROCPRIM_400000_NS6detail17trampoline_kernelINS0_14default_configENS1_25partition_config_selectorILNS1_17partition_subalgoE5ElNS0_10empty_typeEbEEZZNS1_14partition_implILS5_5ELb0ES3_mN6hipcub16HIPCUB_304000_NS21CountingInputIteratorIllEEPS6_NSA_22TransformInputIteratorIbN2at6native12_GLOBAL__N_19NonZeroOpIhEEPKhlEENS0_5tupleIJPlS6_EEENSN_IJSD_SD_EEES6_PiJS6_EEE10hipError_tPvRmT3_T4_T5_T6_T7_T9_mT8_P12ihipStream_tbDpT10_ENKUlT_T0_E_clISt17integral_constantIbLb1EES1A_IbLb0EEEEDaS16_S17_EUlS16_E_NS1_11comp_targetILNS1_3genE4ELNS1_11target_archE910ELNS1_3gpuE8ELNS1_3repE0EEENS1_30default_config_static_selectorELNS0_4arch9wavefront6targetE0EEEvT1_: ; @_ZN7rocprim17ROCPRIM_400000_NS6detail17trampoline_kernelINS0_14default_configENS1_25partition_config_selectorILNS1_17partition_subalgoE5ElNS0_10empty_typeEbEEZZNS1_14partition_implILS5_5ELb0ES3_mN6hipcub16HIPCUB_304000_NS21CountingInputIteratorIllEEPS6_NSA_22TransformInputIteratorIbN2at6native12_GLOBAL__N_19NonZeroOpIhEEPKhlEENS0_5tupleIJPlS6_EEENSN_IJSD_SD_EEES6_PiJS6_EEE10hipError_tPvRmT3_T4_T5_T6_T7_T9_mT8_P12ihipStream_tbDpT10_ENKUlT_T0_E_clISt17integral_constantIbLb1EES1A_IbLb0EEEEDaS16_S17_EUlS16_E_NS1_11comp_targetILNS1_3genE4ELNS1_11target_archE910ELNS1_3gpuE8ELNS1_3repE0EEENS1_30default_config_static_selectorELNS0_4arch9wavefront6targetE0EEEvT1_
; %bb.0:
	.section	.rodata,"a",@progbits
	.p2align	6, 0x0
	.amdhsa_kernel _ZN7rocprim17ROCPRIM_400000_NS6detail17trampoline_kernelINS0_14default_configENS1_25partition_config_selectorILNS1_17partition_subalgoE5ElNS0_10empty_typeEbEEZZNS1_14partition_implILS5_5ELb0ES3_mN6hipcub16HIPCUB_304000_NS21CountingInputIteratorIllEEPS6_NSA_22TransformInputIteratorIbN2at6native12_GLOBAL__N_19NonZeroOpIhEEPKhlEENS0_5tupleIJPlS6_EEENSN_IJSD_SD_EEES6_PiJS6_EEE10hipError_tPvRmT3_T4_T5_T6_T7_T9_mT8_P12ihipStream_tbDpT10_ENKUlT_T0_E_clISt17integral_constantIbLb1EES1A_IbLb0EEEEDaS16_S17_EUlS16_E_NS1_11comp_targetILNS1_3genE4ELNS1_11target_archE910ELNS1_3gpuE8ELNS1_3repE0EEENS1_30default_config_static_selectorELNS0_4arch9wavefront6targetE0EEEvT1_
		.amdhsa_group_segment_fixed_size 0
		.amdhsa_private_segment_fixed_size 0
		.amdhsa_kernarg_size 120
		.amdhsa_user_sgpr_count 2
		.amdhsa_user_sgpr_dispatch_ptr 0
		.amdhsa_user_sgpr_queue_ptr 0
		.amdhsa_user_sgpr_kernarg_segment_ptr 1
		.amdhsa_user_sgpr_dispatch_id 0
		.amdhsa_user_sgpr_private_segment_size 0
		.amdhsa_wavefront_size32 1
		.amdhsa_uses_dynamic_stack 0
		.amdhsa_enable_private_segment 0
		.amdhsa_system_sgpr_workgroup_id_x 1
		.amdhsa_system_sgpr_workgroup_id_y 0
		.amdhsa_system_sgpr_workgroup_id_z 0
		.amdhsa_system_sgpr_workgroup_info 0
		.amdhsa_system_vgpr_workitem_id 0
		.amdhsa_next_free_vgpr 1
		.amdhsa_next_free_sgpr 1
		.amdhsa_reserve_vcc 0
		.amdhsa_float_round_mode_32 0
		.amdhsa_float_round_mode_16_64 0
		.amdhsa_float_denorm_mode_32 3
		.amdhsa_float_denorm_mode_16_64 3
		.amdhsa_fp16_overflow 0
		.amdhsa_workgroup_processor_mode 1
		.amdhsa_memory_ordered 1
		.amdhsa_forward_progress 1
		.amdhsa_inst_pref_size 0
		.amdhsa_round_robin_scheduling 0
		.amdhsa_exception_fp_ieee_invalid_op 0
		.amdhsa_exception_fp_denorm_src 0
		.amdhsa_exception_fp_ieee_div_zero 0
		.amdhsa_exception_fp_ieee_overflow 0
		.amdhsa_exception_fp_ieee_underflow 0
		.amdhsa_exception_fp_ieee_inexact 0
		.amdhsa_exception_int_div_zero 0
	.end_amdhsa_kernel
	.section	.text._ZN7rocprim17ROCPRIM_400000_NS6detail17trampoline_kernelINS0_14default_configENS1_25partition_config_selectorILNS1_17partition_subalgoE5ElNS0_10empty_typeEbEEZZNS1_14partition_implILS5_5ELb0ES3_mN6hipcub16HIPCUB_304000_NS21CountingInputIteratorIllEEPS6_NSA_22TransformInputIteratorIbN2at6native12_GLOBAL__N_19NonZeroOpIhEEPKhlEENS0_5tupleIJPlS6_EEENSN_IJSD_SD_EEES6_PiJS6_EEE10hipError_tPvRmT3_T4_T5_T6_T7_T9_mT8_P12ihipStream_tbDpT10_ENKUlT_T0_E_clISt17integral_constantIbLb1EES1A_IbLb0EEEEDaS16_S17_EUlS16_E_NS1_11comp_targetILNS1_3genE4ELNS1_11target_archE910ELNS1_3gpuE8ELNS1_3repE0EEENS1_30default_config_static_selectorELNS0_4arch9wavefront6targetE0EEEvT1_,"axG",@progbits,_ZN7rocprim17ROCPRIM_400000_NS6detail17trampoline_kernelINS0_14default_configENS1_25partition_config_selectorILNS1_17partition_subalgoE5ElNS0_10empty_typeEbEEZZNS1_14partition_implILS5_5ELb0ES3_mN6hipcub16HIPCUB_304000_NS21CountingInputIteratorIllEEPS6_NSA_22TransformInputIteratorIbN2at6native12_GLOBAL__N_19NonZeroOpIhEEPKhlEENS0_5tupleIJPlS6_EEENSN_IJSD_SD_EEES6_PiJS6_EEE10hipError_tPvRmT3_T4_T5_T6_T7_T9_mT8_P12ihipStream_tbDpT10_ENKUlT_T0_E_clISt17integral_constantIbLb1EES1A_IbLb0EEEEDaS16_S17_EUlS16_E_NS1_11comp_targetILNS1_3genE4ELNS1_11target_archE910ELNS1_3gpuE8ELNS1_3repE0EEENS1_30default_config_static_selectorELNS0_4arch9wavefront6targetE0EEEvT1_,comdat
.Lfunc_end66:
	.size	_ZN7rocprim17ROCPRIM_400000_NS6detail17trampoline_kernelINS0_14default_configENS1_25partition_config_selectorILNS1_17partition_subalgoE5ElNS0_10empty_typeEbEEZZNS1_14partition_implILS5_5ELb0ES3_mN6hipcub16HIPCUB_304000_NS21CountingInputIteratorIllEEPS6_NSA_22TransformInputIteratorIbN2at6native12_GLOBAL__N_19NonZeroOpIhEEPKhlEENS0_5tupleIJPlS6_EEENSN_IJSD_SD_EEES6_PiJS6_EEE10hipError_tPvRmT3_T4_T5_T6_T7_T9_mT8_P12ihipStream_tbDpT10_ENKUlT_T0_E_clISt17integral_constantIbLb1EES1A_IbLb0EEEEDaS16_S17_EUlS16_E_NS1_11comp_targetILNS1_3genE4ELNS1_11target_archE910ELNS1_3gpuE8ELNS1_3repE0EEENS1_30default_config_static_selectorELNS0_4arch9wavefront6targetE0EEEvT1_, .Lfunc_end66-_ZN7rocprim17ROCPRIM_400000_NS6detail17trampoline_kernelINS0_14default_configENS1_25partition_config_selectorILNS1_17partition_subalgoE5ElNS0_10empty_typeEbEEZZNS1_14partition_implILS5_5ELb0ES3_mN6hipcub16HIPCUB_304000_NS21CountingInputIteratorIllEEPS6_NSA_22TransformInputIteratorIbN2at6native12_GLOBAL__N_19NonZeroOpIhEEPKhlEENS0_5tupleIJPlS6_EEENSN_IJSD_SD_EEES6_PiJS6_EEE10hipError_tPvRmT3_T4_T5_T6_T7_T9_mT8_P12ihipStream_tbDpT10_ENKUlT_T0_E_clISt17integral_constantIbLb1EES1A_IbLb0EEEEDaS16_S17_EUlS16_E_NS1_11comp_targetILNS1_3genE4ELNS1_11target_archE910ELNS1_3gpuE8ELNS1_3repE0EEENS1_30default_config_static_selectorELNS0_4arch9wavefront6targetE0EEEvT1_
                                        ; -- End function
	.set _ZN7rocprim17ROCPRIM_400000_NS6detail17trampoline_kernelINS0_14default_configENS1_25partition_config_selectorILNS1_17partition_subalgoE5ElNS0_10empty_typeEbEEZZNS1_14partition_implILS5_5ELb0ES3_mN6hipcub16HIPCUB_304000_NS21CountingInputIteratorIllEEPS6_NSA_22TransformInputIteratorIbN2at6native12_GLOBAL__N_19NonZeroOpIhEEPKhlEENS0_5tupleIJPlS6_EEENSN_IJSD_SD_EEES6_PiJS6_EEE10hipError_tPvRmT3_T4_T5_T6_T7_T9_mT8_P12ihipStream_tbDpT10_ENKUlT_T0_E_clISt17integral_constantIbLb1EES1A_IbLb0EEEEDaS16_S17_EUlS16_E_NS1_11comp_targetILNS1_3genE4ELNS1_11target_archE910ELNS1_3gpuE8ELNS1_3repE0EEENS1_30default_config_static_selectorELNS0_4arch9wavefront6targetE0EEEvT1_.num_vgpr, 0
	.set _ZN7rocprim17ROCPRIM_400000_NS6detail17trampoline_kernelINS0_14default_configENS1_25partition_config_selectorILNS1_17partition_subalgoE5ElNS0_10empty_typeEbEEZZNS1_14partition_implILS5_5ELb0ES3_mN6hipcub16HIPCUB_304000_NS21CountingInputIteratorIllEEPS6_NSA_22TransformInputIteratorIbN2at6native12_GLOBAL__N_19NonZeroOpIhEEPKhlEENS0_5tupleIJPlS6_EEENSN_IJSD_SD_EEES6_PiJS6_EEE10hipError_tPvRmT3_T4_T5_T6_T7_T9_mT8_P12ihipStream_tbDpT10_ENKUlT_T0_E_clISt17integral_constantIbLb1EES1A_IbLb0EEEEDaS16_S17_EUlS16_E_NS1_11comp_targetILNS1_3genE4ELNS1_11target_archE910ELNS1_3gpuE8ELNS1_3repE0EEENS1_30default_config_static_selectorELNS0_4arch9wavefront6targetE0EEEvT1_.num_agpr, 0
	.set _ZN7rocprim17ROCPRIM_400000_NS6detail17trampoline_kernelINS0_14default_configENS1_25partition_config_selectorILNS1_17partition_subalgoE5ElNS0_10empty_typeEbEEZZNS1_14partition_implILS5_5ELb0ES3_mN6hipcub16HIPCUB_304000_NS21CountingInputIteratorIllEEPS6_NSA_22TransformInputIteratorIbN2at6native12_GLOBAL__N_19NonZeroOpIhEEPKhlEENS0_5tupleIJPlS6_EEENSN_IJSD_SD_EEES6_PiJS6_EEE10hipError_tPvRmT3_T4_T5_T6_T7_T9_mT8_P12ihipStream_tbDpT10_ENKUlT_T0_E_clISt17integral_constantIbLb1EES1A_IbLb0EEEEDaS16_S17_EUlS16_E_NS1_11comp_targetILNS1_3genE4ELNS1_11target_archE910ELNS1_3gpuE8ELNS1_3repE0EEENS1_30default_config_static_selectorELNS0_4arch9wavefront6targetE0EEEvT1_.numbered_sgpr, 0
	.set _ZN7rocprim17ROCPRIM_400000_NS6detail17trampoline_kernelINS0_14default_configENS1_25partition_config_selectorILNS1_17partition_subalgoE5ElNS0_10empty_typeEbEEZZNS1_14partition_implILS5_5ELb0ES3_mN6hipcub16HIPCUB_304000_NS21CountingInputIteratorIllEEPS6_NSA_22TransformInputIteratorIbN2at6native12_GLOBAL__N_19NonZeroOpIhEEPKhlEENS0_5tupleIJPlS6_EEENSN_IJSD_SD_EEES6_PiJS6_EEE10hipError_tPvRmT3_T4_T5_T6_T7_T9_mT8_P12ihipStream_tbDpT10_ENKUlT_T0_E_clISt17integral_constantIbLb1EES1A_IbLb0EEEEDaS16_S17_EUlS16_E_NS1_11comp_targetILNS1_3genE4ELNS1_11target_archE910ELNS1_3gpuE8ELNS1_3repE0EEENS1_30default_config_static_selectorELNS0_4arch9wavefront6targetE0EEEvT1_.num_named_barrier, 0
	.set _ZN7rocprim17ROCPRIM_400000_NS6detail17trampoline_kernelINS0_14default_configENS1_25partition_config_selectorILNS1_17partition_subalgoE5ElNS0_10empty_typeEbEEZZNS1_14partition_implILS5_5ELb0ES3_mN6hipcub16HIPCUB_304000_NS21CountingInputIteratorIllEEPS6_NSA_22TransformInputIteratorIbN2at6native12_GLOBAL__N_19NonZeroOpIhEEPKhlEENS0_5tupleIJPlS6_EEENSN_IJSD_SD_EEES6_PiJS6_EEE10hipError_tPvRmT3_T4_T5_T6_T7_T9_mT8_P12ihipStream_tbDpT10_ENKUlT_T0_E_clISt17integral_constantIbLb1EES1A_IbLb0EEEEDaS16_S17_EUlS16_E_NS1_11comp_targetILNS1_3genE4ELNS1_11target_archE910ELNS1_3gpuE8ELNS1_3repE0EEENS1_30default_config_static_selectorELNS0_4arch9wavefront6targetE0EEEvT1_.private_seg_size, 0
	.set _ZN7rocprim17ROCPRIM_400000_NS6detail17trampoline_kernelINS0_14default_configENS1_25partition_config_selectorILNS1_17partition_subalgoE5ElNS0_10empty_typeEbEEZZNS1_14partition_implILS5_5ELb0ES3_mN6hipcub16HIPCUB_304000_NS21CountingInputIteratorIllEEPS6_NSA_22TransformInputIteratorIbN2at6native12_GLOBAL__N_19NonZeroOpIhEEPKhlEENS0_5tupleIJPlS6_EEENSN_IJSD_SD_EEES6_PiJS6_EEE10hipError_tPvRmT3_T4_T5_T6_T7_T9_mT8_P12ihipStream_tbDpT10_ENKUlT_T0_E_clISt17integral_constantIbLb1EES1A_IbLb0EEEEDaS16_S17_EUlS16_E_NS1_11comp_targetILNS1_3genE4ELNS1_11target_archE910ELNS1_3gpuE8ELNS1_3repE0EEENS1_30default_config_static_selectorELNS0_4arch9wavefront6targetE0EEEvT1_.uses_vcc, 0
	.set _ZN7rocprim17ROCPRIM_400000_NS6detail17trampoline_kernelINS0_14default_configENS1_25partition_config_selectorILNS1_17partition_subalgoE5ElNS0_10empty_typeEbEEZZNS1_14partition_implILS5_5ELb0ES3_mN6hipcub16HIPCUB_304000_NS21CountingInputIteratorIllEEPS6_NSA_22TransformInputIteratorIbN2at6native12_GLOBAL__N_19NonZeroOpIhEEPKhlEENS0_5tupleIJPlS6_EEENSN_IJSD_SD_EEES6_PiJS6_EEE10hipError_tPvRmT3_T4_T5_T6_T7_T9_mT8_P12ihipStream_tbDpT10_ENKUlT_T0_E_clISt17integral_constantIbLb1EES1A_IbLb0EEEEDaS16_S17_EUlS16_E_NS1_11comp_targetILNS1_3genE4ELNS1_11target_archE910ELNS1_3gpuE8ELNS1_3repE0EEENS1_30default_config_static_selectorELNS0_4arch9wavefront6targetE0EEEvT1_.uses_flat_scratch, 0
	.set _ZN7rocprim17ROCPRIM_400000_NS6detail17trampoline_kernelINS0_14default_configENS1_25partition_config_selectorILNS1_17partition_subalgoE5ElNS0_10empty_typeEbEEZZNS1_14partition_implILS5_5ELb0ES3_mN6hipcub16HIPCUB_304000_NS21CountingInputIteratorIllEEPS6_NSA_22TransformInputIteratorIbN2at6native12_GLOBAL__N_19NonZeroOpIhEEPKhlEENS0_5tupleIJPlS6_EEENSN_IJSD_SD_EEES6_PiJS6_EEE10hipError_tPvRmT3_T4_T5_T6_T7_T9_mT8_P12ihipStream_tbDpT10_ENKUlT_T0_E_clISt17integral_constantIbLb1EES1A_IbLb0EEEEDaS16_S17_EUlS16_E_NS1_11comp_targetILNS1_3genE4ELNS1_11target_archE910ELNS1_3gpuE8ELNS1_3repE0EEENS1_30default_config_static_selectorELNS0_4arch9wavefront6targetE0EEEvT1_.has_dyn_sized_stack, 0
	.set _ZN7rocprim17ROCPRIM_400000_NS6detail17trampoline_kernelINS0_14default_configENS1_25partition_config_selectorILNS1_17partition_subalgoE5ElNS0_10empty_typeEbEEZZNS1_14partition_implILS5_5ELb0ES3_mN6hipcub16HIPCUB_304000_NS21CountingInputIteratorIllEEPS6_NSA_22TransformInputIteratorIbN2at6native12_GLOBAL__N_19NonZeroOpIhEEPKhlEENS0_5tupleIJPlS6_EEENSN_IJSD_SD_EEES6_PiJS6_EEE10hipError_tPvRmT3_T4_T5_T6_T7_T9_mT8_P12ihipStream_tbDpT10_ENKUlT_T0_E_clISt17integral_constantIbLb1EES1A_IbLb0EEEEDaS16_S17_EUlS16_E_NS1_11comp_targetILNS1_3genE4ELNS1_11target_archE910ELNS1_3gpuE8ELNS1_3repE0EEENS1_30default_config_static_selectorELNS0_4arch9wavefront6targetE0EEEvT1_.has_recursion, 0
	.set _ZN7rocprim17ROCPRIM_400000_NS6detail17trampoline_kernelINS0_14default_configENS1_25partition_config_selectorILNS1_17partition_subalgoE5ElNS0_10empty_typeEbEEZZNS1_14partition_implILS5_5ELb0ES3_mN6hipcub16HIPCUB_304000_NS21CountingInputIteratorIllEEPS6_NSA_22TransformInputIteratorIbN2at6native12_GLOBAL__N_19NonZeroOpIhEEPKhlEENS0_5tupleIJPlS6_EEENSN_IJSD_SD_EEES6_PiJS6_EEE10hipError_tPvRmT3_T4_T5_T6_T7_T9_mT8_P12ihipStream_tbDpT10_ENKUlT_T0_E_clISt17integral_constantIbLb1EES1A_IbLb0EEEEDaS16_S17_EUlS16_E_NS1_11comp_targetILNS1_3genE4ELNS1_11target_archE910ELNS1_3gpuE8ELNS1_3repE0EEENS1_30default_config_static_selectorELNS0_4arch9wavefront6targetE0EEEvT1_.has_indirect_call, 0
	.section	.AMDGPU.csdata,"",@progbits
; Kernel info:
; codeLenInByte = 0
; TotalNumSgprs: 0
; NumVgprs: 0
; ScratchSize: 0
; MemoryBound: 0
; FloatMode: 240
; IeeeMode: 1
; LDSByteSize: 0 bytes/workgroup (compile time only)
; SGPRBlocks: 0
; VGPRBlocks: 0
; NumSGPRsForWavesPerEU: 1
; NumVGPRsForWavesPerEU: 1
; Occupancy: 16
; WaveLimiterHint : 0
; COMPUTE_PGM_RSRC2:SCRATCH_EN: 0
; COMPUTE_PGM_RSRC2:USER_SGPR: 2
; COMPUTE_PGM_RSRC2:TRAP_HANDLER: 0
; COMPUTE_PGM_RSRC2:TGID_X_EN: 1
; COMPUTE_PGM_RSRC2:TGID_Y_EN: 0
; COMPUTE_PGM_RSRC2:TGID_Z_EN: 0
; COMPUTE_PGM_RSRC2:TIDIG_COMP_CNT: 0
	.section	.text._ZN7rocprim17ROCPRIM_400000_NS6detail17trampoline_kernelINS0_14default_configENS1_25partition_config_selectorILNS1_17partition_subalgoE5ElNS0_10empty_typeEbEEZZNS1_14partition_implILS5_5ELb0ES3_mN6hipcub16HIPCUB_304000_NS21CountingInputIteratorIllEEPS6_NSA_22TransformInputIteratorIbN2at6native12_GLOBAL__N_19NonZeroOpIhEEPKhlEENS0_5tupleIJPlS6_EEENSN_IJSD_SD_EEES6_PiJS6_EEE10hipError_tPvRmT3_T4_T5_T6_T7_T9_mT8_P12ihipStream_tbDpT10_ENKUlT_T0_E_clISt17integral_constantIbLb1EES1A_IbLb0EEEEDaS16_S17_EUlS16_E_NS1_11comp_targetILNS1_3genE3ELNS1_11target_archE908ELNS1_3gpuE7ELNS1_3repE0EEENS1_30default_config_static_selectorELNS0_4arch9wavefront6targetE0EEEvT1_,"axG",@progbits,_ZN7rocprim17ROCPRIM_400000_NS6detail17trampoline_kernelINS0_14default_configENS1_25partition_config_selectorILNS1_17partition_subalgoE5ElNS0_10empty_typeEbEEZZNS1_14partition_implILS5_5ELb0ES3_mN6hipcub16HIPCUB_304000_NS21CountingInputIteratorIllEEPS6_NSA_22TransformInputIteratorIbN2at6native12_GLOBAL__N_19NonZeroOpIhEEPKhlEENS0_5tupleIJPlS6_EEENSN_IJSD_SD_EEES6_PiJS6_EEE10hipError_tPvRmT3_T4_T5_T6_T7_T9_mT8_P12ihipStream_tbDpT10_ENKUlT_T0_E_clISt17integral_constantIbLb1EES1A_IbLb0EEEEDaS16_S17_EUlS16_E_NS1_11comp_targetILNS1_3genE3ELNS1_11target_archE908ELNS1_3gpuE7ELNS1_3repE0EEENS1_30default_config_static_selectorELNS0_4arch9wavefront6targetE0EEEvT1_,comdat
	.globl	_ZN7rocprim17ROCPRIM_400000_NS6detail17trampoline_kernelINS0_14default_configENS1_25partition_config_selectorILNS1_17partition_subalgoE5ElNS0_10empty_typeEbEEZZNS1_14partition_implILS5_5ELb0ES3_mN6hipcub16HIPCUB_304000_NS21CountingInputIteratorIllEEPS6_NSA_22TransformInputIteratorIbN2at6native12_GLOBAL__N_19NonZeroOpIhEEPKhlEENS0_5tupleIJPlS6_EEENSN_IJSD_SD_EEES6_PiJS6_EEE10hipError_tPvRmT3_T4_T5_T6_T7_T9_mT8_P12ihipStream_tbDpT10_ENKUlT_T0_E_clISt17integral_constantIbLb1EES1A_IbLb0EEEEDaS16_S17_EUlS16_E_NS1_11comp_targetILNS1_3genE3ELNS1_11target_archE908ELNS1_3gpuE7ELNS1_3repE0EEENS1_30default_config_static_selectorELNS0_4arch9wavefront6targetE0EEEvT1_ ; -- Begin function _ZN7rocprim17ROCPRIM_400000_NS6detail17trampoline_kernelINS0_14default_configENS1_25partition_config_selectorILNS1_17partition_subalgoE5ElNS0_10empty_typeEbEEZZNS1_14partition_implILS5_5ELb0ES3_mN6hipcub16HIPCUB_304000_NS21CountingInputIteratorIllEEPS6_NSA_22TransformInputIteratorIbN2at6native12_GLOBAL__N_19NonZeroOpIhEEPKhlEENS0_5tupleIJPlS6_EEENSN_IJSD_SD_EEES6_PiJS6_EEE10hipError_tPvRmT3_T4_T5_T6_T7_T9_mT8_P12ihipStream_tbDpT10_ENKUlT_T0_E_clISt17integral_constantIbLb1EES1A_IbLb0EEEEDaS16_S17_EUlS16_E_NS1_11comp_targetILNS1_3genE3ELNS1_11target_archE908ELNS1_3gpuE7ELNS1_3repE0EEENS1_30default_config_static_selectorELNS0_4arch9wavefront6targetE0EEEvT1_
	.p2align	8
	.type	_ZN7rocprim17ROCPRIM_400000_NS6detail17trampoline_kernelINS0_14default_configENS1_25partition_config_selectorILNS1_17partition_subalgoE5ElNS0_10empty_typeEbEEZZNS1_14partition_implILS5_5ELb0ES3_mN6hipcub16HIPCUB_304000_NS21CountingInputIteratorIllEEPS6_NSA_22TransformInputIteratorIbN2at6native12_GLOBAL__N_19NonZeroOpIhEEPKhlEENS0_5tupleIJPlS6_EEENSN_IJSD_SD_EEES6_PiJS6_EEE10hipError_tPvRmT3_T4_T5_T6_T7_T9_mT8_P12ihipStream_tbDpT10_ENKUlT_T0_E_clISt17integral_constantIbLb1EES1A_IbLb0EEEEDaS16_S17_EUlS16_E_NS1_11comp_targetILNS1_3genE3ELNS1_11target_archE908ELNS1_3gpuE7ELNS1_3repE0EEENS1_30default_config_static_selectorELNS0_4arch9wavefront6targetE0EEEvT1_,@function
_ZN7rocprim17ROCPRIM_400000_NS6detail17trampoline_kernelINS0_14default_configENS1_25partition_config_selectorILNS1_17partition_subalgoE5ElNS0_10empty_typeEbEEZZNS1_14partition_implILS5_5ELb0ES3_mN6hipcub16HIPCUB_304000_NS21CountingInputIteratorIllEEPS6_NSA_22TransformInputIteratorIbN2at6native12_GLOBAL__N_19NonZeroOpIhEEPKhlEENS0_5tupleIJPlS6_EEENSN_IJSD_SD_EEES6_PiJS6_EEE10hipError_tPvRmT3_T4_T5_T6_T7_T9_mT8_P12ihipStream_tbDpT10_ENKUlT_T0_E_clISt17integral_constantIbLb1EES1A_IbLb0EEEEDaS16_S17_EUlS16_E_NS1_11comp_targetILNS1_3genE3ELNS1_11target_archE908ELNS1_3gpuE7ELNS1_3repE0EEENS1_30default_config_static_selectorELNS0_4arch9wavefront6targetE0EEEvT1_: ; @_ZN7rocprim17ROCPRIM_400000_NS6detail17trampoline_kernelINS0_14default_configENS1_25partition_config_selectorILNS1_17partition_subalgoE5ElNS0_10empty_typeEbEEZZNS1_14partition_implILS5_5ELb0ES3_mN6hipcub16HIPCUB_304000_NS21CountingInputIteratorIllEEPS6_NSA_22TransformInputIteratorIbN2at6native12_GLOBAL__N_19NonZeroOpIhEEPKhlEENS0_5tupleIJPlS6_EEENSN_IJSD_SD_EEES6_PiJS6_EEE10hipError_tPvRmT3_T4_T5_T6_T7_T9_mT8_P12ihipStream_tbDpT10_ENKUlT_T0_E_clISt17integral_constantIbLb1EES1A_IbLb0EEEEDaS16_S17_EUlS16_E_NS1_11comp_targetILNS1_3genE3ELNS1_11target_archE908ELNS1_3gpuE7ELNS1_3repE0EEENS1_30default_config_static_selectorELNS0_4arch9wavefront6targetE0EEEvT1_
; %bb.0:
	.section	.rodata,"a",@progbits
	.p2align	6, 0x0
	.amdhsa_kernel _ZN7rocprim17ROCPRIM_400000_NS6detail17trampoline_kernelINS0_14default_configENS1_25partition_config_selectorILNS1_17partition_subalgoE5ElNS0_10empty_typeEbEEZZNS1_14partition_implILS5_5ELb0ES3_mN6hipcub16HIPCUB_304000_NS21CountingInputIteratorIllEEPS6_NSA_22TransformInputIteratorIbN2at6native12_GLOBAL__N_19NonZeroOpIhEEPKhlEENS0_5tupleIJPlS6_EEENSN_IJSD_SD_EEES6_PiJS6_EEE10hipError_tPvRmT3_T4_T5_T6_T7_T9_mT8_P12ihipStream_tbDpT10_ENKUlT_T0_E_clISt17integral_constantIbLb1EES1A_IbLb0EEEEDaS16_S17_EUlS16_E_NS1_11comp_targetILNS1_3genE3ELNS1_11target_archE908ELNS1_3gpuE7ELNS1_3repE0EEENS1_30default_config_static_selectorELNS0_4arch9wavefront6targetE0EEEvT1_
		.amdhsa_group_segment_fixed_size 0
		.amdhsa_private_segment_fixed_size 0
		.amdhsa_kernarg_size 120
		.amdhsa_user_sgpr_count 2
		.amdhsa_user_sgpr_dispatch_ptr 0
		.amdhsa_user_sgpr_queue_ptr 0
		.amdhsa_user_sgpr_kernarg_segment_ptr 1
		.amdhsa_user_sgpr_dispatch_id 0
		.amdhsa_user_sgpr_private_segment_size 0
		.amdhsa_wavefront_size32 1
		.amdhsa_uses_dynamic_stack 0
		.amdhsa_enable_private_segment 0
		.amdhsa_system_sgpr_workgroup_id_x 1
		.amdhsa_system_sgpr_workgroup_id_y 0
		.amdhsa_system_sgpr_workgroup_id_z 0
		.amdhsa_system_sgpr_workgroup_info 0
		.amdhsa_system_vgpr_workitem_id 0
		.amdhsa_next_free_vgpr 1
		.amdhsa_next_free_sgpr 1
		.amdhsa_reserve_vcc 0
		.amdhsa_float_round_mode_32 0
		.amdhsa_float_round_mode_16_64 0
		.amdhsa_float_denorm_mode_32 3
		.amdhsa_float_denorm_mode_16_64 3
		.amdhsa_fp16_overflow 0
		.amdhsa_workgroup_processor_mode 1
		.amdhsa_memory_ordered 1
		.amdhsa_forward_progress 1
		.amdhsa_inst_pref_size 0
		.amdhsa_round_robin_scheduling 0
		.amdhsa_exception_fp_ieee_invalid_op 0
		.amdhsa_exception_fp_denorm_src 0
		.amdhsa_exception_fp_ieee_div_zero 0
		.amdhsa_exception_fp_ieee_overflow 0
		.amdhsa_exception_fp_ieee_underflow 0
		.amdhsa_exception_fp_ieee_inexact 0
		.amdhsa_exception_int_div_zero 0
	.end_amdhsa_kernel
	.section	.text._ZN7rocprim17ROCPRIM_400000_NS6detail17trampoline_kernelINS0_14default_configENS1_25partition_config_selectorILNS1_17partition_subalgoE5ElNS0_10empty_typeEbEEZZNS1_14partition_implILS5_5ELb0ES3_mN6hipcub16HIPCUB_304000_NS21CountingInputIteratorIllEEPS6_NSA_22TransformInputIteratorIbN2at6native12_GLOBAL__N_19NonZeroOpIhEEPKhlEENS0_5tupleIJPlS6_EEENSN_IJSD_SD_EEES6_PiJS6_EEE10hipError_tPvRmT3_T4_T5_T6_T7_T9_mT8_P12ihipStream_tbDpT10_ENKUlT_T0_E_clISt17integral_constantIbLb1EES1A_IbLb0EEEEDaS16_S17_EUlS16_E_NS1_11comp_targetILNS1_3genE3ELNS1_11target_archE908ELNS1_3gpuE7ELNS1_3repE0EEENS1_30default_config_static_selectorELNS0_4arch9wavefront6targetE0EEEvT1_,"axG",@progbits,_ZN7rocprim17ROCPRIM_400000_NS6detail17trampoline_kernelINS0_14default_configENS1_25partition_config_selectorILNS1_17partition_subalgoE5ElNS0_10empty_typeEbEEZZNS1_14partition_implILS5_5ELb0ES3_mN6hipcub16HIPCUB_304000_NS21CountingInputIteratorIllEEPS6_NSA_22TransformInputIteratorIbN2at6native12_GLOBAL__N_19NonZeroOpIhEEPKhlEENS0_5tupleIJPlS6_EEENSN_IJSD_SD_EEES6_PiJS6_EEE10hipError_tPvRmT3_T4_T5_T6_T7_T9_mT8_P12ihipStream_tbDpT10_ENKUlT_T0_E_clISt17integral_constantIbLb1EES1A_IbLb0EEEEDaS16_S17_EUlS16_E_NS1_11comp_targetILNS1_3genE3ELNS1_11target_archE908ELNS1_3gpuE7ELNS1_3repE0EEENS1_30default_config_static_selectorELNS0_4arch9wavefront6targetE0EEEvT1_,comdat
.Lfunc_end67:
	.size	_ZN7rocprim17ROCPRIM_400000_NS6detail17trampoline_kernelINS0_14default_configENS1_25partition_config_selectorILNS1_17partition_subalgoE5ElNS0_10empty_typeEbEEZZNS1_14partition_implILS5_5ELb0ES3_mN6hipcub16HIPCUB_304000_NS21CountingInputIteratorIllEEPS6_NSA_22TransformInputIteratorIbN2at6native12_GLOBAL__N_19NonZeroOpIhEEPKhlEENS0_5tupleIJPlS6_EEENSN_IJSD_SD_EEES6_PiJS6_EEE10hipError_tPvRmT3_T4_T5_T6_T7_T9_mT8_P12ihipStream_tbDpT10_ENKUlT_T0_E_clISt17integral_constantIbLb1EES1A_IbLb0EEEEDaS16_S17_EUlS16_E_NS1_11comp_targetILNS1_3genE3ELNS1_11target_archE908ELNS1_3gpuE7ELNS1_3repE0EEENS1_30default_config_static_selectorELNS0_4arch9wavefront6targetE0EEEvT1_, .Lfunc_end67-_ZN7rocprim17ROCPRIM_400000_NS6detail17trampoline_kernelINS0_14default_configENS1_25partition_config_selectorILNS1_17partition_subalgoE5ElNS0_10empty_typeEbEEZZNS1_14partition_implILS5_5ELb0ES3_mN6hipcub16HIPCUB_304000_NS21CountingInputIteratorIllEEPS6_NSA_22TransformInputIteratorIbN2at6native12_GLOBAL__N_19NonZeroOpIhEEPKhlEENS0_5tupleIJPlS6_EEENSN_IJSD_SD_EEES6_PiJS6_EEE10hipError_tPvRmT3_T4_T5_T6_T7_T9_mT8_P12ihipStream_tbDpT10_ENKUlT_T0_E_clISt17integral_constantIbLb1EES1A_IbLb0EEEEDaS16_S17_EUlS16_E_NS1_11comp_targetILNS1_3genE3ELNS1_11target_archE908ELNS1_3gpuE7ELNS1_3repE0EEENS1_30default_config_static_selectorELNS0_4arch9wavefront6targetE0EEEvT1_
                                        ; -- End function
	.set _ZN7rocprim17ROCPRIM_400000_NS6detail17trampoline_kernelINS0_14default_configENS1_25partition_config_selectorILNS1_17partition_subalgoE5ElNS0_10empty_typeEbEEZZNS1_14partition_implILS5_5ELb0ES3_mN6hipcub16HIPCUB_304000_NS21CountingInputIteratorIllEEPS6_NSA_22TransformInputIteratorIbN2at6native12_GLOBAL__N_19NonZeroOpIhEEPKhlEENS0_5tupleIJPlS6_EEENSN_IJSD_SD_EEES6_PiJS6_EEE10hipError_tPvRmT3_T4_T5_T6_T7_T9_mT8_P12ihipStream_tbDpT10_ENKUlT_T0_E_clISt17integral_constantIbLb1EES1A_IbLb0EEEEDaS16_S17_EUlS16_E_NS1_11comp_targetILNS1_3genE3ELNS1_11target_archE908ELNS1_3gpuE7ELNS1_3repE0EEENS1_30default_config_static_selectorELNS0_4arch9wavefront6targetE0EEEvT1_.num_vgpr, 0
	.set _ZN7rocprim17ROCPRIM_400000_NS6detail17trampoline_kernelINS0_14default_configENS1_25partition_config_selectorILNS1_17partition_subalgoE5ElNS0_10empty_typeEbEEZZNS1_14partition_implILS5_5ELb0ES3_mN6hipcub16HIPCUB_304000_NS21CountingInputIteratorIllEEPS6_NSA_22TransformInputIteratorIbN2at6native12_GLOBAL__N_19NonZeroOpIhEEPKhlEENS0_5tupleIJPlS6_EEENSN_IJSD_SD_EEES6_PiJS6_EEE10hipError_tPvRmT3_T4_T5_T6_T7_T9_mT8_P12ihipStream_tbDpT10_ENKUlT_T0_E_clISt17integral_constantIbLb1EES1A_IbLb0EEEEDaS16_S17_EUlS16_E_NS1_11comp_targetILNS1_3genE3ELNS1_11target_archE908ELNS1_3gpuE7ELNS1_3repE0EEENS1_30default_config_static_selectorELNS0_4arch9wavefront6targetE0EEEvT1_.num_agpr, 0
	.set _ZN7rocprim17ROCPRIM_400000_NS6detail17trampoline_kernelINS0_14default_configENS1_25partition_config_selectorILNS1_17partition_subalgoE5ElNS0_10empty_typeEbEEZZNS1_14partition_implILS5_5ELb0ES3_mN6hipcub16HIPCUB_304000_NS21CountingInputIteratorIllEEPS6_NSA_22TransformInputIteratorIbN2at6native12_GLOBAL__N_19NonZeroOpIhEEPKhlEENS0_5tupleIJPlS6_EEENSN_IJSD_SD_EEES6_PiJS6_EEE10hipError_tPvRmT3_T4_T5_T6_T7_T9_mT8_P12ihipStream_tbDpT10_ENKUlT_T0_E_clISt17integral_constantIbLb1EES1A_IbLb0EEEEDaS16_S17_EUlS16_E_NS1_11comp_targetILNS1_3genE3ELNS1_11target_archE908ELNS1_3gpuE7ELNS1_3repE0EEENS1_30default_config_static_selectorELNS0_4arch9wavefront6targetE0EEEvT1_.numbered_sgpr, 0
	.set _ZN7rocprim17ROCPRIM_400000_NS6detail17trampoline_kernelINS0_14default_configENS1_25partition_config_selectorILNS1_17partition_subalgoE5ElNS0_10empty_typeEbEEZZNS1_14partition_implILS5_5ELb0ES3_mN6hipcub16HIPCUB_304000_NS21CountingInputIteratorIllEEPS6_NSA_22TransformInputIteratorIbN2at6native12_GLOBAL__N_19NonZeroOpIhEEPKhlEENS0_5tupleIJPlS6_EEENSN_IJSD_SD_EEES6_PiJS6_EEE10hipError_tPvRmT3_T4_T5_T6_T7_T9_mT8_P12ihipStream_tbDpT10_ENKUlT_T0_E_clISt17integral_constantIbLb1EES1A_IbLb0EEEEDaS16_S17_EUlS16_E_NS1_11comp_targetILNS1_3genE3ELNS1_11target_archE908ELNS1_3gpuE7ELNS1_3repE0EEENS1_30default_config_static_selectorELNS0_4arch9wavefront6targetE0EEEvT1_.num_named_barrier, 0
	.set _ZN7rocprim17ROCPRIM_400000_NS6detail17trampoline_kernelINS0_14default_configENS1_25partition_config_selectorILNS1_17partition_subalgoE5ElNS0_10empty_typeEbEEZZNS1_14partition_implILS5_5ELb0ES3_mN6hipcub16HIPCUB_304000_NS21CountingInputIteratorIllEEPS6_NSA_22TransformInputIteratorIbN2at6native12_GLOBAL__N_19NonZeroOpIhEEPKhlEENS0_5tupleIJPlS6_EEENSN_IJSD_SD_EEES6_PiJS6_EEE10hipError_tPvRmT3_T4_T5_T6_T7_T9_mT8_P12ihipStream_tbDpT10_ENKUlT_T0_E_clISt17integral_constantIbLb1EES1A_IbLb0EEEEDaS16_S17_EUlS16_E_NS1_11comp_targetILNS1_3genE3ELNS1_11target_archE908ELNS1_3gpuE7ELNS1_3repE0EEENS1_30default_config_static_selectorELNS0_4arch9wavefront6targetE0EEEvT1_.private_seg_size, 0
	.set _ZN7rocprim17ROCPRIM_400000_NS6detail17trampoline_kernelINS0_14default_configENS1_25partition_config_selectorILNS1_17partition_subalgoE5ElNS0_10empty_typeEbEEZZNS1_14partition_implILS5_5ELb0ES3_mN6hipcub16HIPCUB_304000_NS21CountingInputIteratorIllEEPS6_NSA_22TransformInputIteratorIbN2at6native12_GLOBAL__N_19NonZeroOpIhEEPKhlEENS0_5tupleIJPlS6_EEENSN_IJSD_SD_EEES6_PiJS6_EEE10hipError_tPvRmT3_T4_T5_T6_T7_T9_mT8_P12ihipStream_tbDpT10_ENKUlT_T0_E_clISt17integral_constantIbLb1EES1A_IbLb0EEEEDaS16_S17_EUlS16_E_NS1_11comp_targetILNS1_3genE3ELNS1_11target_archE908ELNS1_3gpuE7ELNS1_3repE0EEENS1_30default_config_static_selectorELNS0_4arch9wavefront6targetE0EEEvT1_.uses_vcc, 0
	.set _ZN7rocprim17ROCPRIM_400000_NS6detail17trampoline_kernelINS0_14default_configENS1_25partition_config_selectorILNS1_17partition_subalgoE5ElNS0_10empty_typeEbEEZZNS1_14partition_implILS5_5ELb0ES3_mN6hipcub16HIPCUB_304000_NS21CountingInputIteratorIllEEPS6_NSA_22TransformInputIteratorIbN2at6native12_GLOBAL__N_19NonZeroOpIhEEPKhlEENS0_5tupleIJPlS6_EEENSN_IJSD_SD_EEES6_PiJS6_EEE10hipError_tPvRmT3_T4_T5_T6_T7_T9_mT8_P12ihipStream_tbDpT10_ENKUlT_T0_E_clISt17integral_constantIbLb1EES1A_IbLb0EEEEDaS16_S17_EUlS16_E_NS1_11comp_targetILNS1_3genE3ELNS1_11target_archE908ELNS1_3gpuE7ELNS1_3repE0EEENS1_30default_config_static_selectorELNS0_4arch9wavefront6targetE0EEEvT1_.uses_flat_scratch, 0
	.set _ZN7rocprim17ROCPRIM_400000_NS6detail17trampoline_kernelINS0_14default_configENS1_25partition_config_selectorILNS1_17partition_subalgoE5ElNS0_10empty_typeEbEEZZNS1_14partition_implILS5_5ELb0ES3_mN6hipcub16HIPCUB_304000_NS21CountingInputIteratorIllEEPS6_NSA_22TransformInputIteratorIbN2at6native12_GLOBAL__N_19NonZeroOpIhEEPKhlEENS0_5tupleIJPlS6_EEENSN_IJSD_SD_EEES6_PiJS6_EEE10hipError_tPvRmT3_T4_T5_T6_T7_T9_mT8_P12ihipStream_tbDpT10_ENKUlT_T0_E_clISt17integral_constantIbLb1EES1A_IbLb0EEEEDaS16_S17_EUlS16_E_NS1_11comp_targetILNS1_3genE3ELNS1_11target_archE908ELNS1_3gpuE7ELNS1_3repE0EEENS1_30default_config_static_selectorELNS0_4arch9wavefront6targetE0EEEvT1_.has_dyn_sized_stack, 0
	.set _ZN7rocprim17ROCPRIM_400000_NS6detail17trampoline_kernelINS0_14default_configENS1_25partition_config_selectorILNS1_17partition_subalgoE5ElNS0_10empty_typeEbEEZZNS1_14partition_implILS5_5ELb0ES3_mN6hipcub16HIPCUB_304000_NS21CountingInputIteratorIllEEPS6_NSA_22TransformInputIteratorIbN2at6native12_GLOBAL__N_19NonZeroOpIhEEPKhlEENS0_5tupleIJPlS6_EEENSN_IJSD_SD_EEES6_PiJS6_EEE10hipError_tPvRmT3_T4_T5_T6_T7_T9_mT8_P12ihipStream_tbDpT10_ENKUlT_T0_E_clISt17integral_constantIbLb1EES1A_IbLb0EEEEDaS16_S17_EUlS16_E_NS1_11comp_targetILNS1_3genE3ELNS1_11target_archE908ELNS1_3gpuE7ELNS1_3repE0EEENS1_30default_config_static_selectorELNS0_4arch9wavefront6targetE0EEEvT1_.has_recursion, 0
	.set _ZN7rocprim17ROCPRIM_400000_NS6detail17trampoline_kernelINS0_14default_configENS1_25partition_config_selectorILNS1_17partition_subalgoE5ElNS0_10empty_typeEbEEZZNS1_14partition_implILS5_5ELb0ES3_mN6hipcub16HIPCUB_304000_NS21CountingInputIteratorIllEEPS6_NSA_22TransformInputIteratorIbN2at6native12_GLOBAL__N_19NonZeroOpIhEEPKhlEENS0_5tupleIJPlS6_EEENSN_IJSD_SD_EEES6_PiJS6_EEE10hipError_tPvRmT3_T4_T5_T6_T7_T9_mT8_P12ihipStream_tbDpT10_ENKUlT_T0_E_clISt17integral_constantIbLb1EES1A_IbLb0EEEEDaS16_S17_EUlS16_E_NS1_11comp_targetILNS1_3genE3ELNS1_11target_archE908ELNS1_3gpuE7ELNS1_3repE0EEENS1_30default_config_static_selectorELNS0_4arch9wavefront6targetE0EEEvT1_.has_indirect_call, 0
	.section	.AMDGPU.csdata,"",@progbits
; Kernel info:
; codeLenInByte = 0
; TotalNumSgprs: 0
; NumVgprs: 0
; ScratchSize: 0
; MemoryBound: 0
; FloatMode: 240
; IeeeMode: 1
; LDSByteSize: 0 bytes/workgroup (compile time only)
; SGPRBlocks: 0
; VGPRBlocks: 0
; NumSGPRsForWavesPerEU: 1
; NumVGPRsForWavesPerEU: 1
; Occupancy: 16
; WaveLimiterHint : 0
; COMPUTE_PGM_RSRC2:SCRATCH_EN: 0
; COMPUTE_PGM_RSRC2:USER_SGPR: 2
; COMPUTE_PGM_RSRC2:TRAP_HANDLER: 0
; COMPUTE_PGM_RSRC2:TGID_X_EN: 1
; COMPUTE_PGM_RSRC2:TGID_Y_EN: 0
; COMPUTE_PGM_RSRC2:TGID_Z_EN: 0
; COMPUTE_PGM_RSRC2:TIDIG_COMP_CNT: 0
	.section	.text._ZN7rocprim17ROCPRIM_400000_NS6detail17trampoline_kernelINS0_14default_configENS1_25partition_config_selectorILNS1_17partition_subalgoE5ElNS0_10empty_typeEbEEZZNS1_14partition_implILS5_5ELb0ES3_mN6hipcub16HIPCUB_304000_NS21CountingInputIteratorIllEEPS6_NSA_22TransformInputIteratorIbN2at6native12_GLOBAL__N_19NonZeroOpIhEEPKhlEENS0_5tupleIJPlS6_EEENSN_IJSD_SD_EEES6_PiJS6_EEE10hipError_tPvRmT3_T4_T5_T6_T7_T9_mT8_P12ihipStream_tbDpT10_ENKUlT_T0_E_clISt17integral_constantIbLb1EES1A_IbLb0EEEEDaS16_S17_EUlS16_E_NS1_11comp_targetILNS1_3genE2ELNS1_11target_archE906ELNS1_3gpuE6ELNS1_3repE0EEENS1_30default_config_static_selectorELNS0_4arch9wavefront6targetE0EEEvT1_,"axG",@progbits,_ZN7rocprim17ROCPRIM_400000_NS6detail17trampoline_kernelINS0_14default_configENS1_25partition_config_selectorILNS1_17partition_subalgoE5ElNS0_10empty_typeEbEEZZNS1_14partition_implILS5_5ELb0ES3_mN6hipcub16HIPCUB_304000_NS21CountingInputIteratorIllEEPS6_NSA_22TransformInputIteratorIbN2at6native12_GLOBAL__N_19NonZeroOpIhEEPKhlEENS0_5tupleIJPlS6_EEENSN_IJSD_SD_EEES6_PiJS6_EEE10hipError_tPvRmT3_T4_T5_T6_T7_T9_mT8_P12ihipStream_tbDpT10_ENKUlT_T0_E_clISt17integral_constantIbLb1EES1A_IbLb0EEEEDaS16_S17_EUlS16_E_NS1_11comp_targetILNS1_3genE2ELNS1_11target_archE906ELNS1_3gpuE6ELNS1_3repE0EEENS1_30default_config_static_selectorELNS0_4arch9wavefront6targetE0EEEvT1_,comdat
	.globl	_ZN7rocprim17ROCPRIM_400000_NS6detail17trampoline_kernelINS0_14default_configENS1_25partition_config_selectorILNS1_17partition_subalgoE5ElNS0_10empty_typeEbEEZZNS1_14partition_implILS5_5ELb0ES3_mN6hipcub16HIPCUB_304000_NS21CountingInputIteratorIllEEPS6_NSA_22TransformInputIteratorIbN2at6native12_GLOBAL__N_19NonZeroOpIhEEPKhlEENS0_5tupleIJPlS6_EEENSN_IJSD_SD_EEES6_PiJS6_EEE10hipError_tPvRmT3_T4_T5_T6_T7_T9_mT8_P12ihipStream_tbDpT10_ENKUlT_T0_E_clISt17integral_constantIbLb1EES1A_IbLb0EEEEDaS16_S17_EUlS16_E_NS1_11comp_targetILNS1_3genE2ELNS1_11target_archE906ELNS1_3gpuE6ELNS1_3repE0EEENS1_30default_config_static_selectorELNS0_4arch9wavefront6targetE0EEEvT1_ ; -- Begin function _ZN7rocprim17ROCPRIM_400000_NS6detail17trampoline_kernelINS0_14default_configENS1_25partition_config_selectorILNS1_17partition_subalgoE5ElNS0_10empty_typeEbEEZZNS1_14partition_implILS5_5ELb0ES3_mN6hipcub16HIPCUB_304000_NS21CountingInputIteratorIllEEPS6_NSA_22TransformInputIteratorIbN2at6native12_GLOBAL__N_19NonZeroOpIhEEPKhlEENS0_5tupleIJPlS6_EEENSN_IJSD_SD_EEES6_PiJS6_EEE10hipError_tPvRmT3_T4_T5_T6_T7_T9_mT8_P12ihipStream_tbDpT10_ENKUlT_T0_E_clISt17integral_constantIbLb1EES1A_IbLb0EEEEDaS16_S17_EUlS16_E_NS1_11comp_targetILNS1_3genE2ELNS1_11target_archE906ELNS1_3gpuE6ELNS1_3repE0EEENS1_30default_config_static_selectorELNS0_4arch9wavefront6targetE0EEEvT1_
	.p2align	8
	.type	_ZN7rocprim17ROCPRIM_400000_NS6detail17trampoline_kernelINS0_14default_configENS1_25partition_config_selectorILNS1_17partition_subalgoE5ElNS0_10empty_typeEbEEZZNS1_14partition_implILS5_5ELb0ES3_mN6hipcub16HIPCUB_304000_NS21CountingInputIteratorIllEEPS6_NSA_22TransformInputIteratorIbN2at6native12_GLOBAL__N_19NonZeroOpIhEEPKhlEENS0_5tupleIJPlS6_EEENSN_IJSD_SD_EEES6_PiJS6_EEE10hipError_tPvRmT3_T4_T5_T6_T7_T9_mT8_P12ihipStream_tbDpT10_ENKUlT_T0_E_clISt17integral_constantIbLb1EES1A_IbLb0EEEEDaS16_S17_EUlS16_E_NS1_11comp_targetILNS1_3genE2ELNS1_11target_archE906ELNS1_3gpuE6ELNS1_3repE0EEENS1_30default_config_static_selectorELNS0_4arch9wavefront6targetE0EEEvT1_,@function
_ZN7rocprim17ROCPRIM_400000_NS6detail17trampoline_kernelINS0_14default_configENS1_25partition_config_selectorILNS1_17partition_subalgoE5ElNS0_10empty_typeEbEEZZNS1_14partition_implILS5_5ELb0ES3_mN6hipcub16HIPCUB_304000_NS21CountingInputIteratorIllEEPS6_NSA_22TransformInputIteratorIbN2at6native12_GLOBAL__N_19NonZeroOpIhEEPKhlEENS0_5tupleIJPlS6_EEENSN_IJSD_SD_EEES6_PiJS6_EEE10hipError_tPvRmT3_T4_T5_T6_T7_T9_mT8_P12ihipStream_tbDpT10_ENKUlT_T0_E_clISt17integral_constantIbLb1EES1A_IbLb0EEEEDaS16_S17_EUlS16_E_NS1_11comp_targetILNS1_3genE2ELNS1_11target_archE906ELNS1_3gpuE6ELNS1_3repE0EEENS1_30default_config_static_selectorELNS0_4arch9wavefront6targetE0EEEvT1_: ; @_ZN7rocprim17ROCPRIM_400000_NS6detail17trampoline_kernelINS0_14default_configENS1_25partition_config_selectorILNS1_17partition_subalgoE5ElNS0_10empty_typeEbEEZZNS1_14partition_implILS5_5ELb0ES3_mN6hipcub16HIPCUB_304000_NS21CountingInputIteratorIllEEPS6_NSA_22TransformInputIteratorIbN2at6native12_GLOBAL__N_19NonZeroOpIhEEPKhlEENS0_5tupleIJPlS6_EEENSN_IJSD_SD_EEES6_PiJS6_EEE10hipError_tPvRmT3_T4_T5_T6_T7_T9_mT8_P12ihipStream_tbDpT10_ENKUlT_T0_E_clISt17integral_constantIbLb1EES1A_IbLb0EEEEDaS16_S17_EUlS16_E_NS1_11comp_targetILNS1_3genE2ELNS1_11target_archE906ELNS1_3gpuE6ELNS1_3repE0EEENS1_30default_config_static_selectorELNS0_4arch9wavefront6targetE0EEEvT1_
; %bb.0:
	.section	.rodata,"a",@progbits
	.p2align	6, 0x0
	.amdhsa_kernel _ZN7rocprim17ROCPRIM_400000_NS6detail17trampoline_kernelINS0_14default_configENS1_25partition_config_selectorILNS1_17partition_subalgoE5ElNS0_10empty_typeEbEEZZNS1_14partition_implILS5_5ELb0ES3_mN6hipcub16HIPCUB_304000_NS21CountingInputIteratorIllEEPS6_NSA_22TransformInputIteratorIbN2at6native12_GLOBAL__N_19NonZeroOpIhEEPKhlEENS0_5tupleIJPlS6_EEENSN_IJSD_SD_EEES6_PiJS6_EEE10hipError_tPvRmT3_T4_T5_T6_T7_T9_mT8_P12ihipStream_tbDpT10_ENKUlT_T0_E_clISt17integral_constantIbLb1EES1A_IbLb0EEEEDaS16_S17_EUlS16_E_NS1_11comp_targetILNS1_3genE2ELNS1_11target_archE906ELNS1_3gpuE6ELNS1_3repE0EEENS1_30default_config_static_selectorELNS0_4arch9wavefront6targetE0EEEvT1_
		.amdhsa_group_segment_fixed_size 0
		.amdhsa_private_segment_fixed_size 0
		.amdhsa_kernarg_size 120
		.amdhsa_user_sgpr_count 2
		.amdhsa_user_sgpr_dispatch_ptr 0
		.amdhsa_user_sgpr_queue_ptr 0
		.amdhsa_user_sgpr_kernarg_segment_ptr 1
		.amdhsa_user_sgpr_dispatch_id 0
		.amdhsa_user_sgpr_private_segment_size 0
		.amdhsa_wavefront_size32 1
		.amdhsa_uses_dynamic_stack 0
		.amdhsa_enable_private_segment 0
		.amdhsa_system_sgpr_workgroup_id_x 1
		.amdhsa_system_sgpr_workgroup_id_y 0
		.amdhsa_system_sgpr_workgroup_id_z 0
		.amdhsa_system_sgpr_workgroup_info 0
		.amdhsa_system_vgpr_workitem_id 0
		.amdhsa_next_free_vgpr 1
		.amdhsa_next_free_sgpr 1
		.amdhsa_reserve_vcc 0
		.amdhsa_float_round_mode_32 0
		.amdhsa_float_round_mode_16_64 0
		.amdhsa_float_denorm_mode_32 3
		.amdhsa_float_denorm_mode_16_64 3
		.amdhsa_fp16_overflow 0
		.amdhsa_workgroup_processor_mode 1
		.amdhsa_memory_ordered 1
		.amdhsa_forward_progress 1
		.amdhsa_inst_pref_size 0
		.amdhsa_round_robin_scheduling 0
		.amdhsa_exception_fp_ieee_invalid_op 0
		.amdhsa_exception_fp_denorm_src 0
		.amdhsa_exception_fp_ieee_div_zero 0
		.amdhsa_exception_fp_ieee_overflow 0
		.amdhsa_exception_fp_ieee_underflow 0
		.amdhsa_exception_fp_ieee_inexact 0
		.amdhsa_exception_int_div_zero 0
	.end_amdhsa_kernel
	.section	.text._ZN7rocprim17ROCPRIM_400000_NS6detail17trampoline_kernelINS0_14default_configENS1_25partition_config_selectorILNS1_17partition_subalgoE5ElNS0_10empty_typeEbEEZZNS1_14partition_implILS5_5ELb0ES3_mN6hipcub16HIPCUB_304000_NS21CountingInputIteratorIllEEPS6_NSA_22TransformInputIteratorIbN2at6native12_GLOBAL__N_19NonZeroOpIhEEPKhlEENS0_5tupleIJPlS6_EEENSN_IJSD_SD_EEES6_PiJS6_EEE10hipError_tPvRmT3_T4_T5_T6_T7_T9_mT8_P12ihipStream_tbDpT10_ENKUlT_T0_E_clISt17integral_constantIbLb1EES1A_IbLb0EEEEDaS16_S17_EUlS16_E_NS1_11comp_targetILNS1_3genE2ELNS1_11target_archE906ELNS1_3gpuE6ELNS1_3repE0EEENS1_30default_config_static_selectorELNS0_4arch9wavefront6targetE0EEEvT1_,"axG",@progbits,_ZN7rocprim17ROCPRIM_400000_NS6detail17trampoline_kernelINS0_14default_configENS1_25partition_config_selectorILNS1_17partition_subalgoE5ElNS0_10empty_typeEbEEZZNS1_14partition_implILS5_5ELb0ES3_mN6hipcub16HIPCUB_304000_NS21CountingInputIteratorIllEEPS6_NSA_22TransformInputIteratorIbN2at6native12_GLOBAL__N_19NonZeroOpIhEEPKhlEENS0_5tupleIJPlS6_EEENSN_IJSD_SD_EEES6_PiJS6_EEE10hipError_tPvRmT3_T4_T5_T6_T7_T9_mT8_P12ihipStream_tbDpT10_ENKUlT_T0_E_clISt17integral_constantIbLb1EES1A_IbLb0EEEEDaS16_S17_EUlS16_E_NS1_11comp_targetILNS1_3genE2ELNS1_11target_archE906ELNS1_3gpuE6ELNS1_3repE0EEENS1_30default_config_static_selectorELNS0_4arch9wavefront6targetE0EEEvT1_,comdat
.Lfunc_end68:
	.size	_ZN7rocprim17ROCPRIM_400000_NS6detail17trampoline_kernelINS0_14default_configENS1_25partition_config_selectorILNS1_17partition_subalgoE5ElNS0_10empty_typeEbEEZZNS1_14partition_implILS5_5ELb0ES3_mN6hipcub16HIPCUB_304000_NS21CountingInputIteratorIllEEPS6_NSA_22TransformInputIteratorIbN2at6native12_GLOBAL__N_19NonZeroOpIhEEPKhlEENS0_5tupleIJPlS6_EEENSN_IJSD_SD_EEES6_PiJS6_EEE10hipError_tPvRmT3_T4_T5_T6_T7_T9_mT8_P12ihipStream_tbDpT10_ENKUlT_T0_E_clISt17integral_constantIbLb1EES1A_IbLb0EEEEDaS16_S17_EUlS16_E_NS1_11comp_targetILNS1_3genE2ELNS1_11target_archE906ELNS1_3gpuE6ELNS1_3repE0EEENS1_30default_config_static_selectorELNS0_4arch9wavefront6targetE0EEEvT1_, .Lfunc_end68-_ZN7rocprim17ROCPRIM_400000_NS6detail17trampoline_kernelINS0_14default_configENS1_25partition_config_selectorILNS1_17partition_subalgoE5ElNS0_10empty_typeEbEEZZNS1_14partition_implILS5_5ELb0ES3_mN6hipcub16HIPCUB_304000_NS21CountingInputIteratorIllEEPS6_NSA_22TransformInputIteratorIbN2at6native12_GLOBAL__N_19NonZeroOpIhEEPKhlEENS0_5tupleIJPlS6_EEENSN_IJSD_SD_EEES6_PiJS6_EEE10hipError_tPvRmT3_T4_T5_T6_T7_T9_mT8_P12ihipStream_tbDpT10_ENKUlT_T0_E_clISt17integral_constantIbLb1EES1A_IbLb0EEEEDaS16_S17_EUlS16_E_NS1_11comp_targetILNS1_3genE2ELNS1_11target_archE906ELNS1_3gpuE6ELNS1_3repE0EEENS1_30default_config_static_selectorELNS0_4arch9wavefront6targetE0EEEvT1_
                                        ; -- End function
	.set _ZN7rocprim17ROCPRIM_400000_NS6detail17trampoline_kernelINS0_14default_configENS1_25partition_config_selectorILNS1_17partition_subalgoE5ElNS0_10empty_typeEbEEZZNS1_14partition_implILS5_5ELb0ES3_mN6hipcub16HIPCUB_304000_NS21CountingInputIteratorIllEEPS6_NSA_22TransformInputIteratorIbN2at6native12_GLOBAL__N_19NonZeroOpIhEEPKhlEENS0_5tupleIJPlS6_EEENSN_IJSD_SD_EEES6_PiJS6_EEE10hipError_tPvRmT3_T4_T5_T6_T7_T9_mT8_P12ihipStream_tbDpT10_ENKUlT_T0_E_clISt17integral_constantIbLb1EES1A_IbLb0EEEEDaS16_S17_EUlS16_E_NS1_11comp_targetILNS1_3genE2ELNS1_11target_archE906ELNS1_3gpuE6ELNS1_3repE0EEENS1_30default_config_static_selectorELNS0_4arch9wavefront6targetE0EEEvT1_.num_vgpr, 0
	.set _ZN7rocprim17ROCPRIM_400000_NS6detail17trampoline_kernelINS0_14default_configENS1_25partition_config_selectorILNS1_17partition_subalgoE5ElNS0_10empty_typeEbEEZZNS1_14partition_implILS5_5ELb0ES3_mN6hipcub16HIPCUB_304000_NS21CountingInputIteratorIllEEPS6_NSA_22TransformInputIteratorIbN2at6native12_GLOBAL__N_19NonZeroOpIhEEPKhlEENS0_5tupleIJPlS6_EEENSN_IJSD_SD_EEES6_PiJS6_EEE10hipError_tPvRmT3_T4_T5_T6_T7_T9_mT8_P12ihipStream_tbDpT10_ENKUlT_T0_E_clISt17integral_constantIbLb1EES1A_IbLb0EEEEDaS16_S17_EUlS16_E_NS1_11comp_targetILNS1_3genE2ELNS1_11target_archE906ELNS1_3gpuE6ELNS1_3repE0EEENS1_30default_config_static_selectorELNS0_4arch9wavefront6targetE0EEEvT1_.num_agpr, 0
	.set _ZN7rocprim17ROCPRIM_400000_NS6detail17trampoline_kernelINS0_14default_configENS1_25partition_config_selectorILNS1_17partition_subalgoE5ElNS0_10empty_typeEbEEZZNS1_14partition_implILS5_5ELb0ES3_mN6hipcub16HIPCUB_304000_NS21CountingInputIteratorIllEEPS6_NSA_22TransformInputIteratorIbN2at6native12_GLOBAL__N_19NonZeroOpIhEEPKhlEENS0_5tupleIJPlS6_EEENSN_IJSD_SD_EEES6_PiJS6_EEE10hipError_tPvRmT3_T4_T5_T6_T7_T9_mT8_P12ihipStream_tbDpT10_ENKUlT_T0_E_clISt17integral_constantIbLb1EES1A_IbLb0EEEEDaS16_S17_EUlS16_E_NS1_11comp_targetILNS1_3genE2ELNS1_11target_archE906ELNS1_3gpuE6ELNS1_3repE0EEENS1_30default_config_static_selectorELNS0_4arch9wavefront6targetE0EEEvT1_.numbered_sgpr, 0
	.set _ZN7rocprim17ROCPRIM_400000_NS6detail17trampoline_kernelINS0_14default_configENS1_25partition_config_selectorILNS1_17partition_subalgoE5ElNS0_10empty_typeEbEEZZNS1_14partition_implILS5_5ELb0ES3_mN6hipcub16HIPCUB_304000_NS21CountingInputIteratorIllEEPS6_NSA_22TransformInputIteratorIbN2at6native12_GLOBAL__N_19NonZeroOpIhEEPKhlEENS0_5tupleIJPlS6_EEENSN_IJSD_SD_EEES6_PiJS6_EEE10hipError_tPvRmT3_T4_T5_T6_T7_T9_mT8_P12ihipStream_tbDpT10_ENKUlT_T0_E_clISt17integral_constantIbLb1EES1A_IbLb0EEEEDaS16_S17_EUlS16_E_NS1_11comp_targetILNS1_3genE2ELNS1_11target_archE906ELNS1_3gpuE6ELNS1_3repE0EEENS1_30default_config_static_selectorELNS0_4arch9wavefront6targetE0EEEvT1_.num_named_barrier, 0
	.set _ZN7rocprim17ROCPRIM_400000_NS6detail17trampoline_kernelINS0_14default_configENS1_25partition_config_selectorILNS1_17partition_subalgoE5ElNS0_10empty_typeEbEEZZNS1_14partition_implILS5_5ELb0ES3_mN6hipcub16HIPCUB_304000_NS21CountingInputIteratorIllEEPS6_NSA_22TransformInputIteratorIbN2at6native12_GLOBAL__N_19NonZeroOpIhEEPKhlEENS0_5tupleIJPlS6_EEENSN_IJSD_SD_EEES6_PiJS6_EEE10hipError_tPvRmT3_T4_T5_T6_T7_T9_mT8_P12ihipStream_tbDpT10_ENKUlT_T0_E_clISt17integral_constantIbLb1EES1A_IbLb0EEEEDaS16_S17_EUlS16_E_NS1_11comp_targetILNS1_3genE2ELNS1_11target_archE906ELNS1_3gpuE6ELNS1_3repE0EEENS1_30default_config_static_selectorELNS0_4arch9wavefront6targetE0EEEvT1_.private_seg_size, 0
	.set _ZN7rocprim17ROCPRIM_400000_NS6detail17trampoline_kernelINS0_14default_configENS1_25partition_config_selectorILNS1_17partition_subalgoE5ElNS0_10empty_typeEbEEZZNS1_14partition_implILS5_5ELb0ES3_mN6hipcub16HIPCUB_304000_NS21CountingInputIteratorIllEEPS6_NSA_22TransformInputIteratorIbN2at6native12_GLOBAL__N_19NonZeroOpIhEEPKhlEENS0_5tupleIJPlS6_EEENSN_IJSD_SD_EEES6_PiJS6_EEE10hipError_tPvRmT3_T4_T5_T6_T7_T9_mT8_P12ihipStream_tbDpT10_ENKUlT_T0_E_clISt17integral_constantIbLb1EES1A_IbLb0EEEEDaS16_S17_EUlS16_E_NS1_11comp_targetILNS1_3genE2ELNS1_11target_archE906ELNS1_3gpuE6ELNS1_3repE0EEENS1_30default_config_static_selectorELNS0_4arch9wavefront6targetE0EEEvT1_.uses_vcc, 0
	.set _ZN7rocprim17ROCPRIM_400000_NS6detail17trampoline_kernelINS0_14default_configENS1_25partition_config_selectorILNS1_17partition_subalgoE5ElNS0_10empty_typeEbEEZZNS1_14partition_implILS5_5ELb0ES3_mN6hipcub16HIPCUB_304000_NS21CountingInputIteratorIllEEPS6_NSA_22TransformInputIteratorIbN2at6native12_GLOBAL__N_19NonZeroOpIhEEPKhlEENS0_5tupleIJPlS6_EEENSN_IJSD_SD_EEES6_PiJS6_EEE10hipError_tPvRmT3_T4_T5_T6_T7_T9_mT8_P12ihipStream_tbDpT10_ENKUlT_T0_E_clISt17integral_constantIbLb1EES1A_IbLb0EEEEDaS16_S17_EUlS16_E_NS1_11comp_targetILNS1_3genE2ELNS1_11target_archE906ELNS1_3gpuE6ELNS1_3repE0EEENS1_30default_config_static_selectorELNS0_4arch9wavefront6targetE0EEEvT1_.uses_flat_scratch, 0
	.set _ZN7rocprim17ROCPRIM_400000_NS6detail17trampoline_kernelINS0_14default_configENS1_25partition_config_selectorILNS1_17partition_subalgoE5ElNS0_10empty_typeEbEEZZNS1_14partition_implILS5_5ELb0ES3_mN6hipcub16HIPCUB_304000_NS21CountingInputIteratorIllEEPS6_NSA_22TransformInputIteratorIbN2at6native12_GLOBAL__N_19NonZeroOpIhEEPKhlEENS0_5tupleIJPlS6_EEENSN_IJSD_SD_EEES6_PiJS6_EEE10hipError_tPvRmT3_T4_T5_T6_T7_T9_mT8_P12ihipStream_tbDpT10_ENKUlT_T0_E_clISt17integral_constantIbLb1EES1A_IbLb0EEEEDaS16_S17_EUlS16_E_NS1_11comp_targetILNS1_3genE2ELNS1_11target_archE906ELNS1_3gpuE6ELNS1_3repE0EEENS1_30default_config_static_selectorELNS0_4arch9wavefront6targetE0EEEvT1_.has_dyn_sized_stack, 0
	.set _ZN7rocprim17ROCPRIM_400000_NS6detail17trampoline_kernelINS0_14default_configENS1_25partition_config_selectorILNS1_17partition_subalgoE5ElNS0_10empty_typeEbEEZZNS1_14partition_implILS5_5ELb0ES3_mN6hipcub16HIPCUB_304000_NS21CountingInputIteratorIllEEPS6_NSA_22TransformInputIteratorIbN2at6native12_GLOBAL__N_19NonZeroOpIhEEPKhlEENS0_5tupleIJPlS6_EEENSN_IJSD_SD_EEES6_PiJS6_EEE10hipError_tPvRmT3_T4_T5_T6_T7_T9_mT8_P12ihipStream_tbDpT10_ENKUlT_T0_E_clISt17integral_constantIbLb1EES1A_IbLb0EEEEDaS16_S17_EUlS16_E_NS1_11comp_targetILNS1_3genE2ELNS1_11target_archE906ELNS1_3gpuE6ELNS1_3repE0EEENS1_30default_config_static_selectorELNS0_4arch9wavefront6targetE0EEEvT1_.has_recursion, 0
	.set _ZN7rocprim17ROCPRIM_400000_NS6detail17trampoline_kernelINS0_14default_configENS1_25partition_config_selectorILNS1_17partition_subalgoE5ElNS0_10empty_typeEbEEZZNS1_14partition_implILS5_5ELb0ES3_mN6hipcub16HIPCUB_304000_NS21CountingInputIteratorIllEEPS6_NSA_22TransformInputIteratorIbN2at6native12_GLOBAL__N_19NonZeroOpIhEEPKhlEENS0_5tupleIJPlS6_EEENSN_IJSD_SD_EEES6_PiJS6_EEE10hipError_tPvRmT3_T4_T5_T6_T7_T9_mT8_P12ihipStream_tbDpT10_ENKUlT_T0_E_clISt17integral_constantIbLb1EES1A_IbLb0EEEEDaS16_S17_EUlS16_E_NS1_11comp_targetILNS1_3genE2ELNS1_11target_archE906ELNS1_3gpuE6ELNS1_3repE0EEENS1_30default_config_static_selectorELNS0_4arch9wavefront6targetE0EEEvT1_.has_indirect_call, 0
	.section	.AMDGPU.csdata,"",@progbits
; Kernel info:
; codeLenInByte = 0
; TotalNumSgprs: 0
; NumVgprs: 0
; ScratchSize: 0
; MemoryBound: 0
; FloatMode: 240
; IeeeMode: 1
; LDSByteSize: 0 bytes/workgroup (compile time only)
; SGPRBlocks: 0
; VGPRBlocks: 0
; NumSGPRsForWavesPerEU: 1
; NumVGPRsForWavesPerEU: 1
; Occupancy: 16
; WaveLimiterHint : 0
; COMPUTE_PGM_RSRC2:SCRATCH_EN: 0
; COMPUTE_PGM_RSRC2:USER_SGPR: 2
; COMPUTE_PGM_RSRC2:TRAP_HANDLER: 0
; COMPUTE_PGM_RSRC2:TGID_X_EN: 1
; COMPUTE_PGM_RSRC2:TGID_Y_EN: 0
; COMPUTE_PGM_RSRC2:TGID_Z_EN: 0
; COMPUTE_PGM_RSRC2:TIDIG_COMP_CNT: 0
	.section	.text._ZN7rocprim17ROCPRIM_400000_NS6detail17trampoline_kernelINS0_14default_configENS1_25partition_config_selectorILNS1_17partition_subalgoE5ElNS0_10empty_typeEbEEZZNS1_14partition_implILS5_5ELb0ES3_mN6hipcub16HIPCUB_304000_NS21CountingInputIteratorIllEEPS6_NSA_22TransformInputIteratorIbN2at6native12_GLOBAL__N_19NonZeroOpIhEEPKhlEENS0_5tupleIJPlS6_EEENSN_IJSD_SD_EEES6_PiJS6_EEE10hipError_tPvRmT3_T4_T5_T6_T7_T9_mT8_P12ihipStream_tbDpT10_ENKUlT_T0_E_clISt17integral_constantIbLb1EES1A_IbLb0EEEEDaS16_S17_EUlS16_E_NS1_11comp_targetILNS1_3genE10ELNS1_11target_archE1200ELNS1_3gpuE4ELNS1_3repE0EEENS1_30default_config_static_selectorELNS0_4arch9wavefront6targetE0EEEvT1_,"axG",@progbits,_ZN7rocprim17ROCPRIM_400000_NS6detail17trampoline_kernelINS0_14default_configENS1_25partition_config_selectorILNS1_17partition_subalgoE5ElNS0_10empty_typeEbEEZZNS1_14partition_implILS5_5ELb0ES3_mN6hipcub16HIPCUB_304000_NS21CountingInputIteratorIllEEPS6_NSA_22TransformInputIteratorIbN2at6native12_GLOBAL__N_19NonZeroOpIhEEPKhlEENS0_5tupleIJPlS6_EEENSN_IJSD_SD_EEES6_PiJS6_EEE10hipError_tPvRmT3_T4_T5_T6_T7_T9_mT8_P12ihipStream_tbDpT10_ENKUlT_T0_E_clISt17integral_constantIbLb1EES1A_IbLb0EEEEDaS16_S17_EUlS16_E_NS1_11comp_targetILNS1_3genE10ELNS1_11target_archE1200ELNS1_3gpuE4ELNS1_3repE0EEENS1_30default_config_static_selectorELNS0_4arch9wavefront6targetE0EEEvT1_,comdat
	.globl	_ZN7rocprim17ROCPRIM_400000_NS6detail17trampoline_kernelINS0_14default_configENS1_25partition_config_selectorILNS1_17partition_subalgoE5ElNS0_10empty_typeEbEEZZNS1_14partition_implILS5_5ELb0ES3_mN6hipcub16HIPCUB_304000_NS21CountingInputIteratorIllEEPS6_NSA_22TransformInputIteratorIbN2at6native12_GLOBAL__N_19NonZeroOpIhEEPKhlEENS0_5tupleIJPlS6_EEENSN_IJSD_SD_EEES6_PiJS6_EEE10hipError_tPvRmT3_T4_T5_T6_T7_T9_mT8_P12ihipStream_tbDpT10_ENKUlT_T0_E_clISt17integral_constantIbLb1EES1A_IbLb0EEEEDaS16_S17_EUlS16_E_NS1_11comp_targetILNS1_3genE10ELNS1_11target_archE1200ELNS1_3gpuE4ELNS1_3repE0EEENS1_30default_config_static_selectorELNS0_4arch9wavefront6targetE0EEEvT1_ ; -- Begin function _ZN7rocprim17ROCPRIM_400000_NS6detail17trampoline_kernelINS0_14default_configENS1_25partition_config_selectorILNS1_17partition_subalgoE5ElNS0_10empty_typeEbEEZZNS1_14partition_implILS5_5ELb0ES3_mN6hipcub16HIPCUB_304000_NS21CountingInputIteratorIllEEPS6_NSA_22TransformInputIteratorIbN2at6native12_GLOBAL__N_19NonZeroOpIhEEPKhlEENS0_5tupleIJPlS6_EEENSN_IJSD_SD_EEES6_PiJS6_EEE10hipError_tPvRmT3_T4_T5_T6_T7_T9_mT8_P12ihipStream_tbDpT10_ENKUlT_T0_E_clISt17integral_constantIbLb1EES1A_IbLb0EEEEDaS16_S17_EUlS16_E_NS1_11comp_targetILNS1_3genE10ELNS1_11target_archE1200ELNS1_3gpuE4ELNS1_3repE0EEENS1_30default_config_static_selectorELNS0_4arch9wavefront6targetE0EEEvT1_
	.p2align	8
	.type	_ZN7rocprim17ROCPRIM_400000_NS6detail17trampoline_kernelINS0_14default_configENS1_25partition_config_selectorILNS1_17partition_subalgoE5ElNS0_10empty_typeEbEEZZNS1_14partition_implILS5_5ELb0ES3_mN6hipcub16HIPCUB_304000_NS21CountingInputIteratorIllEEPS6_NSA_22TransformInputIteratorIbN2at6native12_GLOBAL__N_19NonZeroOpIhEEPKhlEENS0_5tupleIJPlS6_EEENSN_IJSD_SD_EEES6_PiJS6_EEE10hipError_tPvRmT3_T4_T5_T6_T7_T9_mT8_P12ihipStream_tbDpT10_ENKUlT_T0_E_clISt17integral_constantIbLb1EES1A_IbLb0EEEEDaS16_S17_EUlS16_E_NS1_11comp_targetILNS1_3genE10ELNS1_11target_archE1200ELNS1_3gpuE4ELNS1_3repE0EEENS1_30default_config_static_selectorELNS0_4arch9wavefront6targetE0EEEvT1_,@function
_ZN7rocprim17ROCPRIM_400000_NS6detail17trampoline_kernelINS0_14default_configENS1_25partition_config_selectorILNS1_17partition_subalgoE5ElNS0_10empty_typeEbEEZZNS1_14partition_implILS5_5ELb0ES3_mN6hipcub16HIPCUB_304000_NS21CountingInputIteratorIllEEPS6_NSA_22TransformInputIteratorIbN2at6native12_GLOBAL__N_19NonZeroOpIhEEPKhlEENS0_5tupleIJPlS6_EEENSN_IJSD_SD_EEES6_PiJS6_EEE10hipError_tPvRmT3_T4_T5_T6_T7_T9_mT8_P12ihipStream_tbDpT10_ENKUlT_T0_E_clISt17integral_constantIbLb1EES1A_IbLb0EEEEDaS16_S17_EUlS16_E_NS1_11comp_targetILNS1_3genE10ELNS1_11target_archE1200ELNS1_3gpuE4ELNS1_3repE0EEENS1_30default_config_static_selectorELNS0_4arch9wavefront6targetE0EEEvT1_: ; @_ZN7rocprim17ROCPRIM_400000_NS6detail17trampoline_kernelINS0_14default_configENS1_25partition_config_selectorILNS1_17partition_subalgoE5ElNS0_10empty_typeEbEEZZNS1_14partition_implILS5_5ELb0ES3_mN6hipcub16HIPCUB_304000_NS21CountingInputIteratorIllEEPS6_NSA_22TransformInputIteratorIbN2at6native12_GLOBAL__N_19NonZeroOpIhEEPKhlEENS0_5tupleIJPlS6_EEENSN_IJSD_SD_EEES6_PiJS6_EEE10hipError_tPvRmT3_T4_T5_T6_T7_T9_mT8_P12ihipStream_tbDpT10_ENKUlT_T0_E_clISt17integral_constantIbLb1EES1A_IbLb0EEEEDaS16_S17_EUlS16_E_NS1_11comp_targetILNS1_3genE10ELNS1_11target_archE1200ELNS1_3gpuE4ELNS1_3repE0EEENS1_30default_config_static_selectorELNS0_4arch9wavefront6targetE0EEEvT1_
; %bb.0:
	s_endpgm
	.section	.rodata,"a",@progbits
	.p2align	6, 0x0
	.amdhsa_kernel _ZN7rocprim17ROCPRIM_400000_NS6detail17trampoline_kernelINS0_14default_configENS1_25partition_config_selectorILNS1_17partition_subalgoE5ElNS0_10empty_typeEbEEZZNS1_14partition_implILS5_5ELb0ES3_mN6hipcub16HIPCUB_304000_NS21CountingInputIteratorIllEEPS6_NSA_22TransformInputIteratorIbN2at6native12_GLOBAL__N_19NonZeroOpIhEEPKhlEENS0_5tupleIJPlS6_EEENSN_IJSD_SD_EEES6_PiJS6_EEE10hipError_tPvRmT3_T4_T5_T6_T7_T9_mT8_P12ihipStream_tbDpT10_ENKUlT_T0_E_clISt17integral_constantIbLb1EES1A_IbLb0EEEEDaS16_S17_EUlS16_E_NS1_11comp_targetILNS1_3genE10ELNS1_11target_archE1200ELNS1_3gpuE4ELNS1_3repE0EEENS1_30default_config_static_selectorELNS0_4arch9wavefront6targetE0EEEvT1_
		.amdhsa_group_segment_fixed_size 0
		.amdhsa_private_segment_fixed_size 0
		.amdhsa_kernarg_size 120
		.amdhsa_user_sgpr_count 2
		.amdhsa_user_sgpr_dispatch_ptr 0
		.amdhsa_user_sgpr_queue_ptr 0
		.amdhsa_user_sgpr_kernarg_segment_ptr 1
		.amdhsa_user_sgpr_dispatch_id 0
		.amdhsa_user_sgpr_private_segment_size 0
		.amdhsa_wavefront_size32 1
		.amdhsa_uses_dynamic_stack 0
		.amdhsa_enable_private_segment 0
		.amdhsa_system_sgpr_workgroup_id_x 1
		.amdhsa_system_sgpr_workgroup_id_y 0
		.amdhsa_system_sgpr_workgroup_id_z 0
		.amdhsa_system_sgpr_workgroup_info 0
		.amdhsa_system_vgpr_workitem_id 0
		.amdhsa_next_free_vgpr 1
		.amdhsa_next_free_sgpr 1
		.amdhsa_reserve_vcc 0
		.amdhsa_float_round_mode_32 0
		.amdhsa_float_round_mode_16_64 0
		.amdhsa_float_denorm_mode_32 3
		.amdhsa_float_denorm_mode_16_64 3
		.amdhsa_fp16_overflow 0
		.amdhsa_workgroup_processor_mode 1
		.amdhsa_memory_ordered 1
		.amdhsa_forward_progress 1
		.amdhsa_inst_pref_size 1
		.amdhsa_round_robin_scheduling 0
		.amdhsa_exception_fp_ieee_invalid_op 0
		.amdhsa_exception_fp_denorm_src 0
		.amdhsa_exception_fp_ieee_div_zero 0
		.amdhsa_exception_fp_ieee_overflow 0
		.amdhsa_exception_fp_ieee_underflow 0
		.amdhsa_exception_fp_ieee_inexact 0
		.amdhsa_exception_int_div_zero 0
	.end_amdhsa_kernel
	.section	.text._ZN7rocprim17ROCPRIM_400000_NS6detail17trampoline_kernelINS0_14default_configENS1_25partition_config_selectorILNS1_17partition_subalgoE5ElNS0_10empty_typeEbEEZZNS1_14partition_implILS5_5ELb0ES3_mN6hipcub16HIPCUB_304000_NS21CountingInputIteratorIllEEPS6_NSA_22TransformInputIteratorIbN2at6native12_GLOBAL__N_19NonZeroOpIhEEPKhlEENS0_5tupleIJPlS6_EEENSN_IJSD_SD_EEES6_PiJS6_EEE10hipError_tPvRmT3_T4_T5_T6_T7_T9_mT8_P12ihipStream_tbDpT10_ENKUlT_T0_E_clISt17integral_constantIbLb1EES1A_IbLb0EEEEDaS16_S17_EUlS16_E_NS1_11comp_targetILNS1_3genE10ELNS1_11target_archE1200ELNS1_3gpuE4ELNS1_3repE0EEENS1_30default_config_static_selectorELNS0_4arch9wavefront6targetE0EEEvT1_,"axG",@progbits,_ZN7rocprim17ROCPRIM_400000_NS6detail17trampoline_kernelINS0_14default_configENS1_25partition_config_selectorILNS1_17partition_subalgoE5ElNS0_10empty_typeEbEEZZNS1_14partition_implILS5_5ELb0ES3_mN6hipcub16HIPCUB_304000_NS21CountingInputIteratorIllEEPS6_NSA_22TransformInputIteratorIbN2at6native12_GLOBAL__N_19NonZeroOpIhEEPKhlEENS0_5tupleIJPlS6_EEENSN_IJSD_SD_EEES6_PiJS6_EEE10hipError_tPvRmT3_T4_T5_T6_T7_T9_mT8_P12ihipStream_tbDpT10_ENKUlT_T0_E_clISt17integral_constantIbLb1EES1A_IbLb0EEEEDaS16_S17_EUlS16_E_NS1_11comp_targetILNS1_3genE10ELNS1_11target_archE1200ELNS1_3gpuE4ELNS1_3repE0EEENS1_30default_config_static_selectorELNS0_4arch9wavefront6targetE0EEEvT1_,comdat
.Lfunc_end69:
	.size	_ZN7rocprim17ROCPRIM_400000_NS6detail17trampoline_kernelINS0_14default_configENS1_25partition_config_selectorILNS1_17partition_subalgoE5ElNS0_10empty_typeEbEEZZNS1_14partition_implILS5_5ELb0ES3_mN6hipcub16HIPCUB_304000_NS21CountingInputIteratorIllEEPS6_NSA_22TransformInputIteratorIbN2at6native12_GLOBAL__N_19NonZeroOpIhEEPKhlEENS0_5tupleIJPlS6_EEENSN_IJSD_SD_EEES6_PiJS6_EEE10hipError_tPvRmT3_T4_T5_T6_T7_T9_mT8_P12ihipStream_tbDpT10_ENKUlT_T0_E_clISt17integral_constantIbLb1EES1A_IbLb0EEEEDaS16_S17_EUlS16_E_NS1_11comp_targetILNS1_3genE10ELNS1_11target_archE1200ELNS1_3gpuE4ELNS1_3repE0EEENS1_30default_config_static_selectorELNS0_4arch9wavefront6targetE0EEEvT1_, .Lfunc_end69-_ZN7rocprim17ROCPRIM_400000_NS6detail17trampoline_kernelINS0_14default_configENS1_25partition_config_selectorILNS1_17partition_subalgoE5ElNS0_10empty_typeEbEEZZNS1_14partition_implILS5_5ELb0ES3_mN6hipcub16HIPCUB_304000_NS21CountingInputIteratorIllEEPS6_NSA_22TransformInputIteratorIbN2at6native12_GLOBAL__N_19NonZeroOpIhEEPKhlEENS0_5tupleIJPlS6_EEENSN_IJSD_SD_EEES6_PiJS6_EEE10hipError_tPvRmT3_T4_T5_T6_T7_T9_mT8_P12ihipStream_tbDpT10_ENKUlT_T0_E_clISt17integral_constantIbLb1EES1A_IbLb0EEEEDaS16_S17_EUlS16_E_NS1_11comp_targetILNS1_3genE10ELNS1_11target_archE1200ELNS1_3gpuE4ELNS1_3repE0EEENS1_30default_config_static_selectorELNS0_4arch9wavefront6targetE0EEEvT1_
                                        ; -- End function
	.set _ZN7rocprim17ROCPRIM_400000_NS6detail17trampoline_kernelINS0_14default_configENS1_25partition_config_selectorILNS1_17partition_subalgoE5ElNS0_10empty_typeEbEEZZNS1_14partition_implILS5_5ELb0ES3_mN6hipcub16HIPCUB_304000_NS21CountingInputIteratorIllEEPS6_NSA_22TransformInputIteratorIbN2at6native12_GLOBAL__N_19NonZeroOpIhEEPKhlEENS0_5tupleIJPlS6_EEENSN_IJSD_SD_EEES6_PiJS6_EEE10hipError_tPvRmT3_T4_T5_T6_T7_T9_mT8_P12ihipStream_tbDpT10_ENKUlT_T0_E_clISt17integral_constantIbLb1EES1A_IbLb0EEEEDaS16_S17_EUlS16_E_NS1_11comp_targetILNS1_3genE10ELNS1_11target_archE1200ELNS1_3gpuE4ELNS1_3repE0EEENS1_30default_config_static_selectorELNS0_4arch9wavefront6targetE0EEEvT1_.num_vgpr, 0
	.set _ZN7rocprim17ROCPRIM_400000_NS6detail17trampoline_kernelINS0_14default_configENS1_25partition_config_selectorILNS1_17partition_subalgoE5ElNS0_10empty_typeEbEEZZNS1_14partition_implILS5_5ELb0ES3_mN6hipcub16HIPCUB_304000_NS21CountingInputIteratorIllEEPS6_NSA_22TransformInputIteratorIbN2at6native12_GLOBAL__N_19NonZeroOpIhEEPKhlEENS0_5tupleIJPlS6_EEENSN_IJSD_SD_EEES6_PiJS6_EEE10hipError_tPvRmT3_T4_T5_T6_T7_T9_mT8_P12ihipStream_tbDpT10_ENKUlT_T0_E_clISt17integral_constantIbLb1EES1A_IbLb0EEEEDaS16_S17_EUlS16_E_NS1_11comp_targetILNS1_3genE10ELNS1_11target_archE1200ELNS1_3gpuE4ELNS1_3repE0EEENS1_30default_config_static_selectorELNS0_4arch9wavefront6targetE0EEEvT1_.num_agpr, 0
	.set _ZN7rocprim17ROCPRIM_400000_NS6detail17trampoline_kernelINS0_14default_configENS1_25partition_config_selectorILNS1_17partition_subalgoE5ElNS0_10empty_typeEbEEZZNS1_14partition_implILS5_5ELb0ES3_mN6hipcub16HIPCUB_304000_NS21CountingInputIteratorIllEEPS6_NSA_22TransformInputIteratorIbN2at6native12_GLOBAL__N_19NonZeroOpIhEEPKhlEENS0_5tupleIJPlS6_EEENSN_IJSD_SD_EEES6_PiJS6_EEE10hipError_tPvRmT3_T4_T5_T6_T7_T9_mT8_P12ihipStream_tbDpT10_ENKUlT_T0_E_clISt17integral_constantIbLb1EES1A_IbLb0EEEEDaS16_S17_EUlS16_E_NS1_11comp_targetILNS1_3genE10ELNS1_11target_archE1200ELNS1_3gpuE4ELNS1_3repE0EEENS1_30default_config_static_selectorELNS0_4arch9wavefront6targetE0EEEvT1_.numbered_sgpr, 0
	.set _ZN7rocprim17ROCPRIM_400000_NS6detail17trampoline_kernelINS0_14default_configENS1_25partition_config_selectorILNS1_17partition_subalgoE5ElNS0_10empty_typeEbEEZZNS1_14partition_implILS5_5ELb0ES3_mN6hipcub16HIPCUB_304000_NS21CountingInputIteratorIllEEPS6_NSA_22TransformInputIteratorIbN2at6native12_GLOBAL__N_19NonZeroOpIhEEPKhlEENS0_5tupleIJPlS6_EEENSN_IJSD_SD_EEES6_PiJS6_EEE10hipError_tPvRmT3_T4_T5_T6_T7_T9_mT8_P12ihipStream_tbDpT10_ENKUlT_T0_E_clISt17integral_constantIbLb1EES1A_IbLb0EEEEDaS16_S17_EUlS16_E_NS1_11comp_targetILNS1_3genE10ELNS1_11target_archE1200ELNS1_3gpuE4ELNS1_3repE0EEENS1_30default_config_static_selectorELNS0_4arch9wavefront6targetE0EEEvT1_.num_named_barrier, 0
	.set _ZN7rocprim17ROCPRIM_400000_NS6detail17trampoline_kernelINS0_14default_configENS1_25partition_config_selectorILNS1_17partition_subalgoE5ElNS0_10empty_typeEbEEZZNS1_14partition_implILS5_5ELb0ES3_mN6hipcub16HIPCUB_304000_NS21CountingInputIteratorIllEEPS6_NSA_22TransformInputIteratorIbN2at6native12_GLOBAL__N_19NonZeroOpIhEEPKhlEENS0_5tupleIJPlS6_EEENSN_IJSD_SD_EEES6_PiJS6_EEE10hipError_tPvRmT3_T4_T5_T6_T7_T9_mT8_P12ihipStream_tbDpT10_ENKUlT_T0_E_clISt17integral_constantIbLb1EES1A_IbLb0EEEEDaS16_S17_EUlS16_E_NS1_11comp_targetILNS1_3genE10ELNS1_11target_archE1200ELNS1_3gpuE4ELNS1_3repE0EEENS1_30default_config_static_selectorELNS0_4arch9wavefront6targetE0EEEvT1_.private_seg_size, 0
	.set _ZN7rocprim17ROCPRIM_400000_NS6detail17trampoline_kernelINS0_14default_configENS1_25partition_config_selectorILNS1_17partition_subalgoE5ElNS0_10empty_typeEbEEZZNS1_14partition_implILS5_5ELb0ES3_mN6hipcub16HIPCUB_304000_NS21CountingInputIteratorIllEEPS6_NSA_22TransformInputIteratorIbN2at6native12_GLOBAL__N_19NonZeroOpIhEEPKhlEENS0_5tupleIJPlS6_EEENSN_IJSD_SD_EEES6_PiJS6_EEE10hipError_tPvRmT3_T4_T5_T6_T7_T9_mT8_P12ihipStream_tbDpT10_ENKUlT_T0_E_clISt17integral_constantIbLb1EES1A_IbLb0EEEEDaS16_S17_EUlS16_E_NS1_11comp_targetILNS1_3genE10ELNS1_11target_archE1200ELNS1_3gpuE4ELNS1_3repE0EEENS1_30default_config_static_selectorELNS0_4arch9wavefront6targetE0EEEvT1_.uses_vcc, 0
	.set _ZN7rocprim17ROCPRIM_400000_NS6detail17trampoline_kernelINS0_14default_configENS1_25partition_config_selectorILNS1_17partition_subalgoE5ElNS0_10empty_typeEbEEZZNS1_14partition_implILS5_5ELb0ES3_mN6hipcub16HIPCUB_304000_NS21CountingInputIteratorIllEEPS6_NSA_22TransformInputIteratorIbN2at6native12_GLOBAL__N_19NonZeroOpIhEEPKhlEENS0_5tupleIJPlS6_EEENSN_IJSD_SD_EEES6_PiJS6_EEE10hipError_tPvRmT3_T4_T5_T6_T7_T9_mT8_P12ihipStream_tbDpT10_ENKUlT_T0_E_clISt17integral_constantIbLb1EES1A_IbLb0EEEEDaS16_S17_EUlS16_E_NS1_11comp_targetILNS1_3genE10ELNS1_11target_archE1200ELNS1_3gpuE4ELNS1_3repE0EEENS1_30default_config_static_selectorELNS0_4arch9wavefront6targetE0EEEvT1_.uses_flat_scratch, 0
	.set _ZN7rocprim17ROCPRIM_400000_NS6detail17trampoline_kernelINS0_14default_configENS1_25partition_config_selectorILNS1_17partition_subalgoE5ElNS0_10empty_typeEbEEZZNS1_14partition_implILS5_5ELb0ES3_mN6hipcub16HIPCUB_304000_NS21CountingInputIteratorIllEEPS6_NSA_22TransformInputIteratorIbN2at6native12_GLOBAL__N_19NonZeroOpIhEEPKhlEENS0_5tupleIJPlS6_EEENSN_IJSD_SD_EEES6_PiJS6_EEE10hipError_tPvRmT3_T4_T5_T6_T7_T9_mT8_P12ihipStream_tbDpT10_ENKUlT_T0_E_clISt17integral_constantIbLb1EES1A_IbLb0EEEEDaS16_S17_EUlS16_E_NS1_11comp_targetILNS1_3genE10ELNS1_11target_archE1200ELNS1_3gpuE4ELNS1_3repE0EEENS1_30default_config_static_selectorELNS0_4arch9wavefront6targetE0EEEvT1_.has_dyn_sized_stack, 0
	.set _ZN7rocprim17ROCPRIM_400000_NS6detail17trampoline_kernelINS0_14default_configENS1_25partition_config_selectorILNS1_17partition_subalgoE5ElNS0_10empty_typeEbEEZZNS1_14partition_implILS5_5ELb0ES3_mN6hipcub16HIPCUB_304000_NS21CountingInputIteratorIllEEPS6_NSA_22TransformInputIteratorIbN2at6native12_GLOBAL__N_19NonZeroOpIhEEPKhlEENS0_5tupleIJPlS6_EEENSN_IJSD_SD_EEES6_PiJS6_EEE10hipError_tPvRmT3_T4_T5_T6_T7_T9_mT8_P12ihipStream_tbDpT10_ENKUlT_T0_E_clISt17integral_constantIbLb1EES1A_IbLb0EEEEDaS16_S17_EUlS16_E_NS1_11comp_targetILNS1_3genE10ELNS1_11target_archE1200ELNS1_3gpuE4ELNS1_3repE0EEENS1_30default_config_static_selectorELNS0_4arch9wavefront6targetE0EEEvT1_.has_recursion, 0
	.set _ZN7rocprim17ROCPRIM_400000_NS6detail17trampoline_kernelINS0_14default_configENS1_25partition_config_selectorILNS1_17partition_subalgoE5ElNS0_10empty_typeEbEEZZNS1_14partition_implILS5_5ELb0ES3_mN6hipcub16HIPCUB_304000_NS21CountingInputIteratorIllEEPS6_NSA_22TransformInputIteratorIbN2at6native12_GLOBAL__N_19NonZeroOpIhEEPKhlEENS0_5tupleIJPlS6_EEENSN_IJSD_SD_EEES6_PiJS6_EEE10hipError_tPvRmT3_T4_T5_T6_T7_T9_mT8_P12ihipStream_tbDpT10_ENKUlT_T0_E_clISt17integral_constantIbLb1EES1A_IbLb0EEEEDaS16_S17_EUlS16_E_NS1_11comp_targetILNS1_3genE10ELNS1_11target_archE1200ELNS1_3gpuE4ELNS1_3repE0EEENS1_30default_config_static_selectorELNS0_4arch9wavefront6targetE0EEEvT1_.has_indirect_call, 0
	.section	.AMDGPU.csdata,"",@progbits
; Kernel info:
; codeLenInByte = 4
; TotalNumSgprs: 0
; NumVgprs: 0
; ScratchSize: 0
; MemoryBound: 0
; FloatMode: 240
; IeeeMode: 1
; LDSByteSize: 0 bytes/workgroup (compile time only)
; SGPRBlocks: 0
; VGPRBlocks: 0
; NumSGPRsForWavesPerEU: 1
; NumVGPRsForWavesPerEU: 1
; Occupancy: 16
; WaveLimiterHint : 0
; COMPUTE_PGM_RSRC2:SCRATCH_EN: 0
; COMPUTE_PGM_RSRC2:USER_SGPR: 2
; COMPUTE_PGM_RSRC2:TRAP_HANDLER: 0
; COMPUTE_PGM_RSRC2:TGID_X_EN: 1
; COMPUTE_PGM_RSRC2:TGID_Y_EN: 0
; COMPUTE_PGM_RSRC2:TGID_Z_EN: 0
; COMPUTE_PGM_RSRC2:TIDIG_COMP_CNT: 0
	.section	.text._ZN7rocprim17ROCPRIM_400000_NS6detail17trampoline_kernelINS0_14default_configENS1_25partition_config_selectorILNS1_17partition_subalgoE5ElNS0_10empty_typeEbEEZZNS1_14partition_implILS5_5ELb0ES3_mN6hipcub16HIPCUB_304000_NS21CountingInputIteratorIllEEPS6_NSA_22TransformInputIteratorIbN2at6native12_GLOBAL__N_19NonZeroOpIhEEPKhlEENS0_5tupleIJPlS6_EEENSN_IJSD_SD_EEES6_PiJS6_EEE10hipError_tPvRmT3_T4_T5_T6_T7_T9_mT8_P12ihipStream_tbDpT10_ENKUlT_T0_E_clISt17integral_constantIbLb1EES1A_IbLb0EEEEDaS16_S17_EUlS16_E_NS1_11comp_targetILNS1_3genE9ELNS1_11target_archE1100ELNS1_3gpuE3ELNS1_3repE0EEENS1_30default_config_static_selectorELNS0_4arch9wavefront6targetE0EEEvT1_,"axG",@progbits,_ZN7rocprim17ROCPRIM_400000_NS6detail17trampoline_kernelINS0_14default_configENS1_25partition_config_selectorILNS1_17partition_subalgoE5ElNS0_10empty_typeEbEEZZNS1_14partition_implILS5_5ELb0ES3_mN6hipcub16HIPCUB_304000_NS21CountingInputIteratorIllEEPS6_NSA_22TransformInputIteratorIbN2at6native12_GLOBAL__N_19NonZeroOpIhEEPKhlEENS0_5tupleIJPlS6_EEENSN_IJSD_SD_EEES6_PiJS6_EEE10hipError_tPvRmT3_T4_T5_T6_T7_T9_mT8_P12ihipStream_tbDpT10_ENKUlT_T0_E_clISt17integral_constantIbLb1EES1A_IbLb0EEEEDaS16_S17_EUlS16_E_NS1_11comp_targetILNS1_3genE9ELNS1_11target_archE1100ELNS1_3gpuE3ELNS1_3repE0EEENS1_30default_config_static_selectorELNS0_4arch9wavefront6targetE0EEEvT1_,comdat
	.globl	_ZN7rocprim17ROCPRIM_400000_NS6detail17trampoline_kernelINS0_14default_configENS1_25partition_config_selectorILNS1_17partition_subalgoE5ElNS0_10empty_typeEbEEZZNS1_14partition_implILS5_5ELb0ES3_mN6hipcub16HIPCUB_304000_NS21CountingInputIteratorIllEEPS6_NSA_22TransformInputIteratorIbN2at6native12_GLOBAL__N_19NonZeroOpIhEEPKhlEENS0_5tupleIJPlS6_EEENSN_IJSD_SD_EEES6_PiJS6_EEE10hipError_tPvRmT3_T4_T5_T6_T7_T9_mT8_P12ihipStream_tbDpT10_ENKUlT_T0_E_clISt17integral_constantIbLb1EES1A_IbLb0EEEEDaS16_S17_EUlS16_E_NS1_11comp_targetILNS1_3genE9ELNS1_11target_archE1100ELNS1_3gpuE3ELNS1_3repE0EEENS1_30default_config_static_selectorELNS0_4arch9wavefront6targetE0EEEvT1_ ; -- Begin function _ZN7rocprim17ROCPRIM_400000_NS6detail17trampoline_kernelINS0_14default_configENS1_25partition_config_selectorILNS1_17partition_subalgoE5ElNS0_10empty_typeEbEEZZNS1_14partition_implILS5_5ELb0ES3_mN6hipcub16HIPCUB_304000_NS21CountingInputIteratorIllEEPS6_NSA_22TransformInputIteratorIbN2at6native12_GLOBAL__N_19NonZeroOpIhEEPKhlEENS0_5tupleIJPlS6_EEENSN_IJSD_SD_EEES6_PiJS6_EEE10hipError_tPvRmT3_T4_T5_T6_T7_T9_mT8_P12ihipStream_tbDpT10_ENKUlT_T0_E_clISt17integral_constantIbLb1EES1A_IbLb0EEEEDaS16_S17_EUlS16_E_NS1_11comp_targetILNS1_3genE9ELNS1_11target_archE1100ELNS1_3gpuE3ELNS1_3repE0EEENS1_30default_config_static_selectorELNS0_4arch9wavefront6targetE0EEEvT1_
	.p2align	8
	.type	_ZN7rocprim17ROCPRIM_400000_NS6detail17trampoline_kernelINS0_14default_configENS1_25partition_config_selectorILNS1_17partition_subalgoE5ElNS0_10empty_typeEbEEZZNS1_14partition_implILS5_5ELb0ES3_mN6hipcub16HIPCUB_304000_NS21CountingInputIteratorIllEEPS6_NSA_22TransformInputIteratorIbN2at6native12_GLOBAL__N_19NonZeroOpIhEEPKhlEENS0_5tupleIJPlS6_EEENSN_IJSD_SD_EEES6_PiJS6_EEE10hipError_tPvRmT3_T4_T5_T6_T7_T9_mT8_P12ihipStream_tbDpT10_ENKUlT_T0_E_clISt17integral_constantIbLb1EES1A_IbLb0EEEEDaS16_S17_EUlS16_E_NS1_11comp_targetILNS1_3genE9ELNS1_11target_archE1100ELNS1_3gpuE3ELNS1_3repE0EEENS1_30default_config_static_selectorELNS0_4arch9wavefront6targetE0EEEvT1_,@function
_ZN7rocprim17ROCPRIM_400000_NS6detail17trampoline_kernelINS0_14default_configENS1_25partition_config_selectorILNS1_17partition_subalgoE5ElNS0_10empty_typeEbEEZZNS1_14partition_implILS5_5ELb0ES3_mN6hipcub16HIPCUB_304000_NS21CountingInputIteratorIllEEPS6_NSA_22TransformInputIteratorIbN2at6native12_GLOBAL__N_19NonZeroOpIhEEPKhlEENS0_5tupleIJPlS6_EEENSN_IJSD_SD_EEES6_PiJS6_EEE10hipError_tPvRmT3_T4_T5_T6_T7_T9_mT8_P12ihipStream_tbDpT10_ENKUlT_T0_E_clISt17integral_constantIbLb1EES1A_IbLb0EEEEDaS16_S17_EUlS16_E_NS1_11comp_targetILNS1_3genE9ELNS1_11target_archE1100ELNS1_3gpuE3ELNS1_3repE0EEENS1_30default_config_static_selectorELNS0_4arch9wavefront6targetE0EEEvT1_: ; @_ZN7rocprim17ROCPRIM_400000_NS6detail17trampoline_kernelINS0_14default_configENS1_25partition_config_selectorILNS1_17partition_subalgoE5ElNS0_10empty_typeEbEEZZNS1_14partition_implILS5_5ELb0ES3_mN6hipcub16HIPCUB_304000_NS21CountingInputIteratorIllEEPS6_NSA_22TransformInputIteratorIbN2at6native12_GLOBAL__N_19NonZeroOpIhEEPKhlEENS0_5tupleIJPlS6_EEENSN_IJSD_SD_EEES6_PiJS6_EEE10hipError_tPvRmT3_T4_T5_T6_T7_T9_mT8_P12ihipStream_tbDpT10_ENKUlT_T0_E_clISt17integral_constantIbLb1EES1A_IbLb0EEEEDaS16_S17_EUlS16_E_NS1_11comp_targetILNS1_3genE9ELNS1_11target_archE1100ELNS1_3gpuE3ELNS1_3repE0EEENS1_30default_config_static_selectorELNS0_4arch9wavefront6targetE0EEEvT1_
; %bb.0:
	.section	.rodata,"a",@progbits
	.p2align	6, 0x0
	.amdhsa_kernel _ZN7rocprim17ROCPRIM_400000_NS6detail17trampoline_kernelINS0_14default_configENS1_25partition_config_selectorILNS1_17partition_subalgoE5ElNS0_10empty_typeEbEEZZNS1_14partition_implILS5_5ELb0ES3_mN6hipcub16HIPCUB_304000_NS21CountingInputIteratorIllEEPS6_NSA_22TransformInputIteratorIbN2at6native12_GLOBAL__N_19NonZeroOpIhEEPKhlEENS0_5tupleIJPlS6_EEENSN_IJSD_SD_EEES6_PiJS6_EEE10hipError_tPvRmT3_T4_T5_T6_T7_T9_mT8_P12ihipStream_tbDpT10_ENKUlT_T0_E_clISt17integral_constantIbLb1EES1A_IbLb0EEEEDaS16_S17_EUlS16_E_NS1_11comp_targetILNS1_3genE9ELNS1_11target_archE1100ELNS1_3gpuE3ELNS1_3repE0EEENS1_30default_config_static_selectorELNS0_4arch9wavefront6targetE0EEEvT1_
		.amdhsa_group_segment_fixed_size 0
		.amdhsa_private_segment_fixed_size 0
		.amdhsa_kernarg_size 120
		.amdhsa_user_sgpr_count 2
		.amdhsa_user_sgpr_dispatch_ptr 0
		.amdhsa_user_sgpr_queue_ptr 0
		.amdhsa_user_sgpr_kernarg_segment_ptr 1
		.amdhsa_user_sgpr_dispatch_id 0
		.amdhsa_user_sgpr_private_segment_size 0
		.amdhsa_wavefront_size32 1
		.amdhsa_uses_dynamic_stack 0
		.amdhsa_enable_private_segment 0
		.amdhsa_system_sgpr_workgroup_id_x 1
		.amdhsa_system_sgpr_workgroup_id_y 0
		.amdhsa_system_sgpr_workgroup_id_z 0
		.amdhsa_system_sgpr_workgroup_info 0
		.amdhsa_system_vgpr_workitem_id 0
		.amdhsa_next_free_vgpr 1
		.amdhsa_next_free_sgpr 1
		.amdhsa_reserve_vcc 0
		.amdhsa_float_round_mode_32 0
		.amdhsa_float_round_mode_16_64 0
		.amdhsa_float_denorm_mode_32 3
		.amdhsa_float_denorm_mode_16_64 3
		.amdhsa_fp16_overflow 0
		.amdhsa_workgroup_processor_mode 1
		.amdhsa_memory_ordered 1
		.amdhsa_forward_progress 1
		.amdhsa_inst_pref_size 0
		.amdhsa_round_robin_scheduling 0
		.amdhsa_exception_fp_ieee_invalid_op 0
		.amdhsa_exception_fp_denorm_src 0
		.amdhsa_exception_fp_ieee_div_zero 0
		.amdhsa_exception_fp_ieee_overflow 0
		.amdhsa_exception_fp_ieee_underflow 0
		.amdhsa_exception_fp_ieee_inexact 0
		.amdhsa_exception_int_div_zero 0
	.end_amdhsa_kernel
	.section	.text._ZN7rocprim17ROCPRIM_400000_NS6detail17trampoline_kernelINS0_14default_configENS1_25partition_config_selectorILNS1_17partition_subalgoE5ElNS0_10empty_typeEbEEZZNS1_14partition_implILS5_5ELb0ES3_mN6hipcub16HIPCUB_304000_NS21CountingInputIteratorIllEEPS6_NSA_22TransformInputIteratorIbN2at6native12_GLOBAL__N_19NonZeroOpIhEEPKhlEENS0_5tupleIJPlS6_EEENSN_IJSD_SD_EEES6_PiJS6_EEE10hipError_tPvRmT3_T4_T5_T6_T7_T9_mT8_P12ihipStream_tbDpT10_ENKUlT_T0_E_clISt17integral_constantIbLb1EES1A_IbLb0EEEEDaS16_S17_EUlS16_E_NS1_11comp_targetILNS1_3genE9ELNS1_11target_archE1100ELNS1_3gpuE3ELNS1_3repE0EEENS1_30default_config_static_selectorELNS0_4arch9wavefront6targetE0EEEvT1_,"axG",@progbits,_ZN7rocprim17ROCPRIM_400000_NS6detail17trampoline_kernelINS0_14default_configENS1_25partition_config_selectorILNS1_17partition_subalgoE5ElNS0_10empty_typeEbEEZZNS1_14partition_implILS5_5ELb0ES3_mN6hipcub16HIPCUB_304000_NS21CountingInputIteratorIllEEPS6_NSA_22TransformInputIteratorIbN2at6native12_GLOBAL__N_19NonZeroOpIhEEPKhlEENS0_5tupleIJPlS6_EEENSN_IJSD_SD_EEES6_PiJS6_EEE10hipError_tPvRmT3_T4_T5_T6_T7_T9_mT8_P12ihipStream_tbDpT10_ENKUlT_T0_E_clISt17integral_constantIbLb1EES1A_IbLb0EEEEDaS16_S17_EUlS16_E_NS1_11comp_targetILNS1_3genE9ELNS1_11target_archE1100ELNS1_3gpuE3ELNS1_3repE0EEENS1_30default_config_static_selectorELNS0_4arch9wavefront6targetE0EEEvT1_,comdat
.Lfunc_end70:
	.size	_ZN7rocprim17ROCPRIM_400000_NS6detail17trampoline_kernelINS0_14default_configENS1_25partition_config_selectorILNS1_17partition_subalgoE5ElNS0_10empty_typeEbEEZZNS1_14partition_implILS5_5ELb0ES3_mN6hipcub16HIPCUB_304000_NS21CountingInputIteratorIllEEPS6_NSA_22TransformInputIteratorIbN2at6native12_GLOBAL__N_19NonZeroOpIhEEPKhlEENS0_5tupleIJPlS6_EEENSN_IJSD_SD_EEES6_PiJS6_EEE10hipError_tPvRmT3_T4_T5_T6_T7_T9_mT8_P12ihipStream_tbDpT10_ENKUlT_T0_E_clISt17integral_constantIbLb1EES1A_IbLb0EEEEDaS16_S17_EUlS16_E_NS1_11comp_targetILNS1_3genE9ELNS1_11target_archE1100ELNS1_3gpuE3ELNS1_3repE0EEENS1_30default_config_static_selectorELNS0_4arch9wavefront6targetE0EEEvT1_, .Lfunc_end70-_ZN7rocprim17ROCPRIM_400000_NS6detail17trampoline_kernelINS0_14default_configENS1_25partition_config_selectorILNS1_17partition_subalgoE5ElNS0_10empty_typeEbEEZZNS1_14partition_implILS5_5ELb0ES3_mN6hipcub16HIPCUB_304000_NS21CountingInputIteratorIllEEPS6_NSA_22TransformInputIteratorIbN2at6native12_GLOBAL__N_19NonZeroOpIhEEPKhlEENS0_5tupleIJPlS6_EEENSN_IJSD_SD_EEES6_PiJS6_EEE10hipError_tPvRmT3_T4_T5_T6_T7_T9_mT8_P12ihipStream_tbDpT10_ENKUlT_T0_E_clISt17integral_constantIbLb1EES1A_IbLb0EEEEDaS16_S17_EUlS16_E_NS1_11comp_targetILNS1_3genE9ELNS1_11target_archE1100ELNS1_3gpuE3ELNS1_3repE0EEENS1_30default_config_static_selectorELNS0_4arch9wavefront6targetE0EEEvT1_
                                        ; -- End function
	.set _ZN7rocprim17ROCPRIM_400000_NS6detail17trampoline_kernelINS0_14default_configENS1_25partition_config_selectorILNS1_17partition_subalgoE5ElNS0_10empty_typeEbEEZZNS1_14partition_implILS5_5ELb0ES3_mN6hipcub16HIPCUB_304000_NS21CountingInputIteratorIllEEPS6_NSA_22TransformInputIteratorIbN2at6native12_GLOBAL__N_19NonZeroOpIhEEPKhlEENS0_5tupleIJPlS6_EEENSN_IJSD_SD_EEES6_PiJS6_EEE10hipError_tPvRmT3_T4_T5_T6_T7_T9_mT8_P12ihipStream_tbDpT10_ENKUlT_T0_E_clISt17integral_constantIbLb1EES1A_IbLb0EEEEDaS16_S17_EUlS16_E_NS1_11comp_targetILNS1_3genE9ELNS1_11target_archE1100ELNS1_3gpuE3ELNS1_3repE0EEENS1_30default_config_static_selectorELNS0_4arch9wavefront6targetE0EEEvT1_.num_vgpr, 0
	.set _ZN7rocprim17ROCPRIM_400000_NS6detail17trampoline_kernelINS0_14default_configENS1_25partition_config_selectorILNS1_17partition_subalgoE5ElNS0_10empty_typeEbEEZZNS1_14partition_implILS5_5ELb0ES3_mN6hipcub16HIPCUB_304000_NS21CountingInputIteratorIllEEPS6_NSA_22TransformInputIteratorIbN2at6native12_GLOBAL__N_19NonZeroOpIhEEPKhlEENS0_5tupleIJPlS6_EEENSN_IJSD_SD_EEES6_PiJS6_EEE10hipError_tPvRmT3_T4_T5_T6_T7_T9_mT8_P12ihipStream_tbDpT10_ENKUlT_T0_E_clISt17integral_constantIbLb1EES1A_IbLb0EEEEDaS16_S17_EUlS16_E_NS1_11comp_targetILNS1_3genE9ELNS1_11target_archE1100ELNS1_3gpuE3ELNS1_3repE0EEENS1_30default_config_static_selectorELNS0_4arch9wavefront6targetE0EEEvT1_.num_agpr, 0
	.set _ZN7rocprim17ROCPRIM_400000_NS6detail17trampoline_kernelINS0_14default_configENS1_25partition_config_selectorILNS1_17partition_subalgoE5ElNS0_10empty_typeEbEEZZNS1_14partition_implILS5_5ELb0ES3_mN6hipcub16HIPCUB_304000_NS21CountingInputIteratorIllEEPS6_NSA_22TransformInputIteratorIbN2at6native12_GLOBAL__N_19NonZeroOpIhEEPKhlEENS0_5tupleIJPlS6_EEENSN_IJSD_SD_EEES6_PiJS6_EEE10hipError_tPvRmT3_T4_T5_T6_T7_T9_mT8_P12ihipStream_tbDpT10_ENKUlT_T0_E_clISt17integral_constantIbLb1EES1A_IbLb0EEEEDaS16_S17_EUlS16_E_NS1_11comp_targetILNS1_3genE9ELNS1_11target_archE1100ELNS1_3gpuE3ELNS1_3repE0EEENS1_30default_config_static_selectorELNS0_4arch9wavefront6targetE0EEEvT1_.numbered_sgpr, 0
	.set _ZN7rocprim17ROCPRIM_400000_NS6detail17trampoline_kernelINS0_14default_configENS1_25partition_config_selectorILNS1_17partition_subalgoE5ElNS0_10empty_typeEbEEZZNS1_14partition_implILS5_5ELb0ES3_mN6hipcub16HIPCUB_304000_NS21CountingInputIteratorIllEEPS6_NSA_22TransformInputIteratorIbN2at6native12_GLOBAL__N_19NonZeroOpIhEEPKhlEENS0_5tupleIJPlS6_EEENSN_IJSD_SD_EEES6_PiJS6_EEE10hipError_tPvRmT3_T4_T5_T6_T7_T9_mT8_P12ihipStream_tbDpT10_ENKUlT_T0_E_clISt17integral_constantIbLb1EES1A_IbLb0EEEEDaS16_S17_EUlS16_E_NS1_11comp_targetILNS1_3genE9ELNS1_11target_archE1100ELNS1_3gpuE3ELNS1_3repE0EEENS1_30default_config_static_selectorELNS0_4arch9wavefront6targetE0EEEvT1_.num_named_barrier, 0
	.set _ZN7rocprim17ROCPRIM_400000_NS6detail17trampoline_kernelINS0_14default_configENS1_25partition_config_selectorILNS1_17partition_subalgoE5ElNS0_10empty_typeEbEEZZNS1_14partition_implILS5_5ELb0ES3_mN6hipcub16HIPCUB_304000_NS21CountingInputIteratorIllEEPS6_NSA_22TransformInputIteratorIbN2at6native12_GLOBAL__N_19NonZeroOpIhEEPKhlEENS0_5tupleIJPlS6_EEENSN_IJSD_SD_EEES6_PiJS6_EEE10hipError_tPvRmT3_T4_T5_T6_T7_T9_mT8_P12ihipStream_tbDpT10_ENKUlT_T0_E_clISt17integral_constantIbLb1EES1A_IbLb0EEEEDaS16_S17_EUlS16_E_NS1_11comp_targetILNS1_3genE9ELNS1_11target_archE1100ELNS1_3gpuE3ELNS1_3repE0EEENS1_30default_config_static_selectorELNS0_4arch9wavefront6targetE0EEEvT1_.private_seg_size, 0
	.set _ZN7rocprim17ROCPRIM_400000_NS6detail17trampoline_kernelINS0_14default_configENS1_25partition_config_selectorILNS1_17partition_subalgoE5ElNS0_10empty_typeEbEEZZNS1_14partition_implILS5_5ELb0ES3_mN6hipcub16HIPCUB_304000_NS21CountingInputIteratorIllEEPS6_NSA_22TransformInputIteratorIbN2at6native12_GLOBAL__N_19NonZeroOpIhEEPKhlEENS0_5tupleIJPlS6_EEENSN_IJSD_SD_EEES6_PiJS6_EEE10hipError_tPvRmT3_T4_T5_T6_T7_T9_mT8_P12ihipStream_tbDpT10_ENKUlT_T0_E_clISt17integral_constantIbLb1EES1A_IbLb0EEEEDaS16_S17_EUlS16_E_NS1_11comp_targetILNS1_3genE9ELNS1_11target_archE1100ELNS1_3gpuE3ELNS1_3repE0EEENS1_30default_config_static_selectorELNS0_4arch9wavefront6targetE0EEEvT1_.uses_vcc, 0
	.set _ZN7rocprim17ROCPRIM_400000_NS6detail17trampoline_kernelINS0_14default_configENS1_25partition_config_selectorILNS1_17partition_subalgoE5ElNS0_10empty_typeEbEEZZNS1_14partition_implILS5_5ELb0ES3_mN6hipcub16HIPCUB_304000_NS21CountingInputIteratorIllEEPS6_NSA_22TransformInputIteratorIbN2at6native12_GLOBAL__N_19NonZeroOpIhEEPKhlEENS0_5tupleIJPlS6_EEENSN_IJSD_SD_EEES6_PiJS6_EEE10hipError_tPvRmT3_T4_T5_T6_T7_T9_mT8_P12ihipStream_tbDpT10_ENKUlT_T0_E_clISt17integral_constantIbLb1EES1A_IbLb0EEEEDaS16_S17_EUlS16_E_NS1_11comp_targetILNS1_3genE9ELNS1_11target_archE1100ELNS1_3gpuE3ELNS1_3repE0EEENS1_30default_config_static_selectorELNS0_4arch9wavefront6targetE0EEEvT1_.uses_flat_scratch, 0
	.set _ZN7rocprim17ROCPRIM_400000_NS6detail17trampoline_kernelINS0_14default_configENS1_25partition_config_selectorILNS1_17partition_subalgoE5ElNS0_10empty_typeEbEEZZNS1_14partition_implILS5_5ELb0ES3_mN6hipcub16HIPCUB_304000_NS21CountingInputIteratorIllEEPS6_NSA_22TransformInputIteratorIbN2at6native12_GLOBAL__N_19NonZeroOpIhEEPKhlEENS0_5tupleIJPlS6_EEENSN_IJSD_SD_EEES6_PiJS6_EEE10hipError_tPvRmT3_T4_T5_T6_T7_T9_mT8_P12ihipStream_tbDpT10_ENKUlT_T0_E_clISt17integral_constantIbLb1EES1A_IbLb0EEEEDaS16_S17_EUlS16_E_NS1_11comp_targetILNS1_3genE9ELNS1_11target_archE1100ELNS1_3gpuE3ELNS1_3repE0EEENS1_30default_config_static_selectorELNS0_4arch9wavefront6targetE0EEEvT1_.has_dyn_sized_stack, 0
	.set _ZN7rocprim17ROCPRIM_400000_NS6detail17trampoline_kernelINS0_14default_configENS1_25partition_config_selectorILNS1_17partition_subalgoE5ElNS0_10empty_typeEbEEZZNS1_14partition_implILS5_5ELb0ES3_mN6hipcub16HIPCUB_304000_NS21CountingInputIteratorIllEEPS6_NSA_22TransformInputIteratorIbN2at6native12_GLOBAL__N_19NonZeroOpIhEEPKhlEENS0_5tupleIJPlS6_EEENSN_IJSD_SD_EEES6_PiJS6_EEE10hipError_tPvRmT3_T4_T5_T6_T7_T9_mT8_P12ihipStream_tbDpT10_ENKUlT_T0_E_clISt17integral_constantIbLb1EES1A_IbLb0EEEEDaS16_S17_EUlS16_E_NS1_11comp_targetILNS1_3genE9ELNS1_11target_archE1100ELNS1_3gpuE3ELNS1_3repE0EEENS1_30default_config_static_selectorELNS0_4arch9wavefront6targetE0EEEvT1_.has_recursion, 0
	.set _ZN7rocprim17ROCPRIM_400000_NS6detail17trampoline_kernelINS0_14default_configENS1_25partition_config_selectorILNS1_17partition_subalgoE5ElNS0_10empty_typeEbEEZZNS1_14partition_implILS5_5ELb0ES3_mN6hipcub16HIPCUB_304000_NS21CountingInputIteratorIllEEPS6_NSA_22TransformInputIteratorIbN2at6native12_GLOBAL__N_19NonZeroOpIhEEPKhlEENS0_5tupleIJPlS6_EEENSN_IJSD_SD_EEES6_PiJS6_EEE10hipError_tPvRmT3_T4_T5_T6_T7_T9_mT8_P12ihipStream_tbDpT10_ENKUlT_T0_E_clISt17integral_constantIbLb1EES1A_IbLb0EEEEDaS16_S17_EUlS16_E_NS1_11comp_targetILNS1_3genE9ELNS1_11target_archE1100ELNS1_3gpuE3ELNS1_3repE0EEENS1_30default_config_static_selectorELNS0_4arch9wavefront6targetE0EEEvT1_.has_indirect_call, 0
	.section	.AMDGPU.csdata,"",@progbits
; Kernel info:
; codeLenInByte = 0
; TotalNumSgprs: 0
; NumVgprs: 0
; ScratchSize: 0
; MemoryBound: 0
; FloatMode: 240
; IeeeMode: 1
; LDSByteSize: 0 bytes/workgroup (compile time only)
; SGPRBlocks: 0
; VGPRBlocks: 0
; NumSGPRsForWavesPerEU: 1
; NumVGPRsForWavesPerEU: 1
; Occupancy: 16
; WaveLimiterHint : 0
; COMPUTE_PGM_RSRC2:SCRATCH_EN: 0
; COMPUTE_PGM_RSRC2:USER_SGPR: 2
; COMPUTE_PGM_RSRC2:TRAP_HANDLER: 0
; COMPUTE_PGM_RSRC2:TGID_X_EN: 1
; COMPUTE_PGM_RSRC2:TGID_Y_EN: 0
; COMPUTE_PGM_RSRC2:TGID_Z_EN: 0
; COMPUTE_PGM_RSRC2:TIDIG_COMP_CNT: 0
	.section	.text._ZN7rocprim17ROCPRIM_400000_NS6detail17trampoline_kernelINS0_14default_configENS1_25partition_config_selectorILNS1_17partition_subalgoE5ElNS0_10empty_typeEbEEZZNS1_14partition_implILS5_5ELb0ES3_mN6hipcub16HIPCUB_304000_NS21CountingInputIteratorIllEEPS6_NSA_22TransformInputIteratorIbN2at6native12_GLOBAL__N_19NonZeroOpIhEEPKhlEENS0_5tupleIJPlS6_EEENSN_IJSD_SD_EEES6_PiJS6_EEE10hipError_tPvRmT3_T4_T5_T6_T7_T9_mT8_P12ihipStream_tbDpT10_ENKUlT_T0_E_clISt17integral_constantIbLb1EES1A_IbLb0EEEEDaS16_S17_EUlS16_E_NS1_11comp_targetILNS1_3genE8ELNS1_11target_archE1030ELNS1_3gpuE2ELNS1_3repE0EEENS1_30default_config_static_selectorELNS0_4arch9wavefront6targetE0EEEvT1_,"axG",@progbits,_ZN7rocprim17ROCPRIM_400000_NS6detail17trampoline_kernelINS0_14default_configENS1_25partition_config_selectorILNS1_17partition_subalgoE5ElNS0_10empty_typeEbEEZZNS1_14partition_implILS5_5ELb0ES3_mN6hipcub16HIPCUB_304000_NS21CountingInputIteratorIllEEPS6_NSA_22TransformInputIteratorIbN2at6native12_GLOBAL__N_19NonZeroOpIhEEPKhlEENS0_5tupleIJPlS6_EEENSN_IJSD_SD_EEES6_PiJS6_EEE10hipError_tPvRmT3_T4_T5_T6_T7_T9_mT8_P12ihipStream_tbDpT10_ENKUlT_T0_E_clISt17integral_constantIbLb1EES1A_IbLb0EEEEDaS16_S17_EUlS16_E_NS1_11comp_targetILNS1_3genE8ELNS1_11target_archE1030ELNS1_3gpuE2ELNS1_3repE0EEENS1_30default_config_static_selectorELNS0_4arch9wavefront6targetE0EEEvT1_,comdat
	.globl	_ZN7rocprim17ROCPRIM_400000_NS6detail17trampoline_kernelINS0_14default_configENS1_25partition_config_selectorILNS1_17partition_subalgoE5ElNS0_10empty_typeEbEEZZNS1_14partition_implILS5_5ELb0ES3_mN6hipcub16HIPCUB_304000_NS21CountingInputIteratorIllEEPS6_NSA_22TransformInputIteratorIbN2at6native12_GLOBAL__N_19NonZeroOpIhEEPKhlEENS0_5tupleIJPlS6_EEENSN_IJSD_SD_EEES6_PiJS6_EEE10hipError_tPvRmT3_T4_T5_T6_T7_T9_mT8_P12ihipStream_tbDpT10_ENKUlT_T0_E_clISt17integral_constantIbLb1EES1A_IbLb0EEEEDaS16_S17_EUlS16_E_NS1_11comp_targetILNS1_3genE8ELNS1_11target_archE1030ELNS1_3gpuE2ELNS1_3repE0EEENS1_30default_config_static_selectorELNS0_4arch9wavefront6targetE0EEEvT1_ ; -- Begin function _ZN7rocprim17ROCPRIM_400000_NS6detail17trampoline_kernelINS0_14default_configENS1_25partition_config_selectorILNS1_17partition_subalgoE5ElNS0_10empty_typeEbEEZZNS1_14partition_implILS5_5ELb0ES3_mN6hipcub16HIPCUB_304000_NS21CountingInputIteratorIllEEPS6_NSA_22TransformInputIteratorIbN2at6native12_GLOBAL__N_19NonZeroOpIhEEPKhlEENS0_5tupleIJPlS6_EEENSN_IJSD_SD_EEES6_PiJS6_EEE10hipError_tPvRmT3_T4_T5_T6_T7_T9_mT8_P12ihipStream_tbDpT10_ENKUlT_T0_E_clISt17integral_constantIbLb1EES1A_IbLb0EEEEDaS16_S17_EUlS16_E_NS1_11comp_targetILNS1_3genE8ELNS1_11target_archE1030ELNS1_3gpuE2ELNS1_3repE0EEENS1_30default_config_static_selectorELNS0_4arch9wavefront6targetE0EEEvT1_
	.p2align	8
	.type	_ZN7rocprim17ROCPRIM_400000_NS6detail17trampoline_kernelINS0_14default_configENS1_25partition_config_selectorILNS1_17partition_subalgoE5ElNS0_10empty_typeEbEEZZNS1_14partition_implILS5_5ELb0ES3_mN6hipcub16HIPCUB_304000_NS21CountingInputIteratorIllEEPS6_NSA_22TransformInputIteratorIbN2at6native12_GLOBAL__N_19NonZeroOpIhEEPKhlEENS0_5tupleIJPlS6_EEENSN_IJSD_SD_EEES6_PiJS6_EEE10hipError_tPvRmT3_T4_T5_T6_T7_T9_mT8_P12ihipStream_tbDpT10_ENKUlT_T0_E_clISt17integral_constantIbLb1EES1A_IbLb0EEEEDaS16_S17_EUlS16_E_NS1_11comp_targetILNS1_3genE8ELNS1_11target_archE1030ELNS1_3gpuE2ELNS1_3repE0EEENS1_30default_config_static_selectorELNS0_4arch9wavefront6targetE0EEEvT1_,@function
_ZN7rocprim17ROCPRIM_400000_NS6detail17trampoline_kernelINS0_14default_configENS1_25partition_config_selectorILNS1_17partition_subalgoE5ElNS0_10empty_typeEbEEZZNS1_14partition_implILS5_5ELb0ES3_mN6hipcub16HIPCUB_304000_NS21CountingInputIteratorIllEEPS6_NSA_22TransformInputIteratorIbN2at6native12_GLOBAL__N_19NonZeroOpIhEEPKhlEENS0_5tupleIJPlS6_EEENSN_IJSD_SD_EEES6_PiJS6_EEE10hipError_tPvRmT3_T4_T5_T6_T7_T9_mT8_P12ihipStream_tbDpT10_ENKUlT_T0_E_clISt17integral_constantIbLb1EES1A_IbLb0EEEEDaS16_S17_EUlS16_E_NS1_11comp_targetILNS1_3genE8ELNS1_11target_archE1030ELNS1_3gpuE2ELNS1_3repE0EEENS1_30default_config_static_selectorELNS0_4arch9wavefront6targetE0EEEvT1_: ; @_ZN7rocprim17ROCPRIM_400000_NS6detail17trampoline_kernelINS0_14default_configENS1_25partition_config_selectorILNS1_17partition_subalgoE5ElNS0_10empty_typeEbEEZZNS1_14partition_implILS5_5ELb0ES3_mN6hipcub16HIPCUB_304000_NS21CountingInputIteratorIllEEPS6_NSA_22TransformInputIteratorIbN2at6native12_GLOBAL__N_19NonZeroOpIhEEPKhlEENS0_5tupleIJPlS6_EEENSN_IJSD_SD_EEES6_PiJS6_EEE10hipError_tPvRmT3_T4_T5_T6_T7_T9_mT8_P12ihipStream_tbDpT10_ENKUlT_T0_E_clISt17integral_constantIbLb1EES1A_IbLb0EEEEDaS16_S17_EUlS16_E_NS1_11comp_targetILNS1_3genE8ELNS1_11target_archE1030ELNS1_3gpuE2ELNS1_3repE0EEENS1_30default_config_static_selectorELNS0_4arch9wavefront6targetE0EEEvT1_
; %bb.0:
	.section	.rodata,"a",@progbits
	.p2align	6, 0x0
	.amdhsa_kernel _ZN7rocprim17ROCPRIM_400000_NS6detail17trampoline_kernelINS0_14default_configENS1_25partition_config_selectorILNS1_17partition_subalgoE5ElNS0_10empty_typeEbEEZZNS1_14partition_implILS5_5ELb0ES3_mN6hipcub16HIPCUB_304000_NS21CountingInputIteratorIllEEPS6_NSA_22TransformInputIteratorIbN2at6native12_GLOBAL__N_19NonZeroOpIhEEPKhlEENS0_5tupleIJPlS6_EEENSN_IJSD_SD_EEES6_PiJS6_EEE10hipError_tPvRmT3_T4_T5_T6_T7_T9_mT8_P12ihipStream_tbDpT10_ENKUlT_T0_E_clISt17integral_constantIbLb1EES1A_IbLb0EEEEDaS16_S17_EUlS16_E_NS1_11comp_targetILNS1_3genE8ELNS1_11target_archE1030ELNS1_3gpuE2ELNS1_3repE0EEENS1_30default_config_static_selectorELNS0_4arch9wavefront6targetE0EEEvT1_
		.amdhsa_group_segment_fixed_size 0
		.amdhsa_private_segment_fixed_size 0
		.amdhsa_kernarg_size 120
		.amdhsa_user_sgpr_count 2
		.amdhsa_user_sgpr_dispatch_ptr 0
		.amdhsa_user_sgpr_queue_ptr 0
		.amdhsa_user_sgpr_kernarg_segment_ptr 1
		.amdhsa_user_sgpr_dispatch_id 0
		.amdhsa_user_sgpr_private_segment_size 0
		.amdhsa_wavefront_size32 1
		.amdhsa_uses_dynamic_stack 0
		.amdhsa_enable_private_segment 0
		.amdhsa_system_sgpr_workgroup_id_x 1
		.amdhsa_system_sgpr_workgroup_id_y 0
		.amdhsa_system_sgpr_workgroup_id_z 0
		.amdhsa_system_sgpr_workgroup_info 0
		.amdhsa_system_vgpr_workitem_id 0
		.amdhsa_next_free_vgpr 1
		.amdhsa_next_free_sgpr 1
		.amdhsa_reserve_vcc 0
		.amdhsa_float_round_mode_32 0
		.amdhsa_float_round_mode_16_64 0
		.amdhsa_float_denorm_mode_32 3
		.amdhsa_float_denorm_mode_16_64 3
		.amdhsa_fp16_overflow 0
		.amdhsa_workgroup_processor_mode 1
		.amdhsa_memory_ordered 1
		.amdhsa_forward_progress 1
		.amdhsa_inst_pref_size 0
		.amdhsa_round_robin_scheduling 0
		.amdhsa_exception_fp_ieee_invalid_op 0
		.amdhsa_exception_fp_denorm_src 0
		.amdhsa_exception_fp_ieee_div_zero 0
		.amdhsa_exception_fp_ieee_overflow 0
		.amdhsa_exception_fp_ieee_underflow 0
		.amdhsa_exception_fp_ieee_inexact 0
		.amdhsa_exception_int_div_zero 0
	.end_amdhsa_kernel
	.section	.text._ZN7rocprim17ROCPRIM_400000_NS6detail17trampoline_kernelINS0_14default_configENS1_25partition_config_selectorILNS1_17partition_subalgoE5ElNS0_10empty_typeEbEEZZNS1_14partition_implILS5_5ELb0ES3_mN6hipcub16HIPCUB_304000_NS21CountingInputIteratorIllEEPS6_NSA_22TransformInputIteratorIbN2at6native12_GLOBAL__N_19NonZeroOpIhEEPKhlEENS0_5tupleIJPlS6_EEENSN_IJSD_SD_EEES6_PiJS6_EEE10hipError_tPvRmT3_T4_T5_T6_T7_T9_mT8_P12ihipStream_tbDpT10_ENKUlT_T0_E_clISt17integral_constantIbLb1EES1A_IbLb0EEEEDaS16_S17_EUlS16_E_NS1_11comp_targetILNS1_3genE8ELNS1_11target_archE1030ELNS1_3gpuE2ELNS1_3repE0EEENS1_30default_config_static_selectorELNS0_4arch9wavefront6targetE0EEEvT1_,"axG",@progbits,_ZN7rocprim17ROCPRIM_400000_NS6detail17trampoline_kernelINS0_14default_configENS1_25partition_config_selectorILNS1_17partition_subalgoE5ElNS0_10empty_typeEbEEZZNS1_14partition_implILS5_5ELb0ES3_mN6hipcub16HIPCUB_304000_NS21CountingInputIteratorIllEEPS6_NSA_22TransformInputIteratorIbN2at6native12_GLOBAL__N_19NonZeroOpIhEEPKhlEENS0_5tupleIJPlS6_EEENSN_IJSD_SD_EEES6_PiJS6_EEE10hipError_tPvRmT3_T4_T5_T6_T7_T9_mT8_P12ihipStream_tbDpT10_ENKUlT_T0_E_clISt17integral_constantIbLb1EES1A_IbLb0EEEEDaS16_S17_EUlS16_E_NS1_11comp_targetILNS1_3genE8ELNS1_11target_archE1030ELNS1_3gpuE2ELNS1_3repE0EEENS1_30default_config_static_selectorELNS0_4arch9wavefront6targetE0EEEvT1_,comdat
.Lfunc_end71:
	.size	_ZN7rocprim17ROCPRIM_400000_NS6detail17trampoline_kernelINS0_14default_configENS1_25partition_config_selectorILNS1_17partition_subalgoE5ElNS0_10empty_typeEbEEZZNS1_14partition_implILS5_5ELb0ES3_mN6hipcub16HIPCUB_304000_NS21CountingInputIteratorIllEEPS6_NSA_22TransformInputIteratorIbN2at6native12_GLOBAL__N_19NonZeroOpIhEEPKhlEENS0_5tupleIJPlS6_EEENSN_IJSD_SD_EEES6_PiJS6_EEE10hipError_tPvRmT3_T4_T5_T6_T7_T9_mT8_P12ihipStream_tbDpT10_ENKUlT_T0_E_clISt17integral_constantIbLb1EES1A_IbLb0EEEEDaS16_S17_EUlS16_E_NS1_11comp_targetILNS1_3genE8ELNS1_11target_archE1030ELNS1_3gpuE2ELNS1_3repE0EEENS1_30default_config_static_selectorELNS0_4arch9wavefront6targetE0EEEvT1_, .Lfunc_end71-_ZN7rocprim17ROCPRIM_400000_NS6detail17trampoline_kernelINS0_14default_configENS1_25partition_config_selectorILNS1_17partition_subalgoE5ElNS0_10empty_typeEbEEZZNS1_14partition_implILS5_5ELb0ES3_mN6hipcub16HIPCUB_304000_NS21CountingInputIteratorIllEEPS6_NSA_22TransformInputIteratorIbN2at6native12_GLOBAL__N_19NonZeroOpIhEEPKhlEENS0_5tupleIJPlS6_EEENSN_IJSD_SD_EEES6_PiJS6_EEE10hipError_tPvRmT3_T4_T5_T6_T7_T9_mT8_P12ihipStream_tbDpT10_ENKUlT_T0_E_clISt17integral_constantIbLb1EES1A_IbLb0EEEEDaS16_S17_EUlS16_E_NS1_11comp_targetILNS1_3genE8ELNS1_11target_archE1030ELNS1_3gpuE2ELNS1_3repE0EEENS1_30default_config_static_selectorELNS0_4arch9wavefront6targetE0EEEvT1_
                                        ; -- End function
	.set _ZN7rocprim17ROCPRIM_400000_NS6detail17trampoline_kernelINS0_14default_configENS1_25partition_config_selectorILNS1_17partition_subalgoE5ElNS0_10empty_typeEbEEZZNS1_14partition_implILS5_5ELb0ES3_mN6hipcub16HIPCUB_304000_NS21CountingInputIteratorIllEEPS6_NSA_22TransformInputIteratorIbN2at6native12_GLOBAL__N_19NonZeroOpIhEEPKhlEENS0_5tupleIJPlS6_EEENSN_IJSD_SD_EEES6_PiJS6_EEE10hipError_tPvRmT3_T4_T5_T6_T7_T9_mT8_P12ihipStream_tbDpT10_ENKUlT_T0_E_clISt17integral_constantIbLb1EES1A_IbLb0EEEEDaS16_S17_EUlS16_E_NS1_11comp_targetILNS1_3genE8ELNS1_11target_archE1030ELNS1_3gpuE2ELNS1_3repE0EEENS1_30default_config_static_selectorELNS0_4arch9wavefront6targetE0EEEvT1_.num_vgpr, 0
	.set _ZN7rocprim17ROCPRIM_400000_NS6detail17trampoline_kernelINS0_14default_configENS1_25partition_config_selectorILNS1_17partition_subalgoE5ElNS0_10empty_typeEbEEZZNS1_14partition_implILS5_5ELb0ES3_mN6hipcub16HIPCUB_304000_NS21CountingInputIteratorIllEEPS6_NSA_22TransformInputIteratorIbN2at6native12_GLOBAL__N_19NonZeroOpIhEEPKhlEENS0_5tupleIJPlS6_EEENSN_IJSD_SD_EEES6_PiJS6_EEE10hipError_tPvRmT3_T4_T5_T6_T7_T9_mT8_P12ihipStream_tbDpT10_ENKUlT_T0_E_clISt17integral_constantIbLb1EES1A_IbLb0EEEEDaS16_S17_EUlS16_E_NS1_11comp_targetILNS1_3genE8ELNS1_11target_archE1030ELNS1_3gpuE2ELNS1_3repE0EEENS1_30default_config_static_selectorELNS0_4arch9wavefront6targetE0EEEvT1_.num_agpr, 0
	.set _ZN7rocprim17ROCPRIM_400000_NS6detail17trampoline_kernelINS0_14default_configENS1_25partition_config_selectorILNS1_17partition_subalgoE5ElNS0_10empty_typeEbEEZZNS1_14partition_implILS5_5ELb0ES3_mN6hipcub16HIPCUB_304000_NS21CountingInputIteratorIllEEPS6_NSA_22TransformInputIteratorIbN2at6native12_GLOBAL__N_19NonZeroOpIhEEPKhlEENS0_5tupleIJPlS6_EEENSN_IJSD_SD_EEES6_PiJS6_EEE10hipError_tPvRmT3_T4_T5_T6_T7_T9_mT8_P12ihipStream_tbDpT10_ENKUlT_T0_E_clISt17integral_constantIbLb1EES1A_IbLb0EEEEDaS16_S17_EUlS16_E_NS1_11comp_targetILNS1_3genE8ELNS1_11target_archE1030ELNS1_3gpuE2ELNS1_3repE0EEENS1_30default_config_static_selectorELNS0_4arch9wavefront6targetE0EEEvT1_.numbered_sgpr, 0
	.set _ZN7rocprim17ROCPRIM_400000_NS6detail17trampoline_kernelINS0_14default_configENS1_25partition_config_selectorILNS1_17partition_subalgoE5ElNS0_10empty_typeEbEEZZNS1_14partition_implILS5_5ELb0ES3_mN6hipcub16HIPCUB_304000_NS21CountingInputIteratorIllEEPS6_NSA_22TransformInputIteratorIbN2at6native12_GLOBAL__N_19NonZeroOpIhEEPKhlEENS0_5tupleIJPlS6_EEENSN_IJSD_SD_EEES6_PiJS6_EEE10hipError_tPvRmT3_T4_T5_T6_T7_T9_mT8_P12ihipStream_tbDpT10_ENKUlT_T0_E_clISt17integral_constantIbLb1EES1A_IbLb0EEEEDaS16_S17_EUlS16_E_NS1_11comp_targetILNS1_3genE8ELNS1_11target_archE1030ELNS1_3gpuE2ELNS1_3repE0EEENS1_30default_config_static_selectorELNS0_4arch9wavefront6targetE0EEEvT1_.num_named_barrier, 0
	.set _ZN7rocprim17ROCPRIM_400000_NS6detail17trampoline_kernelINS0_14default_configENS1_25partition_config_selectorILNS1_17partition_subalgoE5ElNS0_10empty_typeEbEEZZNS1_14partition_implILS5_5ELb0ES3_mN6hipcub16HIPCUB_304000_NS21CountingInputIteratorIllEEPS6_NSA_22TransformInputIteratorIbN2at6native12_GLOBAL__N_19NonZeroOpIhEEPKhlEENS0_5tupleIJPlS6_EEENSN_IJSD_SD_EEES6_PiJS6_EEE10hipError_tPvRmT3_T4_T5_T6_T7_T9_mT8_P12ihipStream_tbDpT10_ENKUlT_T0_E_clISt17integral_constantIbLb1EES1A_IbLb0EEEEDaS16_S17_EUlS16_E_NS1_11comp_targetILNS1_3genE8ELNS1_11target_archE1030ELNS1_3gpuE2ELNS1_3repE0EEENS1_30default_config_static_selectorELNS0_4arch9wavefront6targetE0EEEvT1_.private_seg_size, 0
	.set _ZN7rocprim17ROCPRIM_400000_NS6detail17trampoline_kernelINS0_14default_configENS1_25partition_config_selectorILNS1_17partition_subalgoE5ElNS0_10empty_typeEbEEZZNS1_14partition_implILS5_5ELb0ES3_mN6hipcub16HIPCUB_304000_NS21CountingInputIteratorIllEEPS6_NSA_22TransformInputIteratorIbN2at6native12_GLOBAL__N_19NonZeroOpIhEEPKhlEENS0_5tupleIJPlS6_EEENSN_IJSD_SD_EEES6_PiJS6_EEE10hipError_tPvRmT3_T4_T5_T6_T7_T9_mT8_P12ihipStream_tbDpT10_ENKUlT_T0_E_clISt17integral_constantIbLb1EES1A_IbLb0EEEEDaS16_S17_EUlS16_E_NS1_11comp_targetILNS1_3genE8ELNS1_11target_archE1030ELNS1_3gpuE2ELNS1_3repE0EEENS1_30default_config_static_selectorELNS0_4arch9wavefront6targetE0EEEvT1_.uses_vcc, 0
	.set _ZN7rocprim17ROCPRIM_400000_NS6detail17trampoline_kernelINS0_14default_configENS1_25partition_config_selectorILNS1_17partition_subalgoE5ElNS0_10empty_typeEbEEZZNS1_14partition_implILS5_5ELb0ES3_mN6hipcub16HIPCUB_304000_NS21CountingInputIteratorIllEEPS6_NSA_22TransformInputIteratorIbN2at6native12_GLOBAL__N_19NonZeroOpIhEEPKhlEENS0_5tupleIJPlS6_EEENSN_IJSD_SD_EEES6_PiJS6_EEE10hipError_tPvRmT3_T4_T5_T6_T7_T9_mT8_P12ihipStream_tbDpT10_ENKUlT_T0_E_clISt17integral_constantIbLb1EES1A_IbLb0EEEEDaS16_S17_EUlS16_E_NS1_11comp_targetILNS1_3genE8ELNS1_11target_archE1030ELNS1_3gpuE2ELNS1_3repE0EEENS1_30default_config_static_selectorELNS0_4arch9wavefront6targetE0EEEvT1_.uses_flat_scratch, 0
	.set _ZN7rocprim17ROCPRIM_400000_NS6detail17trampoline_kernelINS0_14default_configENS1_25partition_config_selectorILNS1_17partition_subalgoE5ElNS0_10empty_typeEbEEZZNS1_14partition_implILS5_5ELb0ES3_mN6hipcub16HIPCUB_304000_NS21CountingInputIteratorIllEEPS6_NSA_22TransformInputIteratorIbN2at6native12_GLOBAL__N_19NonZeroOpIhEEPKhlEENS0_5tupleIJPlS6_EEENSN_IJSD_SD_EEES6_PiJS6_EEE10hipError_tPvRmT3_T4_T5_T6_T7_T9_mT8_P12ihipStream_tbDpT10_ENKUlT_T0_E_clISt17integral_constantIbLb1EES1A_IbLb0EEEEDaS16_S17_EUlS16_E_NS1_11comp_targetILNS1_3genE8ELNS1_11target_archE1030ELNS1_3gpuE2ELNS1_3repE0EEENS1_30default_config_static_selectorELNS0_4arch9wavefront6targetE0EEEvT1_.has_dyn_sized_stack, 0
	.set _ZN7rocprim17ROCPRIM_400000_NS6detail17trampoline_kernelINS0_14default_configENS1_25partition_config_selectorILNS1_17partition_subalgoE5ElNS0_10empty_typeEbEEZZNS1_14partition_implILS5_5ELb0ES3_mN6hipcub16HIPCUB_304000_NS21CountingInputIteratorIllEEPS6_NSA_22TransformInputIteratorIbN2at6native12_GLOBAL__N_19NonZeroOpIhEEPKhlEENS0_5tupleIJPlS6_EEENSN_IJSD_SD_EEES6_PiJS6_EEE10hipError_tPvRmT3_T4_T5_T6_T7_T9_mT8_P12ihipStream_tbDpT10_ENKUlT_T0_E_clISt17integral_constantIbLb1EES1A_IbLb0EEEEDaS16_S17_EUlS16_E_NS1_11comp_targetILNS1_3genE8ELNS1_11target_archE1030ELNS1_3gpuE2ELNS1_3repE0EEENS1_30default_config_static_selectorELNS0_4arch9wavefront6targetE0EEEvT1_.has_recursion, 0
	.set _ZN7rocprim17ROCPRIM_400000_NS6detail17trampoline_kernelINS0_14default_configENS1_25partition_config_selectorILNS1_17partition_subalgoE5ElNS0_10empty_typeEbEEZZNS1_14partition_implILS5_5ELb0ES3_mN6hipcub16HIPCUB_304000_NS21CountingInputIteratorIllEEPS6_NSA_22TransformInputIteratorIbN2at6native12_GLOBAL__N_19NonZeroOpIhEEPKhlEENS0_5tupleIJPlS6_EEENSN_IJSD_SD_EEES6_PiJS6_EEE10hipError_tPvRmT3_T4_T5_T6_T7_T9_mT8_P12ihipStream_tbDpT10_ENKUlT_T0_E_clISt17integral_constantIbLb1EES1A_IbLb0EEEEDaS16_S17_EUlS16_E_NS1_11comp_targetILNS1_3genE8ELNS1_11target_archE1030ELNS1_3gpuE2ELNS1_3repE0EEENS1_30default_config_static_selectorELNS0_4arch9wavefront6targetE0EEEvT1_.has_indirect_call, 0
	.section	.AMDGPU.csdata,"",@progbits
; Kernel info:
; codeLenInByte = 0
; TotalNumSgprs: 0
; NumVgprs: 0
; ScratchSize: 0
; MemoryBound: 0
; FloatMode: 240
; IeeeMode: 1
; LDSByteSize: 0 bytes/workgroup (compile time only)
; SGPRBlocks: 0
; VGPRBlocks: 0
; NumSGPRsForWavesPerEU: 1
; NumVGPRsForWavesPerEU: 1
; Occupancy: 16
; WaveLimiterHint : 0
; COMPUTE_PGM_RSRC2:SCRATCH_EN: 0
; COMPUTE_PGM_RSRC2:USER_SGPR: 2
; COMPUTE_PGM_RSRC2:TRAP_HANDLER: 0
; COMPUTE_PGM_RSRC2:TGID_X_EN: 1
; COMPUTE_PGM_RSRC2:TGID_Y_EN: 0
; COMPUTE_PGM_RSRC2:TGID_Z_EN: 0
; COMPUTE_PGM_RSRC2:TIDIG_COMP_CNT: 0
	.section	.text._ZN7rocprim17ROCPRIM_400000_NS6detail31init_lookback_scan_state_kernelINS1_19lookback_scan_stateImLb0ELb1EEENS1_16block_id_wrapperIjLb1EEEEEvT_jT0_jPNS7_10value_typeE,"axG",@progbits,_ZN7rocprim17ROCPRIM_400000_NS6detail31init_lookback_scan_state_kernelINS1_19lookback_scan_stateImLb0ELb1EEENS1_16block_id_wrapperIjLb1EEEEEvT_jT0_jPNS7_10value_typeE,comdat
	.protected	_ZN7rocprim17ROCPRIM_400000_NS6detail31init_lookback_scan_state_kernelINS1_19lookback_scan_stateImLb0ELb1EEENS1_16block_id_wrapperIjLb1EEEEEvT_jT0_jPNS7_10value_typeE ; -- Begin function _ZN7rocprim17ROCPRIM_400000_NS6detail31init_lookback_scan_state_kernelINS1_19lookback_scan_stateImLb0ELb1EEENS1_16block_id_wrapperIjLb1EEEEEvT_jT0_jPNS7_10value_typeE
	.globl	_ZN7rocprim17ROCPRIM_400000_NS6detail31init_lookback_scan_state_kernelINS1_19lookback_scan_stateImLb0ELb1EEENS1_16block_id_wrapperIjLb1EEEEEvT_jT0_jPNS7_10value_typeE
	.p2align	8
	.type	_ZN7rocprim17ROCPRIM_400000_NS6detail31init_lookback_scan_state_kernelINS1_19lookback_scan_stateImLb0ELb1EEENS1_16block_id_wrapperIjLb1EEEEEvT_jT0_jPNS7_10value_typeE,@function
_ZN7rocprim17ROCPRIM_400000_NS6detail31init_lookback_scan_state_kernelINS1_19lookback_scan_stateImLb0ELb1EEENS1_16block_id_wrapperIjLb1EEEEEvT_jT0_jPNS7_10value_typeE: ; @_ZN7rocprim17ROCPRIM_400000_NS6detail31init_lookback_scan_state_kernelINS1_19lookback_scan_stateImLb0ELb1EEENS1_16block_id_wrapperIjLb1EEEEEvT_jT0_jPNS7_10value_typeE
; %bb.0:
	s_clause 0x2
	s_load_b32 s7, s[0:1], 0x34
	s_load_b64 s[2:3], s[0:1], 0x20
	s_load_b96 s[4:6], s[0:1], 0x0
	s_wait_kmcnt 0x0
	s_and_b32 s7, s7, 0xffff
	s_cmp_eq_u64 s[2:3], 0
	v_mad_co_u64_u32 v[0:1], null, ttmp9, s7, v[0:1]
	s_cbranch_scc1 .LBB72_8
; %bb.1:
	s_load_b32 s8, s[0:1], 0x18
	s_mov_b32 s9, 0
	s_wait_kmcnt 0x0
	s_cmp_lt_u32 s8, s6
	s_cselect_b32 s7, s8, 0
	s_wait_alu 0xfffe
	v_cmp_eq_u32_e32 vcc_lo, s7, v0
	s_and_saveexec_b32 s7, vcc_lo
	s_cbranch_execz .LBB72_7
; %bb.2:
	s_add_co_i32 s8, s8, 32
	s_mov_b32 s10, exec_lo
	s_lshl_b64 s[8:9], s[8:9], 4
	v_mov_b32_e32 v5, 0
	s_add_nc_u64 s[8:9], s[4:5], s[8:9]
	s_delay_alu instid0(SALU_CYCLE_1) | instskip(SKIP_2) | instid1(VALU_DEP_1)
	v_dual_mov_b32 v1, s8 :: v_dual_mov_b32 v2, s9
	;;#ASMSTART
	global_load_b128 v[1:4], v[1:2] off scope:SCOPE_DEV	
s_wait_loadcnt 0x0
	;;#ASMEND
	v_and_b32_e32 v4, 0xff, v3
	v_cmpx_eq_u64_e32 0, v[4:5]
	s_cbranch_execz .LBB72_6
; %bb.3:
	v_dual_mov_b32 v6, s8 :: v_dual_mov_b32 v7, s9
	s_mov_b32 s8, 0
.LBB72_4:                               ; =>This Inner Loop Header: Depth=1
	;;#ASMSTART
	global_load_b128 v[1:4], v[6:7] off scope:SCOPE_DEV	
s_wait_loadcnt 0x0
	;;#ASMEND
	v_and_b32_e32 v4, 0xff, v3
	s_delay_alu instid0(VALU_DEP_1)
	v_cmp_ne_u64_e32 vcc_lo, 0, v[4:5]
	s_wait_alu 0xfffe
	s_or_b32 s8, vcc_lo, s8
	s_wait_alu 0xfffe
	s_and_not1_b32 exec_lo, exec_lo, s8
	s_cbranch_execnz .LBB72_4
; %bb.5:
	s_or_b32 exec_lo, exec_lo, s8
.LBB72_6:
	s_delay_alu instid0(SALU_CYCLE_1)
	s_or_b32 exec_lo, exec_lo, s10
	v_mov_b32_e32 v3, 0
	global_store_b64 v3, v[1:2], s[2:3]
.LBB72_7:
	s_wait_alu 0xfffe
	s_or_b32 exec_lo, exec_lo, s7
.LBB72_8:
	s_delay_alu instid0(SALU_CYCLE_1)
	s_mov_b32 s2, exec_lo
	v_cmpx_eq_u32_e32 0, v0
	s_cbranch_execz .LBB72_10
; %bb.9:
	s_load_b64 s[0:1], s[0:1], 0x10
	v_mov_b32_e32 v1, 0
	s_wait_kmcnt 0x0
	global_store_b32 v1, v1, s[0:1]
.LBB72_10:
	s_or_b32 exec_lo, exec_lo, s2
	s_delay_alu instid0(SALU_CYCLE_1)
	s_mov_b32 s0, exec_lo
	v_cmpx_gt_u32_e64 s6, v0
	s_cbranch_execz .LBB72_12
; %bb.11:
	v_dual_mov_b32 v2, 0 :: v_dual_add_nc_u32 v1, 32, v0
	s_delay_alu instid0(VALU_DEP_1) | instskip(SKIP_2) | instid1(VALU_DEP_3)
	v_lshlrev_b64_e32 v[4:5], 4, v[1:2]
	v_mov_b32_e32 v1, v2
	v_mov_b32_e32 v3, v2
	v_add_co_u32 v6, vcc_lo, s4, v4
	s_delay_alu instid0(VALU_DEP_1)
	v_add_co_ci_u32_e64 v7, null, s5, v5, vcc_lo
	v_mov_b32_e32 v4, v2
	global_store_b128 v[6:7], v[1:4], off
.LBB72_12:
	s_wait_alu 0xfffe
	s_or_b32 exec_lo, exec_lo, s0
	s_delay_alu instid0(SALU_CYCLE_1)
	s_mov_b32 s0, exec_lo
	v_cmpx_gt_u32_e32 32, v0
	s_cbranch_execz .LBB72_14
; %bb.13:
	v_dual_mov_b32 v1, 0 :: v_dual_mov_b32 v2, 0xff
	s_delay_alu instid0(VALU_DEP_1) | instskip(SKIP_1) | instid1(VALU_DEP_2)
	v_lshlrev_b64_e32 v[3:4], 4, v[0:1]
	v_mov_b32_e32 v0, v1
	v_add_co_u32 v5, vcc_lo, s4, v3
	s_wait_alu 0xfffd
	s_delay_alu instid0(VALU_DEP_3)
	v_add_co_ci_u32_e64 v6, null, s5, v4, vcc_lo
	v_mov_b32_e32 v3, v1
	global_store_b128 v[5:6], v[0:3], off
.LBB72_14:
	s_endpgm
	.section	.rodata,"a",@progbits
	.p2align	6, 0x0
	.amdhsa_kernel _ZN7rocprim17ROCPRIM_400000_NS6detail31init_lookback_scan_state_kernelINS1_19lookback_scan_stateImLb0ELb1EEENS1_16block_id_wrapperIjLb1EEEEEvT_jT0_jPNS7_10value_typeE
		.amdhsa_group_segment_fixed_size 0
		.amdhsa_private_segment_fixed_size 0
		.amdhsa_kernarg_size 296
		.amdhsa_user_sgpr_count 2
		.amdhsa_user_sgpr_dispatch_ptr 0
		.amdhsa_user_sgpr_queue_ptr 0
		.amdhsa_user_sgpr_kernarg_segment_ptr 1
		.amdhsa_user_sgpr_dispatch_id 0
		.amdhsa_user_sgpr_private_segment_size 0
		.amdhsa_wavefront_size32 1
		.amdhsa_uses_dynamic_stack 0
		.amdhsa_enable_private_segment 0
		.amdhsa_system_sgpr_workgroup_id_x 1
		.amdhsa_system_sgpr_workgroup_id_y 0
		.amdhsa_system_sgpr_workgroup_id_z 0
		.amdhsa_system_sgpr_workgroup_info 0
		.amdhsa_system_vgpr_workitem_id 0
		.amdhsa_next_free_vgpr 8
		.amdhsa_next_free_sgpr 11
		.amdhsa_reserve_vcc 1
		.amdhsa_float_round_mode_32 0
		.amdhsa_float_round_mode_16_64 0
		.amdhsa_float_denorm_mode_32 3
		.amdhsa_float_denorm_mode_16_64 3
		.amdhsa_fp16_overflow 0
		.amdhsa_workgroup_processor_mode 1
		.amdhsa_memory_ordered 1
		.amdhsa_forward_progress 1
		.amdhsa_inst_pref_size 4
		.amdhsa_round_robin_scheduling 0
		.amdhsa_exception_fp_ieee_invalid_op 0
		.amdhsa_exception_fp_denorm_src 0
		.amdhsa_exception_fp_ieee_div_zero 0
		.amdhsa_exception_fp_ieee_overflow 0
		.amdhsa_exception_fp_ieee_underflow 0
		.amdhsa_exception_fp_ieee_inexact 0
		.amdhsa_exception_int_div_zero 0
	.end_amdhsa_kernel
	.section	.text._ZN7rocprim17ROCPRIM_400000_NS6detail31init_lookback_scan_state_kernelINS1_19lookback_scan_stateImLb0ELb1EEENS1_16block_id_wrapperIjLb1EEEEEvT_jT0_jPNS7_10value_typeE,"axG",@progbits,_ZN7rocprim17ROCPRIM_400000_NS6detail31init_lookback_scan_state_kernelINS1_19lookback_scan_stateImLb0ELb1EEENS1_16block_id_wrapperIjLb1EEEEEvT_jT0_jPNS7_10value_typeE,comdat
.Lfunc_end72:
	.size	_ZN7rocprim17ROCPRIM_400000_NS6detail31init_lookback_scan_state_kernelINS1_19lookback_scan_stateImLb0ELb1EEENS1_16block_id_wrapperIjLb1EEEEEvT_jT0_jPNS7_10value_typeE, .Lfunc_end72-_ZN7rocprim17ROCPRIM_400000_NS6detail31init_lookback_scan_state_kernelINS1_19lookback_scan_stateImLb0ELb1EEENS1_16block_id_wrapperIjLb1EEEEEvT_jT0_jPNS7_10value_typeE
                                        ; -- End function
	.set _ZN7rocprim17ROCPRIM_400000_NS6detail31init_lookback_scan_state_kernelINS1_19lookback_scan_stateImLb0ELb1EEENS1_16block_id_wrapperIjLb1EEEEEvT_jT0_jPNS7_10value_typeE.num_vgpr, 8
	.set _ZN7rocprim17ROCPRIM_400000_NS6detail31init_lookback_scan_state_kernelINS1_19lookback_scan_stateImLb0ELb1EEENS1_16block_id_wrapperIjLb1EEEEEvT_jT0_jPNS7_10value_typeE.num_agpr, 0
	.set _ZN7rocprim17ROCPRIM_400000_NS6detail31init_lookback_scan_state_kernelINS1_19lookback_scan_stateImLb0ELb1EEENS1_16block_id_wrapperIjLb1EEEEEvT_jT0_jPNS7_10value_typeE.numbered_sgpr, 11
	.set _ZN7rocprim17ROCPRIM_400000_NS6detail31init_lookback_scan_state_kernelINS1_19lookback_scan_stateImLb0ELb1EEENS1_16block_id_wrapperIjLb1EEEEEvT_jT0_jPNS7_10value_typeE.num_named_barrier, 0
	.set _ZN7rocprim17ROCPRIM_400000_NS6detail31init_lookback_scan_state_kernelINS1_19lookback_scan_stateImLb0ELb1EEENS1_16block_id_wrapperIjLb1EEEEEvT_jT0_jPNS7_10value_typeE.private_seg_size, 0
	.set _ZN7rocprim17ROCPRIM_400000_NS6detail31init_lookback_scan_state_kernelINS1_19lookback_scan_stateImLb0ELb1EEENS1_16block_id_wrapperIjLb1EEEEEvT_jT0_jPNS7_10value_typeE.uses_vcc, 1
	.set _ZN7rocprim17ROCPRIM_400000_NS6detail31init_lookback_scan_state_kernelINS1_19lookback_scan_stateImLb0ELb1EEENS1_16block_id_wrapperIjLb1EEEEEvT_jT0_jPNS7_10value_typeE.uses_flat_scratch, 0
	.set _ZN7rocprim17ROCPRIM_400000_NS6detail31init_lookback_scan_state_kernelINS1_19lookback_scan_stateImLb0ELb1EEENS1_16block_id_wrapperIjLb1EEEEEvT_jT0_jPNS7_10value_typeE.has_dyn_sized_stack, 0
	.set _ZN7rocprim17ROCPRIM_400000_NS6detail31init_lookback_scan_state_kernelINS1_19lookback_scan_stateImLb0ELb1EEENS1_16block_id_wrapperIjLb1EEEEEvT_jT0_jPNS7_10value_typeE.has_recursion, 0
	.set _ZN7rocprim17ROCPRIM_400000_NS6detail31init_lookback_scan_state_kernelINS1_19lookback_scan_stateImLb0ELb1EEENS1_16block_id_wrapperIjLb1EEEEEvT_jT0_jPNS7_10value_typeE.has_indirect_call, 0
	.section	.AMDGPU.csdata,"",@progbits
; Kernel info:
; codeLenInByte = 448
; TotalNumSgprs: 13
; NumVgprs: 8
; ScratchSize: 0
; MemoryBound: 0
; FloatMode: 240
; IeeeMode: 1
; LDSByteSize: 0 bytes/workgroup (compile time only)
; SGPRBlocks: 0
; VGPRBlocks: 0
; NumSGPRsForWavesPerEU: 13
; NumVGPRsForWavesPerEU: 8
; Occupancy: 16
; WaveLimiterHint : 0
; COMPUTE_PGM_RSRC2:SCRATCH_EN: 0
; COMPUTE_PGM_RSRC2:USER_SGPR: 2
; COMPUTE_PGM_RSRC2:TRAP_HANDLER: 0
; COMPUTE_PGM_RSRC2:TGID_X_EN: 1
; COMPUTE_PGM_RSRC2:TGID_Y_EN: 0
; COMPUTE_PGM_RSRC2:TGID_Z_EN: 0
; COMPUTE_PGM_RSRC2:TIDIG_COMP_CNT: 0
	.section	.text._ZN7rocprim17ROCPRIM_400000_NS6detail17trampoline_kernelINS0_14default_configENS1_25partition_config_selectorILNS1_17partition_subalgoE5ElNS0_10empty_typeEbEEZZNS1_14partition_implILS5_5ELb0ES3_mN6hipcub16HIPCUB_304000_NS21CountingInputIteratorIllEEPS6_NSA_22TransformInputIteratorIbN2at6native12_GLOBAL__N_19NonZeroOpIhEEPKhlEENS0_5tupleIJPlS6_EEENSN_IJSD_SD_EEES6_PiJS6_EEE10hipError_tPvRmT3_T4_T5_T6_T7_T9_mT8_P12ihipStream_tbDpT10_ENKUlT_T0_E_clISt17integral_constantIbLb0EES1A_IbLb1EEEEDaS16_S17_EUlS16_E_NS1_11comp_targetILNS1_3genE0ELNS1_11target_archE4294967295ELNS1_3gpuE0ELNS1_3repE0EEENS1_30default_config_static_selectorELNS0_4arch9wavefront6targetE0EEEvT1_,"axG",@progbits,_ZN7rocprim17ROCPRIM_400000_NS6detail17trampoline_kernelINS0_14default_configENS1_25partition_config_selectorILNS1_17partition_subalgoE5ElNS0_10empty_typeEbEEZZNS1_14partition_implILS5_5ELb0ES3_mN6hipcub16HIPCUB_304000_NS21CountingInputIteratorIllEEPS6_NSA_22TransformInputIteratorIbN2at6native12_GLOBAL__N_19NonZeroOpIhEEPKhlEENS0_5tupleIJPlS6_EEENSN_IJSD_SD_EEES6_PiJS6_EEE10hipError_tPvRmT3_T4_T5_T6_T7_T9_mT8_P12ihipStream_tbDpT10_ENKUlT_T0_E_clISt17integral_constantIbLb0EES1A_IbLb1EEEEDaS16_S17_EUlS16_E_NS1_11comp_targetILNS1_3genE0ELNS1_11target_archE4294967295ELNS1_3gpuE0ELNS1_3repE0EEENS1_30default_config_static_selectorELNS0_4arch9wavefront6targetE0EEEvT1_,comdat
	.globl	_ZN7rocprim17ROCPRIM_400000_NS6detail17trampoline_kernelINS0_14default_configENS1_25partition_config_selectorILNS1_17partition_subalgoE5ElNS0_10empty_typeEbEEZZNS1_14partition_implILS5_5ELb0ES3_mN6hipcub16HIPCUB_304000_NS21CountingInputIteratorIllEEPS6_NSA_22TransformInputIteratorIbN2at6native12_GLOBAL__N_19NonZeroOpIhEEPKhlEENS0_5tupleIJPlS6_EEENSN_IJSD_SD_EEES6_PiJS6_EEE10hipError_tPvRmT3_T4_T5_T6_T7_T9_mT8_P12ihipStream_tbDpT10_ENKUlT_T0_E_clISt17integral_constantIbLb0EES1A_IbLb1EEEEDaS16_S17_EUlS16_E_NS1_11comp_targetILNS1_3genE0ELNS1_11target_archE4294967295ELNS1_3gpuE0ELNS1_3repE0EEENS1_30default_config_static_selectorELNS0_4arch9wavefront6targetE0EEEvT1_ ; -- Begin function _ZN7rocprim17ROCPRIM_400000_NS6detail17trampoline_kernelINS0_14default_configENS1_25partition_config_selectorILNS1_17partition_subalgoE5ElNS0_10empty_typeEbEEZZNS1_14partition_implILS5_5ELb0ES3_mN6hipcub16HIPCUB_304000_NS21CountingInputIteratorIllEEPS6_NSA_22TransformInputIteratorIbN2at6native12_GLOBAL__N_19NonZeroOpIhEEPKhlEENS0_5tupleIJPlS6_EEENSN_IJSD_SD_EEES6_PiJS6_EEE10hipError_tPvRmT3_T4_T5_T6_T7_T9_mT8_P12ihipStream_tbDpT10_ENKUlT_T0_E_clISt17integral_constantIbLb0EES1A_IbLb1EEEEDaS16_S17_EUlS16_E_NS1_11comp_targetILNS1_3genE0ELNS1_11target_archE4294967295ELNS1_3gpuE0ELNS1_3repE0EEENS1_30default_config_static_selectorELNS0_4arch9wavefront6targetE0EEEvT1_
	.p2align	8
	.type	_ZN7rocprim17ROCPRIM_400000_NS6detail17trampoline_kernelINS0_14default_configENS1_25partition_config_selectorILNS1_17partition_subalgoE5ElNS0_10empty_typeEbEEZZNS1_14partition_implILS5_5ELb0ES3_mN6hipcub16HIPCUB_304000_NS21CountingInputIteratorIllEEPS6_NSA_22TransformInputIteratorIbN2at6native12_GLOBAL__N_19NonZeroOpIhEEPKhlEENS0_5tupleIJPlS6_EEENSN_IJSD_SD_EEES6_PiJS6_EEE10hipError_tPvRmT3_T4_T5_T6_T7_T9_mT8_P12ihipStream_tbDpT10_ENKUlT_T0_E_clISt17integral_constantIbLb0EES1A_IbLb1EEEEDaS16_S17_EUlS16_E_NS1_11comp_targetILNS1_3genE0ELNS1_11target_archE4294967295ELNS1_3gpuE0ELNS1_3repE0EEENS1_30default_config_static_selectorELNS0_4arch9wavefront6targetE0EEEvT1_,@function
_ZN7rocprim17ROCPRIM_400000_NS6detail17trampoline_kernelINS0_14default_configENS1_25partition_config_selectorILNS1_17partition_subalgoE5ElNS0_10empty_typeEbEEZZNS1_14partition_implILS5_5ELb0ES3_mN6hipcub16HIPCUB_304000_NS21CountingInputIteratorIllEEPS6_NSA_22TransformInputIteratorIbN2at6native12_GLOBAL__N_19NonZeroOpIhEEPKhlEENS0_5tupleIJPlS6_EEENSN_IJSD_SD_EEES6_PiJS6_EEE10hipError_tPvRmT3_T4_T5_T6_T7_T9_mT8_P12ihipStream_tbDpT10_ENKUlT_T0_E_clISt17integral_constantIbLb0EES1A_IbLb1EEEEDaS16_S17_EUlS16_E_NS1_11comp_targetILNS1_3genE0ELNS1_11target_archE4294967295ELNS1_3gpuE0ELNS1_3repE0EEENS1_30default_config_static_selectorELNS0_4arch9wavefront6targetE0EEEvT1_: ; @_ZN7rocprim17ROCPRIM_400000_NS6detail17trampoline_kernelINS0_14default_configENS1_25partition_config_selectorILNS1_17partition_subalgoE5ElNS0_10empty_typeEbEEZZNS1_14partition_implILS5_5ELb0ES3_mN6hipcub16HIPCUB_304000_NS21CountingInputIteratorIllEEPS6_NSA_22TransformInputIteratorIbN2at6native12_GLOBAL__N_19NonZeroOpIhEEPKhlEENS0_5tupleIJPlS6_EEENSN_IJSD_SD_EEES6_PiJS6_EEE10hipError_tPvRmT3_T4_T5_T6_T7_T9_mT8_P12ihipStream_tbDpT10_ENKUlT_T0_E_clISt17integral_constantIbLb0EES1A_IbLb1EEEEDaS16_S17_EUlS16_E_NS1_11comp_targetILNS1_3genE0ELNS1_11target_archE4294967295ELNS1_3gpuE0ELNS1_3repE0EEENS1_30default_config_static_selectorELNS0_4arch9wavefront6targetE0EEEvT1_
; %bb.0:
	.section	.rodata,"a",@progbits
	.p2align	6, 0x0
	.amdhsa_kernel _ZN7rocprim17ROCPRIM_400000_NS6detail17trampoline_kernelINS0_14default_configENS1_25partition_config_selectorILNS1_17partition_subalgoE5ElNS0_10empty_typeEbEEZZNS1_14partition_implILS5_5ELb0ES3_mN6hipcub16HIPCUB_304000_NS21CountingInputIteratorIllEEPS6_NSA_22TransformInputIteratorIbN2at6native12_GLOBAL__N_19NonZeroOpIhEEPKhlEENS0_5tupleIJPlS6_EEENSN_IJSD_SD_EEES6_PiJS6_EEE10hipError_tPvRmT3_T4_T5_T6_T7_T9_mT8_P12ihipStream_tbDpT10_ENKUlT_T0_E_clISt17integral_constantIbLb0EES1A_IbLb1EEEEDaS16_S17_EUlS16_E_NS1_11comp_targetILNS1_3genE0ELNS1_11target_archE4294967295ELNS1_3gpuE0ELNS1_3repE0EEENS1_30default_config_static_selectorELNS0_4arch9wavefront6targetE0EEEvT1_
		.amdhsa_group_segment_fixed_size 0
		.amdhsa_private_segment_fixed_size 0
		.amdhsa_kernarg_size 136
		.amdhsa_user_sgpr_count 2
		.amdhsa_user_sgpr_dispatch_ptr 0
		.amdhsa_user_sgpr_queue_ptr 0
		.amdhsa_user_sgpr_kernarg_segment_ptr 1
		.amdhsa_user_sgpr_dispatch_id 0
		.amdhsa_user_sgpr_private_segment_size 0
		.amdhsa_wavefront_size32 1
		.amdhsa_uses_dynamic_stack 0
		.amdhsa_enable_private_segment 0
		.amdhsa_system_sgpr_workgroup_id_x 1
		.amdhsa_system_sgpr_workgroup_id_y 0
		.amdhsa_system_sgpr_workgroup_id_z 0
		.amdhsa_system_sgpr_workgroup_info 0
		.amdhsa_system_vgpr_workitem_id 0
		.amdhsa_next_free_vgpr 1
		.amdhsa_next_free_sgpr 1
		.amdhsa_reserve_vcc 0
		.amdhsa_float_round_mode_32 0
		.amdhsa_float_round_mode_16_64 0
		.amdhsa_float_denorm_mode_32 3
		.amdhsa_float_denorm_mode_16_64 3
		.amdhsa_fp16_overflow 0
		.amdhsa_workgroup_processor_mode 1
		.amdhsa_memory_ordered 1
		.amdhsa_forward_progress 1
		.amdhsa_inst_pref_size 0
		.amdhsa_round_robin_scheduling 0
		.amdhsa_exception_fp_ieee_invalid_op 0
		.amdhsa_exception_fp_denorm_src 0
		.amdhsa_exception_fp_ieee_div_zero 0
		.amdhsa_exception_fp_ieee_overflow 0
		.amdhsa_exception_fp_ieee_underflow 0
		.amdhsa_exception_fp_ieee_inexact 0
		.amdhsa_exception_int_div_zero 0
	.end_amdhsa_kernel
	.section	.text._ZN7rocprim17ROCPRIM_400000_NS6detail17trampoline_kernelINS0_14default_configENS1_25partition_config_selectorILNS1_17partition_subalgoE5ElNS0_10empty_typeEbEEZZNS1_14partition_implILS5_5ELb0ES3_mN6hipcub16HIPCUB_304000_NS21CountingInputIteratorIllEEPS6_NSA_22TransformInputIteratorIbN2at6native12_GLOBAL__N_19NonZeroOpIhEEPKhlEENS0_5tupleIJPlS6_EEENSN_IJSD_SD_EEES6_PiJS6_EEE10hipError_tPvRmT3_T4_T5_T6_T7_T9_mT8_P12ihipStream_tbDpT10_ENKUlT_T0_E_clISt17integral_constantIbLb0EES1A_IbLb1EEEEDaS16_S17_EUlS16_E_NS1_11comp_targetILNS1_3genE0ELNS1_11target_archE4294967295ELNS1_3gpuE0ELNS1_3repE0EEENS1_30default_config_static_selectorELNS0_4arch9wavefront6targetE0EEEvT1_,"axG",@progbits,_ZN7rocprim17ROCPRIM_400000_NS6detail17trampoline_kernelINS0_14default_configENS1_25partition_config_selectorILNS1_17partition_subalgoE5ElNS0_10empty_typeEbEEZZNS1_14partition_implILS5_5ELb0ES3_mN6hipcub16HIPCUB_304000_NS21CountingInputIteratorIllEEPS6_NSA_22TransformInputIteratorIbN2at6native12_GLOBAL__N_19NonZeroOpIhEEPKhlEENS0_5tupleIJPlS6_EEENSN_IJSD_SD_EEES6_PiJS6_EEE10hipError_tPvRmT3_T4_T5_T6_T7_T9_mT8_P12ihipStream_tbDpT10_ENKUlT_T0_E_clISt17integral_constantIbLb0EES1A_IbLb1EEEEDaS16_S17_EUlS16_E_NS1_11comp_targetILNS1_3genE0ELNS1_11target_archE4294967295ELNS1_3gpuE0ELNS1_3repE0EEENS1_30default_config_static_selectorELNS0_4arch9wavefront6targetE0EEEvT1_,comdat
.Lfunc_end73:
	.size	_ZN7rocprim17ROCPRIM_400000_NS6detail17trampoline_kernelINS0_14default_configENS1_25partition_config_selectorILNS1_17partition_subalgoE5ElNS0_10empty_typeEbEEZZNS1_14partition_implILS5_5ELb0ES3_mN6hipcub16HIPCUB_304000_NS21CountingInputIteratorIllEEPS6_NSA_22TransformInputIteratorIbN2at6native12_GLOBAL__N_19NonZeroOpIhEEPKhlEENS0_5tupleIJPlS6_EEENSN_IJSD_SD_EEES6_PiJS6_EEE10hipError_tPvRmT3_T4_T5_T6_T7_T9_mT8_P12ihipStream_tbDpT10_ENKUlT_T0_E_clISt17integral_constantIbLb0EES1A_IbLb1EEEEDaS16_S17_EUlS16_E_NS1_11comp_targetILNS1_3genE0ELNS1_11target_archE4294967295ELNS1_3gpuE0ELNS1_3repE0EEENS1_30default_config_static_selectorELNS0_4arch9wavefront6targetE0EEEvT1_, .Lfunc_end73-_ZN7rocprim17ROCPRIM_400000_NS6detail17trampoline_kernelINS0_14default_configENS1_25partition_config_selectorILNS1_17partition_subalgoE5ElNS0_10empty_typeEbEEZZNS1_14partition_implILS5_5ELb0ES3_mN6hipcub16HIPCUB_304000_NS21CountingInputIteratorIllEEPS6_NSA_22TransformInputIteratorIbN2at6native12_GLOBAL__N_19NonZeroOpIhEEPKhlEENS0_5tupleIJPlS6_EEENSN_IJSD_SD_EEES6_PiJS6_EEE10hipError_tPvRmT3_T4_T5_T6_T7_T9_mT8_P12ihipStream_tbDpT10_ENKUlT_T0_E_clISt17integral_constantIbLb0EES1A_IbLb1EEEEDaS16_S17_EUlS16_E_NS1_11comp_targetILNS1_3genE0ELNS1_11target_archE4294967295ELNS1_3gpuE0ELNS1_3repE0EEENS1_30default_config_static_selectorELNS0_4arch9wavefront6targetE0EEEvT1_
                                        ; -- End function
	.set _ZN7rocprim17ROCPRIM_400000_NS6detail17trampoline_kernelINS0_14default_configENS1_25partition_config_selectorILNS1_17partition_subalgoE5ElNS0_10empty_typeEbEEZZNS1_14partition_implILS5_5ELb0ES3_mN6hipcub16HIPCUB_304000_NS21CountingInputIteratorIllEEPS6_NSA_22TransformInputIteratorIbN2at6native12_GLOBAL__N_19NonZeroOpIhEEPKhlEENS0_5tupleIJPlS6_EEENSN_IJSD_SD_EEES6_PiJS6_EEE10hipError_tPvRmT3_T4_T5_T6_T7_T9_mT8_P12ihipStream_tbDpT10_ENKUlT_T0_E_clISt17integral_constantIbLb0EES1A_IbLb1EEEEDaS16_S17_EUlS16_E_NS1_11comp_targetILNS1_3genE0ELNS1_11target_archE4294967295ELNS1_3gpuE0ELNS1_3repE0EEENS1_30default_config_static_selectorELNS0_4arch9wavefront6targetE0EEEvT1_.num_vgpr, 0
	.set _ZN7rocprim17ROCPRIM_400000_NS6detail17trampoline_kernelINS0_14default_configENS1_25partition_config_selectorILNS1_17partition_subalgoE5ElNS0_10empty_typeEbEEZZNS1_14partition_implILS5_5ELb0ES3_mN6hipcub16HIPCUB_304000_NS21CountingInputIteratorIllEEPS6_NSA_22TransformInputIteratorIbN2at6native12_GLOBAL__N_19NonZeroOpIhEEPKhlEENS0_5tupleIJPlS6_EEENSN_IJSD_SD_EEES6_PiJS6_EEE10hipError_tPvRmT3_T4_T5_T6_T7_T9_mT8_P12ihipStream_tbDpT10_ENKUlT_T0_E_clISt17integral_constantIbLb0EES1A_IbLb1EEEEDaS16_S17_EUlS16_E_NS1_11comp_targetILNS1_3genE0ELNS1_11target_archE4294967295ELNS1_3gpuE0ELNS1_3repE0EEENS1_30default_config_static_selectorELNS0_4arch9wavefront6targetE0EEEvT1_.num_agpr, 0
	.set _ZN7rocprim17ROCPRIM_400000_NS6detail17trampoline_kernelINS0_14default_configENS1_25partition_config_selectorILNS1_17partition_subalgoE5ElNS0_10empty_typeEbEEZZNS1_14partition_implILS5_5ELb0ES3_mN6hipcub16HIPCUB_304000_NS21CountingInputIteratorIllEEPS6_NSA_22TransformInputIteratorIbN2at6native12_GLOBAL__N_19NonZeroOpIhEEPKhlEENS0_5tupleIJPlS6_EEENSN_IJSD_SD_EEES6_PiJS6_EEE10hipError_tPvRmT3_T4_T5_T6_T7_T9_mT8_P12ihipStream_tbDpT10_ENKUlT_T0_E_clISt17integral_constantIbLb0EES1A_IbLb1EEEEDaS16_S17_EUlS16_E_NS1_11comp_targetILNS1_3genE0ELNS1_11target_archE4294967295ELNS1_3gpuE0ELNS1_3repE0EEENS1_30default_config_static_selectorELNS0_4arch9wavefront6targetE0EEEvT1_.numbered_sgpr, 0
	.set _ZN7rocprim17ROCPRIM_400000_NS6detail17trampoline_kernelINS0_14default_configENS1_25partition_config_selectorILNS1_17partition_subalgoE5ElNS0_10empty_typeEbEEZZNS1_14partition_implILS5_5ELb0ES3_mN6hipcub16HIPCUB_304000_NS21CountingInputIteratorIllEEPS6_NSA_22TransformInputIteratorIbN2at6native12_GLOBAL__N_19NonZeroOpIhEEPKhlEENS0_5tupleIJPlS6_EEENSN_IJSD_SD_EEES6_PiJS6_EEE10hipError_tPvRmT3_T4_T5_T6_T7_T9_mT8_P12ihipStream_tbDpT10_ENKUlT_T0_E_clISt17integral_constantIbLb0EES1A_IbLb1EEEEDaS16_S17_EUlS16_E_NS1_11comp_targetILNS1_3genE0ELNS1_11target_archE4294967295ELNS1_3gpuE0ELNS1_3repE0EEENS1_30default_config_static_selectorELNS0_4arch9wavefront6targetE0EEEvT1_.num_named_barrier, 0
	.set _ZN7rocprim17ROCPRIM_400000_NS6detail17trampoline_kernelINS0_14default_configENS1_25partition_config_selectorILNS1_17partition_subalgoE5ElNS0_10empty_typeEbEEZZNS1_14partition_implILS5_5ELb0ES3_mN6hipcub16HIPCUB_304000_NS21CountingInputIteratorIllEEPS6_NSA_22TransformInputIteratorIbN2at6native12_GLOBAL__N_19NonZeroOpIhEEPKhlEENS0_5tupleIJPlS6_EEENSN_IJSD_SD_EEES6_PiJS6_EEE10hipError_tPvRmT3_T4_T5_T6_T7_T9_mT8_P12ihipStream_tbDpT10_ENKUlT_T0_E_clISt17integral_constantIbLb0EES1A_IbLb1EEEEDaS16_S17_EUlS16_E_NS1_11comp_targetILNS1_3genE0ELNS1_11target_archE4294967295ELNS1_3gpuE0ELNS1_3repE0EEENS1_30default_config_static_selectorELNS0_4arch9wavefront6targetE0EEEvT1_.private_seg_size, 0
	.set _ZN7rocprim17ROCPRIM_400000_NS6detail17trampoline_kernelINS0_14default_configENS1_25partition_config_selectorILNS1_17partition_subalgoE5ElNS0_10empty_typeEbEEZZNS1_14partition_implILS5_5ELb0ES3_mN6hipcub16HIPCUB_304000_NS21CountingInputIteratorIllEEPS6_NSA_22TransformInputIteratorIbN2at6native12_GLOBAL__N_19NonZeroOpIhEEPKhlEENS0_5tupleIJPlS6_EEENSN_IJSD_SD_EEES6_PiJS6_EEE10hipError_tPvRmT3_T4_T5_T6_T7_T9_mT8_P12ihipStream_tbDpT10_ENKUlT_T0_E_clISt17integral_constantIbLb0EES1A_IbLb1EEEEDaS16_S17_EUlS16_E_NS1_11comp_targetILNS1_3genE0ELNS1_11target_archE4294967295ELNS1_3gpuE0ELNS1_3repE0EEENS1_30default_config_static_selectorELNS0_4arch9wavefront6targetE0EEEvT1_.uses_vcc, 0
	.set _ZN7rocprim17ROCPRIM_400000_NS6detail17trampoline_kernelINS0_14default_configENS1_25partition_config_selectorILNS1_17partition_subalgoE5ElNS0_10empty_typeEbEEZZNS1_14partition_implILS5_5ELb0ES3_mN6hipcub16HIPCUB_304000_NS21CountingInputIteratorIllEEPS6_NSA_22TransformInputIteratorIbN2at6native12_GLOBAL__N_19NonZeroOpIhEEPKhlEENS0_5tupleIJPlS6_EEENSN_IJSD_SD_EEES6_PiJS6_EEE10hipError_tPvRmT3_T4_T5_T6_T7_T9_mT8_P12ihipStream_tbDpT10_ENKUlT_T0_E_clISt17integral_constantIbLb0EES1A_IbLb1EEEEDaS16_S17_EUlS16_E_NS1_11comp_targetILNS1_3genE0ELNS1_11target_archE4294967295ELNS1_3gpuE0ELNS1_3repE0EEENS1_30default_config_static_selectorELNS0_4arch9wavefront6targetE0EEEvT1_.uses_flat_scratch, 0
	.set _ZN7rocprim17ROCPRIM_400000_NS6detail17trampoline_kernelINS0_14default_configENS1_25partition_config_selectorILNS1_17partition_subalgoE5ElNS0_10empty_typeEbEEZZNS1_14partition_implILS5_5ELb0ES3_mN6hipcub16HIPCUB_304000_NS21CountingInputIteratorIllEEPS6_NSA_22TransformInputIteratorIbN2at6native12_GLOBAL__N_19NonZeroOpIhEEPKhlEENS0_5tupleIJPlS6_EEENSN_IJSD_SD_EEES6_PiJS6_EEE10hipError_tPvRmT3_T4_T5_T6_T7_T9_mT8_P12ihipStream_tbDpT10_ENKUlT_T0_E_clISt17integral_constantIbLb0EES1A_IbLb1EEEEDaS16_S17_EUlS16_E_NS1_11comp_targetILNS1_3genE0ELNS1_11target_archE4294967295ELNS1_3gpuE0ELNS1_3repE0EEENS1_30default_config_static_selectorELNS0_4arch9wavefront6targetE0EEEvT1_.has_dyn_sized_stack, 0
	.set _ZN7rocprim17ROCPRIM_400000_NS6detail17trampoline_kernelINS0_14default_configENS1_25partition_config_selectorILNS1_17partition_subalgoE5ElNS0_10empty_typeEbEEZZNS1_14partition_implILS5_5ELb0ES3_mN6hipcub16HIPCUB_304000_NS21CountingInputIteratorIllEEPS6_NSA_22TransformInputIteratorIbN2at6native12_GLOBAL__N_19NonZeroOpIhEEPKhlEENS0_5tupleIJPlS6_EEENSN_IJSD_SD_EEES6_PiJS6_EEE10hipError_tPvRmT3_T4_T5_T6_T7_T9_mT8_P12ihipStream_tbDpT10_ENKUlT_T0_E_clISt17integral_constantIbLb0EES1A_IbLb1EEEEDaS16_S17_EUlS16_E_NS1_11comp_targetILNS1_3genE0ELNS1_11target_archE4294967295ELNS1_3gpuE0ELNS1_3repE0EEENS1_30default_config_static_selectorELNS0_4arch9wavefront6targetE0EEEvT1_.has_recursion, 0
	.set _ZN7rocprim17ROCPRIM_400000_NS6detail17trampoline_kernelINS0_14default_configENS1_25partition_config_selectorILNS1_17partition_subalgoE5ElNS0_10empty_typeEbEEZZNS1_14partition_implILS5_5ELb0ES3_mN6hipcub16HIPCUB_304000_NS21CountingInputIteratorIllEEPS6_NSA_22TransformInputIteratorIbN2at6native12_GLOBAL__N_19NonZeroOpIhEEPKhlEENS0_5tupleIJPlS6_EEENSN_IJSD_SD_EEES6_PiJS6_EEE10hipError_tPvRmT3_T4_T5_T6_T7_T9_mT8_P12ihipStream_tbDpT10_ENKUlT_T0_E_clISt17integral_constantIbLb0EES1A_IbLb1EEEEDaS16_S17_EUlS16_E_NS1_11comp_targetILNS1_3genE0ELNS1_11target_archE4294967295ELNS1_3gpuE0ELNS1_3repE0EEENS1_30default_config_static_selectorELNS0_4arch9wavefront6targetE0EEEvT1_.has_indirect_call, 0
	.section	.AMDGPU.csdata,"",@progbits
; Kernel info:
; codeLenInByte = 0
; TotalNumSgprs: 0
; NumVgprs: 0
; ScratchSize: 0
; MemoryBound: 0
; FloatMode: 240
; IeeeMode: 1
; LDSByteSize: 0 bytes/workgroup (compile time only)
; SGPRBlocks: 0
; VGPRBlocks: 0
; NumSGPRsForWavesPerEU: 1
; NumVGPRsForWavesPerEU: 1
; Occupancy: 16
; WaveLimiterHint : 0
; COMPUTE_PGM_RSRC2:SCRATCH_EN: 0
; COMPUTE_PGM_RSRC2:USER_SGPR: 2
; COMPUTE_PGM_RSRC2:TRAP_HANDLER: 0
; COMPUTE_PGM_RSRC2:TGID_X_EN: 1
; COMPUTE_PGM_RSRC2:TGID_Y_EN: 0
; COMPUTE_PGM_RSRC2:TGID_Z_EN: 0
; COMPUTE_PGM_RSRC2:TIDIG_COMP_CNT: 0
	.section	.text._ZN7rocprim17ROCPRIM_400000_NS6detail17trampoline_kernelINS0_14default_configENS1_25partition_config_selectorILNS1_17partition_subalgoE5ElNS0_10empty_typeEbEEZZNS1_14partition_implILS5_5ELb0ES3_mN6hipcub16HIPCUB_304000_NS21CountingInputIteratorIllEEPS6_NSA_22TransformInputIteratorIbN2at6native12_GLOBAL__N_19NonZeroOpIhEEPKhlEENS0_5tupleIJPlS6_EEENSN_IJSD_SD_EEES6_PiJS6_EEE10hipError_tPvRmT3_T4_T5_T6_T7_T9_mT8_P12ihipStream_tbDpT10_ENKUlT_T0_E_clISt17integral_constantIbLb0EES1A_IbLb1EEEEDaS16_S17_EUlS16_E_NS1_11comp_targetILNS1_3genE5ELNS1_11target_archE942ELNS1_3gpuE9ELNS1_3repE0EEENS1_30default_config_static_selectorELNS0_4arch9wavefront6targetE0EEEvT1_,"axG",@progbits,_ZN7rocprim17ROCPRIM_400000_NS6detail17trampoline_kernelINS0_14default_configENS1_25partition_config_selectorILNS1_17partition_subalgoE5ElNS0_10empty_typeEbEEZZNS1_14partition_implILS5_5ELb0ES3_mN6hipcub16HIPCUB_304000_NS21CountingInputIteratorIllEEPS6_NSA_22TransformInputIteratorIbN2at6native12_GLOBAL__N_19NonZeroOpIhEEPKhlEENS0_5tupleIJPlS6_EEENSN_IJSD_SD_EEES6_PiJS6_EEE10hipError_tPvRmT3_T4_T5_T6_T7_T9_mT8_P12ihipStream_tbDpT10_ENKUlT_T0_E_clISt17integral_constantIbLb0EES1A_IbLb1EEEEDaS16_S17_EUlS16_E_NS1_11comp_targetILNS1_3genE5ELNS1_11target_archE942ELNS1_3gpuE9ELNS1_3repE0EEENS1_30default_config_static_selectorELNS0_4arch9wavefront6targetE0EEEvT1_,comdat
	.globl	_ZN7rocprim17ROCPRIM_400000_NS6detail17trampoline_kernelINS0_14default_configENS1_25partition_config_selectorILNS1_17partition_subalgoE5ElNS0_10empty_typeEbEEZZNS1_14partition_implILS5_5ELb0ES3_mN6hipcub16HIPCUB_304000_NS21CountingInputIteratorIllEEPS6_NSA_22TransformInputIteratorIbN2at6native12_GLOBAL__N_19NonZeroOpIhEEPKhlEENS0_5tupleIJPlS6_EEENSN_IJSD_SD_EEES6_PiJS6_EEE10hipError_tPvRmT3_T4_T5_T6_T7_T9_mT8_P12ihipStream_tbDpT10_ENKUlT_T0_E_clISt17integral_constantIbLb0EES1A_IbLb1EEEEDaS16_S17_EUlS16_E_NS1_11comp_targetILNS1_3genE5ELNS1_11target_archE942ELNS1_3gpuE9ELNS1_3repE0EEENS1_30default_config_static_selectorELNS0_4arch9wavefront6targetE0EEEvT1_ ; -- Begin function _ZN7rocprim17ROCPRIM_400000_NS6detail17trampoline_kernelINS0_14default_configENS1_25partition_config_selectorILNS1_17partition_subalgoE5ElNS0_10empty_typeEbEEZZNS1_14partition_implILS5_5ELb0ES3_mN6hipcub16HIPCUB_304000_NS21CountingInputIteratorIllEEPS6_NSA_22TransformInputIteratorIbN2at6native12_GLOBAL__N_19NonZeroOpIhEEPKhlEENS0_5tupleIJPlS6_EEENSN_IJSD_SD_EEES6_PiJS6_EEE10hipError_tPvRmT3_T4_T5_T6_T7_T9_mT8_P12ihipStream_tbDpT10_ENKUlT_T0_E_clISt17integral_constantIbLb0EES1A_IbLb1EEEEDaS16_S17_EUlS16_E_NS1_11comp_targetILNS1_3genE5ELNS1_11target_archE942ELNS1_3gpuE9ELNS1_3repE0EEENS1_30default_config_static_selectorELNS0_4arch9wavefront6targetE0EEEvT1_
	.p2align	8
	.type	_ZN7rocprim17ROCPRIM_400000_NS6detail17trampoline_kernelINS0_14default_configENS1_25partition_config_selectorILNS1_17partition_subalgoE5ElNS0_10empty_typeEbEEZZNS1_14partition_implILS5_5ELb0ES3_mN6hipcub16HIPCUB_304000_NS21CountingInputIteratorIllEEPS6_NSA_22TransformInputIteratorIbN2at6native12_GLOBAL__N_19NonZeroOpIhEEPKhlEENS0_5tupleIJPlS6_EEENSN_IJSD_SD_EEES6_PiJS6_EEE10hipError_tPvRmT3_T4_T5_T6_T7_T9_mT8_P12ihipStream_tbDpT10_ENKUlT_T0_E_clISt17integral_constantIbLb0EES1A_IbLb1EEEEDaS16_S17_EUlS16_E_NS1_11comp_targetILNS1_3genE5ELNS1_11target_archE942ELNS1_3gpuE9ELNS1_3repE0EEENS1_30default_config_static_selectorELNS0_4arch9wavefront6targetE0EEEvT1_,@function
_ZN7rocprim17ROCPRIM_400000_NS6detail17trampoline_kernelINS0_14default_configENS1_25partition_config_selectorILNS1_17partition_subalgoE5ElNS0_10empty_typeEbEEZZNS1_14partition_implILS5_5ELb0ES3_mN6hipcub16HIPCUB_304000_NS21CountingInputIteratorIllEEPS6_NSA_22TransformInputIteratorIbN2at6native12_GLOBAL__N_19NonZeroOpIhEEPKhlEENS0_5tupleIJPlS6_EEENSN_IJSD_SD_EEES6_PiJS6_EEE10hipError_tPvRmT3_T4_T5_T6_T7_T9_mT8_P12ihipStream_tbDpT10_ENKUlT_T0_E_clISt17integral_constantIbLb0EES1A_IbLb1EEEEDaS16_S17_EUlS16_E_NS1_11comp_targetILNS1_3genE5ELNS1_11target_archE942ELNS1_3gpuE9ELNS1_3repE0EEENS1_30default_config_static_selectorELNS0_4arch9wavefront6targetE0EEEvT1_: ; @_ZN7rocprim17ROCPRIM_400000_NS6detail17trampoline_kernelINS0_14default_configENS1_25partition_config_selectorILNS1_17partition_subalgoE5ElNS0_10empty_typeEbEEZZNS1_14partition_implILS5_5ELb0ES3_mN6hipcub16HIPCUB_304000_NS21CountingInputIteratorIllEEPS6_NSA_22TransformInputIteratorIbN2at6native12_GLOBAL__N_19NonZeroOpIhEEPKhlEENS0_5tupleIJPlS6_EEENSN_IJSD_SD_EEES6_PiJS6_EEE10hipError_tPvRmT3_T4_T5_T6_T7_T9_mT8_P12ihipStream_tbDpT10_ENKUlT_T0_E_clISt17integral_constantIbLb0EES1A_IbLb1EEEEDaS16_S17_EUlS16_E_NS1_11comp_targetILNS1_3genE5ELNS1_11target_archE942ELNS1_3gpuE9ELNS1_3repE0EEENS1_30default_config_static_selectorELNS0_4arch9wavefront6targetE0EEEvT1_
; %bb.0:
	.section	.rodata,"a",@progbits
	.p2align	6, 0x0
	.amdhsa_kernel _ZN7rocprim17ROCPRIM_400000_NS6detail17trampoline_kernelINS0_14default_configENS1_25partition_config_selectorILNS1_17partition_subalgoE5ElNS0_10empty_typeEbEEZZNS1_14partition_implILS5_5ELb0ES3_mN6hipcub16HIPCUB_304000_NS21CountingInputIteratorIllEEPS6_NSA_22TransformInputIteratorIbN2at6native12_GLOBAL__N_19NonZeroOpIhEEPKhlEENS0_5tupleIJPlS6_EEENSN_IJSD_SD_EEES6_PiJS6_EEE10hipError_tPvRmT3_T4_T5_T6_T7_T9_mT8_P12ihipStream_tbDpT10_ENKUlT_T0_E_clISt17integral_constantIbLb0EES1A_IbLb1EEEEDaS16_S17_EUlS16_E_NS1_11comp_targetILNS1_3genE5ELNS1_11target_archE942ELNS1_3gpuE9ELNS1_3repE0EEENS1_30default_config_static_selectorELNS0_4arch9wavefront6targetE0EEEvT1_
		.amdhsa_group_segment_fixed_size 0
		.amdhsa_private_segment_fixed_size 0
		.amdhsa_kernarg_size 136
		.amdhsa_user_sgpr_count 2
		.amdhsa_user_sgpr_dispatch_ptr 0
		.amdhsa_user_sgpr_queue_ptr 0
		.amdhsa_user_sgpr_kernarg_segment_ptr 1
		.amdhsa_user_sgpr_dispatch_id 0
		.amdhsa_user_sgpr_private_segment_size 0
		.amdhsa_wavefront_size32 1
		.amdhsa_uses_dynamic_stack 0
		.amdhsa_enable_private_segment 0
		.amdhsa_system_sgpr_workgroup_id_x 1
		.amdhsa_system_sgpr_workgroup_id_y 0
		.amdhsa_system_sgpr_workgroup_id_z 0
		.amdhsa_system_sgpr_workgroup_info 0
		.amdhsa_system_vgpr_workitem_id 0
		.amdhsa_next_free_vgpr 1
		.amdhsa_next_free_sgpr 1
		.amdhsa_reserve_vcc 0
		.amdhsa_float_round_mode_32 0
		.amdhsa_float_round_mode_16_64 0
		.amdhsa_float_denorm_mode_32 3
		.amdhsa_float_denorm_mode_16_64 3
		.amdhsa_fp16_overflow 0
		.amdhsa_workgroup_processor_mode 1
		.amdhsa_memory_ordered 1
		.amdhsa_forward_progress 1
		.amdhsa_inst_pref_size 0
		.amdhsa_round_robin_scheduling 0
		.amdhsa_exception_fp_ieee_invalid_op 0
		.amdhsa_exception_fp_denorm_src 0
		.amdhsa_exception_fp_ieee_div_zero 0
		.amdhsa_exception_fp_ieee_overflow 0
		.amdhsa_exception_fp_ieee_underflow 0
		.amdhsa_exception_fp_ieee_inexact 0
		.amdhsa_exception_int_div_zero 0
	.end_amdhsa_kernel
	.section	.text._ZN7rocprim17ROCPRIM_400000_NS6detail17trampoline_kernelINS0_14default_configENS1_25partition_config_selectorILNS1_17partition_subalgoE5ElNS0_10empty_typeEbEEZZNS1_14partition_implILS5_5ELb0ES3_mN6hipcub16HIPCUB_304000_NS21CountingInputIteratorIllEEPS6_NSA_22TransformInputIteratorIbN2at6native12_GLOBAL__N_19NonZeroOpIhEEPKhlEENS0_5tupleIJPlS6_EEENSN_IJSD_SD_EEES6_PiJS6_EEE10hipError_tPvRmT3_T4_T5_T6_T7_T9_mT8_P12ihipStream_tbDpT10_ENKUlT_T0_E_clISt17integral_constantIbLb0EES1A_IbLb1EEEEDaS16_S17_EUlS16_E_NS1_11comp_targetILNS1_3genE5ELNS1_11target_archE942ELNS1_3gpuE9ELNS1_3repE0EEENS1_30default_config_static_selectorELNS0_4arch9wavefront6targetE0EEEvT1_,"axG",@progbits,_ZN7rocprim17ROCPRIM_400000_NS6detail17trampoline_kernelINS0_14default_configENS1_25partition_config_selectorILNS1_17partition_subalgoE5ElNS0_10empty_typeEbEEZZNS1_14partition_implILS5_5ELb0ES3_mN6hipcub16HIPCUB_304000_NS21CountingInputIteratorIllEEPS6_NSA_22TransformInputIteratorIbN2at6native12_GLOBAL__N_19NonZeroOpIhEEPKhlEENS0_5tupleIJPlS6_EEENSN_IJSD_SD_EEES6_PiJS6_EEE10hipError_tPvRmT3_T4_T5_T6_T7_T9_mT8_P12ihipStream_tbDpT10_ENKUlT_T0_E_clISt17integral_constantIbLb0EES1A_IbLb1EEEEDaS16_S17_EUlS16_E_NS1_11comp_targetILNS1_3genE5ELNS1_11target_archE942ELNS1_3gpuE9ELNS1_3repE0EEENS1_30default_config_static_selectorELNS0_4arch9wavefront6targetE0EEEvT1_,comdat
.Lfunc_end74:
	.size	_ZN7rocprim17ROCPRIM_400000_NS6detail17trampoline_kernelINS0_14default_configENS1_25partition_config_selectorILNS1_17partition_subalgoE5ElNS0_10empty_typeEbEEZZNS1_14partition_implILS5_5ELb0ES3_mN6hipcub16HIPCUB_304000_NS21CountingInputIteratorIllEEPS6_NSA_22TransformInputIteratorIbN2at6native12_GLOBAL__N_19NonZeroOpIhEEPKhlEENS0_5tupleIJPlS6_EEENSN_IJSD_SD_EEES6_PiJS6_EEE10hipError_tPvRmT3_T4_T5_T6_T7_T9_mT8_P12ihipStream_tbDpT10_ENKUlT_T0_E_clISt17integral_constantIbLb0EES1A_IbLb1EEEEDaS16_S17_EUlS16_E_NS1_11comp_targetILNS1_3genE5ELNS1_11target_archE942ELNS1_3gpuE9ELNS1_3repE0EEENS1_30default_config_static_selectorELNS0_4arch9wavefront6targetE0EEEvT1_, .Lfunc_end74-_ZN7rocprim17ROCPRIM_400000_NS6detail17trampoline_kernelINS0_14default_configENS1_25partition_config_selectorILNS1_17partition_subalgoE5ElNS0_10empty_typeEbEEZZNS1_14partition_implILS5_5ELb0ES3_mN6hipcub16HIPCUB_304000_NS21CountingInputIteratorIllEEPS6_NSA_22TransformInputIteratorIbN2at6native12_GLOBAL__N_19NonZeroOpIhEEPKhlEENS0_5tupleIJPlS6_EEENSN_IJSD_SD_EEES6_PiJS6_EEE10hipError_tPvRmT3_T4_T5_T6_T7_T9_mT8_P12ihipStream_tbDpT10_ENKUlT_T0_E_clISt17integral_constantIbLb0EES1A_IbLb1EEEEDaS16_S17_EUlS16_E_NS1_11comp_targetILNS1_3genE5ELNS1_11target_archE942ELNS1_3gpuE9ELNS1_3repE0EEENS1_30default_config_static_selectorELNS0_4arch9wavefront6targetE0EEEvT1_
                                        ; -- End function
	.set _ZN7rocprim17ROCPRIM_400000_NS6detail17trampoline_kernelINS0_14default_configENS1_25partition_config_selectorILNS1_17partition_subalgoE5ElNS0_10empty_typeEbEEZZNS1_14partition_implILS5_5ELb0ES3_mN6hipcub16HIPCUB_304000_NS21CountingInputIteratorIllEEPS6_NSA_22TransformInputIteratorIbN2at6native12_GLOBAL__N_19NonZeroOpIhEEPKhlEENS0_5tupleIJPlS6_EEENSN_IJSD_SD_EEES6_PiJS6_EEE10hipError_tPvRmT3_T4_T5_T6_T7_T9_mT8_P12ihipStream_tbDpT10_ENKUlT_T0_E_clISt17integral_constantIbLb0EES1A_IbLb1EEEEDaS16_S17_EUlS16_E_NS1_11comp_targetILNS1_3genE5ELNS1_11target_archE942ELNS1_3gpuE9ELNS1_3repE0EEENS1_30default_config_static_selectorELNS0_4arch9wavefront6targetE0EEEvT1_.num_vgpr, 0
	.set _ZN7rocprim17ROCPRIM_400000_NS6detail17trampoline_kernelINS0_14default_configENS1_25partition_config_selectorILNS1_17partition_subalgoE5ElNS0_10empty_typeEbEEZZNS1_14partition_implILS5_5ELb0ES3_mN6hipcub16HIPCUB_304000_NS21CountingInputIteratorIllEEPS6_NSA_22TransformInputIteratorIbN2at6native12_GLOBAL__N_19NonZeroOpIhEEPKhlEENS0_5tupleIJPlS6_EEENSN_IJSD_SD_EEES6_PiJS6_EEE10hipError_tPvRmT3_T4_T5_T6_T7_T9_mT8_P12ihipStream_tbDpT10_ENKUlT_T0_E_clISt17integral_constantIbLb0EES1A_IbLb1EEEEDaS16_S17_EUlS16_E_NS1_11comp_targetILNS1_3genE5ELNS1_11target_archE942ELNS1_3gpuE9ELNS1_3repE0EEENS1_30default_config_static_selectorELNS0_4arch9wavefront6targetE0EEEvT1_.num_agpr, 0
	.set _ZN7rocprim17ROCPRIM_400000_NS6detail17trampoline_kernelINS0_14default_configENS1_25partition_config_selectorILNS1_17partition_subalgoE5ElNS0_10empty_typeEbEEZZNS1_14partition_implILS5_5ELb0ES3_mN6hipcub16HIPCUB_304000_NS21CountingInputIteratorIllEEPS6_NSA_22TransformInputIteratorIbN2at6native12_GLOBAL__N_19NonZeroOpIhEEPKhlEENS0_5tupleIJPlS6_EEENSN_IJSD_SD_EEES6_PiJS6_EEE10hipError_tPvRmT3_T4_T5_T6_T7_T9_mT8_P12ihipStream_tbDpT10_ENKUlT_T0_E_clISt17integral_constantIbLb0EES1A_IbLb1EEEEDaS16_S17_EUlS16_E_NS1_11comp_targetILNS1_3genE5ELNS1_11target_archE942ELNS1_3gpuE9ELNS1_3repE0EEENS1_30default_config_static_selectorELNS0_4arch9wavefront6targetE0EEEvT1_.numbered_sgpr, 0
	.set _ZN7rocprim17ROCPRIM_400000_NS6detail17trampoline_kernelINS0_14default_configENS1_25partition_config_selectorILNS1_17partition_subalgoE5ElNS0_10empty_typeEbEEZZNS1_14partition_implILS5_5ELb0ES3_mN6hipcub16HIPCUB_304000_NS21CountingInputIteratorIllEEPS6_NSA_22TransformInputIteratorIbN2at6native12_GLOBAL__N_19NonZeroOpIhEEPKhlEENS0_5tupleIJPlS6_EEENSN_IJSD_SD_EEES6_PiJS6_EEE10hipError_tPvRmT3_T4_T5_T6_T7_T9_mT8_P12ihipStream_tbDpT10_ENKUlT_T0_E_clISt17integral_constantIbLb0EES1A_IbLb1EEEEDaS16_S17_EUlS16_E_NS1_11comp_targetILNS1_3genE5ELNS1_11target_archE942ELNS1_3gpuE9ELNS1_3repE0EEENS1_30default_config_static_selectorELNS0_4arch9wavefront6targetE0EEEvT1_.num_named_barrier, 0
	.set _ZN7rocprim17ROCPRIM_400000_NS6detail17trampoline_kernelINS0_14default_configENS1_25partition_config_selectorILNS1_17partition_subalgoE5ElNS0_10empty_typeEbEEZZNS1_14partition_implILS5_5ELb0ES3_mN6hipcub16HIPCUB_304000_NS21CountingInputIteratorIllEEPS6_NSA_22TransformInputIteratorIbN2at6native12_GLOBAL__N_19NonZeroOpIhEEPKhlEENS0_5tupleIJPlS6_EEENSN_IJSD_SD_EEES6_PiJS6_EEE10hipError_tPvRmT3_T4_T5_T6_T7_T9_mT8_P12ihipStream_tbDpT10_ENKUlT_T0_E_clISt17integral_constantIbLb0EES1A_IbLb1EEEEDaS16_S17_EUlS16_E_NS1_11comp_targetILNS1_3genE5ELNS1_11target_archE942ELNS1_3gpuE9ELNS1_3repE0EEENS1_30default_config_static_selectorELNS0_4arch9wavefront6targetE0EEEvT1_.private_seg_size, 0
	.set _ZN7rocprim17ROCPRIM_400000_NS6detail17trampoline_kernelINS0_14default_configENS1_25partition_config_selectorILNS1_17partition_subalgoE5ElNS0_10empty_typeEbEEZZNS1_14partition_implILS5_5ELb0ES3_mN6hipcub16HIPCUB_304000_NS21CountingInputIteratorIllEEPS6_NSA_22TransformInputIteratorIbN2at6native12_GLOBAL__N_19NonZeroOpIhEEPKhlEENS0_5tupleIJPlS6_EEENSN_IJSD_SD_EEES6_PiJS6_EEE10hipError_tPvRmT3_T4_T5_T6_T7_T9_mT8_P12ihipStream_tbDpT10_ENKUlT_T0_E_clISt17integral_constantIbLb0EES1A_IbLb1EEEEDaS16_S17_EUlS16_E_NS1_11comp_targetILNS1_3genE5ELNS1_11target_archE942ELNS1_3gpuE9ELNS1_3repE0EEENS1_30default_config_static_selectorELNS0_4arch9wavefront6targetE0EEEvT1_.uses_vcc, 0
	.set _ZN7rocprim17ROCPRIM_400000_NS6detail17trampoline_kernelINS0_14default_configENS1_25partition_config_selectorILNS1_17partition_subalgoE5ElNS0_10empty_typeEbEEZZNS1_14partition_implILS5_5ELb0ES3_mN6hipcub16HIPCUB_304000_NS21CountingInputIteratorIllEEPS6_NSA_22TransformInputIteratorIbN2at6native12_GLOBAL__N_19NonZeroOpIhEEPKhlEENS0_5tupleIJPlS6_EEENSN_IJSD_SD_EEES6_PiJS6_EEE10hipError_tPvRmT3_T4_T5_T6_T7_T9_mT8_P12ihipStream_tbDpT10_ENKUlT_T0_E_clISt17integral_constantIbLb0EES1A_IbLb1EEEEDaS16_S17_EUlS16_E_NS1_11comp_targetILNS1_3genE5ELNS1_11target_archE942ELNS1_3gpuE9ELNS1_3repE0EEENS1_30default_config_static_selectorELNS0_4arch9wavefront6targetE0EEEvT1_.uses_flat_scratch, 0
	.set _ZN7rocprim17ROCPRIM_400000_NS6detail17trampoline_kernelINS0_14default_configENS1_25partition_config_selectorILNS1_17partition_subalgoE5ElNS0_10empty_typeEbEEZZNS1_14partition_implILS5_5ELb0ES3_mN6hipcub16HIPCUB_304000_NS21CountingInputIteratorIllEEPS6_NSA_22TransformInputIteratorIbN2at6native12_GLOBAL__N_19NonZeroOpIhEEPKhlEENS0_5tupleIJPlS6_EEENSN_IJSD_SD_EEES6_PiJS6_EEE10hipError_tPvRmT3_T4_T5_T6_T7_T9_mT8_P12ihipStream_tbDpT10_ENKUlT_T0_E_clISt17integral_constantIbLb0EES1A_IbLb1EEEEDaS16_S17_EUlS16_E_NS1_11comp_targetILNS1_3genE5ELNS1_11target_archE942ELNS1_3gpuE9ELNS1_3repE0EEENS1_30default_config_static_selectorELNS0_4arch9wavefront6targetE0EEEvT1_.has_dyn_sized_stack, 0
	.set _ZN7rocprim17ROCPRIM_400000_NS6detail17trampoline_kernelINS0_14default_configENS1_25partition_config_selectorILNS1_17partition_subalgoE5ElNS0_10empty_typeEbEEZZNS1_14partition_implILS5_5ELb0ES3_mN6hipcub16HIPCUB_304000_NS21CountingInputIteratorIllEEPS6_NSA_22TransformInputIteratorIbN2at6native12_GLOBAL__N_19NonZeroOpIhEEPKhlEENS0_5tupleIJPlS6_EEENSN_IJSD_SD_EEES6_PiJS6_EEE10hipError_tPvRmT3_T4_T5_T6_T7_T9_mT8_P12ihipStream_tbDpT10_ENKUlT_T0_E_clISt17integral_constantIbLb0EES1A_IbLb1EEEEDaS16_S17_EUlS16_E_NS1_11comp_targetILNS1_3genE5ELNS1_11target_archE942ELNS1_3gpuE9ELNS1_3repE0EEENS1_30default_config_static_selectorELNS0_4arch9wavefront6targetE0EEEvT1_.has_recursion, 0
	.set _ZN7rocprim17ROCPRIM_400000_NS6detail17trampoline_kernelINS0_14default_configENS1_25partition_config_selectorILNS1_17partition_subalgoE5ElNS0_10empty_typeEbEEZZNS1_14partition_implILS5_5ELb0ES3_mN6hipcub16HIPCUB_304000_NS21CountingInputIteratorIllEEPS6_NSA_22TransformInputIteratorIbN2at6native12_GLOBAL__N_19NonZeroOpIhEEPKhlEENS0_5tupleIJPlS6_EEENSN_IJSD_SD_EEES6_PiJS6_EEE10hipError_tPvRmT3_T4_T5_T6_T7_T9_mT8_P12ihipStream_tbDpT10_ENKUlT_T0_E_clISt17integral_constantIbLb0EES1A_IbLb1EEEEDaS16_S17_EUlS16_E_NS1_11comp_targetILNS1_3genE5ELNS1_11target_archE942ELNS1_3gpuE9ELNS1_3repE0EEENS1_30default_config_static_selectorELNS0_4arch9wavefront6targetE0EEEvT1_.has_indirect_call, 0
	.section	.AMDGPU.csdata,"",@progbits
; Kernel info:
; codeLenInByte = 0
; TotalNumSgprs: 0
; NumVgprs: 0
; ScratchSize: 0
; MemoryBound: 0
; FloatMode: 240
; IeeeMode: 1
; LDSByteSize: 0 bytes/workgroup (compile time only)
; SGPRBlocks: 0
; VGPRBlocks: 0
; NumSGPRsForWavesPerEU: 1
; NumVGPRsForWavesPerEU: 1
; Occupancy: 16
; WaveLimiterHint : 0
; COMPUTE_PGM_RSRC2:SCRATCH_EN: 0
; COMPUTE_PGM_RSRC2:USER_SGPR: 2
; COMPUTE_PGM_RSRC2:TRAP_HANDLER: 0
; COMPUTE_PGM_RSRC2:TGID_X_EN: 1
; COMPUTE_PGM_RSRC2:TGID_Y_EN: 0
; COMPUTE_PGM_RSRC2:TGID_Z_EN: 0
; COMPUTE_PGM_RSRC2:TIDIG_COMP_CNT: 0
	.section	.text._ZN7rocprim17ROCPRIM_400000_NS6detail17trampoline_kernelINS0_14default_configENS1_25partition_config_selectorILNS1_17partition_subalgoE5ElNS0_10empty_typeEbEEZZNS1_14partition_implILS5_5ELb0ES3_mN6hipcub16HIPCUB_304000_NS21CountingInputIteratorIllEEPS6_NSA_22TransformInputIteratorIbN2at6native12_GLOBAL__N_19NonZeroOpIhEEPKhlEENS0_5tupleIJPlS6_EEENSN_IJSD_SD_EEES6_PiJS6_EEE10hipError_tPvRmT3_T4_T5_T6_T7_T9_mT8_P12ihipStream_tbDpT10_ENKUlT_T0_E_clISt17integral_constantIbLb0EES1A_IbLb1EEEEDaS16_S17_EUlS16_E_NS1_11comp_targetILNS1_3genE4ELNS1_11target_archE910ELNS1_3gpuE8ELNS1_3repE0EEENS1_30default_config_static_selectorELNS0_4arch9wavefront6targetE0EEEvT1_,"axG",@progbits,_ZN7rocprim17ROCPRIM_400000_NS6detail17trampoline_kernelINS0_14default_configENS1_25partition_config_selectorILNS1_17partition_subalgoE5ElNS0_10empty_typeEbEEZZNS1_14partition_implILS5_5ELb0ES3_mN6hipcub16HIPCUB_304000_NS21CountingInputIteratorIllEEPS6_NSA_22TransformInputIteratorIbN2at6native12_GLOBAL__N_19NonZeroOpIhEEPKhlEENS0_5tupleIJPlS6_EEENSN_IJSD_SD_EEES6_PiJS6_EEE10hipError_tPvRmT3_T4_T5_T6_T7_T9_mT8_P12ihipStream_tbDpT10_ENKUlT_T0_E_clISt17integral_constantIbLb0EES1A_IbLb1EEEEDaS16_S17_EUlS16_E_NS1_11comp_targetILNS1_3genE4ELNS1_11target_archE910ELNS1_3gpuE8ELNS1_3repE0EEENS1_30default_config_static_selectorELNS0_4arch9wavefront6targetE0EEEvT1_,comdat
	.globl	_ZN7rocprim17ROCPRIM_400000_NS6detail17trampoline_kernelINS0_14default_configENS1_25partition_config_selectorILNS1_17partition_subalgoE5ElNS0_10empty_typeEbEEZZNS1_14partition_implILS5_5ELb0ES3_mN6hipcub16HIPCUB_304000_NS21CountingInputIteratorIllEEPS6_NSA_22TransformInputIteratorIbN2at6native12_GLOBAL__N_19NonZeroOpIhEEPKhlEENS0_5tupleIJPlS6_EEENSN_IJSD_SD_EEES6_PiJS6_EEE10hipError_tPvRmT3_T4_T5_T6_T7_T9_mT8_P12ihipStream_tbDpT10_ENKUlT_T0_E_clISt17integral_constantIbLb0EES1A_IbLb1EEEEDaS16_S17_EUlS16_E_NS1_11comp_targetILNS1_3genE4ELNS1_11target_archE910ELNS1_3gpuE8ELNS1_3repE0EEENS1_30default_config_static_selectorELNS0_4arch9wavefront6targetE0EEEvT1_ ; -- Begin function _ZN7rocprim17ROCPRIM_400000_NS6detail17trampoline_kernelINS0_14default_configENS1_25partition_config_selectorILNS1_17partition_subalgoE5ElNS0_10empty_typeEbEEZZNS1_14partition_implILS5_5ELb0ES3_mN6hipcub16HIPCUB_304000_NS21CountingInputIteratorIllEEPS6_NSA_22TransformInputIteratorIbN2at6native12_GLOBAL__N_19NonZeroOpIhEEPKhlEENS0_5tupleIJPlS6_EEENSN_IJSD_SD_EEES6_PiJS6_EEE10hipError_tPvRmT3_T4_T5_T6_T7_T9_mT8_P12ihipStream_tbDpT10_ENKUlT_T0_E_clISt17integral_constantIbLb0EES1A_IbLb1EEEEDaS16_S17_EUlS16_E_NS1_11comp_targetILNS1_3genE4ELNS1_11target_archE910ELNS1_3gpuE8ELNS1_3repE0EEENS1_30default_config_static_selectorELNS0_4arch9wavefront6targetE0EEEvT1_
	.p2align	8
	.type	_ZN7rocprim17ROCPRIM_400000_NS6detail17trampoline_kernelINS0_14default_configENS1_25partition_config_selectorILNS1_17partition_subalgoE5ElNS0_10empty_typeEbEEZZNS1_14partition_implILS5_5ELb0ES3_mN6hipcub16HIPCUB_304000_NS21CountingInputIteratorIllEEPS6_NSA_22TransformInputIteratorIbN2at6native12_GLOBAL__N_19NonZeroOpIhEEPKhlEENS0_5tupleIJPlS6_EEENSN_IJSD_SD_EEES6_PiJS6_EEE10hipError_tPvRmT3_T4_T5_T6_T7_T9_mT8_P12ihipStream_tbDpT10_ENKUlT_T0_E_clISt17integral_constantIbLb0EES1A_IbLb1EEEEDaS16_S17_EUlS16_E_NS1_11comp_targetILNS1_3genE4ELNS1_11target_archE910ELNS1_3gpuE8ELNS1_3repE0EEENS1_30default_config_static_selectorELNS0_4arch9wavefront6targetE0EEEvT1_,@function
_ZN7rocprim17ROCPRIM_400000_NS6detail17trampoline_kernelINS0_14default_configENS1_25partition_config_selectorILNS1_17partition_subalgoE5ElNS0_10empty_typeEbEEZZNS1_14partition_implILS5_5ELb0ES3_mN6hipcub16HIPCUB_304000_NS21CountingInputIteratorIllEEPS6_NSA_22TransformInputIteratorIbN2at6native12_GLOBAL__N_19NonZeroOpIhEEPKhlEENS0_5tupleIJPlS6_EEENSN_IJSD_SD_EEES6_PiJS6_EEE10hipError_tPvRmT3_T4_T5_T6_T7_T9_mT8_P12ihipStream_tbDpT10_ENKUlT_T0_E_clISt17integral_constantIbLb0EES1A_IbLb1EEEEDaS16_S17_EUlS16_E_NS1_11comp_targetILNS1_3genE4ELNS1_11target_archE910ELNS1_3gpuE8ELNS1_3repE0EEENS1_30default_config_static_selectorELNS0_4arch9wavefront6targetE0EEEvT1_: ; @_ZN7rocprim17ROCPRIM_400000_NS6detail17trampoline_kernelINS0_14default_configENS1_25partition_config_selectorILNS1_17partition_subalgoE5ElNS0_10empty_typeEbEEZZNS1_14partition_implILS5_5ELb0ES3_mN6hipcub16HIPCUB_304000_NS21CountingInputIteratorIllEEPS6_NSA_22TransformInputIteratorIbN2at6native12_GLOBAL__N_19NonZeroOpIhEEPKhlEENS0_5tupleIJPlS6_EEENSN_IJSD_SD_EEES6_PiJS6_EEE10hipError_tPvRmT3_T4_T5_T6_T7_T9_mT8_P12ihipStream_tbDpT10_ENKUlT_T0_E_clISt17integral_constantIbLb0EES1A_IbLb1EEEEDaS16_S17_EUlS16_E_NS1_11comp_targetILNS1_3genE4ELNS1_11target_archE910ELNS1_3gpuE8ELNS1_3repE0EEENS1_30default_config_static_selectorELNS0_4arch9wavefront6targetE0EEEvT1_
; %bb.0:
	.section	.rodata,"a",@progbits
	.p2align	6, 0x0
	.amdhsa_kernel _ZN7rocprim17ROCPRIM_400000_NS6detail17trampoline_kernelINS0_14default_configENS1_25partition_config_selectorILNS1_17partition_subalgoE5ElNS0_10empty_typeEbEEZZNS1_14partition_implILS5_5ELb0ES3_mN6hipcub16HIPCUB_304000_NS21CountingInputIteratorIllEEPS6_NSA_22TransformInputIteratorIbN2at6native12_GLOBAL__N_19NonZeroOpIhEEPKhlEENS0_5tupleIJPlS6_EEENSN_IJSD_SD_EEES6_PiJS6_EEE10hipError_tPvRmT3_T4_T5_T6_T7_T9_mT8_P12ihipStream_tbDpT10_ENKUlT_T0_E_clISt17integral_constantIbLb0EES1A_IbLb1EEEEDaS16_S17_EUlS16_E_NS1_11comp_targetILNS1_3genE4ELNS1_11target_archE910ELNS1_3gpuE8ELNS1_3repE0EEENS1_30default_config_static_selectorELNS0_4arch9wavefront6targetE0EEEvT1_
		.amdhsa_group_segment_fixed_size 0
		.amdhsa_private_segment_fixed_size 0
		.amdhsa_kernarg_size 136
		.amdhsa_user_sgpr_count 2
		.amdhsa_user_sgpr_dispatch_ptr 0
		.amdhsa_user_sgpr_queue_ptr 0
		.amdhsa_user_sgpr_kernarg_segment_ptr 1
		.amdhsa_user_sgpr_dispatch_id 0
		.amdhsa_user_sgpr_private_segment_size 0
		.amdhsa_wavefront_size32 1
		.amdhsa_uses_dynamic_stack 0
		.amdhsa_enable_private_segment 0
		.amdhsa_system_sgpr_workgroup_id_x 1
		.amdhsa_system_sgpr_workgroup_id_y 0
		.amdhsa_system_sgpr_workgroup_id_z 0
		.amdhsa_system_sgpr_workgroup_info 0
		.amdhsa_system_vgpr_workitem_id 0
		.amdhsa_next_free_vgpr 1
		.amdhsa_next_free_sgpr 1
		.amdhsa_reserve_vcc 0
		.amdhsa_float_round_mode_32 0
		.amdhsa_float_round_mode_16_64 0
		.amdhsa_float_denorm_mode_32 3
		.amdhsa_float_denorm_mode_16_64 3
		.amdhsa_fp16_overflow 0
		.amdhsa_workgroup_processor_mode 1
		.amdhsa_memory_ordered 1
		.amdhsa_forward_progress 1
		.amdhsa_inst_pref_size 0
		.amdhsa_round_robin_scheduling 0
		.amdhsa_exception_fp_ieee_invalid_op 0
		.amdhsa_exception_fp_denorm_src 0
		.amdhsa_exception_fp_ieee_div_zero 0
		.amdhsa_exception_fp_ieee_overflow 0
		.amdhsa_exception_fp_ieee_underflow 0
		.amdhsa_exception_fp_ieee_inexact 0
		.amdhsa_exception_int_div_zero 0
	.end_amdhsa_kernel
	.section	.text._ZN7rocprim17ROCPRIM_400000_NS6detail17trampoline_kernelINS0_14default_configENS1_25partition_config_selectorILNS1_17partition_subalgoE5ElNS0_10empty_typeEbEEZZNS1_14partition_implILS5_5ELb0ES3_mN6hipcub16HIPCUB_304000_NS21CountingInputIteratorIllEEPS6_NSA_22TransformInputIteratorIbN2at6native12_GLOBAL__N_19NonZeroOpIhEEPKhlEENS0_5tupleIJPlS6_EEENSN_IJSD_SD_EEES6_PiJS6_EEE10hipError_tPvRmT3_T4_T5_T6_T7_T9_mT8_P12ihipStream_tbDpT10_ENKUlT_T0_E_clISt17integral_constantIbLb0EES1A_IbLb1EEEEDaS16_S17_EUlS16_E_NS1_11comp_targetILNS1_3genE4ELNS1_11target_archE910ELNS1_3gpuE8ELNS1_3repE0EEENS1_30default_config_static_selectorELNS0_4arch9wavefront6targetE0EEEvT1_,"axG",@progbits,_ZN7rocprim17ROCPRIM_400000_NS6detail17trampoline_kernelINS0_14default_configENS1_25partition_config_selectorILNS1_17partition_subalgoE5ElNS0_10empty_typeEbEEZZNS1_14partition_implILS5_5ELb0ES3_mN6hipcub16HIPCUB_304000_NS21CountingInputIteratorIllEEPS6_NSA_22TransformInputIteratorIbN2at6native12_GLOBAL__N_19NonZeroOpIhEEPKhlEENS0_5tupleIJPlS6_EEENSN_IJSD_SD_EEES6_PiJS6_EEE10hipError_tPvRmT3_T4_T5_T6_T7_T9_mT8_P12ihipStream_tbDpT10_ENKUlT_T0_E_clISt17integral_constantIbLb0EES1A_IbLb1EEEEDaS16_S17_EUlS16_E_NS1_11comp_targetILNS1_3genE4ELNS1_11target_archE910ELNS1_3gpuE8ELNS1_3repE0EEENS1_30default_config_static_selectorELNS0_4arch9wavefront6targetE0EEEvT1_,comdat
.Lfunc_end75:
	.size	_ZN7rocprim17ROCPRIM_400000_NS6detail17trampoline_kernelINS0_14default_configENS1_25partition_config_selectorILNS1_17partition_subalgoE5ElNS0_10empty_typeEbEEZZNS1_14partition_implILS5_5ELb0ES3_mN6hipcub16HIPCUB_304000_NS21CountingInputIteratorIllEEPS6_NSA_22TransformInputIteratorIbN2at6native12_GLOBAL__N_19NonZeroOpIhEEPKhlEENS0_5tupleIJPlS6_EEENSN_IJSD_SD_EEES6_PiJS6_EEE10hipError_tPvRmT3_T4_T5_T6_T7_T9_mT8_P12ihipStream_tbDpT10_ENKUlT_T0_E_clISt17integral_constantIbLb0EES1A_IbLb1EEEEDaS16_S17_EUlS16_E_NS1_11comp_targetILNS1_3genE4ELNS1_11target_archE910ELNS1_3gpuE8ELNS1_3repE0EEENS1_30default_config_static_selectorELNS0_4arch9wavefront6targetE0EEEvT1_, .Lfunc_end75-_ZN7rocprim17ROCPRIM_400000_NS6detail17trampoline_kernelINS0_14default_configENS1_25partition_config_selectorILNS1_17partition_subalgoE5ElNS0_10empty_typeEbEEZZNS1_14partition_implILS5_5ELb0ES3_mN6hipcub16HIPCUB_304000_NS21CountingInputIteratorIllEEPS6_NSA_22TransformInputIteratorIbN2at6native12_GLOBAL__N_19NonZeroOpIhEEPKhlEENS0_5tupleIJPlS6_EEENSN_IJSD_SD_EEES6_PiJS6_EEE10hipError_tPvRmT3_T4_T5_T6_T7_T9_mT8_P12ihipStream_tbDpT10_ENKUlT_T0_E_clISt17integral_constantIbLb0EES1A_IbLb1EEEEDaS16_S17_EUlS16_E_NS1_11comp_targetILNS1_3genE4ELNS1_11target_archE910ELNS1_3gpuE8ELNS1_3repE0EEENS1_30default_config_static_selectorELNS0_4arch9wavefront6targetE0EEEvT1_
                                        ; -- End function
	.set _ZN7rocprim17ROCPRIM_400000_NS6detail17trampoline_kernelINS0_14default_configENS1_25partition_config_selectorILNS1_17partition_subalgoE5ElNS0_10empty_typeEbEEZZNS1_14partition_implILS5_5ELb0ES3_mN6hipcub16HIPCUB_304000_NS21CountingInputIteratorIllEEPS6_NSA_22TransformInputIteratorIbN2at6native12_GLOBAL__N_19NonZeroOpIhEEPKhlEENS0_5tupleIJPlS6_EEENSN_IJSD_SD_EEES6_PiJS6_EEE10hipError_tPvRmT3_T4_T5_T6_T7_T9_mT8_P12ihipStream_tbDpT10_ENKUlT_T0_E_clISt17integral_constantIbLb0EES1A_IbLb1EEEEDaS16_S17_EUlS16_E_NS1_11comp_targetILNS1_3genE4ELNS1_11target_archE910ELNS1_3gpuE8ELNS1_3repE0EEENS1_30default_config_static_selectorELNS0_4arch9wavefront6targetE0EEEvT1_.num_vgpr, 0
	.set _ZN7rocprim17ROCPRIM_400000_NS6detail17trampoline_kernelINS0_14default_configENS1_25partition_config_selectorILNS1_17partition_subalgoE5ElNS0_10empty_typeEbEEZZNS1_14partition_implILS5_5ELb0ES3_mN6hipcub16HIPCUB_304000_NS21CountingInputIteratorIllEEPS6_NSA_22TransformInputIteratorIbN2at6native12_GLOBAL__N_19NonZeroOpIhEEPKhlEENS0_5tupleIJPlS6_EEENSN_IJSD_SD_EEES6_PiJS6_EEE10hipError_tPvRmT3_T4_T5_T6_T7_T9_mT8_P12ihipStream_tbDpT10_ENKUlT_T0_E_clISt17integral_constantIbLb0EES1A_IbLb1EEEEDaS16_S17_EUlS16_E_NS1_11comp_targetILNS1_3genE4ELNS1_11target_archE910ELNS1_3gpuE8ELNS1_3repE0EEENS1_30default_config_static_selectorELNS0_4arch9wavefront6targetE0EEEvT1_.num_agpr, 0
	.set _ZN7rocprim17ROCPRIM_400000_NS6detail17trampoline_kernelINS0_14default_configENS1_25partition_config_selectorILNS1_17partition_subalgoE5ElNS0_10empty_typeEbEEZZNS1_14partition_implILS5_5ELb0ES3_mN6hipcub16HIPCUB_304000_NS21CountingInputIteratorIllEEPS6_NSA_22TransformInputIteratorIbN2at6native12_GLOBAL__N_19NonZeroOpIhEEPKhlEENS0_5tupleIJPlS6_EEENSN_IJSD_SD_EEES6_PiJS6_EEE10hipError_tPvRmT3_T4_T5_T6_T7_T9_mT8_P12ihipStream_tbDpT10_ENKUlT_T0_E_clISt17integral_constantIbLb0EES1A_IbLb1EEEEDaS16_S17_EUlS16_E_NS1_11comp_targetILNS1_3genE4ELNS1_11target_archE910ELNS1_3gpuE8ELNS1_3repE0EEENS1_30default_config_static_selectorELNS0_4arch9wavefront6targetE0EEEvT1_.numbered_sgpr, 0
	.set _ZN7rocprim17ROCPRIM_400000_NS6detail17trampoline_kernelINS0_14default_configENS1_25partition_config_selectorILNS1_17partition_subalgoE5ElNS0_10empty_typeEbEEZZNS1_14partition_implILS5_5ELb0ES3_mN6hipcub16HIPCUB_304000_NS21CountingInputIteratorIllEEPS6_NSA_22TransformInputIteratorIbN2at6native12_GLOBAL__N_19NonZeroOpIhEEPKhlEENS0_5tupleIJPlS6_EEENSN_IJSD_SD_EEES6_PiJS6_EEE10hipError_tPvRmT3_T4_T5_T6_T7_T9_mT8_P12ihipStream_tbDpT10_ENKUlT_T0_E_clISt17integral_constantIbLb0EES1A_IbLb1EEEEDaS16_S17_EUlS16_E_NS1_11comp_targetILNS1_3genE4ELNS1_11target_archE910ELNS1_3gpuE8ELNS1_3repE0EEENS1_30default_config_static_selectorELNS0_4arch9wavefront6targetE0EEEvT1_.num_named_barrier, 0
	.set _ZN7rocprim17ROCPRIM_400000_NS6detail17trampoline_kernelINS0_14default_configENS1_25partition_config_selectorILNS1_17partition_subalgoE5ElNS0_10empty_typeEbEEZZNS1_14partition_implILS5_5ELb0ES3_mN6hipcub16HIPCUB_304000_NS21CountingInputIteratorIllEEPS6_NSA_22TransformInputIteratorIbN2at6native12_GLOBAL__N_19NonZeroOpIhEEPKhlEENS0_5tupleIJPlS6_EEENSN_IJSD_SD_EEES6_PiJS6_EEE10hipError_tPvRmT3_T4_T5_T6_T7_T9_mT8_P12ihipStream_tbDpT10_ENKUlT_T0_E_clISt17integral_constantIbLb0EES1A_IbLb1EEEEDaS16_S17_EUlS16_E_NS1_11comp_targetILNS1_3genE4ELNS1_11target_archE910ELNS1_3gpuE8ELNS1_3repE0EEENS1_30default_config_static_selectorELNS0_4arch9wavefront6targetE0EEEvT1_.private_seg_size, 0
	.set _ZN7rocprim17ROCPRIM_400000_NS6detail17trampoline_kernelINS0_14default_configENS1_25partition_config_selectorILNS1_17partition_subalgoE5ElNS0_10empty_typeEbEEZZNS1_14partition_implILS5_5ELb0ES3_mN6hipcub16HIPCUB_304000_NS21CountingInputIteratorIllEEPS6_NSA_22TransformInputIteratorIbN2at6native12_GLOBAL__N_19NonZeroOpIhEEPKhlEENS0_5tupleIJPlS6_EEENSN_IJSD_SD_EEES6_PiJS6_EEE10hipError_tPvRmT3_T4_T5_T6_T7_T9_mT8_P12ihipStream_tbDpT10_ENKUlT_T0_E_clISt17integral_constantIbLb0EES1A_IbLb1EEEEDaS16_S17_EUlS16_E_NS1_11comp_targetILNS1_3genE4ELNS1_11target_archE910ELNS1_3gpuE8ELNS1_3repE0EEENS1_30default_config_static_selectorELNS0_4arch9wavefront6targetE0EEEvT1_.uses_vcc, 0
	.set _ZN7rocprim17ROCPRIM_400000_NS6detail17trampoline_kernelINS0_14default_configENS1_25partition_config_selectorILNS1_17partition_subalgoE5ElNS0_10empty_typeEbEEZZNS1_14partition_implILS5_5ELb0ES3_mN6hipcub16HIPCUB_304000_NS21CountingInputIteratorIllEEPS6_NSA_22TransformInputIteratorIbN2at6native12_GLOBAL__N_19NonZeroOpIhEEPKhlEENS0_5tupleIJPlS6_EEENSN_IJSD_SD_EEES6_PiJS6_EEE10hipError_tPvRmT3_T4_T5_T6_T7_T9_mT8_P12ihipStream_tbDpT10_ENKUlT_T0_E_clISt17integral_constantIbLb0EES1A_IbLb1EEEEDaS16_S17_EUlS16_E_NS1_11comp_targetILNS1_3genE4ELNS1_11target_archE910ELNS1_3gpuE8ELNS1_3repE0EEENS1_30default_config_static_selectorELNS0_4arch9wavefront6targetE0EEEvT1_.uses_flat_scratch, 0
	.set _ZN7rocprim17ROCPRIM_400000_NS6detail17trampoline_kernelINS0_14default_configENS1_25partition_config_selectorILNS1_17partition_subalgoE5ElNS0_10empty_typeEbEEZZNS1_14partition_implILS5_5ELb0ES3_mN6hipcub16HIPCUB_304000_NS21CountingInputIteratorIllEEPS6_NSA_22TransformInputIteratorIbN2at6native12_GLOBAL__N_19NonZeroOpIhEEPKhlEENS0_5tupleIJPlS6_EEENSN_IJSD_SD_EEES6_PiJS6_EEE10hipError_tPvRmT3_T4_T5_T6_T7_T9_mT8_P12ihipStream_tbDpT10_ENKUlT_T0_E_clISt17integral_constantIbLb0EES1A_IbLb1EEEEDaS16_S17_EUlS16_E_NS1_11comp_targetILNS1_3genE4ELNS1_11target_archE910ELNS1_3gpuE8ELNS1_3repE0EEENS1_30default_config_static_selectorELNS0_4arch9wavefront6targetE0EEEvT1_.has_dyn_sized_stack, 0
	.set _ZN7rocprim17ROCPRIM_400000_NS6detail17trampoline_kernelINS0_14default_configENS1_25partition_config_selectorILNS1_17partition_subalgoE5ElNS0_10empty_typeEbEEZZNS1_14partition_implILS5_5ELb0ES3_mN6hipcub16HIPCUB_304000_NS21CountingInputIteratorIllEEPS6_NSA_22TransformInputIteratorIbN2at6native12_GLOBAL__N_19NonZeroOpIhEEPKhlEENS0_5tupleIJPlS6_EEENSN_IJSD_SD_EEES6_PiJS6_EEE10hipError_tPvRmT3_T4_T5_T6_T7_T9_mT8_P12ihipStream_tbDpT10_ENKUlT_T0_E_clISt17integral_constantIbLb0EES1A_IbLb1EEEEDaS16_S17_EUlS16_E_NS1_11comp_targetILNS1_3genE4ELNS1_11target_archE910ELNS1_3gpuE8ELNS1_3repE0EEENS1_30default_config_static_selectorELNS0_4arch9wavefront6targetE0EEEvT1_.has_recursion, 0
	.set _ZN7rocprim17ROCPRIM_400000_NS6detail17trampoline_kernelINS0_14default_configENS1_25partition_config_selectorILNS1_17partition_subalgoE5ElNS0_10empty_typeEbEEZZNS1_14partition_implILS5_5ELb0ES3_mN6hipcub16HIPCUB_304000_NS21CountingInputIteratorIllEEPS6_NSA_22TransformInputIteratorIbN2at6native12_GLOBAL__N_19NonZeroOpIhEEPKhlEENS0_5tupleIJPlS6_EEENSN_IJSD_SD_EEES6_PiJS6_EEE10hipError_tPvRmT3_T4_T5_T6_T7_T9_mT8_P12ihipStream_tbDpT10_ENKUlT_T0_E_clISt17integral_constantIbLb0EES1A_IbLb1EEEEDaS16_S17_EUlS16_E_NS1_11comp_targetILNS1_3genE4ELNS1_11target_archE910ELNS1_3gpuE8ELNS1_3repE0EEENS1_30default_config_static_selectorELNS0_4arch9wavefront6targetE0EEEvT1_.has_indirect_call, 0
	.section	.AMDGPU.csdata,"",@progbits
; Kernel info:
; codeLenInByte = 0
; TotalNumSgprs: 0
; NumVgprs: 0
; ScratchSize: 0
; MemoryBound: 0
; FloatMode: 240
; IeeeMode: 1
; LDSByteSize: 0 bytes/workgroup (compile time only)
; SGPRBlocks: 0
; VGPRBlocks: 0
; NumSGPRsForWavesPerEU: 1
; NumVGPRsForWavesPerEU: 1
; Occupancy: 16
; WaveLimiterHint : 0
; COMPUTE_PGM_RSRC2:SCRATCH_EN: 0
; COMPUTE_PGM_RSRC2:USER_SGPR: 2
; COMPUTE_PGM_RSRC2:TRAP_HANDLER: 0
; COMPUTE_PGM_RSRC2:TGID_X_EN: 1
; COMPUTE_PGM_RSRC2:TGID_Y_EN: 0
; COMPUTE_PGM_RSRC2:TGID_Z_EN: 0
; COMPUTE_PGM_RSRC2:TIDIG_COMP_CNT: 0
	.section	.text._ZN7rocprim17ROCPRIM_400000_NS6detail17trampoline_kernelINS0_14default_configENS1_25partition_config_selectorILNS1_17partition_subalgoE5ElNS0_10empty_typeEbEEZZNS1_14partition_implILS5_5ELb0ES3_mN6hipcub16HIPCUB_304000_NS21CountingInputIteratorIllEEPS6_NSA_22TransformInputIteratorIbN2at6native12_GLOBAL__N_19NonZeroOpIhEEPKhlEENS0_5tupleIJPlS6_EEENSN_IJSD_SD_EEES6_PiJS6_EEE10hipError_tPvRmT3_T4_T5_T6_T7_T9_mT8_P12ihipStream_tbDpT10_ENKUlT_T0_E_clISt17integral_constantIbLb0EES1A_IbLb1EEEEDaS16_S17_EUlS16_E_NS1_11comp_targetILNS1_3genE3ELNS1_11target_archE908ELNS1_3gpuE7ELNS1_3repE0EEENS1_30default_config_static_selectorELNS0_4arch9wavefront6targetE0EEEvT1_,"axG",@progbits,_ZN7rocprim17ROCPRIM_400000_NS6detail17trampoline_kernelINS0_14default_configENS1_25partition_config_selectorILNS1_17partition_subalgoE5ElNS0_10empty_typeEbEEZZNS1_14partition_implILS5_5ELb0ES3_mN6hipcub16HIPCUB_304000_NS21CountingInputIteratorIllEEPS6_NSA_22TransformInputIteratorIbN2at6native12_GLOBAL__N_19NonZeroOpIhEEPKhlEENS0_5tupleIJPlS6_EEENSN_IJSD_SD_EEES6_PiJS6_EEE10hipError_tPvRmT3_T4_T5_T6_T7_T9_mT8_P12ihipStream_tbDpT10_ENKUlT_T0_E_clISt17integral_constantIbLb0EES1A_IbLb1EEEEDaS16_S17_EUlS16_E_NS1_11comp_targetILNS1_3genE3ELNS1_11target_archE908ELNS1_3gpuE7ELNS1_3repE0EEENS1_30default_config_static_selectorELNS0_4arch9wavefront6targetE0EEEvT1_,comdat
	.globl	_ZN7rocprim17ROCPRIM_400000_NS6detail17trampoline_kernelINS0_14default_configENS1_25partition_config_selectorILNS1_17partition_subalgoE5ElNS0_10empty_typeEbEEZZNS1_14partition_implILS5_5ELb0ES3_mN6hipcub16HIPCUB_304000_NS21CountingInputIteratorIllEEPS6_NSA_22TransformInputIteratorIbN2at6native12_GLOBAL__N_19NonZeroOpIhEEPKhlEENS0_5tupleIJPlS6_EEENSN_IJSD_SD_EEES6_PiJS6_EEE10hipError_tPvRmT3_T4_T5_T6_T7_T9_mT8_P12ihipStream_tbDpT10_ENKUlT_T0_E_clISt17integral_constantIbLb0EES1A_IbLb1EEEEDaS16_S17_EUlS16_E_NS1_11comp_targetILNS1_3genE3ELNS1_11target_archE908ELNS1_3gpuE7ELNS1_3repE0EEENS1_30default_config_static_selectorELNS0_4arch9wavefront6targetE0EEEvT1_ ; -- Begin function _ZN7rocprim17ROCPRIM_400000_NS6detail17trampoline_kernelINS0_14default_configENS1_25partition_config_selectorILNS1_17partition_subalgoE5ElNS0_10empty_typeEbEEZZNS1_14partition_implILS5_5ELb0ES3_mN6hipcub16HIPCUB_304000_NS21CountingInputIteratorIllEEPS6_NSA_22TransformInputIteratorIbN2at6native12_GLOBAL__N_19NonZeroOpIhEEPKhlEENS0_5tupleIJPlS6_EEENSN_IJSD_SD_EEES6_PiJS6_EEE10hipError_tPvRmT3_T4_T5_T6_T7_T9_mT8_P12ihipStream_tbDpT10_ENKUlT_T0_E_clISt17integral_constantIbLb0EES1A_IbLb1EEEEDaS16_S17_EUlS16_E_NS1_11comp_targetILNS1_3genE3ELNS1_11target_archE908ELNS1_3gpuE7ELNS1_3repE0EEENS1_30default_config_static_selectorELNS0_4arch9wavefront6targetE0EEEvT1_
	.p2align	8
	.type	_ZN7rocprim17ROCPRIM_400000_NS6detail17trampoline_kernelINS0_14default_configENS1_25partition_config_selectorILNS1_17partition_subalgoE5ElNS0_10empty_typeEbEEZZNS1_14partition_implILS5_5ELb0ES3_mN6hipcub16HIPCUB_304000_NS21CountingInputIteratorIllEEPS6_NSA_22TransformInputIteratorIbN2at6native12_GLOBAL__N_19NonZeroOpIhEEPKhlEENS0_5tupleIJPlS6_EEENSN_IJSD_SD_EEES6_PiJS6_EEE10hipError_tPvRmT3_T4_T5_T6_T7_T9_mT8_P12ihipStream_tbDpT10_ENKUlT_T0_E_clISt17integral_constantIbLb0EES1A_IbLb1EEEEDaS16_S17_EUlS16_E_NS1_11comp_targetILNS1_3genE3ELNS1_11target_archE908ELNS1_3gpuE7ELNS1_3repE0EEENS1_30default_config_static_selectorELNS0_4arch9wavefront6targetE0EEEvT1_,@function
_ZN7rocprim17ROCPRIM_400000_NS6detail17trampoline_kernelINS0_14default_configENS1_25partition_config_selectorILNS1_17partition_subalgoE5ElNS0_10empty_typeEbEEZZNS1_14partition_implILS5_5ELb0ES3_mN6hipcub16HIPCUB_304000_NS21CountingInputIteratorIllEEPS6_NSA_22TransformInputIteratorIbN2at6native12_GLOBAL__N_19NonZeroOpIhEEPKhlEENS0_5tupleIJPlS6_EEENSN_IJSD_SD_EEES6_PiJS6_EEE10hipError_tPvRmT3_T4_T5_T6_T7_T9_mT8_P12ihipStream_tbDpT10_ENKUlT_T0_E_clISt17integral_constantIbLb0EES1A_IbLb1EEEEDaS16_S17_EUlS16_E_NS1_11comp_targetILNS1_3genE3ELNS1_11target_archE908ELNS1_3gpuE7ELNS1_3repE0EEENS1_30default_config_static_selectorELNS0_4arch9wavefront6targetE0EEEvT1_: ; @_ZN7rocprim17ROCPRIM_400000_NS6detail17trampoline_kernelINS0_14default_configENS1_25partition_config_selectorILNS1_17partition_subalgoE5ElNS0_10empty_typeEbEEZZNS1_14partition_implILS5_5ELb0ES3_mN6hipcub16HIPCUB_304000_NS21CountingInputIteratorIllEEPS6_NSA_22TransformInputIteratorIbN2at6native12_GLOBAL__N_19NonZeroOpIhEEPKhlEENS0_5tupleIJPlS6_EEENSN_IJSD_SD_EEES6_PiJS6_EEE10hipError_tPvRmT3_T4_T5_T6_T7_T9_mT8_P12ihipStream_tbDpT10_ENKUlT_T0_E_clISt17integral_constantIbLb0EES1A_IbLb1EEEEDaS16_S17_EUlS16_E_NS1_11comp_targetILNS1_3genE3ELNS1_11target_archE908ELNS1_3gpuE7ELNS1_3repE0EEENS1_30default_config_static_selectorELNS0_4arch9wavefront6targetE0EEEvT1_
; %bb.0:
	.section	.rodata,"a",@progbits
	.p2align	6, 0x0
	.amdhsa_kernel _ZN7rocprim17ROCPRIM_400000_NS6detail17trampoline_kernelINS0_14default_configENS1_25partition_config_selectorILNS1_17partition_subalgoE5ElNS0_10empty_typeEbEEZZNS1_14partition_implILS5_5ELb0ES3_mN6hipcub16HIPCUB_304000_NS21CountingInputIteratorIllEEPS6_NSA_22TransformInputIteratorIbN2at6native12_GLOBAL__N_19NonZeroOpIhEEPKhlEENS0_5tupleIJPlS6_EEENSN_IJSD_SD_EEES6_PiJS6_EEE10hipError_tPvRmT3_T4_T5_T6_T7_T9_mT8_P12ihipStream_tbDpT10_ENKUlT_T0_E_clISt17integral_constantIbLb0EES1A_IbLb1EEEEDaS16_S17_EUlS16_E_NS1_11comp_targetILNS1_3genE3ELNS1_11target_archE908ELNS1_3gpuE7ELNS1_3repE0EEENS1_30default_config_static_selectorELNS0_4arch9wavefront6targetE0EEEvT1_
		.amdhsa_group_segment_fixed_size 0
		.amdhsa_private_segment_fixed_size 0
		.amdhsa_kernarg_size 136
		.amdhsa_user_sgpr_count 2
		.amdhsa_user_sgpr_dispatch_ptr 0
		.amdhsa_user_sgpr_queue_ptr 0
		.amdhsa_user_sgpr_kernarg_segment_ptr 1
		.amdhsa_user_sgpr_dispatch_id 0
		.amdhsa_user_sgpr_private_segment_size 0
		.amdhsa_wavefront_size32 1
		.amdhsa_uses_dynamic_stack 0
		.amdhsa_enable_private_segment 0
		.amdhsa_system_sgpr_workgroup_id_x 1
		.amdhsa_system_sgpr_workgroup_id_y 0
		.amdhsa_system_sgpr_workgroup_id_z 0
		.amdhsa_system_sgpr_workgroup_info 0
		.amdhsa_system_vgpr_workitem_id 0
		.amdhsa_next_free_vgpr 1
		.amdhsa_next_free_sgpr 1
		.amdhsa_reserve_vcc 0
		.amdhsa_float_round_mode_32 0
		.amdhsa_float_round_mode_16_64 0
		.amdhsa_float_denorm_mode_32 3
		.amdhsa_float_denorm_mode_16_64 3
		.amdhsa_fp16_overflow 0
		.amdhsa_workgroup_processor_mode 1
		.amdhsa_memory_ordered 1
		.amdhsa_forward_progress 1
		.amdhsa_inst_pref_size 0
		.amdhsa_round_robin_scheduling 0
		.amdhsa_exception_fp_ieee_invalid_op 0
		.amdhsa_exception_fp_denorm_src 0
		.amdhsa_exception_fp_ieee_div_zero 0
		.amdhsa_exception_fp_ieee_overflow 0
		.amdhsa_exception_fp_ieee_underflow 0
		.amdhsa_exception_fp_ieee_inexact 0
		.amdhsa_exception_int_div_zero 0
	.end_amdhsa_kernel
	.section	.text._ZN7rocprim17ROCPRIM_400000_NS6detail17trampoline_kernelINS0_14default_configENS1_25partition_config_selectorILNS1_17partition_subalgoE5ElNS0_10empty_typeEbEEZZNS1_14partition_implILS5_5ELb0ES3_mN6hipcub16HIPCUB_304000_NS21CountingInputIteratorIllEEPS6_NSA_22TransformInputIteratorIbN2at6native12_GLOBAL__N_19NonZeroOpIhEEPKhlEENS0_5tupleIJPlS6_EEENSN_IJSD_SD_EEES6_PiJS6_EEE10hipError_tPvRmT3_T4_T5_T6_T7_T9_mT8_P12ihipStream_tbDpT10_ENKUlT_T0_E_clISt17integral_constantIbLb0EES1A_IbLb1EEEEDaS16_S17_EUlS16_E_NS1_11comp_targetILNS1_3genE3ELNS1_11target_archE908ELNS1_3gpuE7ELNS1_3repE0EEENS1_30default_config_static_selectorELNS0_4arch9wavefront6targetE0EEEvT1_,"axG",@progbits,_ZN7rocprim17ROCPRIM_400000_NS6detail17trampoline_kernelINS0_14default_configENS1_25partition_config_selectorILNS1_17partition_subalgoE5ElNS0_10empty_typeEbEEZZNS1_14partition_implILS5_5ELb0ES3_mN6hipcub16HIPCUB_304000_NS21CountingInputIteratorIllEEPS6_NSA_22TransformInputIteratorIbN2at6native12_GLOBAL__N_19NonZeroOpIhEEPKhlEENS0_5tupleIJPlS6_EEENSN_IJSD_SD_EEES6_PiJS6_EEE10hipError_tPvRmT3_T4_T5_T6_T7_T9_mT8_P12ihipStream_tbDpT10_ENKUlT_T0_E_clISt17integral_constantIbLb0EES1A_IbLb1EEEEDaS16_S17_EUlS16_E_NS1_11comp_targetILNS1_3genE3ELNS1_11target_archE908ELNS1_3gpuE7ELNS1_3repE0EEENS1_30default_config_static_selectorELNS0_4arch9wavefront6targetE0EEEvT1_,comdat
.Lfunc_end76:
	.size	_ZN7rocprim17ROCPRIM_400000_NS6detail17trampoline_kernelINS0_14default_configENS1_25partition_config_selectorILNS1_17partition_subalgoE5ElNS0_10empty_typeEbEEZZNS1_14partition_implILS5_5ELb0ES3_mN6hipcub16HIPCUB_304000_NS21CountingInputIteratorIllEEPS6_NSA_22TransformInputIteratorIbN2at6native12_GLOBAL__N_19NonZeroOpIhEEPKhlEENS0_5tupleIJPlS6_EEENSN_IJSD_SD_EEES6_PiJS6_EEE10hipError_tPvRmT3_T4_T5_T6_T7_T9_mT8_P12ihipStream_tbDpT10_ENKUlT_T0_E_clISt17integral_constantIbLb0EES1A_IbLb1EEEEDaS16_S17_EUlS16_E_NS1_11comp_targetILNS1_3genE3ELNS1_11target_archE908ELNS1_3gpuE7ELNS1_3repE0EEENS1_30default_config_static_selectorELNS0_4arch9wavefront6targetE0EEEvT1_, .Lfunc_end76-_ZN7rocprim17ROCPRIM_400000_NS6detail17trampoline_kernelINS0_14default_configENS1_25partition_config_selectorILNS1_17partition_subalgoE5ElNS0_10empty_typeEbEEZZNS1_14partition_implILS5_5ELb0ES3_mN6hipcub16HIPCUB_304000_NS21CountingInputIteratorIllEEPS6_NSA_22TransformInputIteratorIbN2at6native12_GLOBAL__N_19NonZeroOpIhEEPKhlEENS0_5tupleIJPlS6_EEENSN_IJSD_SD_EEES6_PiJS6_EEE10hipError_tPvRmT3_T4_T5_T6_T7_T9_mT8_P12ihipStream_tbDpT10_ENKUlT_T0_E_clISt17integral_constantIbLb0EES1A_IbLb1EEEEDaS16_S17_EUlS16_E_NS1_11comp_targetILNS1_3genE3ELNS1_11target_archE908ELNS1_3gpuE7ELNS1_3repE0EEENS1_30default_config_static_selectorELNS0_4arch9wavefront6targetE0EEEvT1_
                                        ; -- End function
	.set _ZN7rocprim17ROCPRIM_400000_NS6detail17trampoline_kernelINS0_14default_configENS1_25partition_config_selectorILNS1_17partition_subalgoE5ElNS0_10empty_typeEbEEZZNS1_14partition_implILS5_5ELb0ES3_mN6hipcub16HIPCUB_304000_NS21CountingInputIteratorIllEEPS6_NSA_22TransformInputIteratorIbN2at6native12_GLOBAL__N_19NonZeroOpIhEEPKhlEENS0_5tupleIJPlS6_EEENSN_IJSD_SD_EEES6_PiJS6_EEE10hipError_tPvRmT3_T4_T5_T6_T7_T9_mT8_P12ihipStream_tbDpT10_ENKUlT_T0_E_clISt17integral_constantIbLb0EES1A_IbLb1EEEEDaS16_S17_EUlS16_E_NS1_11comp_targetILNS1_3genE3ELNS1_11target_archE908ELNS1_3gpuE7ELNS1_3repE0EEENS1_30default_config_static_selectorELNS0_4arch9wavefront6targetE0EEEvT1_.num_vgpr, 0
	.set _ZN7rocprim17ROCPRIM_400000_NS6detail17trampoline_kernelINS0_14default_configENS1_25partition_config_selectorILNS1_17partition_subalgoE5ElNS0_10empty_typeEbEEZZNS1_14partition_implILS5_5ELb0ES3_mN6hipcub16HIPCUB_304000_NS21CountingInputIteratorIllEEPS6_NSA_22TransformInputIteratorIbN2at6native12_GLOBAL__N_19NonZeroOpIhEEPKhlEENS0_5tupleIJPlS6_EEENSN_IJSD_SD_EEES6_PiJS6_EEE10hipError_tPvRmT3_T4_T5_T6_T7_T9_mT8_P12ihipStream_tbDpT10_ENKUlT_T0_E_clISt17integral_constantIbLb0EES1A_IbLb1EEEEDaS16_S17_EUlS16_E_NS1_11comp_targetILNS1_3genE3ELNS1_11target_archE908ELNS1_3gpuE7ELNS1_3repE0EEENS1_30default_config_static_selectorELNS0_4arch9wavefront6targetE0EEEvT1_.num_agpr, 0
	.set _ZN7rocprim17ROCPRIM_400000_NS6detail17trampoline_kernelINS0_14default_configENS1_25partition_config_selectorILNS1_17partition_subalgoE5ElNS0_10empty_typeEbEEZZNS1_14partition_implILS5_5ELb0ES3_mN6hipcub16HIPCUB_304000_NS21CountingInputIteratorIllEEPS6_NSA_22TransformInputIteratorIbN2at6native12_GLOBAL__N_19NonZeroOpIhEEPKhlEENS0_5tupleIJPlS6_EEENSN_IJSD_SD_EEES6_PiJS6_EEE10hipError_tPvRmT3_T4_T5_T6_T7_T9_mT8_P12ihipStream_tbDpT10_ENKUlT_T0_E_clISt17integral_constantIbLb0EES1A_IbLb1EEEEDaS16_S17_EUlS16_E_NS1_11comp_targetILNS1_3genE3ELNS1_11target_archE908ELNS1_3gpuE7ELNS1_3repE0EEENS1_30default_config_static_selectorELNS0_4arch9wavefront6targetE0EEEvT1_.numbered_sgpr, 0
	.set _ZN7rocprim17ROCPRIM_400000_NS6detail17trampoline_kernelINS0_14default_configENS1_25partition_config_selectorILNS1_17partition_subalgoE5ElNS0_10empty_typeEbEEZZNS1_14partition_implILS5_5ELb0ES3_mN6hipcub16HIPCUB_304000_NS21CountingInputIteratorIllEEPS6_NSA_22TransformInputIteratorIbN2at6native12_GLOBAL__N_19NonZeroOpIhEEPKhlEENS0_5tupleIJPlS6_EEENSN_IJSD_SD_EEES6_PiJS6_EEE10hipError_tPvRmT3_T4_T5_T6_T7_T9_mT8_P12ihipStream_tbDpT10_ENKUlT_T0_E_clISt17integral_constantIbLb0EES1A_IbLb1EEEEDaS16_S17_EUlS16_E_NS1_11comp_targetILNS1_3genE3ELNS1_11target_archE908ELNS1_3gpuE7ELNS1_3repE0EEENS1_30default_config_static_selectorELNS0_4arch9wavefront6targetE0EEEvT1_.num_named_barrier, 0
	.set _ZN7rocprim17ROCPRIM_400000_NS6detail17trampoline_kernelINS0_14default_configENS1_25partition_config_selectorILNS1_17partition_subalgoE5ElNS0_10empty_typeEbEEZZNS1_14partition_implILS5_5ELb0ES3_mN6hipcub16HIPCUB_304000_NS21CountingInputIteratorIllEEPS6_NSA_22TransformInputIteratorIbN2at6native12_GLOBAL__N_19NonZeroOpIhEEPKhlEENS0_5tupleIJPlS6_EEENSN_IJSD_SD_EEES6_PiJS6_EEE10hipError_tPvRmT3_T4_T5_T6_T7_T9_mT8_P12ihipStream_tbDpT10_ENKUlT_T0_E_clISt17integral_constantIbLb0EES1A_IbLb1EEEEDaS16_S17_EUlS16_E_NS1_11comp_targetILNS1_3genE3ELNS1_11target_archE908ELNS1_3gpuE7ELNS1_3repE0EEENS1_30default_config_static_selectorELNS0_4arch9wavefront6targetE0EEEvT1_.private_seg_size, 0
	.set _ZN7rocprim17ROCPRIM_400000_NS6detail17trampoline_kernelINS0_14default_configENS1_25partition_config_selectorILNS1_17partition_subalgoE5ElNS0_10empty_typeEbEEZZNS1_14partition_implILS5_5ELb0ES3_mN6hipcub16HIPCUB_304000_NS21CountingInputIteratorIllEEPS6_NSA_22TransformInputIteratorIbN2at6native12_GLOBAL__N_19NonZeroOpIhEEPKhlEENS0_5tupleIJPlS6_EEENSN_IJSD_SD_EEES6_PiJS6_EEE10hipError_tPvRmT3_T4_T5_T6_T7_T9_mT8_P12ihipStream_tbDpT10_ENKUlT_T0_E_clISt17integral_constantIbLb0EES1A_IbLb1EEEEDaS16_S17_EUlS16_E_NS1_11comp_targetILNS1_3genE3ELNS1_11target_archE908ELNS1_3gpuE7ELNS1_3repE0EEENS1_30default_config_static_selectorELNS0_4arch9wavefront6targetE0EEEvT1_.uses_vcc, 0
	.set _ZN7rocprim17ROCPRIM_400000_NS6detail17trampoline_kernelINS0_14default_configENS1_25partition_config_selectorILNS1_17partition_subalgoE5ElNS0_10empty_typeEbEEZZNS1_14partition_implILS5_5ELb0ES3_mN6hipcub16HIPCUB_304000_NS21CountingInputIteratorIllEEPS6_NSA_22TransformInputIteratorIbN2at6native12_GLOBAL__N_19NonZeroOpIhEEPKhlEENS0_5tupleIJPlS6_EEENSN_IJSD_SD_EEES6_PiJS6_EEE10hipError_tPvRmT3_T4_T5_T6_T7_T9_mT8_P12ihipStream_tbDpT10_ENKUlT_T0_E_clISt17integral_constantIbLb0EES1A_IbLb1EEEEDaS16_S17_EUlS16_E_NS1_11comp_targetILNS1_3genE3ELNS1_11target_archE908ELNS1_3gpuE7ELNS1_3repE0EEENS1_30default_config_static_selectorELNS0_4arch9wavefront6targetE0EEEvT1_.uses_flat_scratch, 0
	.set _ZN7rocprim17ROCPRIM_400000_NS6detail17trampoline_kernelINS0_14default_configENS1_25partition_config_selectorILNS1_17partition_subalgoE5ElNS0_10empty_typeEbEEZZNS1_14partition_implILS5_5ELb0ES3_mN6hipcub16HIPCUB_304000_NS21CountingInputIteratorIllEEPS6_NSA_22TransformInputIteratorIbN2at6native12_GLOBAL__N_19NonZeroOpIhEEPKhlEENS0_5tupleIJPlS6_EEENSN_IJSD_SD_EEES6_PiJS6_EEE10hipError_tPvRmT3_T4_T5_T6_T7_T9_mT8_P12ihipStream_tbDpT10_ENKUlT_T0_E_clISt17integral_constantIbLb0EES1A_IbLb1EEEEDaS16_S17_EUlS16_E_NS1_11comp_targetILNS1_3genE3ELNS1_11target_archE908ELNS1_3gpuE7ELNS1_3repE0EEENS1_30default_config_static_selectorELNS0_4arch9wavefront6targetE0EEEvT1_.has_dyn_sized_stack, 0
	.set _ZN7rocprim17ROCPRIM_400000_NS6detail17trampoline_kernelINS0_14default_configENS1_25partition_config_selectorILNS1_17partition_subalgoE5ElNS0_10empty_typeEbEEZZNS1_14partition_implILS5_5ELb0ES3_mN6hipcub16HIPCUB_304000_NS21CountingInputIteratorIllEEPS6_NSA_22TransformInputIteratorIbN2at6native12_GLOBAL__N_19NonZeroOpIhEEPKhlEENS0_5tupleIJPlS6_EEENSN_IJSD_SD_EEES6_PiJS6_EEE10hipError_tPvRmT3_T4_T5_T6_T7_T9_mT8_P12ihipStream_tbDpT10_ENKUlT_T0_E_clISt17integral_constantIbLb0EES1A_IbLb1EEEEDaS16_S17_EUlS16_E_NS1_11comp_targetILNS1_3genE3ELNS1_11target_archE908ELNS1_3gpuE7ELNS1_3repE0EEENS1_30default_config_static_selectorELNS0_4arch9wavefront6targetE0EEEvT1_.has_recursion, 0
	.set _ZN7rocprim17ROCPRIM_400000_NS6detail17trampoline_kernelINS0_14default_configENS1_25partition_config_selectorILNS1_17partition_subalgoE5ElNS0_10empty_typeEbEEZZNS1_14partition_implILS5_5ELb0ES3_mN6hipcub16HIPCUB_304000_NS21CountingInputIteratorIllEEPS6_NSA_22TransformInputIteratorIbN2at6native12_GLOBAL__N_19NonZeroOpIhEEPKhlEENS0_5tupleIJPlS6_EEENSN_IJSD_SD_EEES6_PiJS6_EEE10hipError_tPvRmT3_T4_T5_T6_T7_T9_mT8_P12ihipStream_tbDpT10_ENKUlT_T0_E_clISt17integral_constantIbLb0EES1A_IbLb1EEEEDaS16_S17_EUlS16_E_NS1_11comp_targetILNS1_3genE3ELNS1_11target_archE908ELNS1_3gpuE7ELNS1_3repE0EEENS1_30default_config_static_selectorELNS0_4arch9wavefront6targetE0EEEvT1_.has_indirect_call, 0
	.section	.AMDGPU.csdata,"",@progbits
; Kernel info:
; codeLenInByte = 0
; TotalNumSgprs: 0
; NumVgprs: 0
; ScratchSize: 0
; MemoryBound: 0
; FloatMode: 240
; IeeeMode: 1
; LDSByteSize: 0 bytes/workgroup (compile time only)
; SGPRBlocks: 0
; VGPRBlocks: 0
; NumSGPRsForWavesPerEU: 1
; NumVGPRsForWavesPerEU: 1
; Occupancy: 16
; WaveLimiterHint : 0
; COMPUTE_PGM_RSRC2:SCRATCH_EN: 0
; COMPUTE_PGM_RSRC2:USER_SGPR: 2
; COMPUTE_PGM_RSRC2:TRAP_HANDLER: 0
; COMPUTE_PGM_RSRC2:TGID_X_EN: 1
; COMPUTE_PGM_RSRC2:TGID_Y_EN: 0
; COMPUTE_PGM_RSRC2:TGID_Z_EN: 0
; COMPUTE_PGM_RSRC2:TIDIG_COMP_CNT: 0
	.section	.text._ZN7rocprim17ROCPRIM_400000_NS6detail17trampoline_kernelINS0_14default_configENS1_25partition_config_selectorILNS1_17partition_subalgoE5ElNS0_10empty_typeEbEEZZNS1_14partition_implILS5_5ELb0ES3_mN6hipcub16HIPCUB_304000_NS21CountingInputIteratorIllEEPS6_NSA_22TransformInputIteratorIbN2at6native12_GLOBAL__N_19NonZeroOpIhEEPKhlEENS0_5tupleIJPlS6_EEENSN_IJSD_SD_EEES6_PiJS6_EEE10hipError_tPvRmT3_T4_T5_T6_T7_T9_mT8_P12ihipStream_tbDpT10_ENKUlT_T0_E_clISt17integral_constantIbLb0EES1A_IbLb1EEEEDaS16_S17_EUlS16_E_NS1_11comp_targetILNS1_3genE2ELNS1_11target_archE906ELNS1_3gpuE6ELNS1_3repE0EEENS1_30default_config_static_selectorELNS0_4arch9wavefront6targetE0EEEvT1_,"axG",@progbits,_ZN7rocprim17ROCPRIM_400000_NS6detail17trampoline_kernelINS0_14default_configENS1_25partition_config_selectorILNS1_17partition_subalgoE5ElNS0_10empty_typeEbEEZZNS1_14partition_implILS5_5ELb0ES3_mN6hipcub16HIPCUB_304000_NS21CountingInputIteratorIllEEPS6_NSA_22TransformInputIteratorIbN2at6native12_GLOBAL__N_19NonZeroOpIhEEPKhlEENS0_5tupleIJPlS6_EEENSN_IJSD_SD_EEES6_PiJS6_EEE10hipError_tPvRmT3_T4_T5_T6_T7_T9_mT8_P12ihipStream_tbDpT10_ENKUlT_T0_E_clISt17integral_constantIbLb0EES1A_IbLb1EEEEDaS16_S17_EUlS16_E_NS1_11comp_targetILNS1_3genE2ELNS1_11target_archE906ELNS1_3gpuE6ELNS1_3repE0EEENS1_30default_config_static_selectorELNS0_4arch9wavefront6targetE0EEEvT1_,comdat
	.globl	_ZN7rocprim17ROCPRIM_400000_NS6detail17trampoline_kernelINS0_14default_configENS1_25partition_config_selectorILNS1_17partition_subalgoE5ElNS0_10empty_typeEbEEZZNS1_14partition_implILS5_5ELb0ES3_mN6hipcub16HIPCUB_304000_NS21CountingInputIteratorIllEEPS6_NSA_22TransformInputIteratorIbN2at6native12_GLOBAL__N_19NonZeroOpIhEEPKhlEENS0_5tupleIJPlS6_EEENSN_IJSD_SD_EEES6_PiJS6_EEE10hipError_tPvRmT3_T4_T5_T6_T7_T9_mT8_P12ihipStream_tbDpT10_ENKUlT_T0_E_clISt17integral_constantIbLb0EES1A_IbLb1EEEEDaS16_S17_EUlS16_E_NS1_11comp_targetILNS1_3genE2ELNS1_11target_archE906ELNS1_3gpuE6ELNS1_3repE0EEENS1_30default_config_static_selectorELNS0_4arch9wavefront6targetE0EEEvT1_ ; -- Begin function _ZN7rocprim17ROCPRIM_400000_NS6detail17trampoline_kernelINS0_14default_configENS1_25partition_config_selectorILNS1_17partition_subalgoE5ElNS0_10empty_typeEbEEZZNS1_14partition_implILS5_5ELb0ES3_mN6hipcub16HIPCUB_304000_NS21CountingInputIteratorIllEEPS6_NSA_22TransformInputIteratorIbN2at6native12_GLOBAL__N_19NonZeroOpIhEEPKhlEENS0_5tupleIJPlS6_EEENSN_IJSD_SD_EEES6_PiJS6_EEE10hipError_tPvRmT3_T4_T5_T6_T7_T9_mT8_P12ihipStream_tbDpT10_ENKUlT_T0_E_clISt17integral_constantIbLb0EES1A_IbLb1EEEEDaS16_S17_EUlS16_E_NS1_11comp_targetILNS1_3genE2ELNS1_11target_archE906ELNS1_3gpuE6ELNS1_3repE0EEENS1_30default_config_static_selectorELNS0_4arch9wavefront6targetE0EEEvT1_
	.p2align	8
	.type	_ZN7rocprim17ROCPRIM_400000_NS6detail17trampoline_kernelINS0_14default_configENS1_25partition_config_selectorILNS1_17partition_subalgoE5ElNS0_10empty_typeEbEEZZNS1_14partition_implILS5_5ELb0ES3_mN6hipcub16HIPCUB_304000_NS21CountingInputIteratorIllEEPS6_NSA_22TransformInputIteratorIbN2at6native12_GLOBAL__N_19NonZeroOpIhEEPKhlEENS0_5tupleIJPlS6_EEENSN_IJSD_SD_EEES6_PiJS6_EEE10hipError_tPvRmT3_T4_T5_T6_T7_T9_mT8_P12ihipStream_tbDpT10_ENKUlT_T0_E_clISt17integral_constantIbLb0EES1A_IbLb1EEEEDaS16_S17_EUlS16_E_NS1_11comp_targetILNS1_3genE2ELNS1_11target_archE906ELNS1_3gpuE6ELNS1_3repE0EEENS1_30default_config_static_selectorELNS0_4arch9wavefront6targetE0EEEvT1_,@function
_ZN7rocprim17ROCPRIM_400000_NS6detail17trampoline_kernelINS0_14default_configENS1_25partition_config_selectorILNS1_17partition_subalgoE5ElNS0_10empty_typeEbEEZZNS1_14partition_implILS5_5ELb0ES3_mN6hipcub16HIPCUB_304000_NS21CountingInputIteratorIllEEPS6_NSA_22TransformInputIteratorIbN2at6native12_GLOBAL__N_19NonZeroOpIhEEPKhlEENS0_5tupleIJPlS6_EEENSN_IJSD_SD_EEES6_PiJS6_EEE10hipError_tPvRmT3_T4_T5_T6_T7_T9_mT8_P12ihipStream_tbDpT10_ENKUlT_T0_E_clISt17integral_constantIbLb0EES1A_IbLb1EEEEDaS16_S17_EUlS16_E_NS1_11comp_targetILNS1_3genE2ELNS1_11target_archE906ELNS1_3gpuE6ELNS1_3repE0EEENS1_30default_config_static_selectorELNS0_4arch9wavefront6targetE0EEEvT1_: ; @_ZN7rocprim17ROCPRIM_400000_NS6detail17trampoline_kernelINS0_14default_configENS1_25partition_config_selectorILNS1_17partition_subalgoE5ElNS0_10empty_typeEbEEZZNS1_14partition_implILS5_5ELb0ES3_mN6hipcub16HIPCUB_304000_NS21CountingInputIteratorIllEEPS6_NSA_22TransformInputIteratorIbN2at6native12_GLOBAL__N_19NonZeroOpIhEEPKhlEENS0_5tupleIJPlS6_EEENSN_IJSD_SD_EEES6_PiJS6_EEE10hipError_tPvRmT3_T4_T5_T6_T7_T9_mT8_P12ihipStream_tbDpT10_ENKUlT_T0_E_clISt17integral_constantIbLb0EES1A_IbLb1EEEEDaS16_S17_EUlS16_E_NS1_11comp_targetILNS1_3genE2ELNS1_11target_archE906ELNS1_3gpuE6ELNS1_3repE0EEENS1_30default_config_static_selectorELNS0_4arch9wavefront6targetE0EEEvT1_
; %bb.0:
	.section	.rodata,"a",@progbits
	.p2align	6, 0x0
	.amdhsa_kernel _ZN7rocprim17ROCPRIM_400000_NS6detail17trampoline_kernelINS0_14default_configENS1_25partition_config_selectorILNS1_17partition_subalgoE5ElNS0_10empty_typeEbEEZZNS1_14partition_implILS5_5ELb0ES3_mN6hipcub16HIPCUB_304000_NS21CountingInputIteratorIllEEPS6_NSA_22TransformInputIteratorIbN2at6native12_GLOBAL__N_19NonZeroOpIhEEPKhlEENS0_5tupleIJPlS6_EEENSN_IJSD_SD_EEES6_PiJS6_EEE10hipError_tPvRmT3_T4_T5_T6_T7_T9_mT8_P12ihipStream_tbDpT10_ENKUlT_T0_E_clISt17integral_constantIbLb0EES1A_IbLb1EEEEDaS16_S17_EUlS16_E_NS1_11comp_targetILNS1_3genE2ELNS1_11target_archE906ELNS1_3gpuE6ELNS1_3repE0EEENS1_30default_config_static_selectorELNS0_4arch9wavefront6targetE0EEEvT1_
		.amdhsa_group_segment_fixed_size 0
		.amdhsa_private_segment_fixed_size 0
		.amdhsa_kernarg_size 136
		.amdhsa_user_sgpr_count 2
		.amdhsa_user_sgpr_dispatch_ptr 0
		.amdhsa_user_sgpr_queue_ptr 0
		.amdhsa_user_sgpr_kernarg_segment_ptr 1
		.amdhsa_user_sgpr_dispatch_id 0
		.amdhsa_user_sgpr_private_segment_size 0
		.amdhsa_wavefront_size32 1
		.amdhsa_uses_dynamic_stack 0
		.amdhsa_enable_private_segment 0
		.amdhsa_system_sgpr_workgroup_id_x 1
		.amdhsa_system_sgpr_workgroup_id_y 0
		.amdhsa_system_sgpr_workgroup_id_z 0
		.amdhsa_system_sgpr_workgroup_info 0
		.amdhsa_system_vgpr_workitem_id 0
		.amdhsa_next_free_vgpr 1
		.amdhsa_next_free_sgpr 1
		.amdhsa_reserve_vcc 0
		.amdhsa_float_round_mode_32 0
		.amdhsa_float_round_mode_16_64 0
		.amdhsa_float_denorm_mode_32 3
		.amdhsa_float_denorm_mode_16_64 3
		.amdhsa_fp16_overflow 0
		.amdhsa_workgroup_processor_mode 1
		.amdhsa_memory_ordered 1
		.amdhsa_forward_progress 1
		.amdhsa_inst_pref_size 0
		.amdhsa_round_robin_scheduling 0
		.amdhsa_exception_fp_ieee_invalid_op 0
		.amdhsa_exception_fp_denorm_src 0
		.amdhsa_exception_fp_ieee_div_zero 0
		.amdhsa_exception_fp_ieee_overflow 0
		.amdhsa_exception_fp_ieee_underflow 0
		.amdhsa_exception_fp_ieee_inexact 0
		.amdhsa_exception_int_div_zero 0
	.end_amdhsa_kernel
	.section	.text._ZN7rocprim17ROCPRIM_400000_NS6detail17trampoline_kernelINS0_14default_configENS1_25partition_config_selectorILNS1_17partition_subalgoE5ElNS0_10empty_typeEbEEZZNS1_14partition_implILS5_5ELb0ES3_mN6hipcub16HIPCUB_304000_NS21CountingInputIteratorIllEEPS6_NSA_22TransformInputIteratorIbN2at6native12_GLOBAL__N_19NonZeroOpIhEEPKhlEENS0_5tupleIJPlS6_EEENSN_IJSD_SD_EEES6_PiJS6_EEE10hipError_tPvRmT3_T4_T5_T6_T7_T9_mT8_P12ihipStream_tbDpT10_ENKUlT_T0_E_clISt17integral_constantIbLb0EES1A_IbLb1EEEEDaS16_S17_EUlS16_E_NS1_11comp_targetILNS1_3genE2ELNS1_11target_archE906ELNS1_3gpuE6ELNS1_3repE0EEENS1_30default_config_static_selectorELNS0_4arch9wavefront6targetE0EEEvT1_,"axG",@progbits,_ZN7rocprim17ROCPRIM_400000_NS6detail17trampoline_kernelINS0_14default_configENS1_25partition_config_selectorILNS1_17partition_subalgoE5ElNS0_10empty_typeEbEEZZNS1_14partition_implILS5_5ELb0ES3_mN6hipcub16HIPCUB_304000_NS21CountingInputIteratorIllEEPS6_NSA_22TransformInputIteratorIbN2at6native12_GLOBAL__N_19NonZeroOpIhEEPKhlEENS0_5tupleIJPlS6_EEENSN_IJSD_SD_EEES6_PiJS6_EEE10hipError_tPvRmT3_T4_T5_T6_T7_T9_mT8_P12ihipStream_tbDpT10_ENKUlT_T0_E_clISt17integral_constantIbLb0EES1A_IbLb1EEEEDaS16_S17_EUlS16_E_NS1_11comp_targetILNS1_3genE2ELNS1_11target_archE906ELNS1_3gpuE6ELNS1_3repE0EEENS1_30default_config_static_selectorELNS0_4arch9wavefront6targetE0EEEvT1_,comdat
.Lfunc_end77:
	.size	_ZN7rocprim17ROCPRIM_400000_NS6detail17trampoline_kernelINS0_14default_configENS1_25partition_config_selectorILNS1_17partition_subalgoE5ElNS0_10empty_typeEbEEZZNS1_14partition_implILS5_5ELb0ES3_mN6hipcub16HIPCUB_304000_NS21CountingInputIteratorIllEEPS6_NSA_22TransformInputIteratorIbN2at6native12_GLOBAL__N_19NonZeroOpIhEEPKhlEENS0_5tupleIJPlS6_EEENSN_IJSD_SD_EEES6_PiJS6_EEE10hipError_tPvRmT3_T4_T5_T6_T7_T9_mT8_P12ihipStream_tbDpT10_ENKUlT_T0_E_clISt17integral_constantIbLb0EES1A_IbLb1EEEEDaS16_S17_EUlS16_E_NS1_11comp_targetILNS1_3genE2ELNS1_11target_archE906ELNS1_3gpuE6ELNS1_3repE0EEENS1_30default_config_static_selectorELNS0_4arch9wavefront6targetE0EEEvT1_, .Lfunc_end77-_ZN7rocprim17ROCPRIM_400000_NS6detail17trampoline_kernelINS0_14default_configENS1_25partition_config_selectorILNS1_17partition_subalgoE5ElNS0_10empty_typeEbEEZZNS1_14partition_implILS5_5ELb0ES3_mN6hipcub16HIPCUB_304000_NS21CountingInputIteratorIllEEPS6_NSA_22TransformInputIteratorIbN2at6native12_GLOBAL__N_19NonZeroOpIhEEPKhlEENS0_5tupleIJPlS6_EEENSN_IJSD_SD_EEES6_PiJS6_EEE10hipError_tPvRmT3_T4_T5_T6_T7_T9_mT8_P12ihipStream_tbDpT10_ENKUlT_T0_E_clISt17integral_constantIbLb0EES1A_IbLb1EEEEDaS16_S17_EUlS16_E_NS1_11comp_targetILNS1_3genE2ELNS1_11target_archE906ELNS1_3gpuE6ELNS1_3repE0EEENS1_30default_config_static_selectorELNS0_4arch9wavefront6targetE0EEEvT1_
                                        ; -- End function
	.set _ZN7rocprim17ROCPRIM_400000_NS6detail17trampoline_kernelINS0_14default_configENS1_25partition_config_selectorILNS1_17partition_subalgoE5ElNS0_10empty_typeEbEEZZNS1_14partition_implILS5_5ELb0ES3_mN6hipcub16HIPCUB_304000_NS21CountingInputIteratorIllEEPS6_NSA_22TransformInputIteratorIbN2at6native12_GLOBAL__N_19NonZeroOpIhEEPKhlEENS0_5tupleIJPlS6_EEENSN_IJSD_SD_EEES6_PiJS6_EEE10hipError_tPvRmT3_T4_T5_T6_T7_T9_mT8_P12ihipStream_tbDpT10_ENKUlT_T0_E_clISt17integral_constantIbLb0EES1A_IbLb1EEEEDaS16_S17_EUlS16_E_NS1_11comp_targetILNS1_3genE2ELNS1_11target_archE906ELNS1_3gpuE6ELNS1_3repE0EEENS1_30default_config_static_selectorELNS0_4arch9wavefront6targetE0EEEvT1_.num_vgpr, 0
	.set _ZN7rocprim17ROCPRIM_400000_NS6detail17trampoline_kernelINS0_14default_configENS1_25partition_config_selectorILNS1_17partition_subalgoE5ElNS0_10empty_typeEbEEZZNS1_14partition_implILS5_5ELb0ES3_mN6hipcub16HIPCUB_304000_NS21CountingInputIteratorIllEEPS6_NSA_22TransformInputIteratorIbN2at6native12_GLOBAL__N_19NonZeroOpIhEEPKhlEENS0_5tupleIJPlS6_EEENSN_IJSD_SD_EEES6_PiJS6_EEE10hipError_tPvRmT3_T4_T5_T6_T7_T9_mT8_P12ihipStream_tbDpT10_ENKUlT_T0_E_clISt17integral_constantIbLb0EES1A_IbLb1EEEEDaS16_S17_EUlS16_E_NS1_11comp_targetILNS1_3genE2ELNS1_11target_archE906ELNS1_3gpuE6ELNS1_3repE0EEENS1_30default_config_static_selectorELNS0_4arch9wavefront6targetE0EEEvT1_.num_agpr, 0
	.set _ZN7rocprim17ROCPRIM_400000_NS6detail17trampoline_kernelINS0_14default_configENS1_25partition_config_selectorILNS1_17partition_subalgoE5ElNS0_10empty_typeEbEEZZNS1_14partition_implILS5_5ELb0ES3_mN6hipcub16HIPCUB_304000_NS21CountingInputIteratorIllEEPS6_NSA_22TransformInputIteratorIbN2at6native12_GLOBAL__N_19NonZeroOpIhEEPKhlEENS0_5tupleIJPlS6_EEENSN_IJSD_SD_EEES6_PiJS6_EEE10hipError_tPvRmT3_T4_T5_T6_T7_T9_mT8_P12ihipStream_tbDpT10_ENKUlT_T0_E_clISt17integral_constantIbLb0EES1A_IbLb1EEEEDaS16_S17_EUlS16_E_NS1_11comp_targetILNS1_3genE2ELNS1_11target_archE906ELNS1_3gpuE6ELNS1_3repE0EEENS1_30default_config_static_selectorELNS0_4arch9wavefront6targetE0EEEvT1_.numbered_sgpr, 0
	.set _ZN7rocprim17ROCPRIM_400000_NS6detail17trampoline_kernelINS0_14default_configENS1_25partition_config_selectorILNS1_17partition_subalgoE5ElNS0_10empty_typeEbEEZZNS1_14partition_implILS5_5ELb0ES3_mN6hipcub16HIPCUB_304000_NS21CountingInputIteratorIllEEPS6_NSA_22TransformInputIteratorIbN2at6native12_GLOBAL__N_19NonZeroOpIhEEPKhlEENS0_5tupleIJPlS6_EEENSN_IJSD_SD_EEES6_PiJS6_EEE10hipError_tPvRmT3_T4_T5_T6_T7_T9_mT8_P12ihipStream_tbDpT10_ENKUlT_T0_E_clISt17integral_constantIbLb0EES1A_IbLb1EEEEDaS16_S17_EUlS16_E_NS1_11comp_targetILNS1_3genE2ELNS1_11target_archE906ELNS1_3gpuE6ELNS1_3repE0EEENS1_30default_config_static_selectorELNS0_4arch9wavefront6targetE0EEEvT1_.num_named_barrier, 0
	.set _ZN7rocprim17ROCPRIM_400000_NS6detail17trampoline_kernelINS0_14default_configENS1_25partition_config_selectorILNS1_17partition_subalgoE5ElNS0_10empty_typeEbEEZZNS1_14partition_implILS5_5ELb0ES3_mN6hipcub16HIPCUB_304000_NS21CountingInputIteratorIllEEPS6_NSA_22TransformInputIteratorIbN2at6native12_GLOBAL__N_19NonZeroOpIhEEPKhlEENS0_5tupleIJPlS6_EEENSN_IJSD_SD_EEES6_PiJS6_EEE10hipError_tPvRmT3_T4_T5_T6_T7_T9_mT8_P12ihipStream_tbDpT10_ENKUlT_T0_E_clISt17integral_constantIbLb0EES1A_IbLb1EEEEDaS16_S17_EUlS16_E_NS1_11comp_targetILNS1_3genE2ELNS1_11target_archE906ELNS1_3gpuE6ELNS1_3repE0EEENS1_30default_config_static_selectorELNS0_4arch9wavefront6targetE0EEEvT1_.private_seg_size, 0
	.set _ZN7rocprim17ROCPRIM_400000_NS6detail17trampoline_kernelINS0_14default_configENS1_25partition_config_selectorILNS1_17partition_subalgoE5ElNS0_10empty_typeEbEEZZNS1_14partition_implILS5_5ELb0ES3_mN6hipcub16HIPCUB_304000_NS21CountingInputIteratorIllEEPS6_NSA_22TransformInputIteratorIbN2at6native12_GLOBAL__N_19NonZeroOpIhEEPKhlEENS0_5tupleIJPlS6_EEENSN_IJSD_SD_EEES6_PiJS6_EEE10hipError_tPvRmT3_T4_T5_T6_T7_T9_mT8_P12ihipStream_tbDpT10_ENKUlT_T0_E_clISt17integral_constantIbLb0EES1A_IbLb1EEEEDaS16_S17_EUlS16_E_NS1_11comp_targetILNS1_3genE2ELNS1_11target_archE906ELNS1_3gpuE6ELNS1_3repE0EEENS1_30default_config_static_selectorELNS0_4arch9wavefront6targetE0EEEvT1_.uses_vcc, 0
	.set _ZN7rocprim17ROCPRIM_400000_NS6detail17trampoline_kernelINS0_14default_configENS1_25partition_config_selectorILNS1_17partition_subalgoE5ElNS0_10empty_typeEbEEZZNS1_14partition_implILS5_5ELb0ES3_mN6hipcub16HIPCUB_304000_NS21CountingInputIteratorIllEEPS6_NSA_22TransformInputIteratorIbN2at6native12_GLOBAL__N_19NonZeroOpIhEEPKhlEENS0_5tupleIJPlS6_EEENSN_IJSD_SD_EEES6_PiJS6_EEE10hipError_tPvRmT3_T4_T5_T6_T7_T9_mT8_P12ihipStream_tbDpT10_ENKUlT_T0_E_clISt17integral_constantIbLb0EES1A_IbLb1EEEEDaS16_S17_EUlS16_E_NS1_11comp_targetILNS1_3genE2ELNS1_11target_archE906ELNS1_3gpuE6ELNS1_3repE0EEENS1_30default_config_static_selectorELNS0_4arch9wavefront6targetE0EEEvT1_.uses_flat_scratch, 0
	.set _ZN7rocprim17ROCPRIM_400000_NS6detail17trampoline_kernelINS0_14default_configENS1_25partition_config_selectorILNS1_17partition_subalgoE5ElNS0_10empty_typeEbEEZZNS1_14partition_implILS5_5ELb0ES3_mN6hipcub16HIPCUB_304000_NS21CountingInputIteratorIllEEPS6_NSA_22TransformInputIteratorIbN2at6native12_GLOBAL__N_19NonZeroOpIhEEPKhlEENS0_5tupleIJPlS6_EEENSN_IJSD_SD_EEES6_PiJS6_EEE10hipError_tPvRmT3_T4_T5_T6_T7_T9_mT8_P12ihipStream_tbDpT10_ENKUlT_T0_E_clISt17integral_constantIbLb0EES1A_IbLb1EEEEDaS16_S17_EUlS16_E_NS1_11comp_targetILNS1_3genE2ELNS1_11target_archE906ELNS1_3gpuE6ELNS1_3repE0EEENS1_30default_config_static_selectorELNS0_4arch9wavefront6targetE0EEEvT1_.has_dyn_sized_stack, 0
	.set _ZN7rocprim17ROCPRIM_400000_NS6detail17trampoline_kernelINS0_14default_configENS1_25partition_config_selectorILNS1_17partition_subalgoE5ElNS0_10empty_typeEbEEZZNS1_14partition_implILS5_5ELb0ES3_mN6hipcub16HIPCUB_304000_NS21CountingInputIteratorIllEEPS6_NSA_22TransformInputIteratorIbN2at6native12_GLOBAL__N_19NonZeroOpIhEEPKhlEENS0_5tupleIJPlS6_EEENSN_IJSD_SD_EEES6_PiJS6_EEE10hipError_tPvRmT3_T4_T5_T6_T7_T9_mT8_P12ihipStream_tbDpT10_ENKUlT_T0_E_clISt17integral_constantIbLb0EES1A_IbLb1EEEEDaS16_S17_EUlS16_E_NS1_11comp_targetILNS1_3genE2ELNS1_11target_archE906ELNS1_3gpuE6ELNS1_3repE0EEENS1_30default_config_static_selectorELNS0_4arch9wavefront6targetE0EEEvT1_.has_recursion, 0
	.set _ZN7rocprim17ROCPRIM_400000_NS6detail17trampoline_kernelINS0_14default_configENS1_25partition_config_selectorILNS1_17partition_subalgoE5ElNS0_10empty_typeEbEEZZNS1_14partition_implILS5_5ELb0ES3_mN6hipcub16HIPCUB_304000_NS21CountingInputIteratorIllEEPS6_NSA_22TransformInputIteratorIbN2at6native12_GLOBAL__N_19NonZeroOpIhEEPKhlEENS0_5tupleIJPlS6_EEENSN_IJSD_SD_EEES6_PiJS6_EEE10hipError_tPvRmT3_T4_T5_T6_T7_T9_mT8_P12ihipStream_tbDpT10_ENKUlT_T0_E_clISt17integral_constantIbLb0EES1A_IbLb1EEEEDaS16_S17_EUlS16_E_NS1_11comp_targetILNS1_3genE2ELNS1_11target_archE906ELNS1_3gpuE6ELNS1_3repE0EEENS1_30default_config_static_selectorELNS0_4arch9wavefront6targetE0EEEvT1_.has_indirect_call, 0
	.section	.AMDGPU.csdata,"",@progbits
; Kernel info:
; codeLenInByte = 0
; TotalNumSgprs: 0
; NumVgprs: 0
; ScratchSize: 0
; MemoryBound: 0
; FloatMode: 240
; IeeeMode: 1
; LDSByteSize: 0 bytes/workgroup (compile time only)
; SGPRBlocks: 0
; VGPRBlocks: 0
; NumSGPRsForWavesPerEU: 1
; NumVGPRsForWavesPerEU: 1
; Occupancy: 16
; WaveLimiterHint : 0
; COMPUTE_PGM_RSRC2:SCRATCH_EN: 0
; COMPUTE_PGM_RSRC2:USER_SGPR: 2
; COMPUTE_PGM_RSRC2:TRAP_HANDLER: 0
; COMPUTE_PGM_RSRC2:TGID_X_EN: 1
; COMPUTE_PGM_RSRC2:TGID_Y_EN: 0
; COMPUTE_PGM_RSRC2:TGID_Z_EN: 0
; COMPUTE_PGM_RSRC2:TIDIG_COMP_CNT: 0
	.section	.text._ZN7rocprim17ROCPRIM_400000_NS6detail17trampoline_kernelINS0_14default_configENS1_25partition_config_selectorILNS1_17partition_subalgoE5ElNS0_10empty_typeEbEEZZNS1_14partition_implILS5_5ELb0ES3_mN6hipcub16HIPCUB_304000_NS21CountingInputIteratorIllEEPS6_NSA_22TransformInputIteratorIbN2at6native12_GLOBAL__N_19NonZeroOpIhEEPKhlEENS0_5tupleIJPlS6_EEENSN_IJSD_SD_EEES6_PiJS6_EEE10hipError_tPvRmT3_T4_T5_T6_T7_T9_mT8_P12ihipStream_tbDpT10_ENKUlT_T0_E_clISt17integral_constantIbLb0EES1A_IbLb1EEEEDaS16_S17_EUlS16_E_NS1_11comp_targetILNS1_3genE10ELNS1_11target_archE1200ELNS1_3gpuE4ELNS1_3repE0EEENS1_30default_config_static_selectorELNS0_4arch9wavefront6targetE0EEEvT1_,"axG",@progbits,_ZN7rocprim17ROCPRIM_400000_NS6detail17trampoline_kernelINS0_14default_configENS1_25partition_config_selectorILNS1_17partition_subalgoE5ElNS0_10empty_typeEbEEZZNS1_14partition_implILS5_5ELb0ES3_mN6hipcub16HIPCUB_304000_NS21CountingInputIteratorIllEEPS6_NSA_22TransformInputIteratorIbN2at6native12_GLOBAL__N_19NonZeroOpIhEEPKhlEENS0_5tupleIJPlS6_EEENSN_IJSD_SD_EEES6_PiJS6_EEE10hipError_tPvRmT3_T4_T5_T6_T7_T9_mT8_P12ihipStream_tbDpT10_ENKUlT_T0_E_clISt17integral_constantIbLb0EES1A_IbLb1EEEEDaS16_S17_EUlS16_E_NS1_11comp_targetILNS1_3genE10ELNS1_11target_archE1200ELNS1_3gpuE4ELNS1_3repE0EEENS1_30default_config_static_selectorELNS0_4arch9wavefront6targetE0EEEvT1_,comdat
	.globl	_ZN7rocprim17ROCPRIM_400000_NS6detail17trampoline_kernelINS0_14default_configENS1_25partition_config_selectorILNS1_17partition_subalgoE5ElNS0_10empty_typeEbEEZZNS1_14partition_implILS5_5ELb0ES3_mN6hipcub16HIPCUB_304000_NS21CountingInputIteratorIllEEPS6_NSA_22TransformInputIteratorIbN2at6native12_GLOBAL__N_19NonZeroOpIhEEPKhlEENS0_5tupleIJPlS6_EEENSN_IJSD_SD_EEES6_PiJS6_EEE10hipError_tPvRmT3_T4_T5_T6_T7_T9_mT8_P12ihipStream_tbDpT10_ENKUlT_T0_E_clISt17integral_constantIbLb0EES1A_IbLb1EEEEDaS16_S17_EUlS16_E_NS1_11comp_targetILNS1_3genE10ELNS1_11target_archE1200ELNS1_3gpuE4ELNS1_3repE0EEENS1_30default_config_static_selectorELNS0_4arch9wavefront6targetE0EEEvT1_ ; -- Begin function _ZN7rocprim17ROCPRIM_400000_NS6detail17trampoline_kernelINS0_14default_configENS1_25partition_config_selectorILNS1_17partition_subalgoE5ElNS0_10empty_typeEbEEZZNS1_14partition_implILS5_5ELb0ES3_mN6hipcub16HIPCUB_304000_NS21CountingInputIteratorIllEEPS6_NSA_22TransformInputIteratorIbN2at6native12_GLOBAL__N_19NonZeroOpIhEEPKhlEENS0_5tupleIJPlS6_EEENSN_IJSD_SD_EEES6_PiJS6_EEE10hipError_tPvRmT3_T4_T5_T6_T7_T9_mT8_P12ihipStream_tbDpT10_ENKUlT_T0_E_clISt17integral_constantIbLb0EES1A_IbLb1EEEEDaS16_S17_EUlS16_E_NS1_11comp_targetILNS1_3genE10ELNS1_11target_archE1200ELNS1_3gpuE4ELNS1_3repE0EEENS1_30default_config_static_selectorELNS0_4arch9wavefront6targetE0EEEvT1_
	.p2align	8
	.type	_ZN7rocprim17ROCPRIM_400000_NS6detail17trampoline_kernelINS0_14default_configENS1_25partition_config_selectorILNS1_17partition_subalgoE5ElNS0_10empty_typeEbEEZZNS1_14partition_implILS5_5ELb0ES3_mN6hipcub16HIPCUB_304000_NS21CountingInputIteratorIllEEPS6_NSA_22TransformInputIteratorIbN2at6native12_GLOBAL__N_19NonZeroOpIhEEPKhlEENS0_5tupleIJPlS6_EEENSN_IJSD_SD_EEES6_PiJS6_EEE10hipError_tPvRmT3_T4_T5_T6_T7_T9_mT8_P12ihipStream_tbDpT10_ENKUlT_T0_E_clISt17integral_constantIbLb0EES1A_IbLb1EEEEDaS16_S17_EUlS16_E_NS1_11comp_targetILNS1_3genE10ELNS1_11target_archE1200ELNS1_3gpuE4ELNS1_3repE0EEENS1_30default_config_static_selectorELNS0_4arch9wavefront6targetE0EEEvT1_,@function
_ZN7rocprim17ROCPRIM_400000_NS6detail17trampoline_kernelINS0_14default_configENS1_25partition_config_selectorILNS1_17partition_subalgoE5ElNS0_10empty_typeEbEEZZNS1_14partition_implILS5_5ELb0ES3_mN6hipcub16HIPCUB_304000_NS21CountingInputIteratorIllEEPS6_NSA_22TransformInputIteratorIbN2at6native12_GLOBAL__N_19NonZeroOpIhEEPKhlEENS0_5tupleIJPlS6_EEENSN_IJSD_SD_EEES6_PiJS6_EEE10hipError_tPvRmT3_T4_T5_T6_T7_T9_mT8_P12ihipStream_tbDpT10_ENKUlT_T0_E_clISt17integral_constantIbLb0EES1A_IbLb1EEEEDaS16_S17_EUlS16_E_NS1_11comp_targetILNS1_3genE10ELNS1_11target_archE1200ELNS1_3gpuE4ELNS1_3repE0EEENS1_30default_config_static_selectorELNS0_4arch9wavefront6targetE0EEEvT1_: ; @_ZN7rocprim17ROCPRIM_400000_NS6detail17trampoline_kernelINS0_14default_configENS1_25partition_config_selectorILNS1_17partition_subalgoE5ElNS0_10empty_typeEbEEZZNS1_14partition_implILS5_5ELb0ES3_mN6hipcub16HIPCUB_304000_NS21CountingInputIteratorIllEEPS6_NSA_22TransformInputIteratorIbN2at6native12_GLOBAL__N_19NonZeroOpIhEEPKhlEENS0_5tupleIJPlS6_EEENSN_IJSD_SD_EEES6_PiJS6_EEE10hipError_tPvRmT3_T4_T5_T6_T7_T9_mT8_P12ihipStream_tbDpT10_ENKUlT_T0_E_clISt17integral_constantIbLb0EES1A_IbLb1EEEEDaS16_S17_EUlS16_E_NS1_11comp_targetILNS1_3genE10ELNS1_11target_archE1200ELNS1_3gpuE4ELNS1_3repE0EEENS1_30default_config_static_selectorELNS0_4arch9wavefront6targetE0EEEvT1_
; %bb.0:
	s_clause 0x3
	s_load_b64 s[12:13], s[0:1], 0x30
	s_load_b128 s[4:7], s[0:1], 0x48
	s_load_b64 s[18:19], s[0:1], 0x58
	s_load_b64 s[14:15], s[0:1], 0x68
	v_cmp_eq_u32_e64 s2, 0, v0
	s_and_saveexec_b32 s3, s2
	s_cbranch_execz .LBB78_4
; %bb.1:
	s_mov_b32 s9, exec_lo
	s_mov_b32 s8, exec_lo
	v_mbcnt_lo_u32_b32 v1, s9, 0
                                        ; implicit-def: $vgpr2
	s_delay_alu instid0(VALU_DEP_1)
	v_cmpx_eq_u32_e32 0, v1
	s_cbranch_execz .LBB78_3
; %bb.2:
	s_load_b64 s[10:11], s[0:1], 0x78
	s_bcnt1_i32_b32 s9, s9
	s_wait_alu 0xfffe
	v_dual_mov_b32 v2, 0 :: v_dual_mov_b32 v3, s9
	s_wait_kmcnt 0x0
	global_atomic_add_u32 v2, v2, v3, s[10:11] th:TH_ATOMIC_RETURN scope:SCOPE_DEV
.LBB78_3:
	s_or_b32 exec_lo, exec_lo, s8
	s_wait_loadcnt 0x0
	v_readfirstlane_b32 s8, v2
	s_wait_alu 0xf1ff
	s_delay_alu instid0(VALU_DEP_1)
	v_dual_mov_b32 v2, 0 :: v_dual_add_nc_u32 v1, s8, v1
	ds_store_b32 v2, v1
.LBB78_4:
	s_or_b32 exec_lo, exec_lo, s3
	v_mov_b32_e32 v1, 0
	s_clause 0x2
	s_load_b128 s[8:11], s[0:1], 0x8
	s_load_b64 s[16:17], s[0:1], 0x20
	s_load_b32 s0, s[0:1], 0x70
	s_wait_dscnt 0x0
	s_barrier_signal -1
	s_barrier_wait -1
	global_inv scope:SCOPE_SE
	ds_load_b32 v2, v1
	s_wait_loadcnt_dscnt 0x0
	s_barrier_signal -1
	s_barrier_wait -1
	global_inv scope:SCOPE_SE
	s_wait_kmcnt 0x0
	global_load_b64 v[17:18], v1, s[6:7]
	s_mov_b32 s7, 0
	v_lshrrev_b32_e32 v1, 2, v0
	v_or_b32_e32 v10, 0x200, v0
	v_or_b32_e32 v9, 0x300, v0
	s_add_nc_u64 s[8:9], s[10:11], s[8:9]
	s_lshl_b32 s6, s0, 10
	s_add_co_i32 s20, s0, -1
	s_add_nc_u64 s[0:1], s[10:11], s[6:7]
	s_lshl_b32 s6, s20, 10
	v_cmp_le_u64_e64 s1, s[18:19], s[0:1]
	v_readfirstlane_b32 s21, v2
	s_add_co_i32 s0, s10, s6
	s_lshl_b32 s3, s21, 10
	s_cmp_eq_u32 s21, s20
	s_mov_b32 s6, s3
	s_cselect_b32 s19, -1, 0
	s_wait_alu 0xfffe
	s_and_b32 s1, s1, s19
	s_wait_alu 0xfffe
	s_xor_b32 s20, s1, -1
	s_mov_b32 s1, -1
	s_and_b32 vcc_lo, exec_lo, s20
	s_cbranch_vccz .LBB78_6
; %bb.5:
	v_or_b32_e32 v8, 0x100, v0
	s_add_nc_u64 s[22:23], s[6:7], s[8:9]
	v_lshrrev_b32_e32 v11, 2, v10
	v_add_co_u32 v2, s1, s22, v0
	s_delay_alu instid0(VALU_DEP_3)
	v_lshrrev_b32_e32 v8, 2, v8
	v_lshrrev_b32_e32 v12, 2, v9
	s_wait_alu 0xf1fe
	v_add_co_ci_u32_e64 v3, null, s23, 0, s1
	v_and_b32_e32 v13, 56, v1
	v_lshlrev_b32_e32 v14, 3, v0
	v_and_b32_e32 v8, 0x78, v8
	v_add_co_u32 v4, vcc_lo, 0x100, v2
	v_and_b32_e32 v15, 0xb8, v11
	v_and_b32_e32 v16, 0xf8, v12
	v_add_co_ci_u32_e64 v5, null, 0, v3, vcc_lo
	v_add_co_u32 v6, vcc_lo, 0x200, v2
	v_add_nc_u32_e32 v13, v13, v14
	s_wait_alu 0xfffd
	v_add_co_ci_u32_e64 v7, null, 0, v3, vcc_lo
	v_add_co_u32 v11, vcc_lo, 0x300, v2
	v_add_nc_u32_e32 v8, v8, v14
	v_add_nc_u32_e32 v15, v15, v14
	s_wait_alu 0xfffd
	v_add_co_ci_u32_e64 v12, null, 0, v3, vcc_lo
	v_add_nc_u32_e32 v14, v16, v14
	ds_store_b64 v13, v[2:3]
	ds_store_b64 v8, v[4:5] offset:2048
	ds_store_b64 v15, v[6:7] offset:4096
	;; [unrolled: 1-line block ×3, first 2 shown]
	s_wait_loadcnt_dscnt 0x0
	s_barrier_signal -1
	s_mov_b32 s1, s7
	s_barrier_wait -1
.LBB78_6:
	s_sub_co_i32 s3, s18, s0
	s_wait_alu 0xfffe
	s_and_not1_b32 vcc_lo, exec_lo, s1
	v_cmp_gt_u32_e64 s0, s3, v0
	s_wait_alu 0xfffe
	s_cbranch_vccnz .LBB78_8
; %bb.7:
	v_or_b32_e32 v8, 0x100, v0
	s_add_nc_u64 s[8:9], s[8:9], s[6:7]
	v_lshrrev_b32_e32 v13, 2, v10
	s_wait_alu 0xfffe
	v_add_co_u32 v2, s1, s8, v0
	s_wait_alu 0xf1ff
	v_add_co_ci_u32_e64 v3, null, s9, 0, s1
	v_add_co_u32 v4, s1, s8, v8
	s_wait_alu 0xf1ff
	v_add_co_ci_u32_e64 v5, null, s9, 0, s1
	v_cmp_gt_u32_e32 vcc_lo, s3, v8
	v_add_co_u32 v11, s1, s8, v9
	s_wait_alu 0xf1ff
	v_add_co_ci_u32_e64 v12, null, s9, 0, s1
	s_wait_alu 0xfffd
	v_dual_cndmask_b32 v5, 0, v5 :: v_dual_cndmask_b32 v4, 0, v4
	v_cmp_gt_u32_e32 vcc_lo, s3, v9
	v_lshrrev_b32_e32 v8, 2, v8
	v_lshrrev_b32_e32 v14, 2, v9
	v_cndmask_b32_e64 v3, 0, v3, s0
	v_cndmask_b32_e64 v2, 0, v2, s0
	v_add_co_u32 v6, s0, s8, v10
	s_wait_alu 0xfffd
	v_dual_cndmask_b32 v12, 0, v12 :: v_dual_and_b32 v1, 56, v1
	v_lshlrev_b32_e32 v15, 3, v0
	v_dual_cndmask_b32 v11, 0, v11 :: v_dual_and_b32 v8, 0x78, v8
	s_wait_alu 0xf1ff
	v_add_co_ci_u32_e64 v7, null, s9, 0, s0
	v_cmp_gt_u32_e64 s0, s3, v10
	v_and_b32_e32 v13, 0xb8, v13
	v_and_b32_e32 v14, 0xf8, v14
	v_add_nc_u32_e32 v1, v1, v15
	v_add_nc_u32_e32 v8, v8, v15
	s_wait_alu 0xf1ff
	v_cndmask_b32_e64 v7, 0, v7, s0
	v_cndmask_b32_e64 v6, 0, v6, s0
	v_add_nc_u32_e32 v13, v13, v15
	v_add_nc_u32_e32 v14, v14, v15
	ds_store_b64 v1, v[2:3]
	ds_store_b64 v8, v[4:5] offset:2048
	ds_store_b64 v13, v[6:7] offset:4096
	ds_store_b64 v14, v[11:12] offset:6144
	s_wait_loadcnt_dscnt 0x0
	s_barrier_signal -1
	s_barrier_wait -1
.LBB78_8:
	v_and_b32_e32 v1, 0xf8, v0
	s_wait_loadcnt 0x0
	global_inv scope:SCOPE_SE
	v_lshrrev_b32_e32 v28, 5, v0
	s_add_nc_u64 s[0:1], s[16:17], s[10:11]
	s_and_b32 vcc_lo, exec_lo, s20
	v_lshl_add_u32 v1, v0, 5, v1
	s_wait_alu 0xfffe
	s_add_nc_u64 s[0:1], s[0:1], s[6:7]
	s_mov_b32 s6, -1
	ds_load_2addr_b64 v[5:8], v1 offset1:1
	ds_load_2addr_b64 v[1:4], v1 offset0:2 offset1:3
	s_wait_loadcnt_dscnt 0x0
	s_barrier_signal -1
	s_barrier_wait -1
	global_inv scope:SCOPE_SE
	s_cbranch_vccz .LBB78_10
; %bb.9:
	s_clause 0x3
	global_load_u8 v11, v0, s[0:1]
	global_load_u8 v12, v0, s[0:1] offset:256
	global_load_u8 v13, v0, s[0:1] offset:512
	;; [unrolled: 1-line block ×3, first 2 shown]
	v_or_b32_e32 v15, 0x100, v0
	v_lshrrev_b32_e32 v16, 5, v10
	v_lshrrev_b32_e32 v19, 5, v9
	v_and_b32_e32 v20, 4, v28
	s_mov_b32 s6, 0
	v_lshrrev_b32_e32 v15, 5, v15
	v_and_b32_e32 v16, 20, v16
	v_and_b32_e32 v19, 28, v19
	v_add_nc_u32_e32 v20, v20, v0
	s_delay_alu instid0(VALU_DEP_4) | instskip(NEXT) | instid1(VALU_DEP_4)
	v_and_b32_e32 v15, 12, v15
	v_add_nc_u32_e32 v16, v16, v0
	s_delay_alu instid0(VALU_DEP_4) | instskip(NEXT) | instid1(VALU_DEP_3)
	v_add_nc_u32_e32 v19, v19, v0
	v_add_nc_u32_e32 v15, v15, v0
	s_wait_loadcnt 0x3
	v_cmp_ne_u16_e32 vcc_lo, 0, v11
	s_wait_alu 0xfffd
	v_cndmask_b32_e64 v11, 0, 1, vcc_lo
	s_wait_loadcnt 0x2
	v_cmp_ne_u16_e32 vcc_lo, 0, v12
	s_wait_alu 0xfffd
	v_cndmask_b32_e64 v12, 0, 1, vcc_lo
	s_wait_loadcnt 0x1
	v_cmp_ne_u16_e32 vcc_lo, 0, v13
	s_wait_alu 0xfffd
	v_cndmask_b32_e64 v13, 0, 1, vcc_lo
	s_wait_loadcnt 0x0
	v_cmp_ne_u16_e32 vcc_lo, 0, v14
	s_wait_alu 0xfffd
	v_cndmask_b32_e64 v14, 0, 1, vcc_lo
	ds_store_b8 v20, v11
	ds_store_b8 v15, v12 offset:256
	ds_store_b8 v16, v13 offset:512
	ds_store_b8 v19, v14 offset:768
	s_wait_dscnt 0x0
	s_barrier_signal -1
	s_barrier_wait -1
.LBB78_10:
	v_lshlrev_b32_e32 v11, 2, v0
	v_lshrrev_b32_e32 v12, 3, v0
	s_and_not1_b32 vcc_lo, exec_lo, s6
	s_wait_alu 0xfffe
	s_cbranch_vccnz .LBB78_18
; %bb.11:
	v_dual_mov_b32 v13, 0 :: v_dual_mov_b32 v14, 0
	s_mov_b32 s6, exec_lo
	v_cmpx_gt_u32_e64 s3, v0
	s_cbranch_execz .LBB78_13
; %bb.12:
	global_load_u8 v13, v0, s[0:1]
	s_wait_loadcnt 0x0
	v_cmp_ne_u16_e32 vcc_lo, 0, v13
	s_wait_alu 0xfffd
	v_cndmask_b32_e64 v13, 0, 1, vcc_lo
	v_cndmask_b32_e64 v14, 0, 1, vcc_lo
.LBB78_13:
	s_or_b32 exec_lo, exec_lo, s6
	v_or_b32_e32 v15, 0x100, v0
	s_mov_b32 s6, exec_lo
	s_delay_alu instid0(VALU_DEP_1)
	v_cmpx_gt_u32_e64 s3, v15
	s_cbranch_execnz .LBB78_132
; %bb.14:
	s_or_b32 exec_lo, exec_lo, s6
	s_delay_alu instid0(SALU_CYCLE_1)
	s_mov_b32 s6, exec_lo
	v_cmpx_gt_u32_e64 s3, v10
	s_cbranch_execnz .LBB78_133
.LBB78_15:
	s_or_b32 exec_lo, exec_lo, s6
	v_cmp_gt_u32_e32 vcc_lo, s3, v9
	s_and_saveexec_b32 s3, vcc_lo
	s_cbranch_execz .LBB78_17
.LBB78_16:
	global_load_u8 v16, v0, s[0:1] offset:768
	v_lshrrev_b32_e32 v19, 16, v14
	s_wait_loadcnt 0x0
	v_cmp_ne_u16_e32 vcc_lo, 0, v16
	s_wait_alu 0xfffd
	v_cndmask_b32_e64 v16, 0, 1, vcc_lo
	s_delay_alu instid0(VALU_DEP_1) | instskip(NEXT) | instid1(VALU_DEP_1)
	v_lshlrev_b16 v16, 8, v16
	v_or_b32_e32 v16, v19, v16
	s_delay_alu instid0(VALU_DEP_1) | instskip(NEXT) | instid1(VALU_DEP_1)
	v_lshlrev_b32_e32 v16, 16, v16
	v_and_or_b32 v14, 0xffff, v14, v16
.LBB78_17:
	s_wait_alu 0xfffe
	s_or_b32 exec_lo, exec_lo, s3
	v_lshrrev_b32_e32 v15, 5, v15
	v_lshrrev_b32_e32 v10, 5, v10
	;; [unrolled: 1-line block ×3, first 2 shown]
	v_and_b32_e32 v16, 4, v28
	v_lshrrev_b32_e32 v19, 8, v14
	v_and_b32_e32 v15, 12, v15
	v_and_b32_e32 v10, 28, v10
	;; [unrolled: 1-line block ×3, first 2 shown]
	v_add_nc_u32_e32 v16, v16, v0
	v_lshrrev_b32_e32 v20, 24, v14
	v_add_nc_u32_e32 v15, v15, v0
	v_add_nc_u32_e32 v10, v10, v0
	;; [unrolled: 1-line block ×3, first 2 shown]
	ds_store_b8 v16, v13
	ds_store_b8 v15, v19 offset:256
	ds_store_b8_d16_hi v10, v14 offset:512
	ds_store_b8 v9, v20 offset:768
	s_wait_loadcnt_dscnt 0x0
	s_barrier_signal -1
	s_barrier_wait -1
.LBB78_18:
	s_delay_alu instid0(VALU_DEP_1)
	v_dual_mov_b32 v10, 0 :: v_dual_and_b32 v9, 28, v12
	s_wait_loadcnt 0x0
	global_inv scope:SCOPE_SE
	v_mbcnt_lo_u32_b32 v33, -1, 0
	s_cmp_lg_u32 s21, 0
	v_add_nc_u32_e32 v9, v9, v11
	s_mov_b32 s1, -1
	s_delay_alu instid0(VALU_DEP_2)
	v_and_b32_e32 v34, 15, v33
	ds_load_b32 v29, v9
	s_wait_loadcnt_dscnt 0x0
	s_barrier_signal -1
	s_barrier_wait -1
	global_inv scope:SCOPE_SE
	v_and_b32_e32 v32, 0xff, v29
	v_bfe_u32 v31, v29, 8, 8
	v_bfe_u32 v30, v29, 16, 8
	v_lshrrev_b32_e32 v27, 24, v29
	s_delay_alu instid0(VALU_DEP_2) | instskip(NEXT) | instid1(VALU_DEP_1)
	v_add3_u32 v9, v31, v32, v30
	v_add_co_u32 v19, s0, v9, v27
	s_wait_alu 0xf1ff
	v_add_co_ci_u32_e64 v20, null, 0, 0, s0
	v_cmp_ne_u32_e64 s0, 0, v34
	s_cbranch_scc0 .LBB78_75
; %bb.19:
	v_mov_b32_e32 v11, v19
	v_mov_b32_dpp v9, v19 row_shr:1 row_mask:0xf bank_mask:0xf
	v_mov_b32_dpp v14, v10 row_shr:1 row_mask:0xf bank_mask:0xf
	v_dual_mov_b32 v13, v19 :: v_dual_mov_b32 v12, v20
	s_and_saveexec_b32 s1, s0
; %bb.20:
	s_delay_alu instid0(VALU_DEP_3) | instskip(SKIP_2) | instid1(VALU_DEP_2)
	v_add_co_u32 v13, vcc_lo, v19, v9
	s_wait_alu 0xfffd
	v_add_co_ci_u32_e64 v10, null, 0, v20, vcc_lo
	v_add_co_u32 v9, vcc_lo, 0, v13
	s_wait_alu 0xfffd
	s_delay_alu instid0(VALU_DEP_2) | instskip(NEXT) | instid1(VALU_DEP_1)
	v_add_co_ci_u32_e64 v10, null, v14, v10, vcc_lo
	v_dual_mov_b32 v12, v10 :: v_dual_mov_b32 v11, v9
; %bb.21:
	s_wait_alu 0xfffe
	s_or_b32 exec_lo, exec_lo, s1
	v_mov_b32_dpp v9, v13 row_shr:2 row_mask:0xf bank_mask:0xf
	v_mov_b32_dpp v14, v10 row_shr:2 row_mask:0xf bank_mask:0xf
	s_mov_b32 s1, exec_lo
	v_cmpx_lt_u32_e32 1, v34
; %bb.22:
	s_delay_alu instid0(VALU_DEP_3) | instskip(SKIP_2) | instid1(VALU_DEP_2)
	v_add_co_u32 v13, vcc_lo, v11, v9
	s_wait_alu 0xfffd
	v_add_co_ci_u32_e64 v10, null, 0, v12, vcc_lo
	v_add_co_u32 v9, vcc_lo, 0, v13
	s_wait_alu 0xfffd
	s_delay_alu instid0(VALU_DEP_2) | instskip(NEXT) | instid1(VALU_DEP_1)
	v_add_co_ci_u32_e64 v10, null, v14, v10, vcc_lo
	v_dual_mov_b32 v12, v10 :: v_dual_mov_b32 v11, v9
; %bb.23:
	s_wait_alu 0xfffe
	s_or_b32 exec_lo, exec_lo, s1
	v_mov_b32_dpp v9, v13 row_shr:4 row_mask:0xf bank_mask:0xf
	v_mov_b32_dpp v14, v10 row_shr:4 row_mask:0xf bank_mask:0xf
	s_mov_b32 s1, exec_lo
	v_cmpx_lt_u32_e32 3, v34
; %bb.24:
	s_delay_alu instid0(VALU_DEP_3) | instskip(SKIP_2) | instid1(VALU_DEP_2)
	v_add_co_u32 v13, vcc_lo, v11, v9
	s_wait_alu 0xfffd
	v_add_co_ci_u32_e64 v10, null, 0, v12, vcc_lo
	v_add_co_u32 v9, vcc_lo, 0, v13
	s_wait_alu 0xfffd
	s_delay_alu instid0(VALU_DEP_2) | instskip(NEXT) | instid1(VALU_DEP_1)
	v_add_co_ci_u32_e64 v10, null, v14, v10, vcc_lo
	v_dual_mov_b32 v12, v10 :: v_dual_mov_b32 v11, v9
; %bb.25:
	s_wait_alu 0xfffe
	s_or_b32 exec_lo, exec_lo, s1
	v_mov_b32_dpp v14, v13 row_shr:8 row_mask:0xf bank_mask:0xf
	v_mov_b32_dpp v9, v10 row_shr:8 row_mask:0xf bank_mask:0xf
	s_mov_b32 s1, exec_lo
	v_cmpx_lt_u32_e32 7, v34
; %bb.26:
	s_delay_alu instid0(VALU_DEP_3) | instskip(SKIP_2) | instid1(VALU_DEP_2)
	v_add_co_u32 v13, vcc_lo, v11, v14
	s_wait_alu 0xfffd
	v_add_co_ci_u32_e64 v10, null, 0, v12, vcc_lo
	v_add_co_u32 v11, vcc_lo, 0, v13
	s_wait_alu 0xfffd
	s_delay_alu instid0(VALU_DEP_2) | instskip(NEXT) | instid1(VALU_DEP_1)
	v_add_co_ci_u32_e64 v12, null, v9, v10, vcc_lo
	v_mov_b32_e32 v10, v12
; %bb.27:
	s_wait_alu 0xfffe
	s_or_b32 exec_lo, exec_lo, s1
	ds_swizzle_b32 v9, v13 offset:swizzle(BROADCAST,32,15)
	ds_swizzle_b32 v14, v10 offset:swizzle(BROADCAST,32,15)
	v_and_b32_e32 v15, 16, v33
	s_mov_b32 s1, exec_lo
	s_delay_alu instid0(VALU_DEP_1)
	v_cmpx_ne_u32_e32 0, v15
	s_cbranch_execz .LBB78_29
; %bb.28:
	s_wait_dscnt 0x1
	v_add_co_u32 v13, vcc_lo, v11, v9
	s_wait_alu 0xfffd
	v_add_co_ci_u32_e64 v10, null, 0, v12, vcc_lo
	s_delay_alu instid0(VALU_DEP_2) | instskip(SKIP_2) | instid1(VALU_DEP_2)
	v_add_co_u32 v9, vcc_lo, 0, v13
	s_wait_dscnt 0x0
	s_wait_alu 0xfffd
	v_add_co_ci_u32_e64 v10, null, v14, v10, vcc_lo
	s_delay_alu instid0(VALU_DEP_1)
	v_dual_mov_b32 v12, v10 :: v_dual_mov_b32 v11, v9
.LBB78_29:
	s_wait_alu 0xfffe
	s_or_b32 exec_lo, exec_lo, s1
	s_wait_dscnt 0x1
	v_or_b32_e32 v9, 31, v0
	s_mov_b32 s1, exec_lo
	s_delay_alu instid0(VALU_DEP_1)
	v_cmpx_eq_u32_e64 v0, v9
; %bb.30:
	v_lshlrev_b32_e32 v9, 3, v28
	ds_store_b64 v9, v[11:12]
; %bb.31:
	s_wait_alu 0xfffe
	s_or_b32 exec_lo, exec_lo, s1
	s_delay_alu instid0(SALU_CYCLE_1)
	s_mov_b32 s1, exec_lo
	s_wait_loadcnt_dscnt 0x0
	s_barrier_signal -1
	s_barrier_wait -1
	global_inv scope:SCOPE_SE
	v_cmpx_gt_u32_e32 8, v0
	s_cbranch_execz .LBB78_39
; %bb.32:
	v_lshlrev_b32_e32 v9, 3, v0
	s_mov_b32 s3, exec_lo
	ds_load_b64 v[11:12], v9
	s_wait_dscnt 0x0
	v_dual_mov_b32 v15, v11 :: v_dual_and_b32 v14, 7, v33
	v_mov_b32_dpp v21, v11 row_shr:1 row_mask:0xf bank_mask:0xf
	v_mov_b32_dpp v16, v12 row_shr:1 row_mask:0xf bank_mask:0xf
	s_delay_alu instid0(VALU_DEP_3)
	v_cmpx_ne_u32_e32 0, v14
; %bb.33:
	s_delay_alu instid0(VALU_DEP_3) | instskip(SKIP_2) | instid1(VALU_DEP_2)
	v_add_co_u32 v15, vcc_lo, v11, v21
	s_wait_alu 0xfffd
	v_add_co_ci_u32_e64 v12, null, 0, v12, vcc_lo
	v_add_co_u32 v11, vcc_lo, 0, v15
	s_wait_alu 0xfffd
	s_delay_alu instid0(VALU_DEP_2)
	v_add_co_ci_u32_e64 v12, null, v16, v12, vcc_lo
; %bb.34:
	s_wait_alu 0xfffe
	s_or_b32 exec_lo, exec_lo, s3
	v_mov_b32_dpp v21, v15 row_shr:2 row_mask:0xf bank_mask:0xf
	s_delay_alu instid0(VALU_DEP_2)
	v_mov_b32_dpp v16, v12 row_shr:2 row_mask:0xf bank_mask:0xf
	s_mov_b32 s3, exec_lo
	v_cmpx_lt_u32_e32 1, v14
; %bb.35:
	s_delay_alu instid0(VALU_DEP_3) | instskip(SKIP_2) | instid1(VALU_DEP_2)
	v_add_co_u32 v15, vcc_lo, v11, v21
	s_wait_alu 0xfffd
	v_add_co_ci_u32_e64 v12, null, 0, v12, vcc_lo
	v_add_co_u32 v11, vcc_lo, 0, v15
	s_wait_alu 0xfffd
	s_delay_alu instid0(VALU_DEP_2)
	v_add_co_ci_u32_e64 v12, null, v16, v12, vcc_lo
; %bb.36:
	s_wait_alu 0xfffe
	s_or_b32 exec_lo, exec_lo, s3
	v_mov_b32_dpp v16, v15 row_shr:4 row_mask:0xf bank_mask:0xf
	s_delay_alu instid0(VALU_DEP_2)
	v_mov_b32_dpp v15, v12 row_shr:4 row_mask:0xf bank_mask:0xf
	s_mov_b32 s3, exec_lo
	v_cmpx_lt_u32_e32 3, v14
; %bb.37:
	s_delay_alu instid0(VALU_DEP_3) | instskip(SKIP_2) | instid1(VALU_DEP_2)
	v_add_co_u32 v11, vcc_lo, v11, v16
	s_wait_alu 0xfffd
	v_add_co_ci_u32_e64 v12, null, 0, v12, vcc_lo
	v_add_co_u32 v11, vcc_lo, v11, 0
	s_wait_alu 0xfffd
	s_delay_alu instid0(VALU_DEP_2)
	v_add_co_ci_u32_e64 v12, null, v12, v15, vcc_lo
; %bb.38:
	s_wait_alu 0xfffe
	s_or_b32 exec_lo, exec_lo, s3
	ds_store_b64 v9, v[11:12]
.LBB78_39:
	s_wait_alu 0xfffe
	s_or_b32 exec_lo, exec_lo, s1
	s_delay_alu instid0(SALU_CYCLE_1)
	s_mov_b32 s3, exec_lo
	v_cmp_gt_u32_e32 vcc_lo, 32, v0
	s_wait_loadcnt_dscnt 0x0
	s_barrier_signal -1
	s_barrier_wait -1
	global_inv scope:SCOPE_SE
                                        ; implicit-def: $vgpr21_vgpr22
	v_cmpx_lt_u32_e32 31, v0
	s_cbranch_execz .LBB78_41
; %bb.40:
	v_lshl_add_u32 v9, v28, 3, -8
	ds_load_b64 v[21:22], v9
	s_wait_dscnt 0x0
	v_add_co_u32 v13, s1, v13, v21
	s_wait_alu 0xf1ff
	v_add_co_ci_u32_e64 v10, null, v10, v22, s1
.LBB78_41:
	s_wait_alu 0xfffe
	s_or_b32 exec_lo, exec_lo, s3
	v_sub_co_u32 v9, s1, v33, 1
	s_delay_alu instid0(VALU_DEP_1) | instskip(SKIP_1) | instid1(VALU_DEP_1)
	v_cmp_gt_i32_e64 s3, 0, v9
	s_wait_alu 0xf1ff
	v_cndmask_b32_e64 v9, v9, v33, s3
	s_delay_alu instid0(VALU_DEP_1)
	v_lshlrev_b32_e32 v9, 2, v9
	ds_bpermute_b32 v35, v9, v13
	ds_bpermute_b32 v36, v9, v10
	s_and_saveexec_b32 s3, vcc_lo
	s_cbranch_execz .LBB78_80
; %bb.42:
	v_mov_b32_e32 v12, 0
	ds_load_b64 v[9:10], v12 offset:56
	s_and_saveexec_b32 s6, s1
	s_cbranch_execz .LBB78_44
; %bb.43:
	s_add_co_i32 s8, s21, 32
	s_mov_b32 s9, 0
	s_wait_alu 0xfffe
	s_lshl_b64 s[8:9], s[8:9], 4
	s_wait_alu 0xfffe
	s_add_nc_u64 s[8:9], s[14:15], s[8:9]
	s_wait_alu 0xfffe
	v_dual_mov_b32 v11, 1 :: v_dual_mov_b32 v14, s9
	v_mov_b32_e32 v13, s8
	s_wait_dscnt 0x0
	;;#ASMSTART
	global_store_b128 v[13:14], v[9:12] off scope:SCOPE_DEV	
s_wait_storecnt 0x0
	;;#ASMEND
.LBB78_44:
	s_or_b32 exec_lo, exec_lo, s6
	v_xad_u32 v23, v33, -1, s21
	s_mov_b32 s6, exec_lo
	s_delay_alu instid0(VALU_DEP_1) | instskip(NEXT) | instid1(VALU_DEP_1)
	v_add_nc_u32_e32 v11, 32, v23
	v_lshlrev_b64_e32 v[11:12], 4, v[11:12]
	s_delay_alu instid0(VALU_DEP_1) | instskip(SKIP_1) | instid1(VALU_DEP_2)
	v_add_co_u32 v11, vcc_lo, s14, v11
	s_wait_alu 0xfffd
	v_add_co_ci_u32_e64 v12, null, s15, v12, vcc_lo
	;;#ASMSTART
	global_load_b128 v[13:16], v[11:12] off scope:SCOPE_DEV	
s_wait_loadcnt 0x0
	;;#ASMEND
	v_and_b32_e32 v16, 0xff, v15
	s_delay_alu instid0(VALU_DEP_1)
	v_cmpx_eq_u16_e32 0, v16
	s_cbranch_execz .LBB78_47
.LBB78_45:                              ; =>This Inner Loop Header: Depth=1
	;;#ASMSTART
	global_load_b128 v[13:16], v[11:12] off scope:SCOPE_DEV	
s_wait_loadcnt 0x0
	;;#ASMEND
	v_and_b32_e32 v16, 0xff, v15
	s_delay_alu instid0(VALU_DEP_1) | instskip(SKIP_1) | instid1(SALU_CYCLE_1)
	v_cmp_ne_u16_e32 vcc_lo, 0, v16
	s_or_b32 s7, vcc_lo, s7
	s_and_not1_b32 exec_lo, exec_lo, s7
	s_cbranch_execnz .LBB78_45
; %bb.46:
	s_or_b32 exec_lo, exec_lo, s7
.LBB78_47:
	s_delay_alu instid0(SALU_CYCLE_1)
	s_or_b32 exec_lo, exec_lo, s6
	v_cmp_ne_u32_e32 vcc_lo, 31, v33
	v_and_b32_e32 v12, 0xff, v15
	v_lshlrev_b32_e64 v38, v33, -1
	s_mov_b32 s6, exec_lo
	s_wait_alu 0xfffd
	v_add_co_ci_u32_e64 v11, null, 0, v33, vcc_lo
	v_cmp_eq_u16_e32 vcc_lo, 2, v12
	s_delay_alu instid0(VALU_DEP_2)
	v_dual_mov_b32 v12, v13 :: v_dual_lshlrev_b32 v37, 2, v11
	s_wait_alu 0xfffd
	v_and_or_b32 v11, vcc_lo, v38, 0x80000000
	ds_bpermute_b32 v24, v37, v13
	ds_bpermute_b32 v16, v37, v14
	v_ctz_i32_b32_e32 v11, v11
	s_delay_alu instid0(VALU_DEP_1)
	v_cmpx_lt_u32_e64 v33, v11
	s_cbranch_execz .LBB78_49
; %bb.48:
	s_wait_dscnt 0x1
	v_add_co_u32 v12, vcc_lo, v13, v24
	s_wait_alu 0xfffd
	v_add_co_ci_u32_e64 v14, null, 0, v14, vcc_lo
	s_delay_alu instid0(VALU_DEP_2) | instskip(SKIP_2) | instid1(VALU_DEP_2)
	v_add_co_u32 v13, vcc_lo, 0, v12
	s_wait_dscnt 0x0
	s_wait_alu 0xfffd
	v_add_co_ci_u32_e64 v14, null, v16, v14, vcc_lo
.LBB78_49:
	s_or_b32 exec_lo, exec_lo, s6
	v_cmp_gt_u32_e32 vcc_lo, 30, v33
	v_add_nc_u32_e32 v40, 2, v33
	s_mov_b32 s6, exec_lo
	s_wait_dscnt 0x0
	s_wait_alu 0xfffd
	v_cndmask_b32_e64 v16, 0, 2, vcc_lo
	s_delay_alu instid0(VALU_DEP_1)
	v_add_lshl_u32 v39, v16, v33, 2
	ds_bpermute_b32 v24, v39, v12
	ds_bpermute_b32 v16, v39, v14
	v_cmpx_le_u32_e64 v40, v11
	s_cbranch_execz .LBB78_51
; %bb.50:
	s_wait_dscnt 0x1
	v_add_co_u32 v12, vcc_lo, v13, v24
	s_wait_alu 0xfffd
	v_add_co_ci_u32_e64 v14, null, 0, v14, vcc_lo
	s_delay_alu instid0(VALU_DEP_2) | instskip(SKIP_2) | instid1(VALU_DEP_2)
	v_add_co_u32 v13, vcc_lo, 0, v12
	s_wait_dscnt 0x0
	s_wait_alu 0xfffd
	v_add_co_ci_u32_e64 v14, null, v16, v14, vcc_lo
.LBB78_51:
	s_or_b32 exec_lo, exec_lo, s6
	v_cmp_gt_u32_e32 vcc_lo, 28, v33
	v_add_nc_u32_e32 v42, 4, v33
	s_mov_b32 s6, exec_lo
	s_wait_dscnt 0x0
	s_wait_alu 0xfffd
	v_cndmask_b32_e64 v16, 0, 4, vcc_lo
	s_delay_alu instid0(VALU_DEP_1)
	v_add_lshl_u32 v41, v16, v33, 2
	ds_bpermute_b32 v24, v41, v12
	ds_bpermute_b32 v16, v41, v14
	v_cmpx_le_u32_e64 v42, v11
	;; [unrolled: 24-line block ×3, first 2 shown]
	s_cbranch_execz .LBB78_55
; %bb.54:
	s_wait_dscnt 0x1
	v_add_co_u32 v12, vcc_lo, v13, v24
	s_wait_alu 0xfffd
	v_add_co_ci_u32_e64 v14, null, 0, v14, vcc_lo
	s_delay_alu instid0(VALU_DEP_2) | instskip(SKIP_2) | instid1(VALU_DEP_2)
	v_add_co_u32 v13, vcc_lo, 0, v12
	s_wait_dscnt 0x0
	s_wait_alu 0xfffd
	v_add_co_ci_u32_e64 v14, null, v16, v14, vcc_lo
.LBB78_55:
	s_or_b32 exec_lo, exec_lo, s6
	v_lshl_or_b32 v45, v33, 2, 64
	v_add_nc_u32_e32 v46, 16, v33
	s_mov_b32 s6, exec_lo
	s_wait_dscnt 0x0
	ds_bpermute_b32 v16, v45, v12
	ds_bpermute_b32 v12, v45, v14
	v_cmpx_le_u32_e64 v46, v11
	s_cbranch_execz .LBB78_57
; %bb.56:
	s_wait_dscnt 0x1
	v_add_co_u32 v11, vcc_lo, v13, v16
	s_wait_alu 0xfffd
	v_add_co_ci_u32_e64 v14, null, 0, v14, vcc_lo
	s_delay_alu instid0(VALU_DEP_2) | instskip(SKIP_2) | instid1(VALU_DEP_2)
	v_add_co_u32 v13, vcc_lo, v11, 0
	s_wait_dscnt 0x0
	s_wait_alu 0xfffd
	v_add_co_ci_u32_e64 v14, null, v14, v12, vcc_lo
.LBB78_57:
	s_or_b32 exec_lo, exec_lo, s6
	v_mov_b32_e32 v24, 0
	s_branch .LBB78_60
.LBB78_58:                              ;   in Loop: Header=BB78_60 Depth=1
	s_or_b32 exec_lo, exec_lo, s6
	v_add_co_u32 v13, vcc_lo, v13, v11
	v_subrev_nc_u32_e32 v23, 32, v23
	s_wait_alu 0xfffd
	v_add_co_ci_u32_e64 v14, null, v14, v12, vcc_lo
	s_mov_b32 s6, 0
.LBB78_59:                              ;   in Loop: Header=BB78_60 Depth=1
	s_delay_alu instid0(SALU_CYCLE_1)
	s_and_b32 vcc_lo, exec_lo, s6
	s_wait_alu 0xfffe
	s_cbranch_vccnz .LBB78_76
.LBB78_60:                              ; =>This Loop Header: Depth=1
                                        ;     Child Loop BB78_63 Depth 2
	v_and_b32_e32 v11, 0xff, v15
	s_mov_b32 s6, -1
	s_delay_alu instid0(VALU_DEP_1)
	v_cmp_ne_u16_e32 vcc_lo, 2, v11
	s_wait_dscnt 0x0
	v_dual_mov_b32 v11, v13 :: v_dual_mov_b32 v12, v14
                                        ; implicit-def: $vgpr13_vgpr14
	s_cmp_lg_u32 vcc_lo, exec_lo
	s_cbranch_scc1 .LBB78_59
; %bb.61:                               ;   in Loop: Header=BB78_60 Depth=1
	v_lshlrev_b64_e32 v[13:14], 4, v[23:24]
	s_mov_b32 s6, exec_lo
	s_delay_alu instid0(VALU_DEP_1) | instskip(SKIP_1) | instid1(VALU_DEP_2)
	v_add_co_u32 v25, vcc_lo, s14, v13
	s_wait_alu 0xfffd
	v_add_co_ci_u32_e64 v26, null, s15, v14, vcc_lo
	;;#ASMSTART
	global_load_b128 v[13:16], v[25:26] off scope:SCOPE_DEV	
s_wait_loadcnt 0x0
	;;#ASMEND
	v_and_b32_e32 v16, 0xff, v15
	s_delay_alu instid0(VALU_DEP_1)
	v_cmpx_eq_u16_e32 0, v16
	s_cbranch_execz .LBB78_65
; %bb.62:                               ;   in Loop: Header=BB78_60 Depth=1
	s_mov_b32 s7, 0
.LBB78_63:                              ;   Parent Loop BB78_60 Depth=1
                                        ; =>  This Inner Loop Header: Depth=2
	;;#ASMSTART
	global_load_b128 v[13:16], v[25:26] off scope:SCOPE_DEV	
s_wait_loadcnt 0x0
	;;#ASMEND
	v_and_b32_e32 v16, 0xff, v15
	s_delay_alu instid0(VALU_DEP_1) | instskip(SKIP_1) | instid1(SALU_CYCLE_1)
	v_cmp_ne_u16_e32 vcc_lo, 0, v16
	s_or_b32 s7, vcc_lo, s7
	s_and_not1_b32 exec_lo, exec_lo, s7
	s_cbranch_execnz .LBB78_63
; %bb.64:                               ;   in Loop: Header=BB78_60 Depth=1
	s_or_b32 exec_lo, exec_lo, s7
.LBB78_65:                              ;   in Loop: Header=BB78_60 Depth=1
	s_delay_alu instid0(SALU_CYCLE_1)
	s_or_b32 exec_lo, exec_lo, s6
	v_dual_mov_b32 v25, v13 :: v_dual_and_b32 v16, 0xff, v15
	ds_bpermute_b32 v47, v37, v13
	ds_bpermute_b32 v26, v37, v14
	s_mov_b32 s6, exec_lo
	v_cmp_eq_u16_e32 vcc_lo, 2, v16
	s_wait_alu 0xfffd
	v_and_or_b32 v16, vcc_lo, v38, 0x80000000
	s_delay_alu instid0(VALU_DEP_1) | instskip(NEXT) | instid1(VALU_DEP_1)
	v_ctz_i32_b32_e32 v16, v16
	v_cmpx_lt_u32_e64 v33, v16
	s_cbranch_execz .LBB78_67
; %bb.66:                               ;   in Loop: Header=BB78_60 Depth=1
	s_wait_dscnt 0x1
	v_add_co_u32 v25, vcc_lo, v13, v47
	s_wait_alu 0xfffd
	v_add_co_ci_u32_e64 v14, null, 0, v14, vcc_lo
	s_delay_alu instid0(VALU_DEP_2) | instskip(SKIP_2) | instid1(VALU_DEP_2)
	v_add_co_u32 v13, vcc_lo, 0, v25
	s_wait_dscnt 0x0
	s_wait_alu 0xfffd
	v_add_co_ci_u32_e64 v14, null, v26, v14, vcc_lo
.LBB78_67:                              ;   in Loop: Header=BB78_60 Depth=1
	s_or_b32 exec_lo, exec_lo, s6
	s_wait_dscnt 0x1
	ds_bpermute_b32 v47, v39, v25
	s_wait_dscnt 0x1
	ds_bpermute_b32 v26, v39, v14
	s_mov_b32 s6, exec_lo
	v_cmpx_le_u32_e64 v40, v16
	s_cbranch_execz .LBB78_69
; %bb.68:                               ;   in Loop: Header=BB78_60 Depth=1
	s_wait_dscnt 0x1
	v_add_co_u32 v25, vcc_lo, v13, v47
	s_wait_alu 0xfffd
	v_add_co_ci_u32_e64 v14, null, 0, v14, vcc_lo
	s_delay_alu instid0(VALU_DEP_2) | instskip(SKIP_2) | instid1(VALU_DEP_2)
	v_add_co_u32 v13, vcc_lo, 0, v25
	s_wait_dscnt 0x0
	s_wait_alu 0xfffd
	v_add_co_ci_u32_e64 v14, null, v26, v14, vcc_lo
.LBB78_69:                              ;   in Loop: Header=BB78_60 Depth=1
	s_or_b32 exec_lo, exec_lo, s6
	s_wait_dscnt 0x1
	ds_bpermute_b32 v47, v41, v25
	s_wait_dscnt 0x1
	ds_bpermute_b32 v26, v41, v14
	s_mov_b32 s6, exec_lo
	v_cmpx_le_u32_e64 v42, v16
	;; [unrolled: 19-line block ×3, first 2 shown]
	s_cbranch_execz .LBB78_73
; %bb.72:                               ;   in Loop: Header=BB78_60 Depth=1
	s_wait_dscnt 0x1
	v_add_co_u32 v25, vcc_lo, v13, v47
	s_wait_alu 0xfffd
	v_add_co_ci_u32_e64 v14, null, 0, v14, vcc_lo
	s_delay_alu instid0(VALU_DEP_2) | instskip(SKIP_2) | instid1(VALU_DEP_2)
	v_add_co_u32 v13, vcc_lo, 0, v25
	s_wait_dscnt 0x0
	s_wait_alu 0xfffd
	v_add_co_ci_u32_e64 v14, null, v26, v14, vcc_lo
.LBB78_73:                              ;   in Loop: Header=BB78_60 Depth=1
	s_or_b32 exec_lo, exec_lo, s6
	s_wait_dscnt 0x0
	ds_bpermute_b32 v26, v45, v25
	ds_bpermute_b32 v25, v45, v14
	s_mov_b32 s6, exec_lo
	v_cmpx_le_u32_e64 v46, v16
	s_cbranch_execz .LBB78_58
; %bb.74:                               ;   in Loop: Header=BB78_60 Depth=1
	s_wait_dscnt 0x1
	v_add_co_u32 v13, vcc_lo, v13, v26
	s_wait_alu 0xfffd
	v_add_co_ci_u32_e64 v14, null, 0, v14, vcc_lo
	s_delay_alu instid0(VALU_DEP_2) | instskip(SKIP_2) | instid1(VALU_DEP_2)
	v_add_co_u32 v13, vcc_lo, v13, 0
	s_wait_dscnt 0x0
	s_wait_alu 0xfffd
	v_add_co_ci_u32_e64 v14, null, v14, v25, vcc_lo
	s_branch .LBB78_58
.LBB78_75:
                                        ; implicit-def: $vgpr15_vgpr16
                                        ; implicit-def: $vgpr13_vgpr14
                                        ; implicit-def: $vgpr21_vgpr22
                                        ; implicit-def: $vgpr23_vgpr24
                                        ; implicit-def: $vgpr11_vgpr12
	s_wait_alu 0xfffe
	s_and_b32 vcc_lo, exec_lo, s1
	s_wait_alu 0xfffe
	s_cbranch_vccnz .LBB78_81
	s_branch .LBB78_106
.LBB78_76:
	s_and_saveexec_b32 s6, s1
	s_cbranch_execz .LBB78_78
; %bb.77:
	s_add_co_i32 s8, s21, 32
	s_mov_b32 s9, 0
	v_add_co_u32 v13, vcc_lo, v11, v9
	s_wait_alu 0xfffe
	s_lshl_b64 s[8:9], s[8:9], 4
	v_dual_mov_b32 v15, 2 :: v_dual_mov_b32 v16, 0
	s_wait_alu 0xfffe
	s_add_nc_u64 s[8:9], s[14:15], s[8:9]
	s_wait_alu 0xfffd
	v_add_co_ci_u32_e64 v14, null, v12, v10, vcc_lo
	s_wait_alu 0xfffe
	v_dual_mov_b32 v24, s9 :: v_dual_mov_b32 v23, s8
	;;#ASMSTART
	global_store_b128 v[23:24], v[13:16] off scope:SCOPE_DEV	
s_wait_storecnt 0x0
	;;#ASMEND
	ds_store_b128 v16, v[9:12] offset:8448
.LBB78_78:
	s_or_b32 exec_lo, exec_lo, s6
	s_delay_alu instid0(SALU_CYCLE_1)
	s_and_b32 exec_lo, exec_lo, s2
; %bb.79:
	v_mov_b32_e32 v9, 0
	ds_store_b64 v9, v[11:12] offset:56
.LBB78_80:
	s_wait_alu 0xfffe
	s_or_b32 exec_lo, exec_lo, s3
	v_mov_b32_e32 v9, 0
	s_wait_loadcnt_dscnt 0x0
	s_barrier_signal -1
	s_barrier_wait -1
	global_inv scope:SCOPE_SE
	ds_load_b64 v[13:14], v9 offset:56
	v_cndmask_b32_e64 v11, v35, v21, s1
	v_cndmask_b32_e64 v10, v36, v22, s1
	s_wait_loadcnt_dscnt 0x0
	s_barrier_signal -1
	s_barrier_wait -1
	v_cndmask_b32_e64 v16, v11, 0, s2
	v_cndmask_b32_e64 v15, v10, 0, s2
	global_inv scope:SCOPE_SE
	ds_load_b128 v[9:12], v9 offset:8448
	v_add_co_u32 v23, vcc_lo, v13, v16
	s_wait_alu 0xfffd
	v_add_co_ci_u32_e64 v24, null, v14, v15, vcc_lo
	s_delay_alu instid0(VALU_DEP_2) | instskip(SKIP_1) | instid1(VALU_DEP_2)
	v_add_co_u32 v21, vcc_lo, v23, v32
	s_wait_alu 0xfffd
	v_add_co_ci_u32_e64 v22, null, 0, v24, vcc_lo
	s_delay_alu instid0(VALU_DEP_2) | instskip(SKIP_1) | instid1(VALU_DEP_2)
	;; [unrolled: 4-line block ×3, first 2 shown]
	v_add_co_u32 v15, vcc_lo, v13, v30
	s_wait_alu 0xfffd
	v_add_co_ci_u32_e64 v16, null, 0, v14, vcc_lo
	s_branch .LBB78_106
.LBB78_81:
	s_wait_dscnt 0x0
	v_dual_mov_b32 v10, 0 :: v_dual_mov_b32 v11, v19
	v_mov_b32_dpp v12, v19 row_shr:1 row_mask:0xf bank_mask:0xf
	s_delay_alu instid0(VALU_DEP_2)
	v_mov_b32_dpp v9, v10 row_shr:1 row_mask:0xf bank_mask:0xf
	s_and_saveexec_b32 s1, s0
; %bb.82:
	s_delay_alu instid0(VALU_DEP_2) | instskip(SKIP_2) | instid1(VALU_DEP_2)
	v_add_co_u32 v11, vcc_lo, v19, v12
	s_wait_alu 0xfffd
	v_add_co_ci_u32_e64 v10, null, 0, v20, vcc_lo
	v_add_co_u32 v19, vcc_lo, 0, v11
	s_wait_alu 0xfffd
	s_delay_alu instid0(VALU_DEP_2) | instskip(NEXT) | instid1(VALU_DEP_1)
	v_add_co_ci_u32_e64 v20, null, v9, v10, vcc_lo
	v_mov_b32_e32 v10, v20
; %bb.83:
	s_wait_alu 0xfffe
	s_or_b32 exec_lo, exec_lo, s1
	v_mov_b32_dpp v9, v11 row_shr:2 row_mask:0xf bank_mask:0xf
	s_delay_alu instid0(VALU_DEP_2)
	v_mov_b32_dpp v12, v10 row_shr:2 row_mask:0xf bank_mask:0xf
	s_mov_b32 s0, exec_lo
	v_cmpx_lt_u32_e32 1, v34
; %bb.84:
	s_delay_alu instid0(VALU_DEP_3) | instskip(SKIP_2) | instid1(VALU_DEP_2)
	v_add_co_u32 v11, vcc_lo, v19, v9
	s_wait_alu 0xfffd
	v_add_co_ci_u32_e64 v10, null, 0, v20, vcc_lo
	v_add_co_u32 v9, vcc_lo, 0, v11
	s_wait_alu 0xfffd
	s_delay_alu instid0(VALU_DEP_2) | instskip(NEXT) | instid1(VALU_DEP_1)
	v_add_co_ci_u32_e64 v10, null, v12, v10, vcc_lo
	v_dual_mov_b32 v20, v10 :: v_dual_mov_b32 v19, v9
; %bb.85:
	s_wait_alu 0xfffe
	s_or_b32 exec_lo, exec_lo, s0
	v_mov_b32_dpp v9, v11 row_shr:4 row_mask:0xf bank_mask:0xf
	v_mov_b32_dpp v12, v10 row_shr:4 row_mask:0xf bank_mask:0xf
	s_mov_b32 s0, exec_lo
	v_cmpx_lt_u32_e32 3, v34
; %bb.86:
	s_delay_alu instid0(VALU_DEP_3) | instskip(SKIP_2) | instid1(VALU_DEP_2)
	v_add_co_u32 v11, vcc_lo, v19, v9
	s_wait_alu 0xfffd
	v_add_co_ci_u32_e64 v10, null, 0, v20, vcc_lo
	v_add_co_u32 v9, vcc_lo, 0, v11
	s_wait_alu 0xfffd
	s_delay_alu instid0(VALU_DEP_2) | instskip(NEXT) | instid1(VALU_DEP_1)
	v_add_co_ci_u32_e64 v10, null, v12, v10, vcc_lo
	v_dual_mov_b32 v20, v10 :: v_dual_mov_b32 v19, v9
; %bb.87:
	s_wait_alu 0xfffe
	s_or_b32 exec_lo, exec_lo, s0
	v_mov_b32_dpp v12, v11 row_shr:8 row_mask:0xf bank_mask:0xf
	v_mov_b32_dpp v9, v10 row_shr:8 row_mask:0xf bank_mask:0xf
	s_mov_b32 s0, exec_lo
	v_cmpx_lt_u32_e32 7, v34
; %bb.88:
	s_delay_alu instid0(VALU_DEP_3) | instskip(SKIP_2) | instid1(VALU_DEP_2)
	v_add_co_u32 v11, vcc_lo, v19, v12
	s_wait_alu 0xfffd
	v_add_co_ci_u32_e64 v10, null, 0, v20, vcc_lo
	v_add_co_u32 v19, vcc_lo, 0, v11
	s_wait_alu 0xfffd
	s_delay_alu instid0(VALU_DEP_2) | instskip(NEXT) | instid1(VALU_DEP_1)
	v_add_co_ci_u32_e64 v20, null, v9, v10, vcc_lo
	v_mov_b32_e32 v10, v20
; %bb.89:
	s_wait_alu 0xfffe
	s_or_b32 exec_lo, exec_lo, s0
	ds_swizzle_b32 v11, v11 offset:swizzle(BROADCAST,32,15)
	ds_swizzle_b32 v9, v10 offset:swizzle(BROADCAST,32,15)
	v_and_b32_e32 v10, 16, v33
	s_mov_b32 s0, exec_lo
	s_delay_alu instid0(VALU_DEP_1)
	v_cmpx_ne_u32_e32 0, v10
	s_cbranch_execz .LBB78_91
; %bb.90:
	s_wait_dscnt 0x1
	v_add_co_u32 v10, vcc_lo, v19, v11
	s_wait_alu 0xfffd
	v_add_co_ci_u32_e64 v11, null, 0, v20, vcc_lo
	s_delay_alu instid0(VALU_DEP_2) | instskip(SKIP_2) | instid1(VALU_DEP_2)
	v_add_co_u32 v19, vcc_lo, v10, 0
	s_wait_dscnt 0x0
	s_wait_alu 0xfffd
	v_add_co_ci_u32_e64 v20, null, v11, v9, vcc_lo
.LBB78_91:
	s_wait_alu 0xfffe
	s_or_b32 exec_lo, exec_lo, s0
	s_wait_dscnt 0x0
	v_or_b32_e32 v9, 31, v0
	s_mov_b32 s0, exec_lo
	s_delay_alu instid0(VALU_DEP_1)
	v_cmpx_eq_u32_e64 v0, v9
; %bb.92:
	v_lshlrev_b32_e32 v9, 3, v28
	ds_store_b64 v9, v[19:20]
; %bb.93:
	s_wait_alu 0xfffe
	s_or_b32 exec_lo, exec_lo, s0
	s_delay_alu instid0(SALU_CYCLE_1)
	s_mov_b32 s0, exec_lo
	s_wait_loadcnt_dscnt 0x0
	s_barrier_signal -1
	s_barrier_wait -1
	global_inv scope:SCOPE_SE
	v_cmpx_gt_u32_e32 8, v0
	s_cbranch_execz .LBB78_101
; %bb.94:
	v_lshlrev_b32_e32 v11, 3, v0
	s_mov_b32 s1, exec_lo
	ds_load_b64 v[9:10], v11
	s_wait_dscnt 0x0
	v_dual_mov_b32 v13, v9 :: v_dual_and_b32 v12, 7, v33
	v_mov_b32_dpp v15, v9 row_shr:1 row_mask:0xf bank_mask:0xf
	v_mov_b32_dpp v14, v10 row_shr:1 row_mask:0xf bank_mask:0xf
	s_delay_alu instid0(VALU_DEP_3)
	v_cmpx_ne_u32_e32 0, v12
; %bb.95:
	s_delay_alu instid0(VALU_DEP_3) | instskip(SKIP_2) | instid1(VALU_DEP_2)
	v_add_co_u32 v13, vcc_lo, v9, v15
	s_wait_alu 0xfffd
	v_add_co_ci_u32_e64 v10, null, 0, v10, vcc_lo
	v_add_co_u32 v9, vcc_lo, 0, v13
	s_wait_alu 0xfffd
	s_delay_alu instid0(VALU_DEP_2)
	v_add_co_ci_u32_e64 v10, null, v14, v10, vcc_lo
; %bb.96:
	s_wait_alu 0xfffe
	s_or_b32 exec_lo, exec_lo, s1
	v_mov_b32_dpp v15, v13 row_shr:2 row_mask:0xf bank_mask:0xf
	s_delay_alu instid0(VALU_DEP_2)
	v_mov_b32_dpp v14, v10 row_shr:2 row_mask:0xf bank_mask:0xf
	s_mov_b32 s1, exec_lo
	v_cmpx_lt_u32_e32 1, v12
; %bb.97:
	s_delay_alu instid0(VALU_DEP_3) | instskip(SKIP_2) | instid1(VALU_DEP_2)
	v_add_co_u32 v13, vcc_lo, v9, v15
	s_wait_alu 0xfffd
	v_add_co_ci_u32_e64 v10, null, 0, v10, vcc_lo
	v_add_co_u32 v9, vcc_lo, 0, v13
	s_wait_alu 0xfffd
	s_delay_alu instid0(VALU_DEP_2)
	v_add_co_ci_u32_e64 v10, null, v14, v10, vcc_lo
; %bb.98:
	s_wait_alu 0xfffe
	s_or_b32 exec_lo, exec_lo, s1
	v_mov_b32_dpp v14, v13 row_shr:4 row_mask:0xf bank_mask:0xf
	s_delay_alu instid0(VALU_DEP_2)
	v_mov_b32_dpp v13, v10 row_shr:4 row_mask:0xf bank_mask:0xf
	s_mov_b32 s1, exec_lo
	v_cmpx_lt_u32_e32 3, v12
; %bb.99:
	s_delay_alu instid0(VALU_DEP_3) | instskip(SKIP_2) | instid1(VALU_DEP_2)
	v_add_co_u32 v9, vcc_lo, v9, v14
	s_wait_alu 0xfffd
	v_add_co_ci_u32_e64 v10, null, 0, v10, vcc_lo
	v_add_co_u32 v9, vcc_lo, v9, 0
	s_wait_alu 0xfffd
	s_delay_alu instid0(VALU_DEP_2)
	v_add_co_ci_u32_e64 v10, null, v10, v13, vcc_lo
; %bb.100:
	s_wait_alu 0xfffe
	s_or_b32 exec_lo, exec_lo, s1
	ds_store_b64 v11, v[9:10]
.LBB78_101:
	s_wait_alu 0xfffe
	s_or_b32 exec_lo, exec_lo, s0
	v_mov_b32_e32 v13, 0
	v_mov_b32_e32 v14, 0
	s_mov_b32 s0, exec_lo
	s_wait_loadcnt_dscnt 0x0
	s_barrier_signal -1
	s_barrier_wait -1
	global_inv scope:SCOPE_SE
	v_cmpx_lt_u32_e32 31, v0
; %bb.102:
	v_lshl_add_u32 v9, v28, 3, -8
	ds_load_b64 v[13:14], v9
; %bb.103:
	s_wait_alu 0xfffe
	s_or_b32 exec_lo, exec_lo, s0
	v_sub_co_u32 v9, vcc_lo, v33, 1
	v_mov_b32_e32 v12, 0
	s_delay_alu instid0(VALU_DEP_2) | instskip(SKIP_1) | instid1(VALU_DEP_1)
	v_cmp_gt_i32_e64 s0, 0, v9
	s_wait_alu 0xf1ff
	v_cndmask_b32_e64 v9, v9, v33, s0
	s_wait_dscnt 0x0
	v_add_co_u32 v10, s0, v13, v19
	s_wait_alu 0xf1ff
	v_add_co_ci_u32_e64 v11, null, v14, v20, s0
	v_lshlrev_b32_e32 v9, 2, v9
	ds_bpermute_b32 v15, v9, v10
	ds_bpermute_b32 v16, v9, v11
	ds_load_b64 v[9:10], v12 offset:56
	s_and_saveexec_b32 s0, s2
	s_cbranch_execz .LBB78_105
; %bb.104:
	s_add_nc_u64 s[6:7], s[14:15], 0x200
	s_delay_alu instid0(SALU_CYCLE_1)
	v_dual_mov_b32 v11, 2 :: v_dual_mov_b32 v20, s7
	v_mov_b32_e32 v19, s6
	s_wait_dscnt 0x0
	;;#ASMSTART
	global_store_b128 v[19:20], v[9:12] off scope:SCOPE_DEV	
s_wait_storecnt 0x0
	;;#ASMEND
.LBB78_105:
	s_wait_alu 0xfffe
	s_or_b32 exec_lo, exec_lo, s0
	s_wait_dscnt 0x1
	s_wait_alu 0xfffd
	v_dual_cndmask_b32 v11, v15, v13 :: v_dual_cndmask_b32 v12, v16, v14
	s_wait_loadcnt_dscnt 0x0
	s_barrier_signal -1
	s_barrier_wait -1
	s_delay_alu instid0(VALU_DEP_1)
	v_cndmask_b32_e64 v23, v11, 0, s2
	v_cndmask_b32_e64 v24, v12, 0, s2
	v_mov_b32_e32 v11, 0
	v_mov_b32_e32 v12, 0
	global_inv scope:SCOPE_SE
	v_add_co_u32 v21, vcc_lo, v23, v32
	s_wait_alu 0xfffd
	v_add_co_ci_u32_e64 v22, null, 0, v24, vcc_lo
	s_delay_alu instid0(VALU_DEP_2) | instskip(SKIP_1) | instid1(VALU_DEP_2)
	v_add_co_u32 v13, vcc_lo, v21, v31
	s_wait_alu 0xfffd
	v_add_co_ci_u32_e64 v14, null, 0, v22, vcc_lo
	s_delay_alu instid0(VALU_DEP_2) | instskip(SKIP_1) | instid1(VALU_DEP_2)
	v_add_co_u32 v15, vcc_lo, v13, v30
	s_wait_alu 0xfffd
	v_add_co_ci_u32_e64 v16, null, 0, v14, vcc_lo
.LBB78_106:
	v_and_b32_e32 v28, 1, v29
	s_wait_dscnt 0x0
	v_cmp_gt_u64_e32 vcc_lo, 0x101, v[9:10]
	v_lshrrev_b32_e32 v25, 16, v29
	v_lshrrev_b32_e32 v26, 8, v29
	s_mov_b32 s1, -1
	v_cmp_eq_u32_e64 s0, 1, v28
	s_cbranch_vccnz .LBB78_110
; %bb.107:
	s_wait_alu 0xfffe
	s_and_b32 vcc_lo, exec_lo, s1
	s_wait_alu 0xfffe
	s_cbranch_vccnz .LBB78_119
.LBB78_108:
	s_and_b32 s0, s2, s19
	s_wait_alu 0xfffe
	s_and_saveexec_b32 s1, s0
	s_cbranch_execnz .LBB78_131
.LBB78_109:
	s_endpgm
.LBB78_110:
	v_add_co_u32 v19, vcc_lo, v11, v9
	s_wait_alu 0xfffd
	v_add_co_ci_u32_e64 v20, null, v12, v10, vcc_lo
	s_delay_alu instid0(VALU_DEP_1)
	v_cmp_lt_u64_e32 vcc_lo, v[23:24], v[19:20]
	s_or_b32 s1, s20, vcc_lo
	s_wait_alu 0xfffe
	s_and_b32 s1, s1, s0
	s_wait_alu 0xfffe
	s_and_saveexec_b32 s0, s1
	s_cbranch_execz .LBB78_112
; %bb.111:
	v_lshlrev_b64_e32 v[29:30], 3, v[17:18]
	v_lshlrev_b64_e32 v[31:32], 3, v[23:24]
	s_delay_alu instid0(VALU_DEP_2) | instskip(SKIP_1) | instid1(VALU_DEP_3)
	v_add_co_u32 v24, vcc_lo, s12, v29
	s_wait_alu 0xfffd
	v_add_co_ci_u32_e64 v30, null, s13, v30, vcc_lo
	s_delay_alu instid0(VALU_DEP_2) | instskip(SKIP_1) | instid1(VALU_DEP_2)
	v_add_co_u32 v29, vcc_lo, v24, v31
	s_wait_alu 0xfffd
	v_add_co_ci_u32_e64 v30, null, v30, v32, vcc_lo
	global_store_b64 v[29:30], v[5:6], off
.LBB78_112:
	s_wait_alu 0xfffe
	s_or_b32 exec_lo, exec_lo, s0
	v_and_b32_e32 v24, 1, v26
	v_cmp_lt_u64_e32 vcc_lo, v[21:22], v[19:20]
	s_delay_alu instid0(VALU_DEP_2)
	v_cmp_eq_u32_e64 s0, 1, v24
	s_or_b32 s1, s20, vcc_lo
	s_wait_alu 0xfffe
	s_and_b32 s1, s1, s0
	s_wait_alu 0xfffe
	s_and_saveexec_b32 s0, s1
	s_cbranch_execz .LBB78_114
; %bb.113:
	v_lshlrev_b64_e32 v[29:30], 3, v[17:18]
	v_lshlrev_b64_e32 v[31:32], 3, v[21:22]
	s_delay_alu instid0(VALU_DEP_2) | instskip(SKIP_1) | instid1(VALU_DEP_3)
	v_add_co_u32 v22, vcc_lo, s12, v29
	s_wait_alu 0xfffd
	v_add_co_ci_u32_e64 v24, null, s13, v30, vcc_lo
	s_delay_alu instid0(VALU_DEP_2) | instskip(SKIP_1) | instid1(VALU_DEP_2)
	v_add_co_u32 v29, vcc_lo, v22, v31
	s_wait_alu 0xfffd
	v_add_co_ci_u32_e64 v30, null, v24, v32, vcc_lo
	global_store_b64 v[29:30], v[7:8], off
.LBB78_114:
	s_wait_alu 0xfffe
	s_or_b32 exec_lo, exec_lo, s0
	v_and_b32_e32 v22, 1, v25
	v_cmp_lt_u64_e32 vcc_lo, v[13:14], v[19:20]
	s_delay_alu instid0(VALU_DEP_2)
	v_cmp_eq_u32_e64 s0, 1, v22
	;; [unrolled: 25-line block ×3, first 2 shown]
	s_or_b32 s1, s20, vcc_lo
	s_wait_alu 0xfffe
	s_and_b32 s1, s1, s0
	s_wait_alu 0xfffe
	s_and_saveexec_b32 s0, s1
	s_cbranch_execz .LBB78_118
; %bb.117:
	v_lshlrev_b64_e32 v[19:20], 3, v[17:18]
	v_lshlrev_b64_e32 v[29:30], 3, v[15:16]
	s_delay_alu instid0(VALU_DEP_2) | instskip(SKIP_1) | instid1(VALU_DEP_3)
	v_add_co_u32 v14, vcc_lo, s12, v19
	s_wait_alu 0xfffd
	v_add_co_ci_u32_e64 v16, null, s13, v20, vcc_lo
	s_delay_alu instid0(VALU_DEP_2) | instskip(SKIP_1) | instid1(VALU_DEP_2)
	v_add_co_u32 v19, vcc_lo, v14, v29
	s_wait_alu 0xfffd
	v_add_co_ci_u32_e64 v20, null, v16, v30, vcc_lo
	global_store_b64 v[19:20], v[3:4], off
.LBB78_118:
	s_wait_alu 0xfffe
	s_or_b32 exec_lo, exec_lo, s0
	s_branch .LBB78_108
.LBB78_119:
	s_mov_b32 s0, exec_lo
	v_cmpx_eq_u32_e32 1, v28
; %bb.120:
	v_sub_nc_u32_e32 v14, v23, v11
	s_delay_alu instid0(VALU_DEP_1)
	v_lshlrev_b32_e32 v14, 3, v14
	ds_store_b64 v14, v[5:6]
; %bb.121:
	s_wait_alu 0xfffe
	s_or_b32 exec_lo, exec_lo, s0
	v_and_b32_e32 v5, 1, v26
	s_mov_b32 s0, exec_lo
	s_delay_alu instid0(VALU_DEP_1)
	v_cmpx_eq_u32_e32 1, v5
; %bb.122:
	v_sub_nc_u32_e32 v5, v21, v11
	s_delay_alu instid0(VALU_DEP_1)
	v_lshlrev_b32_e32 v5, 3, v5
	ds_store_b64 v5, v[7:8]
; %bb.123:
	s_wait_alu 0xfffe
	s_or_b32 exec_lo, exec_lo, s0
	v_and_b32_e32 v5, 1, v25
	s_mov_b32 s0, exec_lo
	s_delay_alu instid0(VALU_DEP_1)
	;; [unrolled: 12-line block ×3, first 2 shown]
	v_cmpx_eq_u32_e32 1, v1
; %bb.126:
	v_sub_nc_u32_e32 v1, v15, v11
	s_delay_alu instid0(VALU_DEP_1)
	v_lshlrev_b32_e32 v1, 3, v1
	ds_store_b64 v1, v[3:4]
; %bb.127:
	s_wait_alu 0xfffe
	s_or_b32 exec_lo, exec_lo, s0
	v_mov_b32_e32 v1, 0
	s_mov_b32 s1, exec_lo
	s_wait_storecnt 0x0
	s_wait_loadcnt_dscnt 0x0
	s_barrier_signal -1
	s_barrier_wait -1
	global_inv scope:SCOPE_SE
	v_cmpx_gt_u64_e64 v[9:10], v[0:1]
	s_cbranch_execz .LBB78_130
; %bb.128:
	v_lshlrev_b64_e32 v[2:3], 3, v[11:12]
	v_lshlrev_b64_e32 v[4:5], 3, v[17:18]
	s_mov_b32 s3, 0
	s_delay_alu instid0(VALU_DEP_2) | instskip(SKIP_1) | instid1(VALU_DEP_3)
	v_add_co_u32 v6, vcc_lo, s12, v2
	s_wait_alu 0xfffd
	v_add_co_ci_u32_e64 v7, null, s13, v3, vcc_lo
	v_dual_mov_b32 v3, v1 :: v_dual_mov_b32 v2, v0
	s_delay_alu instid0(VALU_DEP_3) | instskip(SKIP_1) | instid1(VALU_DEP_3)
	v_add_co_u32 v4, vcc_lo, v6, v4
	s_wait_alu 0xfffd
	v_add_co_ci_u32_e64 v5, null, v7, v5, vcc_lo
	v_or_b32_e32 v0, 0x100, v0
.LBB78_129:                             ; =>This Inner Loop Header: Depth=1
	v_lshlrev_b32_e32 v6, 3, v2
	v_lshlrev_b64_e32 v[13:14], 3, v[2:3]
	v_mov_b32_e32 v3, v1
	s_delay_alu instid0(VALU_DEP_4)
	v_cmp_le_u64_e32 vcc_lo, v[9:10], v[0:1]
	v_mov_b32_e32 v2, v0
	ds_load_b64 v[6:7], v6
	v_add_nc_u32_e32 v0, 0x100, v0
	v_add_co_u32 v13, s0, v4, v13
	s_wait_alu 0xf1ff
	v_add_co_ci_u32_e64 v14, null, v5, v14, s0
	s_wait_alu 0xfffe
	s_or_b32 s3, vcc_lo, s3
	s_wait_dscnt 0x0
	global_store_b64 v[13:14], v[6:7], off
	s_wait_alu 0xfffe
	s_and_not1_b32 exec_lo, exec_lo, s3
	s_cbranch_execnz .LBB78_129
.LBB78_130:
	s_wait_alu 0xfffe
	s_or_b32 exec_lo, exec_lo, s1
	s_and_b32 s0, s2, s19
	s_wait_alu 0xfffe
	s_and_saveexec_b32 s1, s0
	s_cbranch_execz .LBB78_109
.LBB78_131:
	v_add_co_u32 v0, vcc_lo, v11, v9
	s_wait_alu 0xfffd
	v_add_co_ci_u32_e64 v1, null, v12, v10, vcc_lo
	v_mov_b32_e32 v2, 0
	s_delay_alu instid0(VALU_DEP_3) | instskip(SKIP_1) | instid1(VALU_DEP_3)
	v_add_co_u32 v0, vcc_lo, v0, v17
	s_wait_alu 0xfffd
	v_add_co_ci_u32_e64 v1, null, v1, v18, vcc_lo
	global_store_b64 v2, v[0:1], s[4:5]
	s_endpgm
.LBB78_132:
	global_load_u8 v16, v0, s[0:1] offset:256
	s_wait_loadcnt 0x0
	v_cmp_ne_u16_e32 vcc_lo, 0, v16
	s_wait_alu 0xfffd
	v_cndmask_b32_e64 v16, 0, 1, vcc_lo
	s_delay_alu instid0(VALU_DEP_1) | instskip(NEXT) | instid1(VALU_DEP_1)
	v_lshlrev_b16 v16, 8, v16
	v_or_b32_e32 v14, v14, v16
	s_delay_alu instid0(VALU_DEP_1) | instskip(SKIP_1) | instid1(SALU_CYCLE_1)
	v_and_b32_e32 v14, 0xffff, v14
	s_or_b32 exec_lo, exec_lo, s6
	s_mov_b32 s6, exec_lo
	v_cmpx_gt_u32_e64 s3, v10
	s_cbranch_execz .LBB78_15
.LBB78_133:
	global_load_u8 v16, v0, s[0:1] offset:512
	s_wait_loadcnt 0x0
	v_cmp_ne_u16_e32 vcc_lo, 0, v16
	s_wait_alu 0xfffd
	v_cndmask_b32_e64 v16, 0, 1, vcc_lo
	s_delay_alu instid0(VALU_DEP_1)
	v_lshl_or_b32 v14, v16, 16, v14
	s_or_b32 exec_lo, exec_lo, s6
	v_cmp_gt_u32_e32 vcc_lo, s3, v9
	s_and_saveexec_b32 s3, vcc_lo
	s_cbranch_execnz .LBB78_16
	s_branch .LBB78_17
	.section	.rodata,"a",@progbits
	.p2align	6, 0x0
	.amdhsa_kernel _ZN7rocprim17ROCPRIM_400000_NS6detail17trampoline_kernelINS0_14default_configENS1_25partition_config_selectorILNS1_17partition_subalgoE5ElNS0_10empty_typeEbEEZZNS1_14partition_implILS5_5ELb0ES3_mN6hipcub16HIPCUB_304000_NS21CountingInputIteratorIllEEPS6_NSA_22TransformInputIteratorIbN2at6native12_GLOBAL__N_19NonZeroOpIhEEPKhlEENS0_5tupleIJPlS6_EEENSN_IJSD_SD_EEES6_PiJS6_EEE10hipError_tPvRmT3_T4_T5_T6_T7_T9_mT8_P12ihipStream_tbDpT10_ENKUlT_T0_E_clISt17integral_constantIbLb0EES1A_IbLb1EEEEDaS16_S17_EUlS16_E_NS1_11comp_targetILNS1_3genE10ELNS1_11target_archE1200ELNS1_3gpuE4ELNS1_3repE0EEENS1_30default_config_static_selectorELNS0_4arch9wavefront6targetE0EEEvT1_
		.amdhsa_group_segment_fixed_size 8464
		.amdhsa_private_segment_fixed_size 0
		.amdhsa_kernarg_size 136
		.amdhsa_user_sgpr_count 2
		.amdhsa_user_sgpr_dispatch_ptr 0
		.amdhsa_user_sgpr_queue_ptr 0
		.amdhsa_user_sgpr_kernarg_segment_ptr 1
		.amdhsa_user_sgpr_dispatch_id 0
		.amdhsa_user_sgpr_private_segment_size 0
		.amdhsa_wavefront_size32 1
		.amdhsa_uses_dynamic_stack 0
		.amdhsa_enable_private_segment 0
		.amdhsa_system_sgpr_workgroup_id_x 1
		.amdhsa_system_sgpr_workgroup_id_y 0
		.amdhsa_system_sgpr_workgroup_id_z 0
		.amdhsa_system_sgpr_workgroup_info 0
		.amdhsa_system_vgpr_workitem_id 0
		.amdhsa_next_free_vgpr 48
		.amdhsa_next_free_sgpr 24
		.amdhsa_reserve_vcc 1
		.amdhsa_float_round_mode_32 0
		.amdhsa_float_round_mode_16_64 0
		.amdhsa_float_denorm_mode_32 3
		.amdhsa_float_denorm_mode_16_64 3
		.amdhsa_fp16_overflow 0
		.amdhsa_workgroup_processor_mode 1
		.amdhsa_memory_ordered 1
		.amdhsa_forward_progress 1
		.amdhsa_inst_pref_size 54
		.amdhsa_round_robin_scheduling 0
		.amdhsa_exception_fp_ieee_invalid_op 0
		.amdhsa_exception_fp_denorm_src 0
		.amdhsa_exception_fp_ieee_div_zero 0
		.amdhsa_exception_fp_ieee_overflow 0
		.amdhsa_exception_fp_ieee_underflow 0
		.amdhsa_exception_fp_ieee_inexact 0
		.amdhsa_exception_int_div_zero 0
	.end_amdhsa_kernel
	.section	.text._ZN7rocprim17ROCPRIM_400000_NS6detail17trampoline_kernelINS0_14default_configENS1_25partition_config_selectorILNS1_17partition_subalgoE5ElNS0_10empty_typeEbEEZZNS1_14partition_implILS5_5ELb0ES3_mN6hipcub16HIPCUB_304000_NS21CountingInputIteratorIllEEPS6_NSA_22TransformInputIteratorIbN2at6native12_GLOBAL__N_19NonZeroOpIhEEPKhlEENS0_5tupleIJPlS6_EEENSN_IJSD_SD_EEES6_PiJS6_EEE10hipError_tPvRmT3_T4_T5_T6_T7_T9_mT8_P12ihipStream_tbDpT10_ENKUlT_T0_E_clISt17integral_constantIbLb0EES1A_IbLb1EEEEDaS16_S17_EUlS16_E_NS1_11comp_targetILNS1_3genE10ELNS1_11target_archE1200ELNS1_3gpuE4ELNS1_3repE0EEENS1_30default_config_static_selectorELNS0_4arch9wavefront6targetE0EEEvT1_,"axG",@progbits,_ZN7rocprim17ROCPRIM_400000_NS6detail17trampoline_kernelINS0_14default_configENS1_25partition_config_selectorILNS1_17partition_subalgoE5ElNS0_10empty_typeEbEEZZNS1_14partition_implILS5_5ELb0ES3_mN6hipcub16HIPCUB_304000_NS21CountingInputIteratorIllEEPS6_NSA_22TransformInputIteratorIbN2at6native12_GLOBAL__N_19NonZeroOpIhEEPKhlEENS0_5tupleIJPlS6_EEENSN_IJSD_SD_EEES6_PiJS6_EEE10hipError_tPvRmT3_T4_T5_T6_T7_T9_mT8_P12ihipStream_tbDpT10_ENKUlT_T0_E_clISt17integral_constantIbLb0EES1A_IbLb1EEEEDaS16_S17_EUlS16_E_NS1_11comp_targetILNS1_3genE10ELNS1_11target_archE1200ELNS1_3gpuE4ELNS1_3repE0EEENS1_30default_config_static_selectorELNS0_4arch9wavefront6targetE0EEEvT1_,comdat
.Lfunc_end78:
	.size	_ZN7rocprim17ROCPRIM_400000_NS6detail17trampoline_kernelINS0_14default_configENS1_25partition_config_selectorILNS1_17partition_subalgoE5ElNS0_10empty_typeEbEEZZNS1_14partition_implILS5_5ELb0ES3_mN6hipcub16HIPCUB_304000_NS21CountingInputIteratorIllEEPS6_NSA_22TransformInputIteratorIbN2at6native12_GLOBAL__N_19NonZeroOpIhEEPKhlEENS0_5tupleIJPlS6_EEENSN_IJSD_SD_EEES6_PiJS6_EEE10hipError_tPvRmT3_T4_T5_T6_T7_T9_mT8_P12ihipStream_tbDpT10_ENKUlT_T0_E_clISt17integral_constantIbLb0EES1A_IbLb1EEEEDaS16_S17_EUlS16_E_NS1_11comp_targetILNS1_3genE10ELNS1_11target_archE1200ELNS1_3gpuE4ELNS1_3repE0EEENS1_30default_config_static_selectorELNS0_4arch9wavefront6targetE0EEEvT1_, .Lfunc_end78-_ZN7rocprim17ROCPRIM_400000_NS6detail17trampoline_kernelINS0_14default_configENS1_25partition_config_selectorILNS1_17partition_subalgoE5ElNS0_10empty_typeEbEEZZNS1_14partition_implILS5_5ELb0ES3_mN6hipcub16HIPCUB_304000_NS21CountingInputIteratorIllEEPS6_NSA_22TransformInputIteratorIbN2at6native12_GLOBAL__N_19NonZeroOpIhEEPKhlEENS0_5tupleIJPlS6_EEENSN_IJSD_SD_EEES6_PiJS6_EEE10hipError_tPvRmT3_T4_T5_T6_T7_T9_mT8_P12ihipStream_tbDpT10_ENKUlT_T0_E_clISt17integral_constantIbLb0EES1A_IbLb1EEEEDaS16_S17_EUlS16_E_NS1_11comp_targetILNS1_3genE10ELNS1_11target_archE1200ELNS1_3gpuE4ELNS1_3repE0EEENS1_30default_config_static_selectorELNS0_4arch9wavefront6targetE0EEEvT1_
                                        ; -- End function
	.set _ZN7rocprim17ROCPRIM_400000_NS6detail17trampoline_kernelINS0_14default_configENS1_25partition_config_selectorILNS1_17partition_subalgoE5ElNS0_10empty_typeEbEEZZNS1_14partition_implILS5_5ELb0ES3_mN6hipcub16HIPCUB_304000_NS21CountingInputIteratorIllEEPS6_NSA_22TransformInputIteratorIbN2at6native12_GLOBAL__N_19NonZeroOpIhEEPKhlEENS0_5tupleIJPlS6_EEENSN_IJSD_SD_EEES6_PiJS6_EEE10hipError_tPvRmT3_T4_T5_T6_T7_T9_mT8_P12ihipStream_tbDpT10_ENKUlT_T0_E_clISt17integral_constantIbLb0EES1A_IbLb1EEEEDaS16_S17_EUlS16_E_NS1_11comp_targetILNS1_3genE10ELNS1_11target_archE1200ELNS1_3gpuE4ELNS1_3repE0EEENS1_30default_config_static_selectorELNS0_4arch9wavefront6targetE0EEEvT1_.num_vgpr, 48
	.set _ZN7rocprim17ROCPRIM_400000_NS6detail17trampoline_kernelINS0_14default_configENS1_25partition_config_selectorILNS1_17partition_subalgoE5ElNS0_10empty_typeEbEEZZNS1_14partition_implILS5_5ELb0ES3_mN6hipcub16HIPCUB_304000_NS21CountingInputIteratorIllEEPS6_NSA_22TransformInputIteratorIbN2at6native12_GLOBAL__N_19NonZeroOpIhEEPKhlEENS0_5tupleIJPlS6_EEENSN_IJSD_SD_EEES6_PiJS6_EEE10hipError_tPvRmT3_T4_T5_T6_T7_T9_mT8_P12ihipStream_tbDpT10_ENKUlT_T0_E_clISt17integral_constantIbLb0EES1A_IbLb1EEEEDaS16_S17_EUlS16_E_NS1_11comp_targetILNS1_3genE10ELNS1_11target_archE1200ELNS1_3gpuE4ELNS1_3repE0EEENS1_30default_config_static_selectorELNS0_4arch9wavefront6targetE0EEEvT1_.num_agpr, 0
	.set _ZN7rocprim17ROCPRIM_400000_NS6detail17trampoline_kernelINS0_14default_configENS1_25partition_config_selectorILNS1_17partition_subalgoE5ElNS0_10empty_typeEbEEZZNS1_14partition_implILS5_5ELb0ES3_mN6hipcub16HIPCUB_304000_NS21CountingInputIteratorIllEEPS6_NSA_22TransformInputIteratorIbN2at6native12_GLOBAL__N_19NonZeroOpIhEEPKhlEENS0_5tupleIJPlS6_EEENSN_IJSD_SD_EEES6_PiJS6_EEE10hipError_tPvRmT3_T4_T5_T6_T7_T9_mT8_P12ihipStream_tbDpT10_ENKUlT_T0_E_clISt17integral_constantIbLb0EES1A_IbLb1EEEEDaS16_S17_EUlS16_E_NS1_11comp_targetILNS1_3genE10ELNS1_11target_archE1200ELNS1_3gpuE4ELNS1_3repE0EEENS1_30default_config_static_selectorELNS0_4arch9wavefront6targetE0EEEvT1_.numbered_sgpr, 24
	.set _ZN7rocprim17ROCPRIM_400000_NS6detail17trampoline_kernelINS0_14default_configENS1_25partition_config_selectorILNS1_17partition_subalgoE5ElNS0_10empty_typeEbEEZZNS1_14partition_implILS5_5ELb0ES3_mN6hipcub16HIPCUB_304000_NS21CountingInputIteratorIllEEPS6_NSA_22TransformInputIteratorIbN2at6native12_GLOBAL__N_19NonZeroOpIhEEPKhlEENS0_5tupleIJPlS6_EEENSN_IJSD_SD_EEES6_PiJS6_EEE10hipError_tPvRmT3_T4_T5_T6_T7_T9_mT8_P12ihipStream_tbDpT10_ENKUlT_T0_E_clISt17integral_constantIbLb0EES1A_IbLb1EEEEDaS16_S17_EUlS16_E_NS1_11comp_targetILNS1_3genE10ELNS1_11target_archE1200ELNS1_3gpuE4ELNS1_3repE0EEENS1_30default_config_static_selectorELNS0_4arch9wavefront6targetE0EEEvT1_.num_named_barrier, 0
	.set _ZN7rocprim17ROCPRIM_400000_NS6detail17trampoline_kernelINS0_14default_configENS1_25partition_config_selectorILNS1_17partition_subalgoE5ElNS0_10empty_typeEbEEZZNS1_14partition_implILS5_5ELb0ES3_mN6hipcub16HIPCUB_304000_NS21CountingInputIteratorIllEEPS6_NSA_22TransformInputIteratorIbN2at6native12_GLOBAL__N_19NonZeroOpIhEEPKhlEENS0_5tupleIJPlS6_EEENSN_IJSD_SD_EEES6_PiJS6_EEE10hipError_tPvRmT3_T4_T5_T6_T7_T9_mT8_P12ihipStream_tbDpT10_ENKUlT_T0_E_clISt17integral_constantIbLb0EES1A_IbLb1EEEEDaS16_S17_EUlS16_E_NS1_11comp_targetILNS1_3genE10ELNS1_11target_archE1200ELNS1_3gpuE4ELNS1_3repE0EEENS1_30default_config_static_selectorELNS0_4arch9wavefront6targetE0EEEvT1_.private_seg_size, 0
	.set _ZN7rocprim17ROCPRIM_400000_NS6detail17trampoline_kernelINS0_14default_configENS1_25partition_config_selectorILNS1_17partition_subalgoE5ElNS0_10empty_typeEbEEZZNS1_14partition_implILS5_5ELb0ES3_mN6hipcub16HIPCUB_304000_NS21CountingInputIteratorIllEEPS6_NSA_22TransformInputIteratorIbN2at6native12_GLOBAL__N_19NonZeroOpIhEEPKhlEENS0_5tupleIJPlS6_EEENSN_IJSD_SD_EEES6_PiJS6_EEE10hipError_tPvRmT3_T4_T5_T6_T7_T9_mT8_P12ihipStream_tbDpT10_ENKUlT_T0_E_clISt17integral_constantIbLb0EES1A_IbLb1EEEEDaS16_S17_EUlS16_E_NS1_11comp_targetILNS1_3genE10ELNS1_11target_archE1200ELNS1_3gpuE4ELNS1_3repE0EEENS1_30default_config_static_selectorELNS0_4arch9wavefront6targetE0EEEvT1_.uses_vcc, 1
	.set _ZN7rocprim17ROCPRIM_400000_NS6detail17trampoline_kernelINS0_14default_configENS1_25partition_config_selectorILNS1_17partition_subalgoE5ElNS0_10empty_typeEbEEZZNS1_14partition_implILS5_5ELb0ES3_mN6hipcub16HIPCUB_304000_NS21CountingInputIteratorIllEEPS6_NSA_22TransformInputIteratorIbN2at6native12_GLOBAL__N_19NonZeroOpIhEEPKhlEENS0_5tupleIJPlS6_EEENSN_IJSD_SD_EEES6_PiJS6_EEE10hipError_tPvRmT3_T4_T5_T6_T7_T9_mT8_P12ihipStream_tbDpT10_ENKUlT_T0_E_clISt17integral_constantIbLb0EES1A_IbLb1EEEEDaS16_S17_EUlS16_E_NS1_11comp_targetILNS1_3genE10ELNS1_11target_archE1200ELNS1_3gpuE4ELNS1_3repE0EEENS1_30default_config_static_selectorELNS0_4arch9wavefront6targetE0EEEvT1_.uses_flat_scratch, 0
	.set _ZN7rocprim17ROCPRIM_400000_NS6detail17trampoline_kernelINS0_14default_configENS1_25partition_config_selectorILNS1_17partition_subalgoE5ElNS0_10empty_typeEbEEZZNS1_14partition_implILS5_5ELb0ES3_mN6hipcub16HIPCUB_304000_NS21CountingInputIteratorIllEEPS6_NSA_22TransformInputIteratorIbN2at6native12_GLOBAL__N_19NonZeroOpIhEEPKhlEENS0_5tupleIJPlS6_EEENSN_IJSD_SD_EEES6_PiJS6_EEE10hipError_tPvRmT3_T4_T5_T6_T7_T9_mT8_P12ihipStream_tbDpT10_ENKUlT_T0_E_clISt17integral_constantIbLb0EES1A_IbLb1EEEEDaS16_S17_EUlS16_E_NS1_11comp_targetILNS1_3genE10ELNS1_11target_archE1200ELNS1_3gpuE4ELNS1_3repE0EEENS1_30default_config_static_selectorELNS0_4arch9wavefront6targetE0EEEvT1_.has_dyn_sized_stack, 0
	.set _ZN7rocprim17ROCPRIM_400000_NS6detail17trampoline_kernelINS0_14default_configENS1_25partition_config_selectorILNS1_17partition_subalgoE5ElNS0_10empty_typeEbEEZZNS1_14partition_implILS5_5ELb0ES3_mN6hipcub16HIPCUB_304000_NS21CountingInputIteratorIllEEPS6_NSA_22TransformInputIteratorIbN2at6native12_GLOBAL__N_19NonZeroOpIhEEPKhlEENS0_5tupleIJPlS6_EEENSN_IJSD_SD_EEES6_PiJS6_EEE10hipError_tPvRmT3_T4_T5_T6_T7_T9_mT8_P12ihipStream_tbDpT10_ENKUlT_T0_E_clISt17integral_constantIbLb0EES1A_IbLb1EEEEDaS16_S17_EUlS16_E_NS1_11comp_targetILNS1_3genE10ELNS1_11target_archE1200ELNS1_3gpuE4ELNS1_3repE0EEENS1_30default_config_static_selectorELNS0_4arch9wavefront6targetE0EEEvT1_.has_recursion, 0
	.set _ZN7rocprim17ROCPRIM_400000_NS6detail17trampoline_kernelINS0_14default_configENS1_25partition_config_selectorILNS1_17partition_subalgoE5ElNS0_10empty_typeEbEEZZNS1_14partition_implILS5_5ELb0ES3_mN6hipcub16HIPCUB_304000_NS21CountingInputIteratorIllEEPS6_NSA_22TransformInputIteratorIbN2at6native12_GLOBAL__N_19NonZeroOpIhEEPKhlEENS0_5tupleIJPlS6_EEENSN_IJSD_SD_EEES6_PiJS6_EEE10hipError_tPvRmT3_T4_T5_T6_T7_T9_mT8_P12ihipStream_tbDpT10_ENKUlT_T0_E_clISt17integral_constantIbLb0EES1A_IbLb1EEEEDaS16_S17_EUlS16_E_NS1_11comp_targetILNS1_3genE10ELNS1_11target_archE1200ELNS1_3gpuE4ELNS1_3repE0EEENS1_30default_config_static_selectorELNS0_4arch9wavefront6targetE0EEEvT1_.has_indirect_call, 0
	.section	.AMDGPU.csdata,"",@progbits
; Kernel info:
; codeLenInByte = 6904
; TotalNumSgprs: 26
; NumVgprs: 48
; ScratchSize: 0
; MemoryBound: 0
; FloatMode: 240
; IeeeMode: 1
; LDSByteSize: 8464 bytes/workgroup (compile time only)
; SGPRBlocks: 0
; VGPRBlocks: 5
; NumSGPRsForWavesPerEU: 26
; NumVGPRsForWavesPerEU: 48
; Occupancy: 16
; WaveLimiterHint : 1
; COMPUTE_PGM_RSRC2:SCRATCH_EN: 0
; COMPUTE_PGM_RSRC2:USER_SGPR: 2
; COMPUTE_PGM_RSRC2:TRAP_HANDLER: 0
; COMPUTE_PGM_RSRC2:TGID_X_EN: 1
; COMPUTE_PGM_RSRC2:TGID_Y_EN: 0
; COMPUTE_PGM_RSRC2:TGID_Z_EN: 0
; COMPUTE_PGM_RSRC2:TIDIG_COMP_CNT: 0
	.section	.text._ZN7rocprim17ROCPRIM_400000_NS6detail17trampoline_kernelINS0_14default_configENS1_25partition_config_selectorILNS1_17partition_subalgoE5ElNS0_10empty_typeEbEEZZNS1_14partition_implILS5_5ELb0ES3_mN6hipcub16HIPCUB_304000_NS21CountingInputIteratorIllEEPS6_NSA_22TransformInputIteratorIbN2at6native12_GLOBAL__N_19NonZeroOpIhEEPKhlEENS0_5tupleIJPlS6_EEENSN_IJSD_SD_EEES6_PiJS6_EEE10hipError_tPvRmT3_T4_T5_T6_T7_T9_mT8_P12ihipStream_tbDpT10_ENKUlT_T0_E_clISt17integral_constantIbLb0EES1A_IbLb1EEEEDaS16_S17_EUlS16_E_NS1_11comp_targetILNS1_3genE9ELNS1_11target_archE1100ELNS1_3gpuE3ELNS1_3repE0EEENS1_30default_config_static_selectorELNS0_4arch9wavefront6targetE0EEEvT1_,"axG",@progbits,_ZN7rocprim17ROCPRIM_400000_NS6detail17trampoline_kernelINS0_14default_configENS1_25partition_config_selectorILNS1_17partition_subalgoE5ElNS0_10empty_typeEbEEZZNS1_14partition_implILS5_5ELb0ES3_mN6hipcub16HIPCUB_304000_NS21CountingInputIteratorIllEEPS6_NSA_22TransformInputIteratorIbN2at6native12_GLOBAL__N_19NonZeroOpIhEEPKhlEENS0_5tupleIJPlS6_EEENSN_IJSD_SD_EEES6_PiJS6_EEE10hipError_tPvRmT3_T4_T5_T6_T7_T9_mT8_P12ihipStream_tbDpT10_ENKUlT_T0_E_clISt17integral_constantIbLb0EES1A_IbLb1EEEEDaS16_S17_EUlS16_E_NS1_11comp_targetILNS1_3genE9ELNS1_11target_archE1100ELNS1_3gpuE3ELNS1_3repE0EEENS1_30default_config_static_selectorELNS0_4arch9wavefront6targetE0EEEvT1_,comdat
	.globl	_ZN7rocprim17ROCPRIM_400000_NS6detail17trampoline_kernelINS0_14default_configENS1_25partition_config_selectorILNS1_17partition_subalgoE5ElNS0_10empty_typeEbEEZZNS1_14partition_implILS5_5ELb0ES3_mN6hipcub16HIPCUB_304000_NS21CountingInputIteratorIllEEPS6_NSA_22TransformInputIteratorIbN2at6native12_GLOBAL__N_19NonZeroOpIhEEPKhlEENS0_5tupleIJPlS6_EEENSN_IJSD_SD_EEES6_PiJS6_EEE10hipError_tPvRmT3_T4_T5_T6_T7_T9_mT8_P12ihipStream_tbDpT10_ENKUlT_T0_E_clISt17integral_constantIbLb0EES1A_IbLb1EEEEDaS16_S17_EUlS16_E_NS1_11comp_targetILNS1_3genE9ELNS1_11target_archE1100ELNS1_3gpuE3ELNS1_3repE0EEENS1_30default_config_static_selectorELNS0_4arch9wavefront6targetE0EEEvT1_ ; -- Begin function _ZN7rocprim17ROCPRIM_400000_NS6detail17trampoline_kernelINS0_14default_configENS1_25partition_config_selectorILNS1_17partition_subalgoE5ElNS0_10empty_typeEbEEZZNS1_14partition_implILS5_5ELb0ES3_mN6hipcub16HIPCUB_304000_NS21CountingInputIteratorIllEEPS6_NSA_22TransformInputIteratorIbN2at6native12_GLOBAL__N_19NonZeroOpIhEEPKhlEENS0_5tupleIJPlS6_EEENSN_IJSD_SD_EEES6_PiJS6_EEE10hipError_tPvRmT3_T4_T5_T6_T7_T9_mT8_P12ihipStream_tbDpT10_ENKUlT_T0_E_clISt17integral_constantIbLb0EES1A_IbLb1EEEEDaS16_S17_EUlS16_E_NS1_11comp_targetILNS1_3genE9ELNS1_11target_archE1100ELNS1_3gpuE3ELNS1_3repE0EEENS1_30default_config_static_selectorELNS0_4arch9wavefront6targetE0EEEvT1_
	.p2align	8
	.type	_ZN7rocprim17ROCPRIM_400000_NS6detail17trampoline_kernelINS0_14default_configENS1_25partition_config_selectorILNS1_17partition_subalgoE5ElNS0_10empty_typeEbEEZZNS1_14partition_implILS5_5ELb0ES3_mN6hipcub16HIPCUB_304000_NS21CountingInputIteratorIllEEPS6_NSA_22TransformInputIteratorIbN2at6native12_GLOBAL__N_19NonZeroOpIhEEPKhlEENS0_5tupleIJPlS6_EEENSN_IJSD_SD_EEES6_PiJS6_EEE10hipError_tPvRmT3_T4_T5_T6_T7_T9_mT8_P12ihipStream_tbDpT10_ENKUlT_T0_E_clISt17integral_constantIbLb0EES1A_IbLb1EEEEDaS16_S17_EUlS16_E_NS1_11comp_targetILNS1_3genE9ELNS1_11target_archE1100ELNS1_3gpuE3ELNS1_3repE0EEENS1_30default_config_static_selectorELNS0_4arch9wavefront6targetE0EEEvT1_,@function
_ZN7rocprim17ROCPRIM_400000_NS6detail17trampoline_kernelINS0_14default_configENS1_25partition_config_selectorILNS1_17partition_subalgoE5ElNS0_10empty_typeEbEEZZNS1_14partition_implILS5_5ELb0ES3_mN6hipcub16HIPCUB_304000_NS21CountingInputIteratorIllEEPS6_NSA_22TransformInputIteratorIbN2at6native12_GLOBAL__N_19NonZeroOpIhEEPKhlEENS0_5tupleIJPlS6_EEENSN_IJSD_SD_EEES6_PiJS6_EEE10hipError_tPvRmT3_T4_T5_T6_T7_T9_mT8_P12ihipStream_tbDpT10_ENKUlT_T0_E_clISt17integral_constantIbLb0EES1A_IbLb1EEEEDaS16_S17_EUlS16_E_NS1_11comp_targetILNS1_3genE9ELNS1_11target_archE1100ELNS1_3gpuE3ELNS1_3repE0EEENS1_30default_config_static_selectorELNS0_4arch9wavefront6targetE0EEEvT1_: ; @_ZN7rocprim17ROCPRIM_400000_NS6detail17trampoline_kernelINS0_14default_configENS1_25partition_config_selectorILNS1_17partition_subalgoE5ElNS0_10empty_typeEbEEZZNS1_14partition_implILS5_5ELb0ES3_mN6hipcub16HIPCUB_304000_NS21CountingInputIteratorIllEEPS6_NSA_22TransformInputIteratorIbN2at6native12_GLOBAL__N_19NonZeroOpIhEEPKhlEENS0_5tupleIJPlS6_EEENSN_IJSD_SD_EEES6_PiJS6_EEE10hipError_tPvRmT3_T4_T5_T6_T7_T9_mT8_P12ihipStream_tbDpT10_ENKUlT_T0_E_clISt17integral_constantIbLb0EES1A_IbLb1EEEEDaS16_S17_EUlS16_E_NS1_11comp_targetILNS1_3genE9ELNS1_11target_archE1100ELNS1_3gpuE3ELNS1_3repE0EEENS1_30default_config_static_selectorELNS0_4arch9wavefront6targetE0EEEvT1_
; %bb.0:
	.section	.rodata,"a",@progbits
	.p2align	6, 0x0
	.amdhsa_kernel _ZN7rocprim17ROCPRIM_400000_NS6detail17trampoline_kernelINS0_14default_configENS1_25partition_config_selectorILNS1_17partition_subalgoE5ElNS0_10empty_typeEbEEZZNS1_14partition_implILS5_5ELb0ES3_mN6hipcub16HIPCUB_304000_NS21CountingInputIteratorIllEEPS6_NSA_22TransformInputIteratorIbN2at6native12_GLOBAL__N_19NonZeroOpIhEEPKhlEENS0_5tupleIJPlS6_EEENSN_IJSD_SD_EEES6_PiJS6_EEE10hipError_tPvRmT3_T4_T5_T6_T7_T9_mT8_P12ihipStream_tbDpT10_ENKUlT_T0_E_clISt17integral_constantIbLb0EES1A_IbLb1EEEEDaS16_S17_EUlS16_E_NS1_11comp_targetILNS1_3genE9ELNS1_11target_archE1100ELNS1_3gpuE3ELNS1_3repE0EEENS1_30default_config_static_selectorELNS0_4arch9wavefront6targetE0EEEvT1_
		.amdhsa_group_segment_fixed_size 0
		.amdhsa_private_segment_fixed_size 0
		.amdhsa_kernarg_size 136
		.amdhsa_user_sgpr_count 2
		.amdhsa_user_sgpr_dispatch_ptr 0
		.amdhsa_user_sgpr_queue_ptr 0
		.amdhsa_user_sgpr_kernarg_segment_ptr 1
		.amdhsa_user_sgpr_dispatch_id 0
		.amdhsa_user_sgpr_private_segment_size 0
		.amdhsa_wavefront_size32 1
		.amdhsa_uses_dynamic_stack 0
		.amdhsa_enable_private_segment 0
		.amdhsa_system_sgpr_workgroup_id_x 1
		.amdhsa_system_sgpr_workgroup_id_y 0
		.amdhsa_system_sgpr_workgroup_id_z 0
		.amdhsa_system_sgpr_workgroup_info 0
		.amdhsa_system_vgpr_workitem_id 0
		.amdhsa_next_free_vgpr 1
		.amdhsa_next_free_sgpr 1
		.amdhsa_reserve_vcc 0
		.amdhsa_float_round_mode_32 0
		.amdhsa_float_round_mode_16_64 0
		.amdhsa_float_denorm_mode_32 3
		.amdhsa_float_denorm_mode_16_64 3
		.amdhsa_fp16_overflow 0
		.amdhsa_workgroup_processor_mode 1
		.amdhsa_memory_ordered 1
		.amdhsa_forward_progress 1
		.amdhsa_inst_pref_size 0
		.amdhsa_round_robin_scheduling 0
		.amdhsa_exception_fp_ieee_invalid_op 0
		.amdhsa_exception_fp_denorm_src 0
		.amdhsa_exception_fp_ieee_div_zero 0
		.amdhsa_exception_fp_ieee_overflow 0
		.amdhsa_exception_fp_ieee_underflow 0
		.amdhsa_exception_fp_ieee_inexact 0
		.amdhsa_exception_int_div_zero 0
	.end_amdhsa_kernel
	.section	.text._ZN7rocprim17ROCPRIM_400000_NS6detail17trampoline_kernelINS0_14default_configENS1_25partition_config_selectorILNS1_17partition_subalgoE5ElNS0_10empty_typeEbEEZZNS1_14partition_implILS5_5ELb0ES3_mN6hipcub16HIPCUB_304000_NS21CountingInputIteratorIllEEPS6_NSA_22TransformInputIteratorIbN2at6native12_GLOBAL__N_19NonZeroOpIhEEPKhlEENS0_5tupleIJPlS6_EEENSN_IJSD_SD_EEES6_PiJS6_EEE10hipError_tPvRmT3_T4_T5_T6_T7_T9_mT8_P12ihipStream_tbDpT10_ENKUlT_T0_E_clISt17integral_constantIbLb0EES1A_IbLb1EEEEDaS16_S17_EUlS16_E_NS1_11comp_targetILNS1_3genE9ELNS1_11target_archE1100ELNS1_3gpuE3ELNS1_3repE0EEENS1_30default_config_static_selectorELNS0_4arch9wavefront6targetE0EEEvT1_,"axG",@progbits,_ZN7rocprim17ROCPRIM_400000_NS6detail17trampoline_kernelINS0_14default_configENS1_25partition_config_selectorILNS1_17partition_subalgoE5ElNS0_10empty_typeEbEEZZNS1_14partition_implILS5_5ELb0ES3_mN6hipcub16HIPCUB_304000_NS21CountingInputIteratorIllEEPS6_NSA_22TransformInputIteratorIbN2at6native12_GLOBAL__N_19NonZeroOpIhEEPKhlEENS0_5tupleIJPlS6_EEENSN_IJSD_SD_EEES6_PiJS6_EEE10hipError_tPvRmT3_T4_T5_T6_T7_T9_mT8_P12ihipStream_tbDpT10_ENKUlT_T0_E_clISt17integral_constantIbLb0EES1A_IbLb1EEEEDaS16_S17_EUlS16_E_NS1_11comp_targetILNS1_3genE9ELNS1_11target_archE1100ELNS1_3gpuE3ELNS1_3repE0EEENS1_30default_config_static_selectorELNS0_4arch9wavefront6targetE0EEEvT1_,comdat
.Lfunc_end79:
	.size	_ZN7rocprim17ROCPRIM_400000_NS6detail17trampoline_kernelINS0_14default_configENS1_25partition_config_selectorILNS1_17partition_subalgoE5ElNS0_10empty_typeEbEEZZNS1_14partition_implILS5_5ELb0ES3_mN6hipcub16HIPCUB_304000_NS21CountingInputIteratorIllEEPS6_NSA_22TransformInputIteratorIbN2at6native12_GLOBAL__N_19NonZeroOpIhEEPKhlEENS0_5tupleIJPlS6_EEENSN_IJSD_SD_EEES6_PiJS6_EEE10hipError_tPvRmT3_T4_T5_T6_T7_T9_mT8_P12ihipStream_tbDpT10_ENKUlT_T0_E_clISt17integral_constantIbLb0EES1A_IbLb1EEEEDaS16_S17_EUlS16_E_NS1_11comp_targetILNS1_3genE9ELNS1_11target_archE1100ELNS1_3gpuE3ELNS1_3repE0EEENS1_30default_config_static_selectorELNS0_4arch9wavefront6targetE0EEEvT1_, .Lfunc_end79-_ZN7rocprim17ROCPRIM_400000_NS6detail17trampoline_kernelINS0_14default_configENS1_25partition_config_selectorILNS1_17partition_subalgoE5ElNS0_10empty_typeEbEEZZNS1_14partition_implILS5_5ELb0ES3_mN6hipcub16HIPCUB_304000_NS21CountingInputIteratorIllEEPS6_NSA_22TransformInputIteratorIbN2at6native12_GLOBAL__N_19NonZeroOpIhEEPKhlEENS0_5tupleIJPlS6_EEENSN_IJSD_SD_EEES6_PiJS6_EEE10hipError_tPvRmT3_T4_T5_T6_T7_T9_mT8_P12ihipStream_tbDpT10_ENKUlT_T0_E_clISt17integral_constantIbLb0EES1A_IbLb1EEEEDaS16_S17_EUlS16_E_NS1_11comp_targetILNS1_3genE9ELNS1_11target_archE1100ELNS1_3gpuE3ELNS1_3repE0EEENS1_30default_config_static_selectorELNS0_4arch9wavefront6targetE0EEEvT1_
                                        ; -- End function
	.set _ZN7rocprim17ROCPRIM_400000_NS6detail17trampoline_kernelINS0_14default_configENS1_25partition_config_selectorILNS1_17partition_subalgoE5ElNS0_10empty_typeEbEEZZNS1_14partition_implILS5_5ELb0ES3_mN6hipcub16HIPCUB_304000_NS21CountingInputIteratorIllEEPS6_NSA_22TransformInputIteratorIbN2at6native12_GLOBAL__N_19NonZeroOpIhEEPKhlEENS0_5tupleIJPlS6_EEENSN_IJSD_SD_EEES6_PiJS6_EEE10hipError_tPvRmT3_T4_T5_T6_T7_T9_mT8_P12ihipStream_tbDpT10_ENKUlT_T0_E_clISt17integral_constantIbLb0EES1A_IbLb1EEEEDaS16_S17_EUlS16_E_NS1_11comp_targetILNS1_3genE9ELNS1_11target_archE1100ELNS1_3gpuE3ELNS1_3repE0EEENS1_30default_config_static_selectorELNS0_4arch9wavefront6targetE0EEEvT1_.num_vgpr, 0
	.set _ZN7rocprim17ROCPRIM_400000_NS6detail17trampoline_kernelINS0_14default_configENS1_25partition_config_selectorILNS1_17partition_subalgoE5ElNS0_10empty_typeEbEEZZNS1_14partition_implILS5_5ELb0ES3_mN6hipcub16HIPCUB_304000_NS21CountingInputIteratorIllEEPS6_NSA_22TransformInputIteratorIbN2at6native12_GLOBAL__N_19NonZeroOpIhEEPKhlEENS0_5tupleIJPlS6_EEENSN_IJSD_SD_EEES6_PiJS6_EEE10hipError_tPvRmT3_T4_T5_T6_T7_T9_mT8_P12ihipStream_tbDpT10_ENKUlT_T0_E_clISt17integral_constantIbLb0EES1A_IbLb1EEEEDaS16_S17_EUlS16_E_NS1_11comp_targetILNS1_3genE9ELNS1_11target_archE1100ELNS1_3gpuE3ELNS1_3repE0EEENS1_30default_config_static_selectorELNS0_4arch9wavefront6targetE0EEEvT1_.num_agpr, 0
	.set _ZN7rocprim17ROCPRIM_400000_NS6detail17trampoline_kernelINS0_14default_configENS1_25partition_config_selectorILNS1_17partition_subalgoE5ElNS0_10empty_typeEbEEZZNS1_14partition_implILS5_5ELb0ES3_mN6hipcub16HIPCUB_304000_NS21CountingInputIteratorIllEEPS6_NSA_22TransformInputIteratorIbN2at6native12_GLOBAL__N_19NonZeroOpIhEEPKhlEENS0_5tupleIJPlS6_EEENSN_IJSD_SD_EEES6_PiJS6_EEE10hipError_tPvRmT3_T4_T5_T6_T7_T9_mT8_P12ihipStream_tbDpT10_ENKUlT_T0_E_clISt17integral_constantIbLb0EES1A_IbLb1EEEEDaS16_S17_EUlS16_E_NS1_11comp_targetILNS1_3genE9ELNS1_11target_archE1100ELNS1_3gpuE3ELNS1_3repE0EEENS1_30default_config_static_selectorELNS0_4arch9wavefront6targetE0EEEvT1_.numbered_sgpr, 0
	.set _ZN7rocprim17ROCPRIM_400000_NS6detail17trampoline_kernelINS0_14default_configENS1_25partition_config_selectorILNS1_17partition_subalgoE5ElNS0_10empty_typeEbEEZZNS1_14partition_implILS5_5ELb0ES3_mN6hipcub16HIPCUB_304000_NS21CountingInputIteratorIllEEPS6_NSA_22TransformInputIteratorIbN2at6native12_GLOBAL__N_19NonZeroOpIhEEPKhlEENS0_5tupleIJPlS6_EEENSN_IJSD_SD_EEES6_PiJS6_EEE10hipError_tPvRmT3_T4_T5_T6_T7_T9_mT8_P12ihipStream_tbDpT10_ENKUlT_T0_E_clISt17integral_constantIbLb0EES1A_IbLb1EEEEDaS16_S17_EUlS16_E_NS1_11comp_targetILNS1_3genE9ELNS1_11target_archE1100ELNS1_3gpuE3ELNS1_3repE0EEENS1_30default_config_static_selectorELNS0_4arch9wavefront6targetE0EEEvT1_.num_named_barrier, 0
	.set _ZN7rocprim17ROCPRIM_400000_NS6detail17trampoline_kernelINS0_14default_configENS1_25partition_config_selectorILNS1_17partition_subalgoE5ElNS0_10empty_typeEbEEZZNS1_14partition_implILS5_5ELb0ES3_mN6hipcub16HIPCUB_304000_NS21CountingInputIteratorIllEEPS6_NSA_22TransformInputIteratorIbN2at6native12_GLOBAL__N_19NonZeroOpIhEEPKhlEENS0_5tupleIJPlS6_EEENSN_IJSD_SD_EEES6_PiJS6_EEE10hipError_tPvRmT3_T4_T5_T6_T7_T9_mT8_P12ihipStream_tbDpT10_ENKUlT_T0_E_clISt17integral_constantIbLb0EES1A_IbLb1EEEEDaS16_S17_EUlS16_E_NS1_11comp_targetILNS1_3genE9ELNS1_11target_archE1100ELNS1_3gpuE3ELNS1_3repE0EEENS1_30default_config_static_selectorELNS0_4arch9wavefront6targetE0EEEvT1_.private_seg_size, 0
	.set _ZN7rocprim17ROCPRIM_400000_NS6detail17trampoline_kernelINS0_14default_configENS1_25partition_config_selectorILNS1_17partition_subalgoE5ElNS0_10empty_typeEbEEZZNS1_14partition_implILS5_5ELb0ES3_mN6hipcub16HIPCUB_304000_NS21CountingInputIteratorIllEEPS6_NSA_22TransformInputIteratorIbN2at6native12_GLOBAL__N_19NonZeroOpIhEEPKhlEENS0_5tupleIJPlS6_EEENSN_IJSD_SD_EEES6_PiJS6_EEE10hipError_tPvRmT3_T4_T5_T6_T7_T9_mT8_P12ihipStream_tbDpT10_ENKUlT_T0_E_clISt17integral_constantIbLb0EES1A_IbLb1EEEEDaS16_S17_EUlS16_E_NS1_11comp_targetILNS1_3genE9ELNS1_11target_archE1100ELNS1_3gpuE3ELNS1_3repE0EEENS1_30default_config_static_selectorELNS0_4arch9wavefront6targetE0EEEvT1_.uses_vcc, 0
	.set _ZN7rocprim17ROCPRIM_400000_NS6detail17trampoline_kernelINS0_14default_configENS1_25partition_config_selectorILNS1_17partition_subalgoE5ElNS0_10empty_typeEbEEZZNS1_14partition_implILS5_5ELb0ES3_mN6hipcub16HIPCUB_304000_NS21CountingInputIteratorIllEEPS6_NSA_22TransformInputIteratorIbN2at6native12_GLOBAL__N_19NonZeroOpIhEEPKhlEENS0_5tupleIJPlS6_EEENSN_IJSD_SD_EEES6_PiJS6_EEE10hipError_tPvRmT3_T4_T5_T6_T7_T9_mT8_P12ihipStream_tbDpT10_ENKUlT_T0_E_clISt17integral_constantIbLb0EES1A_IbLb1EEEEDaS16_S17_EUlS16_E_NS1_11comp_targetILNS1_3genE9ELNS1_11target_archE1100ELNS1_3gpuE3ELNS1_3repE0EEENS1_30default_config_static_selectorELNS0_4arch9wavefront6targetE0EEEvT1_.uses_flat_scratch, 0
	.set _ZN7rocprim17ROCPRIM_400000_NS6detail17trampoline_kernelINS0_14default_configENS1_25partition_config_selectorILNS1_17partition_subalgoE5ElNS0_10empty_typeEbEEZZNS1_14partition_implILS5_5ELb0ES3_mN6hipcub16HIPCUB_304000_NS21CountingInputIteratorIllEEPS6_NSA_22TransformInputIteratorIbN2at6native12_GLOBAL__N_19NonZeroOpIhEEPKhlEENS0_5tupleIJPlS6_EEENSN_IJSD_SD_EEES6_PiJS6_EEE10hipError_tPvRmT3_T4_T5_T6_T7_T9_mT8_P12ihipStream_tbDpT10_ENKUlT_T0_E_clISt17integral_constantIbLb0EES1A_IbLb1EEEEDaS16_S17_EUlS16_E_NS1_11comp_targetILNS1_3genE9ELNS1_11target_archE1100ELNS1_3gpuE3ELNS1_3repE0EEENS1_30default_config_static_selectorELNS0_4arch9wavefront6targetE0EEEvT1_.has_dyn_sized_stack, 0
	.set _ZN7rocprim17ROCPRIM_400000_NS6detail17trampoline_kernelINS0_14default_configENS1_25partition_config_selectorILNS1_17partition_subalgoE5ElNS0_10empty_typeEbEEZZNS1_14partition_implILS5_5ELb0ES3_mN6hipcub16HIPCUB_304000_NS21CountingInputIteratorIllEEPS6_NSA_22TransformInputIteratorIbN2at6native12_GLOBAL__N_19NonZeroOpIhEEPKhlEENS0_5tupleIJPlS6_EEENSN_IJSD_SD_EEES6_PiJS6_EEE10hipError_tPvRmT3_T4_T5_T6_T7_T9_mT8_P12ihipStream_tbDpT10_ENKUlT_T0_E_clISt17integral_constantIbLb0EES1A_IbLb1EEEEDaS16_S17_EUlS16_E_NS1_11comp_targetILNS1_3genE9ELNS1_11target_archE1100ELNS1_3gpuE3ELNS1_3repE0EEENS1_30default_config_static_selectorELNS0_4arch9wavefront6targetE0EEEvT1_.has_recursion, 0
	.set _ZN7rocprim17ROCPRIM_400000_NS6detail17trampoline_kernelINS0_14default_configENS1_25partition_config_selectorILNS1_17partition_subalgoE5ElNS0_10empty_typeEbEEZZNS1_14partition_implILS5_5ELb0ES3_mN6hipcub16HIPCUB_304000_NS21CountingInputIteratorIllEEPS6_NSA_22TransformInputIteratorIbN2at6native12_GLOBAL__N_19NonZeroOpIhEEPKhlEENS0_5tupleIJPlS6_EEENSN_IJSD_SD_EEES6_PiJS6_EEE10hipError_tPvRmT3_T4_T5_T6_T7_T9_mT8_P12ihipStream_tbDpT10_ENKUlT_T0_E_clISt17integral_constantIbLb0EES1A_IbLb1EEEEDaS16_S17_EUlS16_E_NS1_11comp_targetILNS1_3genE9ELNS1_11target_archE1100ELNS1_3gpuE3ELNS1_3repE0EEENS1_30default_config_static_selectorELNS0_4arch9wavefront6targetE0EEEvT1_.has_indirect_call, 0
	.section	.AMDGPU.csdata,"",@progbits
; Kernel info:
; codeLenInByte = 0
; TotalNumSgprs: 0
; NumVgprs: 0
; ScratchSize: 0
; MemoryBound: 0
; FloatMode: 240
; IeeeMode: 1
; LDSByteSize: 0 bytes/workgroup (compile time only)
; SGPRBlocks: 0
; VGPRBlocks: 0
; NumSGPRsForWavesPerEU: 1
; NumVGPRsForWavesPerEU: 1
; Occupancy: 16
; WaveLimiterHint : 0
; COMPUTE_PGM_RSRC2:SCRATCH_EN: 0
; COMPUTE_PGM_RSRC2:USER_SGPR: 2
; COMPUTE_PGM_RSRC2:TRAP_HANDLER: 0
; COMPUTE_PGM_RSRC2:TGID_X_EN: 1
; COMPUTE_PGM_RSRC2:TGID_Y_EN: 0
; COMPUTE_PGM_RSRC2:TGID_Z_EN: 0
; COMPUTE_PGM_RSRC2:TIDIG_COMP_CNT: 0
	.section	.text._ZN7rocprim17ROCPRIM_400000_NS6detail17trampoline_kernelINS0_14default_configENS1_25partition_config_selectorILNS1_17partition_subalgoE5ElNS0_10empty_typeEbEEZZNS1_14partition_implILS5_5ELb0ES3_mN6hipcub16HIPCUB_304000_NS21CountingInputIteratorIllEEPS6_NSA_22TransformInputIteratorIbN2at6native12_GLOBAL__N_19NonZeroOpIhEEPKhlEENS0_5tupleIJPlS6_EEENSN_IJSD_SD_EEES6_PiJS6_EEE10hipError_tPvRmT3_T4_T5_T6_T7_T9_mT8_P12ihipStream_tbDpT10_ENKUlT_T0_E_clISt17integral_constantIbLb0EES1A_IbLb1EEEEDaS16_S17_EUlS16_E_NS1_11comp_targetILNS1_3genE8ELNS1_11target_archE1030ELNS1_3gpuE2ELNS1_3repE0EEENS1_30default_config_static_selectorELNS0_4arch9wavefront6targetE0EEEvT1_,"axG",@progbits,_ZN7rocprim17ROCPRIM_400000_NS6detail17trampoline_kernelINS0_14default_configENS1_25partition_config_selectorILNS1_17partition_subalgoE5ElNS0_10empty_typeEbEEZZNS1_14partition_implILS5_5ELb0ES3_mN6hipcub16HIPCUB_304000_NS21CountingInputIteratorIllEEPS6_NSA_22TransformInputIteratorIbN2at6native12_GLOBAL__N_19NonZeroOpIhEEPKhlEENS0_5tupleIJPlS6_EEENSN_IJSD_SD_EEES6_PiJS6_EEE10hipError_tPvRmT3_T4_T5_T6_T7_T9_mT8_P12ihipStream_tbDpT10_ENKUlT_T0_E_clISt17integral_constantIbLb0EES1A_IbLb1EEEEDaS16_S17_EUlS16_E_NS1_11comp_targetILNS1_3genE8ELNS1_11target_archE1030ELNS1_3gpuE2ELNS1_3repE0EEENS1_30default_config_static_selectorELNS0_4arch9wavefront6targetE0EEEvT1_,comdat
	.globl	_ZN7rocprim17ROCPRIM_400000_NS6detail17trampoline_kernelINS0_14default_configENS1_25partition_config_selectorILNS1_17partition_subalgoE5ElNS0_10empty_typeEbEEZZNS1_14partition_implILS5_5ELb0ES3_mN6hipcub16HIPCUB_304000_NS21CountingInputIteratorIllEEPS6_NSA_22TransformInputIteratorIbN2at6native12_GLOBAL__N_19NonZeroOpIhEEPKhlEENS0_5tupleIJPlS6_EEENSN_IJSD_SD_EEES6_PiJS6_EEE10hipError_tPvRmT3_T4_T5_T6_T7_T9_mT8_P12ihipStream_tbDpT10_ENKUlT_T0_E_clISt17integral_constantIbLb0EES1A_IbLb1EEEEDaS16_S17_EUlS16_E_NS1_11comp_targetILNS1_3genE8ELNS1_11target_archE1030ELNS1_3gpuE2ELNS1_3repE0EEENS1_30default_config_static_selectorELNS0_4arch9wavefront6targetE0EEEvT1_ ; -- Begin function _ZN7rocprim17ROCPRIM_400000_NS6detail17trampoline_kernelINS0_14default_configENS1_25partition_config_selectorILNS1_17partition_subalgoE5ElNS0_10empty_typeEbEEZZNS1_14partition_implILS5_5ELb0ES3_mN6hipcub16HIPCUB_304000_NS21CountingInputIteratorIllEEPS6_NSA_22TransformInputIteratorIbN2at6native12_GLOBAL__N_19NonZeroOpIhEEPKhlEENS0_5tupleIJPlS6_EEENSN_IJSD_SD_EEES6_PiJS6_EEE10hipError_tPvRmT3_T4_T5_T6_T7_T9_mT8_P12ihipStream_tbDpT10_ENKUlT_T0_E_clISt17integral_constantIbLb0EES1A_IbLb1EEEEDaS16_S17_EUlS16_E_NS1_11comp_targetILNS1_3genE8ELNS1_11target_archE1030ELNS1_3gpuE2ELNS1_3repE0EEENS1_30default_config_static_selectorELNS0_4arch9wavefront6targetE0EEEvT1_
	.p2align	8
	.type	_ZN7rocprim17ROCPRIM_400000_NS6detail17trampoline_kernelINS0_14default_configENS1_25partition_config_selectorILNS1_17partition_subalgoE5ElNS0_10empty_typeEbEEZZNS1_14partition_implILS5_5ELb0ES3_mN6hipcub16HIPCUB_304000_NS21CountingInputIteratorIllEEPS6_NSA_22TransformInputIteratorIbN2at6native12_GLOBAL__N_19NonZeroOpIhEEPKhlEENS0_5tupleIJPlS6_EEENSN_IJSD_SD_EEES6_PiJS6_EEE10hipError_tPvRmT3_T4_T5_T6_T7_T9_mT8_P12ihipStream_tbDpT10_ENKUlT_T0_E_clISt17integral_constantIbLb0EES1A_IbLb1EEEEDaS16_S17_EUlS16_E_NS1_11comp_targetILNS1_3genE8ELNS1_11target_archE1030ELNS1_3gpuE2ELNS1_3repE0EEENS1_30default_config_static_selectorELNS0_4arch9wavefront6targetE0EEEvT1_,@function
_ZN7rocprim17ROCPRIM_400000_NS6detail17trampoline_kernelINS0_14default_configENS1_25partition_config_selectorILNS1_17partition_subalgoE5ElNS0_10empty_typeEbEEZZNS1_14partition_implILS5_5ELb0ES3_mN6hipcub16HIPCUB_304000_NS21CountingInputIteratorIllEEPS6_NSA_22TransformInputIteratorIbN2at6native12_GLOBAL__N_19NonZeroOpIhEEPKhlEENS0_5tupleIJPlS6_EEENSN_IJSD_SD_EEES6_PiJS6_EEE10hipError_tPvRmT3_T4_T5_T6_T7_T9_mT8_P12ihipStream_tbDpT10_ENKUlT_T0_E_clISt17integral_constantIbLb0EES1A_IbLb1EEEEDaS16_S17_EUlS16_E_NS1_11comp_targetILNS1_3genE8ELNS1_11target_archE1030ELNS1_3gpuE2ELNS1_3repE0EEENS1_30default_config_static_selectorELNS0_4arch9wavefront6targetE0EEEvT1_: ; @_ZN7rocprim17ROCPRIM_400000_NS6detail17trampoline_kernelINS0_14default_configENS1_25partition_config_selectorILNS1_17partition_subalgoE5ElNS0_10empty_typeEbEEZZNS1_14partition_implILS5_5ELb0ES3_mN6hipcub16HIPCUB_304000_NS21CountingInputIteratorIllEEPS6_NSA_22TransformInputIteratorIbN2at6native12_GLOBAL__N_19NonZeroOpIhEEPKhlEENS0_5tupleIJPlS6_EEENSN_IJSD_SD_EEES6_PiJS6_EEE10hipError_tPvRmT3_T4_T5_T6_T7_T9_mT8_P12ihipStream_tbDpT10_ENKUlT_T0_E_clISt17integral_constantIbLb0EES1A_IbLb1EEEEDaS16_S17_EUlS16_E_NS1_11comp_targetILNS1_3genE8ELNS1_11target_archE1030ELNS1_3gpuE2ELNS1_3repE0EEENS1_30default_config_static_selectorELNS0_4arch9wavefront6targetE0EEEvT1_
; %bb.0:
	.section	.rodata,"a",@progbits
	.p2align	6, 0x0
	.amdhsa_kernel _ZN7rocprim17ROCPRIM_400000_NS6detail17trampoline_kernelINS0_14default_configENS1_25partition_config_selectorILNS1_17partition_subalgoE5ElNS0_10empty_typeEbEEZZNS1_14partition_implILS5_5ELb0ES3_mN6hipcub16HIPCUB_304000_NS21CountingInputIteratorIllEEPS6_NSA_22TransformInputIteratorIbN2at6native12_GLOBAL__N_19NonZeroOpIhEEPKhlEENS0_5tupleIJPlS6_EEENSN_IJSD_SD_EEES6_PiJS6_EEE10hipError_tPvRmT3_T4_T5_T6_T7_T9_mT8_P12ihipStream_tbDpT10_ENKUlT_T0_E_clISt17integral_constantIbLb0EES1A_IbLb1EEEEDaS16_S17_EUlS16_E_NS1_11comp_targetILNS1_3genE8ELNS1_11target_archE1030ELNS1_3gpuE2ELNS1_3repE0EEENS1_30default_config_static_selectorELNS0_4arch9wavefront6targetE0EEEvT1_
		.amdhsa_group_segment_fixed_size 0
		.amdhsa_private_segment_fixed_size 0
		.amdhsa_kernarg_size 136
		.amdhsa_user_sgpr_count 2
		.amdhsa_user_sgpr_dispatch_ptr 0
		.amdhsa_user_sgpr_queue_ptr 0
		.amdhsa_user_sgpr_kernarg_segment_ptr 1
		.amdhsa_user_sgpr_dispatch_id 0
		.amdhsa_user_sgpr_private_segment_size 0
		.amdhsa_wavefront_size32 1
		.amdhsa_uses_dynamic_stack 0
		.amdhsa_enable_private_segment 0
		.amdhsa_system_sgpr_workgroup_id_x 1
		.amdhsa_system_sgpr_workgroup_id_y 0
		.amdhsa_system_sgpr_workgroup_id_z 0
		.amdhsa_system_sgpr_workgroup_info 0
		.amdhsa_system_vgpr_workitem_id 0
		.amdhsa_next_free_vgpr 1
		.amdhsa_next_free_sgpr 1
		.amdhsa_reserve_vcc 0
		.amdhsa_float_round_mode_32 0
		.amdhsa_float_round_mode_16_64 0
		.amdhsa_float_denorm_mode_32 3
		.amdhsa_float_denorm_mode_16_64 3
		.amdhsa_fp16_overflow 0
		.amdhsa_workgroup_processor_mode 1
		.amdhsa_memory_ordered 1
		.amdhsa_forward_progress 1
		.amdhsa_inst_pref_size 0
		.amdhsa_round_robin_scheduling 0
		.amdhsa_exception_fp_ieee_invalid_op 0
		.amdhsa_exception_fp_denorm_src 0
		.amdhsa_exception_fp_ieee_div_zero 0
		.amdhsa_exception_fp_ieee_overflow 0
		.amdhsa_exception_fp_ieee_underflow 0
		.amdhsa_exception_fp_ieee_inexact 0
		.amdhsa_exception_int_div_zero 0
	.end_amdhsa_kernel
	.section	.text._ZN7rocprim17ROCPRIM_400000_NS6detail17trampoline_kernelINS0_14default_configENS1_25partition_config_selectorILNS1_17partition_subalgoE5ElNS0_10empty_typeEbEEZZNS1_14partition_implILS5_5ELb0ES3_mN6hipcub16HIPCUB_304000_NS21CountingInputIteratorIllEEPS6_NSA_22TransformInputIteratorIbN2at6native12_GLOBAL__N_19NonZeroOpIhEEPKhlEENS0_5tupleIJPlS6_EEENSN_IJSD_SD_EEES6_PiJS6_EEE10hipError_tPvRmT3_T4_T5_T6_T7_T9_mT8_P12ihipStream_tbDpT10_ENKUlT_T0_E_clISt17integral_constantIbLb0EES1A_IbLb1EEEEDaS16_S17_EUlS16_E_NS1_11comp_targetILNS1_3genE8ELNS1_11target_archE1030ELNS1_3gpuE2ELNS1_3repE0EEENS1_30default_config_static_selectorELNS0_4arch9wavefront6targetE0EEEvT1_,"axG",@progbits,_ZN7rocprim17ROCPRIM_400000_NS6detail17trampoline_kernelINS0_14default_configENS1_25partition_config_selectorILNS1_17partition_subalgoE5ElNS0_10empty_typeEbEEZZNS1_14partition_implILS5_5ELb0ES3_mN6hipcub16HIPCUB_304000_NS21CountingInputIteratorIllEEPS6_NSA_22TransformInputIteratorIbN2at6native12_GLOBAL__N_19NonZeroOpIhEEPKhlEENS0_5tupleIJPlS6_EEENSN_IJSD_SD_EEES6_PiJS6_EEE10hipError_tPvRmT3_T4_T5_T6_T7_T9_mT8_P12ihipStream_tbDpT10_ENKUlT_T0_E_clISt17integral_constantIbLb0EES1A_IbLb1EEEEDaS16_S17_EUlS16_E_NS1_11comp_targetILNS1_3genE8ELNS1_11target_archE1030ELNS1_3gpuE2ELNS1_3repE0EEENS1_30default_config_static_selectorELNS0_4arch9wavefront6targetE0EEEvT1_,comdat
.Lfunc_end80:
	.size	_ZN7rocprim17ROCPRIM_400000_NS6detail17trampoline_kernelINS0_14default_configENS1_25partition_config_selectorILNS1_17partition_subalgoE5ElNS0_10empty_typeEbEEZZNS1_14partition_implILS5_5ELb0ES3_mN6hipcub16HIPCUB_304000_NS21CountingInputIteratorIllEEPS6_NSA_22TransformInputIteratorIbN2at6native12_GLOBAL__N_19NonZeroOpIhEEPKhlEENS0_5tupleIJPlS6_EEENSN_IJSD_SD_EEES6_PiJS6_EEE10hipError_tPvRmT3_T4_T5_T6_T7_T9_mT8_P12ihipStream_tbDpT10_ENKUlT_T0_E_clISt17integral_constantIbLb0EES1A_IbLb1EEEEDaS16_S17_EUlS16_E_NS1_11comp_targetILNS1_3genE8ELNS1_11target_archE1030ELNS1_3gpuE2ELNS1_3repE0EEENS1_30default_config_static_selectorELNS0_4arch9wavefront6targetE0EEEvT1_, .Lfunc_end80-_ZN7rocprim17ROCPRIM_400000_NS6detail17trampoline_kernelINS0_14default_configENS1_25partition_config_selectorILNS1_17partition_subalgoE5ElNS0_10empty_typeEbEEZZNS1_14partition_implILS5_5ELb0ES3_mN6hipcub16HIPCUB_304000_NS21CountingInputIteratorIllEEPS6_NSA_22TransformInputIteratorIbN2at6native12_GLOBAL__N_19NonZeroOpIhEEPKhlEENS0_5tupleIJPlS6_EEENSN_IJSD_SD_EEES6_PiJS6_EEE10hipError_tPvRmT3_T4_T5_T6_T7_T9_mT8_P12ihipStream_tbDpT10_ENKUlT_T0_E_clISt17integral_constantIbLb0EES1A_IbLb1EEEEDaS16_S17_EUlS16_E_NS1_11comp_targetILNS1_3genE8ELNS1_11target_archE1030ELNS1_3gpuE2ELNS1_3repE0EEENS1_30default_config_static_selectorELNS0_4arch9wavefront6targetE0EEEvT1_
                                        ; -- End function
	.set _ZN7rocprim17ROCPRIM_400000_NS6detail17trampoline_kernelINS0_14default_configENS1_25partition_config_selectorILNS1_17partition_subalgoE5ElNS0_10empty_typeEbEEZZNS1_14partition_implILS5_5ELb0ES3_mN6hipcub16HIPCUB_304000_NS21CountingInputIteratorIllEEPS6_NSA_22TransformInputIteratorIbN2at6native12_GLOBAL__N_19NonZeroOpIhEEPKhlEENS0_5tupleIJPlS6_EEENSN_IJSD_SD_EEES6_PiJS6_EEE10hipError_tPvRmT3_T4_T5_T6_T7_T9_mT8_P12ihipStream_tbDpT10_ENKUlT_T0_E_clISt17integral_constantIbLb0EES1A_IbLb1EEEEDaS16_S17_EUlS16_E_NS1_11comp_targetILNS1_3genE8ELNS1_11target_archE1030ELNS1_3gpuE2ELNS1_3repE0EEENS1_30default_config_static_selectorELNS0_4arch9wavefront6targetE0EEEvT1_.num_vgpr, 0
	.set _ZN7rocprim17ROCPRIM_400000_NS6detail17trampoline_kernelINS0_14default_configENS1_25partition_config_selectorILNS1_17partition_subalgoE5ElNS0_10empty_typeEbEEZZNS1_14partition_implILS5_5ELb0ES3_mN6hipcub16HIPCUB_304000_NS21CountingInputIteratorIllEEPS6_NSA_22TransformInputIteratorIbN2at6native12_GLOBAL__N_19NonZeroOpIhEEPKhlEENS0_5tupleIJPlS6_EEENSN_IJSD_SD_EEES6_PiJS6_EEE10hipError_tPvRmT3_T4_T5_T6_T7_T9_mT8_P12ihipStream_tbDpT10_ENKUlT_T0_E_clISt17integral_constantIbLb0EES1A_IbLb1EEEEDaS16_S17_EUlS16_E_NS1_11comp_targetILNS1_3genE8ELNS1_11target_archE1030ELNS1_3gpuE2ELNS1_3repE0EEENS1_30default_config_static_selectorELNS0_4arch9wavefront6targetE0EEEvT1_.num_agpr, 0
	.set _ZN7rocprim17ROCPRIM_400000_NS6detail17trampoline_kernelINS0_14default_configENS1_25partition_config_selectorILNS1_17partition_subalgoE5ElNS0_10empty_typeEbEEZZNS1_14partition_implILS5_5ELb0ES3_mN6hipcub16HIPCUB_304000_NS21CountingInputIteratorIllEEPS6_NSA_22TransformInputIteratorIbN2at6native12_GLOBAL__N_19NonZeroOpIhEEPKhlEENS0_5tupleIJPlS6_EEENSN_IJSD_SD_EEES6_PiJS6_EEE10hipError_tPvRmT3_T4_T5_T6_T7_T9_mT8_P12ihipStream_tbDpT10_ENKUlT_T0_E_clISt17integral_constantIbLb0EES1A_IbLb1EEEEDaS16_S17_EUlS16_E_NS1_11comp_targetILNS1_3genE8ELNS1_11target_archE1030ELNS1_3gpuE2ELNS1_3repE0EEENS1_30default_config_static_selectorELNS0_4arch9wavefront6targetE0EEEvT1_.numbered_sgpr, 0
	.set _ZN7rocprim17ROCPRIM_400000_NS6detail17trampoline_kernelINS0_14default_configENS1_25partition_config_selectorILNS1_17partition_subalgoE5ElNS0_10empty_typeEbEEZZNS1_14partition_implILS5_5ELb0ES3_mN6hipcub16HIPCUB_304000_NS21CountingInputIteratorIllEEPS6_NSA_22TransformInputIteratorIbN2at6native12_GLOBAL__N_19NonZeroOpIhEEPKhlEENS0_5tupleIJPlS6_EEENSN_IJSD_SD_EEES6_PiJS6_EEE10hipError_tPvRmT3_T4_T5_T6_T7_T9_mT8_P12ihipStream_tbDpT10_ENKUlT_T0_E_clISt17integral_constantIbLb0EES1A_IbLb1EEEEDaS16_S17_EUlS16_E_NS1_11comp_targetILNS1_3genE8ELNS1_11target_archE1030ELNS1_3gpuE2ELNS1_3repE0EEENS1_30default_config_static_selectorELNS0_4arch9wavefront6targetE0EEEvT1_.num_named_barrier, 0
	.set _ZN7rocprim17ROCPRIM_400000_NS6detail17trampoline_kernelINS0_14default_configENS1_25partition_config_selectorILNS1_17partition_subalgoE5ElNS0_10empty_typeEbEEZZNS1_14partition_implILS5_5ELb0ES3_mN6hipcub16HIPCUB_304000_NS21CountingInputIteratorIllEEPS6_NSA_22TransformInputIteratorIbN2at6native12_GLOBAL__N_19NonZeroOpIhEEPKhlEENS0_5tupleIJPlS6_EEENSN_IJSD_SD_EEES6_PiJS6_EEE10hipError_tPvRmT3_T4_T5_T6_T7_T9_mT8_P12ihipStream_tbDpT10_ENKUlT_T0_E_clISt17integral_constantIbLb0EES1A_IbLb1EEEEDaS16_S17_EUlS16_E_NS1_11comp_targetILNS1_3genE8ELNS1_11target_archE1030ELNS1_3gpuE2ELNS1_3repE0EEENS1_30default_config_static_selectorELNS0_4arch9wavefront6targetE0EEEvT1_.private_seg_size, 0
	.set _ZN7rocprim17ROCPRIM_400000_NS6detail17trampoline_kernelINS0_14default_configENS1_25partition_config_selectorILNS1_17partition_subalgoE5ElNS0_10empty_typeEbEEZZNS1_14partition_implILS5_5ELb0ES3_mN6hipcub16HIPCUB_304000_NS21CountingInputIteratorIllEEPS6_NSA_22TransformInputIteratorIbN2at6native12_GLOBAL__N_19NonZeroOpIhEEPKhlEENS0_5tupleIJPlS6_EEENSN_IJSD_SD_EEES6_PiJS6_EEE10hipError_tPvRmT3_T4_T5_T6_T7_T9_mT8_P12ihipStream_tbDpT10_ENKUlT_T0_E_clISt17integral_constantIbLb0EES1A_IbLb1EEEEDaS16_S17_EUlS16_E_NS1_11comp_targetILNS1_3genE8ELNS1_11target_archE1030ELNS1_3gpuE2ELNS1_3repE0EEENS1_30default_config_static_selectorELNS0_4arch9wavefront6targetE0EEEvT1_.uses_vcc, 0
	.set _ZN7rocprim17ROCPRIM_400000_NS6detail17trampoline_kernelINS0_14default_configENS1_25partition_config_selectorILNS1_17partition_subalgoE5ElNS0_10empty_typeEbEEZZNS1_14partition_implILS5_5ELb0ES3_mN6hipcub16HIPCUB_304000_NS21CountingInputIteratorIllEEPS6_NSA_22TransformInputIteratorIbN2at6native12_GLOBAL__N_19NonZeroOpIhEEPKhlEENS0_5tupleIJPlS6_EEENSN_IJSD_SD_EEES6_PiJS6_EEE10hipError_tPvRmT3_T4_T5_T6_T7_T9_mT8_P12ihipStream_tbDpT10_ENKUlT_T0_E_clISt17integral_constantIbLb0EES1A_IbLb1EEEEDaS16_S17_EUlS16_E_NS1_11comp_targetILNS1_3genE8ELNS1_11target_archE1030ELNS1_3gpuE2ELNS1_3repE0EEENS1_30default_config_static_selectorELNS0_4arch9wavefront6targetE0EEEvT1_.uses_flat_scratch, 0
	.set _ZN7rocprim17ROCPRIM_400000_NS6detail17trampoline_kernelINS0_14default_configENS1_25partition_config_selectorILNS1_17partition_subalgoE5ElNS0_10empty_typeEbEEZZNS1_14partition_implILS5_5ELb0ES3_mN6hipcub16HIPCUB_304000_NS21CountingInputIteratorIllEEPS6_NSA_22TransformInputIteratorIbN2at6native12_GLOBAL__N_19NonZeroOpIhEEPKhlEENS0_5tupleIJPlS6_EEENSN_IJSD_SD_EEES6_PiJS6_EEE10hipError_tPvRmT3_T4_T5_T6_T7_T9_mT8_P12ihipStream_tbDpT10_ENKUlT_T0_E_clISt17integral_constantIbLb0EES1A_IbLb1EEEEDaS16_S17_EUlS16_E_NS1_11comp_targetILNS1_3genE8ELNS1_11target_archE1030ELNS1_3gpuE2ELNS1_3repE0EEENS1_30default_config_static_selectorELNS0_4arch9wavefront6targetE0EEEvT1_.has_dyn_sized_stack, 0
	.set _ZN7rocprim17ROCPRIM_400000_NS6detail17trampoline_kernelINS0_14default_configENS1_25partition_config_selectorILNS1_17partition_subalgoE5ElNS0_10empty_typeEbEEZZNS1_14partition_implILS5_5ELb0ES3_mN6hipcub16HIPCUB_304000_NS21CountingInputIteratorIllEEPS6_NSA_22TransformInputIteratorIbN2at6native12_GLOBAL__N_19NonZeroOpIhEEPKhlEENS0_5tupleIJPlS6_EEENSN_IJSD_SD_EEES6_PiJS6_EEE10hipError_tPvRmT3_T4_T5_T6_T7_T9_mT8_P12ihipStream_tbDpT10_ENKUlT_T0_E_clISt17integral_constantIbLb0EES1A_IbLb1EEEEDaS16_S17_EUlS16_E_NS1_11comp_targetILNS1_3genE8ELNS1_11target_archE1030ELNS1_3gpuE2ELNS1_3repE0EEENS1_30default_config_static_selectorELNS0_4arch9wavefront6targetE0EEEvT1_.has_recursion, 0
	.set _ZN7rocprim17ROCPRIM_400000_NS6detail17trampoline_kernelINS0_14default_configENS1_25partition_config_selectorILNS1_17partition_subalgoE5ElNS0_10empty_typeEbEEZZNS1_14partition_implILS5_5ELb0ES3_mN6hipcub16HIPCUB_304000_NS21CountingInputIteratorIllEEPS6_NSA_22TransformInputIteratorIbN2at6native12_GLOBAL__N_19NonZeroOpIhEEPKhlEENS0_5tupleIJPlS6_EEENSN_IJSD_SD_EEES6_PiJS6_EEE10hipError_tPvRmT3_T4_T5_T6_T7_T9_mT8_P12ihipStream_tbDpT10_ENKUlT_T0_E_clISt17integral_constantIbLb0EES1A_IbLb1EEEEDaS16_S17_EUlS16_E_NS1_11comp_targetILNS1_3genE8ELNS1_11target_archE1030ELNS1_3gpuE2ELNS1_3repE0EEENS1_30default_config_static_selectorELNS0_4arch9wavefront6targetE0EEEvT1_.has_indirect_call, 0
	.section	.AMDGPU.csdata,"",@progbits
; Kernel info:
; codeLenInByte = 0
; TotalNumSgprs: 0
; NumVgprs: 0
; ScratchSize: 0
; MemoryBound: 0
; FloatMode: 240
; IeeeMode: 1
; LDSByteSize: 0 bytes/workgroup (compile time only)
; SGPRBlocks: 0
; VGPRBlocks: 0
; NumSGPRsForWavesPerEU: 1
; NumVGPRsForWavesPerEU: 1
; Occupancy: 16
; WaveLimiterHint : 0
; COMPUTE_PGM_RSRC2:SCRATCH_EN: 0
; COMPUTE_PGM_RSRC2:USER_SGPR: 2
; COMPUTE_PGM_RSRC2:TRAP_HANDLER: 0
; COMPUTE_PGM_RSRC2:TGID_X_EN: 1
; COMPUTE_PGM_RSRC2:TGID_Y_EN: 0
; COMPUTE_PGM_RSRC2:TGID_Z_EN: 0
; COMPUTE_PGM_RSRC2:TIDIG_COMP_CNT: 0
	.section	.text._ZN2at6native12_GLOBAL__N_113write_indicesIlEEvPlNS1_10TensorDimsIT_EEiS5_S3_l,"axG",@progbits,_ZN2at6native12_GLOBAL__N_113write_indicesIlEEvPlNS1_10TensorDimsIT_EEiS5_S3_l,comdat
	.globl	_ZN2at6native12_GLOBAL__N_113write_indicesIlEEvPlNS1_10TensorDimsIT_EEiS5_S3_l ; -- Begin function _ZN2at6native12_GLOBAL__N_113write_indicesIlEEvPlNS1_10TensorDimsIT_EEiS5_S3_l
	.p2align	8
	.type	_ZN2at6native12_GLOBAL__N_113write_indicesIlEEvPlNS1_10TensorDimsIT_EEiS5_S3_l,@function
_ZN2at6native12_GLOBAL__N_113write_indicesIlEEvPlNS1_10TensorDimsIT_EEiS5_S3_l: ; @_ZN2at6native12_GLOBAL__N_113write_indicesIlEEvPlNS1_10TensorDimsIT_EEiS5_S3_l
; %bb.0:
	s_clause 0x2
	s_load_b32 s2, s[0:1], 0xb4
	s_load_b128 s[4:7], s[0:1], 0x90
	s_load_b64 s[8:9], s[0:1], 0xa0
	v_mov_b32_e32 v1, 0
	s_mov_b32 s10, -1
	s_wait_kmcnt 0x0
	s_and_b32 s2, s2, 0xffff
	s_cmp_eq_u64 s[6:7], 0
	v_mad_co_u64_u32 v[0:1], null, s2, ttmp9, v[0:1]
	s_cbranch_scc1 .LBB81_2
; %bb.1:
	s_load_b64 s[2:3], s[6:7], 0x0
	s_wait_kmcnt 0x0
	v_cmp_gt_i64_e32 vcc_lo, s[2:3], v[0:1]
	s_or_not1_b32 s10, vcc_lo, exec_lo
.LBB81_2:
	s_clause 0x1
	s_load_b64 s[2:3], s[0:1], 0x0
	s_load_b32 s14, s[0:1], 0x88
	v_cmp_gt_i64_e32 vcc_lo, s[4:5], v[0:1]
	s_and_b32 s6, vcc_lo, s10
	s_delay_alu instid0(SALU_CYCLE_1) | instskip(NEXT) | instid1(SALU_CYCLE_1)
	s_xor_b32 s6, s6, -1
	s_and_saveexec_b32 s7, s6
	s_delay_alu instid0(SALU_CYCLE_1)
	s_xor_b32 s10, exec_lo, s7
	s_cbranch_execz .LBB81_7
; %bb.3:
	s_wait_kmcnt 0x0
	s_cmp_gt_i32 s14, 1
	s_cselect_b32 s6, -1, 0
	s_delay_alu instid0(SALU_CYCLE_1) | instskip(NEXT) | instid1(SALU_CYCLE_1)
	s_and_b32 s6, vcc_lo, s6
	s_and_saveexec_b32 s11, s6
	s_cbranch_execz .LBB81_6
; %bb.4:
	s_add_co_i32 s6, s14, -1
	s_mov_b32 s7, 0
	v_lshlrev_b64_e32 v[0:1], 3, v[0:1]
	s_mul_u64 s[6:7], s[4:5], s[6:7]
	v_dual_mov_b32 v2, s8 :: v_dual_mov_b32 v3, s9
	s_lshl_b64 s[6:7], s[6:7], 3
	s_add_co_i32 s8, s14, 1
	s_add_nc_u64 s[6:7], s[2:3], s[6:7]
	s_delay_alu instid0(SALU_CYCLE_1) | instskip(NEXT) | instid1(VALU_DEP_1)
	v_add_co_u32 v0, vcc_lo, s6, v0
	v_add_co_ci_u32_e64 v1, null, s7, v1, vcc_lo
	s_lshl_b64 s[6:7], s[4:5], 3
	s_wait_alu 0xfffe
	s_sub_nc_u64 s[6:7], 0, s[6:7]
.LBB81_5:                               ; =>This Inner Loop Header: Depth=1
	global_store_b64 v[0:1], v[2:3], off
	s_wait_alu 0xfffe
	v_add_co_u32 v0, vcc_lo, v0, s6
	s_wait_alu 0xfffd
	v_add_co_ci_u32_e64 v1, null, s7, v1, vcc_lo
	s_add_co_i32 s8, s8, -1
	s_wait_alu 0xfffe
	s_cmp_gt_u32 s8, 2
	s_cbranch_scc1 .LBB81_5
.LBB81_6:
	s_or_b32 exec_lo, exec_lo, s11
                                        ; implicit-def: $vgpr0_vgpr1
.LBB81_7:
	s_and_not1_saveexec_b32 s6, s10
	s_cbranch_execz .LBB81_25
; %bb.8:
	v_lshlrev_b64_e32 v[0:1], 3, v[0:1]
	s_wait_kmcnt 0x0
	s_cmp_lt_i32 s14, 17
	s_mov_b64 s[6:7], 1
	s_delay_alu instid0(VALU_DEP_1)
	v_add_co_u32 v0, vcc_lo, s2, v0
	s_wait_alu 0xfffd
	v_add_co_ci_u32_e64 v1, null, s3, v1, vcc_lo
	global_load_b64 v[2:3], v[0:1], off
	s_cbranch_scc0 .LBB81_26
; %bb.9:
	s_cmp_lt_i32 s14, 16
	s_cbranch_scc0 .LBB81_31
.LBB81_10:
	s_cmp_lt_i32 s14, 15
	s_cbranch_scc0 .LBB81_40
.LBB81_11:
	s_cmp_lt_i32 s14, 14
	s_cbranch_scc0 .LBB81_49
.LBB81_12:
	s_cmp_lt_i32 s14, 13
	s_cbranch_scc0 .LBB81_58
.LBB81_13:
	s_cmp_lt_i32 s14, 12
	s_cbranch_scc0 .LBB81_67
.LBB81_14:
	s_cmp_lt_i32 s14, 11
	s_cbranch_scc0 .LBB81_76
.LBB81_15:
	s_cmp_lt_i32 s14, 10
	s_cbranch_scc0 .LBB81_85
.LBB81_16:
	s_cmp_lt_i32 s14, 9
	s_cbranch_scc0 .LBB81_94
.LBB81_17:
	s_cmp_lt_i32 s14, 8
	s_cbranch_scc0 .LBB81_103
.LBB81_18:
	s_cmp_lt_i32 s14, 7
	s_cbranch_scc0 .LBB81_112
.LBB81_19:
	s_cmp_lt_i32 s14, 6
	s_cbranch_scc0 .LBB81_121
.LBB81_20:
	s_cmp_lt_i32 s14, 5
	s_cbranch_scc0 .LBB81_130
.LBB81_21:
	s_cmp_lt_i32 s14, 4
	s_cbranch_scc0 .LBB81_139
.LBB81_22:
	s_cmp_lt_i32 s14, 3
	s_cbranch_scc0 .LBB81_148
.LBB81_23:
	s_cmp_lt_i32 s14, 2
	s_cbranch_scc0 .LBB81_157
.LBB81_24:
	s_cmp_lt_i32 s14, 1
	s_cbranch_scc0 .LBB81_166
.LBB81_25:
	s_endpgm
.LBB81_26:
	s_load_b64 s[6:7], s[0:1], 0x88
	v_mov_b32_e32 v4, 0
	s_wait_loadcnt 0x0
	s_wait_kmcnt 0x0
	v_or_b32_e32 v5, s7, v3
	s_delay_alu instid0(VALU_DEP_1)
	v_cmp_ne_u64_e32 vcc_lo, 0, v[4:5]
                                        ; implicit-def: $vgpr4_vgpr5
	s_and_saveexec_b32 s2, vcc_lo
	s_wait_alu 0xfffe
	s_xor_b32 s3, exec_lo, s2
	s_cbranch_execz .LBB81_28
; %bb.27:
	s_ashr_i32 s8, s7, 31
	s_mov_b32 s19, 0
	s_wait_alu 0xfffe
	s_mov_b32 s9, s8
	v_ashrrev_i32_e32 v10, 31, v3
	s_wait_alu 0xfffe
	s_add_nc_u64 s[10:11], s[6:7], s[8:9]
	s_delay_alu instid0(SALU_CYCLE_1) | instskip(NEXT) | instid1(VALU_DEP_1)
	s_xor_b64 s[8:9], s[10:11], s[8:9]
	v_add_co_u32 v4, vcc_lo, v2, v10
	s_wait_alu 0xfffe
	s_cvt_f32_u32 s2, s8
	s_cvt_f32_u32 s10, s9
	s_sub_nc_u64 s[12:13], 0, s[8:9]
	s_wait_alu 0xfffd
	v_add_co_ci_u32_e64 v5, null, v3, v10, vcc_lo
	s_wait_alu 0xfffe
	s_fmamk_f32 s2, s10, 0x4f800000, s2
	v_xor_b32_e32 v11, v4, v10
	s_delay_alu instid0(VALU_DEP_2) | instskip(SKIP_2) | instid1(TRANS32_DEP_1)
	v_xor_b32_e32 v12, v5, v10
	s_wait_alu 0xfffe
	v_s_rcp_f32 s2, s2
	s_mul_f32 s2, s2, 0x5f7ffffc
	s_wait_alu 0xfffe
	s_delay_alu instid0(SALU_CYCLE_2) | instskip(NEXT) | instid1(SALU_CYCLE_3)
	s_mul_f32 s10, s2, 0x2f800000
	s_trunc_f32 s10, s10
	s_delay_alu instid0(SALU_CYCLE_3) | instskip(SKIP_2) | instid1(SALU_CYCLE_1)
	s_fmamk_f32 s2, s10, 0xcf800000, s2
	s_cvt_u32_f32 s11, s10
	s_wait_alu 0xfffe
	s_cvt_u32_f32 s10, s2
	s_delay_alu instid0(SALU_CYCLE_3) | instskip(NEXT) | instid1(SALU_CYCLE_1)
	s_mul_u64 s[16:17], s[12:13], s[10:11]
	s_mul_hi_u32 s21, s10, s17
	s_mul_i32 s20, s10, s17
	s_mul_hi_u32 s18, s10, s16
	s_mul_i32 s15, s11, s16
	s_add_nc_u64 s[20:21], s[18:19], s[20:21]
	s_mul_hi_u32 s2, s11, s16
	s_mul_hi_u32 s22, s11, s17
	s_add_co_u32 s15, s20, s15
	s_wait_alu 0xfffe
	s_add_co_ci_u32 s18, s21, s2
	s_mul_i32 s16, s11, s17
	s_add_co_ci_u32 s17, s22, 0
	s_delay_alu instid0(SALU_CYCLE_1) | instskip(NEXT) | instid1(SALU_CYCLE_1)
	s_add_nc_u64 s[16:17], s[18:19], s[16:17]
	s_add_co_u32 s10, s10, s16
	s_cselect_b32 s2, -1, 0
	s_wait_alu 0xfffe
	s_cmp_lg_u32 s2, 0
	s_add_co_ci_u32 s11, s11, s17
	s_delay_alu instid0(SALU_CYCLE_1) | instskip(NEXT) | instid1(SALU_CYCLE_1)
	s_mul_u64 s[12:13], s[12:13], s[10:11]
	s_mul_hi_u32 s17, s10, s13
	s_mul_i32 s16, s10, s13
	s_mul_hi_u32 s18, s10, s12
	s_mul_i32 s15, s11, s12
	s_add_nc_u64 s[16:17], s[18:19], s[16:17]
	s_mul_hi_u32 s2, s11, s12
	s_mul_hi_u32 s20, s11, s13
	s_mul_i32 s12, s11, s13
	s_add_co_u32 s13, s16, s15
	s_wait_alu 0xfffe
	s_add_co_ci_u32 s18, s17, s2
	s_add_co_ci_u32 s13, s20, 0
	s_delay_alu instid0(SALU_CYCLE_1) | instskip(NEXT) | instid1(SALU_CYCLE_1)
	s_add_nc_u64 s[12:13], s[18:19], s[12:13]
	s_add_co_u32 s2, s10, s12
	s_cselect_b32 s10, -1, 0
	s_wait_alu 0xfffe
	v_mul_hi_u32 v13, v11, s2
	s_cmp_lg_u32 s10, 0
	v_mad_co_u64_u32 v[6:7], null, v12, s2, 0
	s_add_co_ci_u32 s10, s11, s13
	s_delay_alu instid0(SALU_CYCLE_1) | instskip(SKIP_1) | instid1(VALU_DEP_2)
	v_mad_co_u64_u32 v[4:5], null, v11, s10, 0
	v_mad_co_u64_u32 v[8:9], null, v12, s10, 0
	v_add_co_u32 v4, vcc_lo, v13, v4
	s_wait_alu 0xfffd
	s_delay_alu instid0(VALU_DEP_3) | instskip(NEXT) | instid1(VALU_DEP_2)
	v_add_co_ci_u32_e64 v5, null, 0, v5, vcc_lo
	v_add_co_u32 v4, vcc_lo, v4, v6
	s_wait_alu 0xfffd
	s_delay_alu instid0(VALU_DEP_2) | instskip(SKIP_2) | instid1(VALU_DEP_2)
	v_add_co_ci_u32_e32 v4, vcc_lo, v5, v7, vcc_lo
	s_wait_alu 0xfffd
	v_add_co_ci_u32_e32 v5, vcc_lo, 0, v9, vcc_lo
	v_add_co_u32 v4, vcc_lo, v4, v8
	s_wait_alu 0xfffd
	s_delay_alu instid0(VALU_DEP_2) | instskip(NEXT) | instid1(VALU_DEP_2)
	v_add_co_ci_u32_e64 v6, null, 0, v5, vcc_lo
	v_mul_lo_u32 v7, s9, v4
	v_mad_co_u64_u32 v[4:5], null, s8, v4, 0
	s_delay_alu instid0(VALU_DEP_3) | instskip(NEXT) | instid1(VALU_DEP_2)
	v_mul_lo_u32 v6, s8, v6
	v_sub_co_u32 v4, vcc_lo, v11, v4
	s_delay_alu instid0(VALU_DEP_2) | instskip(NEXT) | instid1(VALU_DEP_2)
	v_add3_u32 v5, v5, v6, v7
	v_cmp_le_u32_e64 s2, s8, v4
	s_delay_alu instid0(VALU_DEP_2)
	v_sub_nc_u32_e32 v6, v12, v5
	s_wait_alu 0xfffd
	v_sub_co_ci_u32_e64 v5, null, v12, v5, vcc_lo
	s_wait_alu 0xf1ff
	v_cndmask_b32_e64 v9, 0, -1, s2
	v_subrev_co_ci_u32_e64 v6, null, s9, v6, vcc_lo
	v_sub_co_u32 v7, vcc_lo, v4, s8
	s_wait_alu 0xfffd
	s_delay_alu instid0(VALU_DEP_2) | instskip(NEXT) | instid1(VALU_DEP_2)
	v_subrev_co_ci_u32_e64 v8, null, 0, v6, vcc_lo
	v_cmp_le_u32_e64 s2, s8, v7
	v_subrev_co_ci_u32_e64 v6, null, s9, v6, vcc_lo
	v_cmp_le_u32_e32 vcc_lo, s9, v5
	s_wait_alu 0xf1ff
	s_delay_alu instid0(VALU_DEP_3)
	v_cndmask_b32_e64 v11, 0, -1, s2
	v_cmp_le_u32_e64 s2, s9, v8
	s_wait_alu 0xfffd
	v_cndmask_b32_e64 v13, 0, -1, vcc_lo
	v_cmp_eq_u32_e32 vcc_lo, s9, v8
	s_wait_alu 0xf1ff
	v_cndmask_b32_e64 v12, 0, -1, s2
	v_cmp_eq_u32_e64 s2, s9, v5
	s_wait_alu 0xfffd
	s_delay_alu instid0(VALU_DEP_2) | instskip(SKIP_3) | instid1(VALU_DEP_3)
	v_cndmask_b32_e32 v11, v12, v11, vcc_lo
	v_sub_co_u32 v12, vcc_lo, v7, s8
	s_wait_alu 0xfffd
	v_subrev_co_ci_u32_e64 v6, null, 0, v6, vcc_lo
	v_cmp_ne_u32_e32 vcc_lo, 0, v11
	s_wait_alu 0xf1ff
	v_cndmask_b32_e64 v9, v13, v9, s2
	s_wait_alu 0xfffd
	v_dual_cndmask_b32 v6, v8, v6 :: v_dual_cndmask_b32 v7, v7, v12
	s_delay_alu instid0(VALU_DEP_2) | instskip(SKIP_1) | instid1(VALU_DEP_2)
	v_cmp_ne_u32_e32 vcc_lo, 0, v9
	s_wait_alu 0xfffd
	v_dual_cndmask_b32 v5, v5, v6 :: v_dual_cndmask_b32 v4, v4, v7
	s_delay_alu instid0(VALU_DEP_1) | instskip(NEXT) | instid1(VALU_DEP_2)
	v_xor_b32_e32 v5, v5, v10
	v_xor_b32_e32 v4, v4, v10
	s_delay_alu instid0(VALU_DEP_1) | instskip(SKIP_1) | instid1(VALU_DEP_3)
	v_sub_co_u32 v4, vcc_lo, v4, v10
	s_wait_alu 0xfffd
	v_sub_co_ci_u32_e64 v5, null, v5, v10, vcc_lo
.LBB81_28:
	s_wait_alu 0xfffe
	s_and_not1_saveexec_b32 s2, s3
	s_cbranch_execz .LBB81_30
; %bb.29:
	v_cvt_f32_u32_e32 v4, s6
	s_sub_co_i32 s3, 0, s6
	s_delay_alu instid0(VALU_DEP_1) | instskip(NEXT) | instid1(TRANS32_DEP_1)
	v_rcp_iflag_f32_e32 v4, v4
	v_mul_f32_e32 v4, 0x4f7ffffe, v4
	s_delay_alu instid0(VALU_DEP_1) | instskip(SKIP_1) | instid1(VALU_DEP_1)
	v_cvt_u32_f32_e32 v4, v4
	s_wait_alu 0xfffe
	v_mul_lo_u32 v5, s3, v4
	s_delay_alu instid0(VALU_DEP_1) | instskip(NEXT) | instid1(VALU_DEP_1)
	v_mul_hi_u32 v5, v4, v5
	v_add_nc_u32_e32 v4, v4, v5
	s_delay_alu instid0(VALU_DEP_1) | instskip(NEXT) | instid1(VALU_DEP_1)
	v_mul_hi_u32 v4, v2, v4
	v_mul_lo_u32 v4, v4, s6
	s_delay_alu instid0(VALU_DEP_1) | instskip(NEXT) | instid1(VALU_DEP_1)
	v_sub_nc_u32_e32 v4, v2, v4
	v_subrev_nc_u32_e32 v5, s6, v4
	v_cmp_le_u32_e32 vcc_lo, s6, v4
	s_wait_alu 0xfffd
	s_delay_alu instid0(VALU_DEP_2) | instskip(NEXT) | instid1(VALU_DEP_1)
	v_cndmask_b32_e32 v4, v4, v5, vcc_lo
	v_subrev_nc_u32_e32 v5, s6, v4
	v_cmp_le_u32_e32 vcc_lo, s6, v4
	s_wait_alu 0xfffd
	s_delay_alu instid0(VALU_DEP_2)
	v_dual_cndmask_b32 v4, v4, v5 :: v_dual_mov_b32 v5, 0
.LBB81_30:
	s_wait_alu 0xfffe
	s_or_b32 exec_lo, exec_lo, s2
	s_lshl_b64 s[2:3], s[4:5], 7
	s_wait_alu 0xfffe
	v_add_co_u32 v6, vcc_lo, v0, s2
	s_wait_alu 0xfffd
	v_add_co_ci_u32_e64 v7, null, s3, v1, vcc_lo
	global_store_b64 v[6:7], v[4:5], off
	s_cmp_lt_i32 s14, 16
	s_cbranch_scc1 .LBB81_10
.LBB81_31:
	s_load_b64 s[8:9], s[0:1], 0x80
	s_wait_loadcnt 0x0
	v_or_b32_e32 v5, s7, v3
	v_mov_b32_e32 v4, 0
	s_delay_alu instid0(VALU_DEP_1)
	v_cmp_ne_u64_e32 vcc_lo, 0, v[4:5]
                                        ; implicit-def: $vgpr4_vgpr5
	s_and_saveexec_b32 s2, vcc_lo
	s_wait_alu 0xfffe
	s_xor_b32 s3, exec_lo, s2
	s_cbranch_execz .LBB81_33
; %bb.32:
	s_ashr_i32 s10, s7, 31
	s_mov_b32 s23, 0
	s_wait_alu 0xfffe
	s_mov_b32 s11, s10
	v_ashrrev_i32_e32 v10, 31, v3
	s_wait_alu 0xfffe
	s_add_nc_u64 s[12:13], s[6:7], s[10:11]
	s_delay_alu instid0(SALU_CYCLE_1) | instskip(NEXT) | instid1(VALU_DEP_1)
	s_xor_b64 s[12:13], s[12:13], s[10:11]
	v_add_co_u32 v4, vcc_lo, v2, v10
	s_cvt_f32_u32 s2, s12
	s_cvt_f32_u32 s11, s13
	s_sub_nc_u64 s[18:19], 0, s[12:13]
	s_wait_alu 0xfffd
	v_add_co_ci_u32_e64 v5, null, v3, v10, vcc_lo
	s_wait_alu 0xfffe
	s_fmamk_f32 s2, s11, 0x4f800000, s2
	v_xor_b32_e32 v11, v4, v10
	s_delay_alu instid0(VALU_DEP_2) | instskip(SKIP_2) | instid1(TRANS32_DEP_1)
	v_xor_b32_e32 v12, v5, v10
	s_wait_alu 0xfffe
	v_s_rcp_f32 s2, s2
	s_mul_f32 s2, s2, 0x5f7ffffc
	s_wait_alu 0xfffe
	s_delay_alu instid0(SALU_CYCLE_2) | instskip(SKIP_1) | instid1(SALU_CYCLE_2)
	s_mul_f32 s11, s2, 0x2f800000
	s_wait_alu 0xfffe
	s_trunc_f32 s11, s11
	s_wait_alu 0xfffe
	s_delay_alu instid0(SALU_CYCLE_2) | instskip(SKIP_2) | instid1(SALU_CYCLE_1)
	s_fmamk_f32 s2, s11, 0xcf800000, s2
	s_cvt_u32_f32 s17, s11
	s_wait_alu 0xfffe
	s_cvt_u32_f32 s16, s2
	s_delay_alu instid0(SALU_CYCLE_3) | instskip(NEXT) | instid1(SALU_CYCLE_1)
	s_mul_u64 s[20:21], s[18:19], s[16:17]
	s_mul_hi_u32 s25, s16, s21
	s_mul_i32 s24, s16, s21
	s_mul_hi_u32 s22, s16, s20
	s_mul_i32 s11, s17, s20
	s_add_nc_u64 s[24:25], s[22:23], s[24:25]
	s_mul_hi_u32 s2, s17, s20
	s_mul_hi_u32 s15, s17, s21
	s_wait_alu 0xfffe
	s_add_co_u32 s11, s24, s11
	s_add_co_ci_u32 s22, s25, s2
	s_mul_i32 s20, s17, s21
	s_add_co_ci_u32 s21, s15, 0
	s_delay_alu instid0(SALU_CYCLE_1) | instskip(NEXT) | instid1(SALU_CYCLE_1)
	s_add_nc_u64 s[20:21], s[22:23], s[20:21]
	s_add_co_u32 s16, s16, s20
	s_cselect_b32 s2, -1, 0
	s_wait_alu 0xfffe
	s_cmp_lg_u32 s2, 0
	s_add_co_ci_u32 s17, s17, s21
	s_delay_alu instid0(SALU_CYCLE_1) | instskip(NEXT) | instid1(SALU_CYCLE_1)
	s_mul_u64 s[18:19], s[18:19], s[16:17]
	s_mul_hi_u32 s21, s16, s19
	s_mul_i32 s20, s16, s19
	s_mul_hi_u32 s22, s16, s18
	s_mul_i32 s11, s17, s18
	s_add_nc_u64 s[20:21], s[22:23], s[20:21]
	s_mul_hi_u32 s2, s17, s18
	s_mul_hi_u32 s15, s17, s19
	s_wait_alu 0xfffe
	s_add_co_u32 s11, s20, s11
	s_add_co_ci_u32 s22, s21, s2
	s_mul_i32 s18, s17, s19
	s_add_co_ci_u32 s19, s15, 0
	s_delay_alu instid0(SALU_CYCLE_1) | instskip(NEXT) | instid1(SALU_CYCLE_1)
	s_add_nc_u64 s[18:19], s[22:23], s[18:19]
	s_add_co_u32 s2, s16, s18
	s_cselect_b32 s11, -1, 0
	s_wait_alu 0xfffe
	v_mul_hi_u32 v13, v11, s2
	s_cmp_lg_u32 s11, 0
	v_mad_co_u64_u32 v[6:7], null, v12, s2, 0
	s_add_co_ci_u32 s11, s17, s19
	s_wait_alu 0xfffe
	v_mad_co_u64_u32 v[4:5], null, v11, s11, 0
	v_mad_co_u64_u32 v[8:9], null, v12, s11, 0
	s_delay_alu instid0(VALU_DEP_2) | instskip(SKIP_1) | instid1(VALU_DEP_3)
	v_add_co_u32 v4, vcc_lo, v13, v4
	s_wait_alu 0xfffd
	v_add_co_ci_u32_e64 v5, null, 0, v5, vcc_lo
	s_delay_alu instid0(VALU_DEP_2) | instskip(SKIP_1) | instid1(VALU_DEP_2)
	v_add_co_u32 v4, vcc_lo, v4, v6
	s_wait_alu 0xfffd
	v_add_co_ci_u32_e32 v4, vcc_lo, v5, v7, vcc_lo
	s_wait_alu 0xfffd
	v_add_co_ci_u32_e32 v5, vcc_lo, 0, v9, vcc_lo
	s_delay_alu instid0(VALU_DEP_2) | instskip(SKIP_1) | instid1(VALU_DEP_2)
	v_add_co_u32 v6, vcc_lo, v4, v8
	s_wait_alu 0xfffd
	v_add_co_ci_u32_e64 v7, null, 0, v5, vcc_lo
	s_delay_alu instid0(VALU_DEP_2) | instskip(SKIP_1) | instid1(VALU_DEP_3)
	v_mul_lo_u32 v8, s13, v6
	v_mad_co_u64_u32 v[4:5], null, s12, v6, 0
	v_mul_lo_u32 v9, s12, v7
	s_delay_alu instid0(VALU_DEP_2) | instskip(NEXT) | instid1(VALU_DEP_2)
	v_sub_co_u32 v4, vcc_lo, v11, v4
	v_add3_u32 v5, v5, v9, v8
	v_add_co_u32 v9, s2, v6, 2
	s_wait_alu 0xf1ff
	v_add_co_ci_u32_e64 v11, null, 0, v7, s2
	s_delay_alu instid0(VALU_DEP_3) | instskip(SKIP_3) | instid1(VALU_DEP_3)
	v_sub_nc_u32_e32 v8, v12, v5
	v_sub_co_u32 v13, s2, v4, s12
	s_wait_alu 0xfffd
	v_sub_co_ci_u32_e64 v5, null, v12, v5, vcc_lo
	v_subrev_co_ci_u32_e64 v8, null, s13, v8, vcc_lo
	s_delay_alu instid0(VALU_DEP_3) | instskip(SKIP_1) | instid1(VALU_DEP_2)
	v_cmp_le_u32_e32 vcc_lo, s12, v13
	s_wait_alu 0xf1ff
	v_subrev_co_ci_u32_e64 v8, null, 0, v8, s2
	s_wait_alu 0xfffd
	v_cndmask_b32_e64 v12, 0, -1, vcc_lo
	s_delay_alu instid0(VALU_DEP_2)
	v_cmp_le_u32_e32 vcc_lo, s13, v8
	s_wait_alu 0xfffd
	v_cndmask_b32_e64 v13, 0, -1, vcc_lo
	v_cmp_le_u32_e32 vcc_lo, s12, v4
	s_wait_alu 0xfffd
	v_cndmask_b32_e64 v4, 0, -1, vcc_lo
	;; [unrolled: 3-line block ×3, first 2 shown]
	v_cmp_eq_u32_e32 vcc_lo, s13, v8
	s_wait_alu 0xfffd
	v_cndmask_b32_e32 v8, v13, v12, vcc_lo
	v_add_co_u32 v12, vcc_lo, v6, 1
	s_wait_alu 0xfffd
	v_add_co_ci_u32_e64 v13, null, 0, v7, vcc_lo
	v_cmp_eq_u32_e32 vcc_lo, s13, v5
	s_wait_alu 0xfffd
	v_cndmask_b32_e32 v4, v14, v4, vcc_lo
	v_cmp_ne_u32_e32 vcc_lo, 0, v8
	v_xor_b32_e32 v8, s10, v10
	s_wait_alu 0xfffd
	v_cndmask_b32_e32 v5, v13, v11, vcc_lo
	v_cmp_ne_u32_e64 s2, 0, v4
	v_cndmask_b32_e32 v4, v12, v9, vcc_lo
	s_wait_alu 0xf1ff
	s_delay_alu instid0(VALU_DEP_2) | instskip(NEXT) | instid1(VALU_DEP_2)
	v_cndmask_b32_e64 v5, v7, v5, s2
	v_cndmask_b32_e64 v4, v6, v4, s2
	s_delay_alu instid0(VALU_DEP_2) | instskip(NEXT) | instid1(VALU_DEP_2)
	v_xor_b32_e32 v5, v5, v8
	v_xor_b32_e32 v4, v4, v8
	s_delay_alu instid0(VALU_DEP_1) | instskip(SKIP_1) | instid1(VALU_DEP_3)
	v_sub_co_u32 v4, vcc_lo, v4, v8
	s_wait_alu 0xfffd
	v_sub_co_ci_u32_e64 v5, null, v5, v8, vcc_lo
.LBB81_33:
	s_wait_alu 0xfffe
	s_and_not1_saveexec_b32 s2, s3
	s_cbranch_execz .LBB81_35
; %bb.34:
	v_cvt_f32_u32_e32 v4, s6
	s_sub_co_i32 s3, 0, s6
	s_delay_alu instid0(VALU_DEP_1) | instskip(NEXT) | instid1(TRANS32_DEP_1)
	v_rcp_iflag_f32_e32 v4, v4
	v_mul_f32_e32 v4, 0x4f7ffffe, v4
	s_delay_alu instid0(VALU_DEP_1) | instskip(SKIP_1) | instid1(VALU_DEP_1)
	v_cvt_u32_f32_e32 v4, v4
	s_wait_alu 0xfffe
	v_mul_lo_u32 v5, s3, v4
	s_delay_alu instid0(VALU_DEP_1) | instskip(NEXT) | instid1(VALU_DEP_1)
	v_mul_hi_u32 v5, v4, v5
	v_add_nc_u32_e32 v4, v4, v5
	s_delay_alu instid0(VALU_DEP_1) | instskip(NEXT) | instid1(VALU_DEP_1)
	v_mul_hi_u32 v4, v2, v4
	v_mul_lo_u32 v5, v4, s6
	v_add_nc_u32_e32 v6, 1, v4
	s_delay_alu instid0(VALU_DEP_2) | instskip(NEXT) | instid1(VALU_DEP_1)
	v_sub_nc_u32_e32 v5, v2, v5
	v_subrev_nc_u32_e32 v7, s6, v5
	v_cmp_le_u32_e32 vcc_lo, s6, v5
	s_wait_alu 0xfffd
	s_delay_alu instid0(VALU_DEP_2) | instskip(NEXT) | instid1(VALU_DEP_1)
	v_dual_cndmask_b32 v5, v5, v7 :: v_dual_cndmask_b32 v4, v4, v6
	v_cmp_le_u32_e32 vcc_lo, s6, v5
	s_delay_alu instid0(VALU_DEP_2) | instskip(SKIP_1) | instid1(VALU_DEP_1)
	v_dual_mov_b32 v5, 0 :: v_dual_add_nc_u32 v6, 1, v4
	s_wait_alu 0xfffd
	v_cndmask_b32_e32 v4, v4, v6, vcc_lo
.LBB81_35:
	s_wait_alu 0xfffe
	s_or_b32 exec_lo, exec_lo, s2
	s_wait_kmcnt 0x0
	v_or_b32_e32 v7, s9, v5
	v_mov_b32_e32 v6, 0
	s_delay_alu instid0(VALU_DEP_1)
	v_cmp_ne_u64_e32 vcc_lo, 0, v[6:7]
                                        ; implicit-def: $vgpr6_vgpr7
	s_and_saveexec_b32 s2, vcc_lo
	s_wait_alu 0xfffe
	s_xor_b32 s3, exec_lo, s2
	s_cbranch_execz .LBB81_37
; %bb.36:
	s_ashr_i32 s10, s9, 31
	s_mov_b32 s21, 0
	s_wait_alu 0xfffe
	s_mov_b32 s11, s10
	v_ashrrev_i32_e32 v10, 31, v5
	s_wait_alu 0xfffe
	s_add_nc_u64 s[12:13], s[8:9], s[10:11]
	s_wait_alu 0xfffe
	s_xor_b64 s[10:11], s[12:13], s[10:11]
	v_add_co_u32 v4, vcc_lo, v4, v10
	s_wait_alu 0xfffe
	s_cvt_f32_u32 s2, s10
	s_cvt_f32_u32 s12, s11
	s_sub_nc_u64 s[16:17], 0, s[10:11]
	s_wait_alu 0xfffd
	v_add_co_ci_u32_e64 v5, null, v5, v10, vcc_lo
	s_wait_alu 0xfffe
	s_fmamk_f32 s2, s12, 0x4f800000, s2
	v_xor_b32_e32 v11, v4, v10
	s_delay_alu instid0(VALU_DEP_2) | instskip(SKIP_2) | instid1(TRANS32_DEP_1)
	v_xor_b32_e32 v12, v5, v10
	s_wait_alu 0xfffe
	v_s_rcp_f32 s2, s2
	s_mul_f32 s2, s2, 0x5f7ffffc
	s_wait_alu 0xfffe
	s_delay_alu instid0(SALU_CYCLE_2) | instskip(SKIP_1) | instid1(SALU_CYCLE_2)
	s_mul_f32 s12, s2, 0x2f800000
	s_wait_alu 0xfffe
	s_trunc_f32 s12, s12
	s_wait_alu 0xfffe
	s_delay_alu instid0(SALU_CYCLE_2) | instskip(SKIP_2) | instid1(SALU_CYCLE_1)
	s_fmamk_f32 s2, s12, 0xcf800000, s2
	s_cvt_u32_f32 s13, s12
	s_wait_alu 0xfffe
	s_cvt_u32_f32 s12, s2
	s_wait_alu 0xfffe
	s_delay_alu instid0(SALU_CYCLE_2) | instskip(NEXT) | instid1(SALU_CYCLE_1)
	s_mul_u64 s[18:19], s[16:17], s[12:13]
	s_mul_hi_u32 s23, s12, s19
	s_mul_i32 s22, s12, s19
	s_mul_hi_u32 s20, s12, s18
	s_mul_i32 s15, s13, s18
	s_add_nc_u64 s[22:23], s[20:21], s[22:23]
	s_mul_hi_u32 s2, s13, s18
	s_mul_hi_u32 s24, s13, s19
	s_add_co_u32 s15, s22, s15
	s_wait_alu 0xfffe
	s_add_co_ci_u32 s20, s23, s2
	s_mul_i32 s18, s13, s19
	s_add_co_ci_u32 s19, s24, 0
	s_delay_alu instid0(SALU_CYCLE_1) | instskip(NEXT) | instid1(SALU_CYCLE_1)
	s_add_nc_u64 s[18:19], s[20:21], s[18:19]
	s_add_co_u32 s12, s12, s18
	s_cselect_b32 s2, -1, 0
	s_wait_alu 0xfffe
	s_cmp_lg_u32 s2, 0
	s_add_co_ci_u32 s13, s13, s19
	s_wait_alu 0xfffe
	s_mul_u64 s[16:17], s[16:17], s[12:13]
	s_delay_alu instid0(SALU_CYCLE_1)
	s_mul_hi_u32 s19, s12, s17
	s_mul_i32 s18, s12, s17
	s_mul_hi_u32 s20, s12, s16
	s_mul_i32 s15, s13, s16
	s_add_nc_u64 s[18:19], s[20:21], s[18:19]
	s_mul_hi_u32 s2, s13, s16
	s_mul_hi_u32 s22, s13, s17
	s_add_co_u32 s15, s18, s15
	s_wait_alu 0xfffe
	s_add_co_ci_u32 s20, s19, s2
	s_mul_i32 s16, s13, s17
	s_add_co_ci_u32 s17, s22, 0
	s_delay_alu instid0(SALU_CYCLE_1) | instskip(NEXT) | instid1(SALU_CYCLE_1)
	s_add_nc_u64 s[16:17], s[20:21], s[16:17]
	s_add_co_u32 s2, s12, s16
	s_cselect_b32 s12, -1, 0
	s_wait_alu 0xfffe
	v_mul_hi_u32 v13, v11, s2
	s_cmp_lg_u32 s12, 0
	v_mad_co_u64_u32 v[6:7], null, v12, s2, 0
	s_add_co_ci_u32 s12, s13, s17
	s_wait_alu 0xfffe
	v_mad_co_u64_u32 v[4:5], null, v11, s12, 0
	v_mad_co_u64_u32 v[8:9], null, v12, s12, 0
	s_delay_alu instid0(VALU_DEP_2) | instskip(SKIP_1) | instid1(VALU_DEP_3)
	v_add_co_u32 v4, vcc_lo, v13, v4
	s_wait_alu 0xfffd
	v_add_co_ci_u32_e64 v5, null, 0, v5, vcc_lo
	s_delay_alu instid0(VALU_DEP_2) | instskip(SKIP_1) | instid1(VALU_DEP_2)
	v_add_co_u32 v4, vcc_lo, v4, v6
	s_wait_alu 0xfffd
	v_add_co_ci_u32_e32 v4, vcc_lo, v5, v7, vcc_lo
	s_wait_alu 0xfffd
	v_add_co_ci_u32_e32 v5, vcc_lo, 0, v9, vcc_lo
	s_delay_alu instid0(VALU_DEP_2) | instskip(SKIP_1) | instid1(VALU_DEP_2)
	v_add_co_u32 v4, vcc_lo, v4, v8
	s_wait_alu 0xfffd
	v_add_co_ci_u32_e64 v6, null, 0, v5, vcc_lo
	s_delay_alu instid0(VALU_DEP_2) | instskip(SKIP_1) | instid1(VALU_DEP_3)
	v_mul_lo_u32 v7, s11, v4
	v_mad_co_u64_u32 v[4:5], null, s10, v4, 0
	v_mul_lo_u32 v6, s10, v6
	s_delay_alu instid0(VALU_DEP_2) | instskip(NEXT) | instid1(VALU_DEP_2)
	v_sub_co_u32 v4, vcc_lo, v11, v4
	v_add3_u32 v5, v5, v6, v7
	s_delay_alu instid0(VALU_DEP_2) | instskip(NEXT) | instid1(VALU_DEP_2)
	v_cmp_le_u32_e64 s2, s10, v4
	v_sub_nc_u32_e32 v6, v12, v5
	s_wait_alu 0xfffd
	v_sub_co_ci_u32_e64 v5, null, v12, v5, vcc_lo
	s_wait_alu 0xf1ff
	v_cndmask_b32_e64 v9, 0, -1, s2
	v_subrev_co_ci_u32_e64 v6, null, s11, v6, vcc_lo
	v_sub_co_u32 v7, vcc_lo, v4, s10
	s_wait_alu 0xfffd
	s_delay_alu instid0(VALU_DEP_2) | instskip(NEXT) | instid1(VALU_DEP_2)
	v_subrev_co_ci_u32_e64 v8, null, 0, v6, vcc_lo
	v_cmp_le_u32_e64 s2, s10, v7
	v_subrev_co_ci_u32_e64 v6, null, s11, v6, vcc_lo
	v_cmp_le_u32_e32 vcc_lo, s11, v5
	s_wait_alu 0xf1ff
	s_delay_alu instid0(VALU_DEP_3)
	v_cndmask_b32_e64 v11, 0, -1, s2
	v_cmp_le_u32_e64 s2, s11, v8
	s_wait_alu 0xfffd
	v_cndmask_b32_e64 v13, 0, -1, vcc_lo
	v_cmp_eq_u32_e32 vcc_lo, s11, v8
	s_wait_alu 0xf1ff
	v_cndmask_b32_e64 v12, 0, -1, s2
	v_cmp_eq_u32_e64 s2, s11, v5
	s_wait_alu 0xfffd
	s_delay_alu instid0(VALU_DEP_2) | instskip(SKIP_3) | instid1(VALU_DEP_3)
	v_cndmask_b32_e32 v11, v12, v11, vcc_lo
	v_sub_co_u32 v12, vcc_lo, v7, s10
	s_wait_alu 0xfffd
	v_subrev_co_ci_u32_e64 v6, null, 0, v6, vcc_lo
	v_cmp_ne_u32_e32 vcc_lo, 0, v11
	s_wait_alu 0xf1ff
	v_cndmask_b32_e64 v9, v13, v9, s2
	s_wait_alu 0xfffd
	v_dual_cndmask_b32 v6, v8, v6 :: v_dual_cndmask_b32 v7, v7, v12
	s_delay_alu instid0(VALU_DEP_2) | instskip(SKIP_1) | instid1(VALU_DEP_2)
	v_cmp_ne_u32_e32 vcc_lo, 0, v9
	s_wait_alu 0xfffd
	v_dual_cndmask_b32 v5, v5, v6 :: v_dual_cndmask_b32 v4, v4, v7
	s_delay_alu instid0(VALU_DEP_1) | instskip(NEXT) | instid1(VALU_DEP_2)
	v_xor_b32_e32 v5, v5, v10
	v_xor_b32_e32 v4, v4, v10
	s_delay_alu instid0(VALU_DEP_1) | instskip(SKIP_1) | instid1(VALU_DEP_3)
	v_sub_co_u32 v6, vcc_lo, v4, v10
	s_wait_alu 0xfffd
	v_sub_co_ci_u32_e64 v7, null, v5, v10, vcc_lo
                                        ; implicit-def: $vgpr4_vgpr5
.LBB81_37:
	s_wait_alu 0xfffe
	s_and_not1_saveexec_b32 s2, s3
	s_cbranch_execz .LBB81_39
; %bb.38:
	v_cvt_f32_u32_e32 v5, s8
	s_sub_co_i32 s3, 0, s8
	v_mov_b32_e32 v7, 0
	s_delay_alu instid0(VALU_DEP_2) | instskip(NEXT) | instid1(TRANS32_DEP_1)
	v_rcp_iflag_f32_e32 v5, v5
	v_mul_f32_e32 v5, 0x4f7ffffe, v5
	s_delay_alu instid0(VALU_DEP_1) | instskip(SKIP_1) | instid1(VALU_DEP_1)
	v_cvt_u32_f32_e32 v5, v5
	s_wait_alu 0xfffe
	v_mul_lo_u32 v6, s3, v5
	s_delay_alu instid0(VALU_DEP_1) | instskip(NEXT) | instid1(VALU_DEP_1)
	v_mul_hi_u32 v6, v5, v6
	v_add_nc_u32_e32 v5, v5, v6
	s_delay_alu instid0(VALU_DEP_1) | instskip(NEXT) | instid1(VALU_DEP_1)
	v_mul_hi_u32 v5, v4, v5
	v_mul_lo_u32 v5, v5, s8
	s_delay_alu instid0(VALU_DEP_1) | instskip(NEXT) | instid1(VALU_DEP_1)
	v_sub_nc_u32_e32 v4, v4, v5
	v_subrev_nc_u32_e32 v5, s8, v4
	v_cmp_le_u32_e32 vcc_lo, s8, v4
	s_wait_alu 0xfffd
	s_delay_alu instid0(VALU_DEP_2) | instskip(NEXT) | instid1(VALU_DEP_1)
	v_cndmask_b32_e32 v4, v4, v5, vcc_lo
	v_subrev_nc_u32_e32 v5, s8, v4
	v_cmp_le_u32_e32 vcc_lo, s8, v4
	s_wait_alu 0xfffd
	s_delay_alu instid0(VALU_DEP_2)
	v_cndmask_b32_e32 v6, v4, v5, vcc_lo
.LBB81_39:
	s_wait_alu 0xfffe
	s_or_b32 exec_lo, exec_lo, s2
	v_mad_co_u64_u32 v[4:5], null, 0x78, s4, v[0:1]
	s_mul_u64 s[6:7], s[8:9], s[6:7]
	v_mad_co_u64_u32 v[8:9], null, 0x78, s5, v[5:6]
	s_delay_alu instid0(VALU_DEP_1)
	v_mov_b32_e32 v5, v8
	global_store_b64 v[4:5], v[6:7], off
	s_cmp_lt_i32 s14, 15
	s_cbranch_scc1 .LBB81_11
.LBB81_40:
	s_load_b64 s[8:9], s[0:1], 0x78
	s_wait_loadcnt 0x0
	v_or_b32_e32 v5, s7, v3
	v_mov_b32_e32 v4, 0
	s_delay_alu instid0(VALU_DEP_1)
	v_cmp_ne_u64_e32 vcc_lo, 0, v[4:5]
                                        ; implicit-def: $vgpr4_vgpr5
	s_and_saveexec_b32 s2, vcc_lo
	s_wait_alu 0xfffe
	s_xor_b32 s3, exec_lo, s2
	s_cbranch_execz .LBB81_42
; %bb.41:
	s_ashr_i32 s10, s7, 31
	s_mov_b32 s23, 0
	s_wait_alu 0xfffe
	s_mov_b32 s11, s10
	v_ashrrev_i32_e32 v10, 31, v3
	s_wait_alu 0xfffe
	s_add_nc_u64 s[12:13], s[6:7], s[10:11]
	s_wait_alu 0xfffe
	s_xor_b64 s[12:13], s[12:13], s[10:11]
	v_add_co_u32 v4, vcc_lo, v2, v10
	s_wait_alu 0xfffe
	s_cvt_f32_u32 s2, s12
	s_cvt_f32_u32 s11, s13
	s_sub_nc_u64 s[18:19], 0, s[12:13]
	s_wait_alu 0xfffd
	v_add_co_ci_u32_e64 v5, null, v3, v10, vcc_lo
	s_wait_alu 0xfffe
	s_fmamk_f32 s2, s11, 0x4f800000, s2
	v_xor_b32_e32 v11, v4, v10
	s_delay_alu instid0(VALU_DEP_2) | instskip(SKIP_2) | instid1(TRANS32_DEP_1)
	v_xor_b32_e32 v12, v5, v10
	s_wait_alu 0xfffe
	v_s_rcp_f32 s2, s2
	s_mul_f32 s2, s2, 0x5f7ffffc
	s_wait_alu 0xfffe
	s_delay_alu instid0(SALU_CYCLE_2) | instskip(SKIP_1) | instid1(SALU_CYCLE_2)
	s_mul_f32 s11, s2, 0x2f800000
	s_wait_alu 0xfffe
	s_trunc_f32 s11, s11
	s_wait_alu 0xfffe
	s_delay_alu instid0(SALU_CYCLE_2) | instskip(SKIP_2) | instid1(SALU_CYCLE_1)
	s_fmamk_f32 s2, s11, 0xcf800000, s2
	s_cvt_u32_f32 s17, s11
	s_wait_alu 0xfffe
	s_cvt_u32_f32 s16, s2
	s_delay_alu instid0(SALU_CYCLE_3) | instskip(NEXT) | instid1(SALU_CYCLE_1)
	s_mul_u64 s[20:21], s[18:19], s[16:17]
	s_mul_hi_u32 s25, s16, s21
	s_mul_i32 s24, s16, s21
	s_mul_hi_u32 s22, s16, s20
	s_mul_i32 s11, s17, s20
	s_add_nc_u64 s[24:25], s[22:23], s[24:25]
	s_mul_hi_u32 s2, s17, s20
	s_mul_hi_u32 s15, s17, s21
	s_wait_alu 0xfffe
	s_add_co_u32 s11, s24, s11
	s_add_co_ci_u32 s22, s25, s2
	s_mul_i32 s20, s17, s21
	s_add_co_ci_u32 s21, s15, 0
	s_delay_alu instid0(SALU_CYCLE_1) | instskip(NEXT) | instid1(SALU_CYCLE_1)
	s_add_nc_u64 s[20:21], s[22:23], s[20:21]
	s_add_co_u32 s16, s16, s20
	s_cselect_b32 s2, -1, 0
	s_wait_alu 0xfffe
	s_cmp_lg_u32 s2, 0
	s_add_co_ci_u32 s17, s17, s21
	s_delay_alu instid0(SALU_CYCLE_1) | instskip(NEXT) | instid1(SALU_CYCLE_1)
	s_mul_u64 s[18:19], s[18:19], s[16:17]
	s_mul_hi_u32 s21, s16, s19
	s_mul_i32 s20, s16, s19
	s_mul_hi_u32 s22, s16, s18
	s_mul_i32 s11, s17, s18
	s_add_nc_u64 s[20:21], s[22:23], s[20:21]
	s_mul_hi_u32 s2, s17, s18
	s_mul_hi_u32 s15, s17, s19
	s_wait_alu 0xfffe
	s_add_co_u32 s11, s20, s11
	s_add_co_ci_u32 s22, s21, s2
	s_mul_i32 s18, s17, s19
	s_add_co_ci_u32 s19, s15, 0
	s_delay_alu instid0(SALU_CYCLE_1) | instskip(NEXT) | instid1(SALU_CYCLE_1)
	s_add_nc_u64 s[18:19], s[22:23], s[18:19]
	s_add_co_u32 s2, s16, s18
	s_cselect_b32 s11, -1, 0
	s_wait_alu 0xfffe
	v_mul_hi_u32 v13, v11, s2
	s_cmp_lg_u32 s11, 0
	v_mad_co_u64_u32 v[6:7], null, v12, s2, 0
	s_add_co_ci_u32 s11, s17, s19
	s_wait_alu 0xfffe
	v_mad_co_u64_u32 v[4:5], null, v11, s11, 0
	v_mad_co_u64_u32 v[8:9], null, v12, s11, 0
	s_delay_alu instid0(VALU_DEP_2) | instskip(SKIP_1) | instid1(VALU_DEP_3)
	v_add_co_u32 v4, vcc_lo, v13, v4
	s_wait_alu 0xfffd
	v_add_co_ci_u32_e64 v5, null, 0, v5, vcc_lo
	s_delay_alu instid0(VALU_DEP_2) | instskip(SKIP_1) | instid1(VALU_DEP_2)
	v_add_co_u32 v4, vcc_lo, v4, v6
	s_wait_alu 0xfffd
	v_add_co_ci_u32_e32 v4, vcc_lo, v5, v7, vcc_lo
	s_wait_alu 0xfffd
	v_add_co_ci_u32_e32 v5, vcc_lo, 0, v9, vcc_lo
	s_delay_alu instid0(VALU_DEP_2) | instskip(SKIP_1) | instid1(VALU_DEP_2)
	v_add_co_u32 v6, vcc_lo, v4, v8
	s_wait_alu 0xfffd
	v_add_co_ci_u32_e64 v7, null, 0, v5, vcc_lo
	s_delay_alu instid0(VALU_DEP_2) | instskip(SKIP_1) | instid1(VALU_DEP_3)
	v_mul_lo_u32 v8, s13, v6
	v_mad_co_u64_u32 v[4:5], null, s12, v6, 0
	v_mul_lo_u32 v9, s12, v7
	s_delay_alu instid0(VALU_DEP_2) | instskip(NEXT) | instid1(VALU_DEP_2)
	v_sub_co_u32 v4, vcc_lo, v11, v4
	v_add3_u32 v5, v5, v9, v8
	v_add_co_u32 v9, s2, v6, 2
	s_wait_alu 0xf1ff
	v_add_co_ci_u32_e64 v11, null, 0, v7, s2
	s_delay_alu instid0(VALU_DEP_3) | instskip(SKIP_3) | instid1(VALU_DEP_3)
	v_sub_nc_u32_e32 v8, v12, v5
	v_sub_co_u32 v13, s2, v4, s12
	s_wait_alu 0xfffd
	v_sub_co_ci_u32_e64 v5, null, v12, v5, vcc_lo
	v_subrev_co_ci_u32_e64 v8, null, s13, v8, vcc_lo
	s_delay_alu instid0(VALU_DEP_3) | instskip(SKIP_1) | instid1(VALU_DEP_2)
	v_cmp_le_u32_e32 vcc_lo, s12, v13
	s_wait_alu 0xf1ff
	v_subrev_co_ci_u32_e64 v8, null, 0, v8, s2
	s_wait_alu 0xfffd
	v_cndmask_b32_e64 v12, 0, -1, vcc_lo
	s_delay_alu instid0(VALU_DEP_2)
	v_cmp_le_u32_e32 vcc_lo, s13, v8
	s_wait_alu 0xfffd
	v_cndmask_b32_e64 v13, 0, -1, vcc_lo
	v_cmp_le_u32_e32 vcc_lo, s12, v4
	s_wait_alu 0xfffd
	v_cndmask_b32_e64 v4, 0, -1, vcc_lo
	;; [unrolled: 3-line block ×3, first 2 shown]
	v_cmp_eq_u32_e32 vcc_lo, s13, v8
	s_wait_alu 0xfffd
	v_cndmask_b32_e32 v8, v13, v12, vcc_lo
	v_add_co_u32 v12, vcc_lo, v6, 1
	s_wait_alu 0xfffd
	v_add_co_ci_u32_e64 v13, null, 0, v7, vcc_lo
	v_cmp_eq_u32_e32 vcc_lo, s13, v5
	s_wait_alu 0xfffd
	v_cndmask_b32_e32 v4, v14, v4, vcc_lo
	v_cmp_ne_u32_e32 vcc_lo, 0, v8
	v_xor_b32_e32 v8, s10, v10
	s_wait_alu 0xfffd
	v_cndmask_b32_e32 v5, v13, v11, vcc_lo
	v_cmp_ne_u32_e64 s2, 0, v4
	v_cndmask_b32_e32 v4, v12, v9, vcc_lo
	s_wait_alu 0xf1ff
	s_delay_alu instid0(VALU_DEP_2) | instskip(NEXT) | instid1(VALU_DEP_2)
	v_cndmask_b32_e64 v5, v7, v5, s2
	v_cndmask_b32_e64 v4, v6, v4, s2
	s_delay_alu instid0(VALU_DEP_2) | instskip(NEXT) | instid1(VALU_DEP_2)
	v_xor_b32_e32 v5, v5, v8
	v_xor_b32_e32 v4, v4, v8
	s_delay_alu instid0(VALU_DEP_1) | instskip(SKIP_1) | instid1(VALU_DEP_3)
	v_sub_co_u32 v4, vcc_lo, v4, v8
	s_wait_alu 0xfffd
	v_sub_co_ci_u32_e64 v5, null, v5, v8, vcc_lo
.LBB81_42:
	s_wait_alu 0xfffe
	s_and_not1_saveexec_b32 s2, s3
	s_cbranch_execz .LBB81_44
; %bb.43:
	v_cvt_f32_u32_e32 v4, s6
	s_sub_co_i32 s3, 0, s6
	s_delay_alu instid0(VALU_DEP_1) | instskip(NEXT) | instid1(TRANS32_DEP_1)
	v_rcp_iflag_f32_e32 v4, v4
	v_mul_f32_e32 v4, 0x4f7ffffe, v4
	s_delay_alu instid0(VALU_DEP_1) | instskip(SKIP_1) | instid1(VALU_DEP_1)
	v_cvt_u32_f32_e32 v4, v4
	s_wait_alu 0xfffe
	v_mul_lo_u32 v5, s3, v4
	s_delay_alu instid0(VALU_DEP_1) | instskip(NEXT) | instid1(VALU_DEP_1)
	v_mul_hi_u32 v5, v4, v5
	v_add_nc_u32_e32 v4, v4, v5
	s_delay_alu instid0(VALU_DEP_1) | instskip(NEXT) | instid1(VALU_DEP_1)
	v_mul_hi_u32 v4, v2, v4
	v_mul_lo_u32 v5, v4, s6
	v_add_nc_u32_e32 v6, 1, v4
	s_delay_alu instid0(VALU_DEP_2) | instskip(NEXT) | instid1(VALU_DEP_1)
	v_sub_nc_u32_e32 v5, v2, v5
	v_subrev_nc_u32_e32 v7, s6, v5
	v_cmp_le_u32_e32 vcc_lo, s6, v5
	s_wait_alu 0xfffd
	s_delay_alu instid0(VALU_DEP_2) | instskip(NEXT) | instid1(VALU_DEP_1)
	v_dual_cndmask_b32 v5, v5, v7 :: v_dual_cndmask_b32 v4, v4, v6
	v_cmp_le_u32_e32 vcc_lo, s6, v5
	s_delay_alu instid0(VALU_DEP_2) | instskip(SKIP_1) | instid1(VALU_DEP_1)
	v_dual_mov_b32 v5, 0 :: v_dual_add_nc_u32 v6, 1, v4
	s_wait_alu 0xfffd
	v_cndmask_b32_e32 v4, v4, v6, vcc_lo
.LBB81_44:
	s_wait_alu 0xfffe
	s_or_b32 exec_lo, exec_lo, s2
	s_wait_kmcnt 0x0
	v_or_b32_e32 v7, s9, v5
	v_mov_b32_e32 v6, 0
	s_delay_alu instid0(VALU_DEP_1)
	v_cmp_ne_u64_e32 vcc_lo, 0, v[6:7]
                                        ; implicit-def: $vgpr6_vgpr7
	s_and_saveexec_b32 s2, vcc_lo
	s_wait_alu 0xfffe
	s_xor_b32 s3, exec_lo, s2
	s_cbranch_execz .LBB81_46
; %bb.45:
	s_ashr_i32 s10, s9, 31
	s_mov_b32 s21, 0
	s_wait_alu 0xfffe
	s_mov_b32 s11, s10
	v_ashrrev_i32_e32 v10, 31, v5
	s_wait_alu 0xfffe
	s_add_nc_u64 s[12:13], s[8:9], s[10:11]
	s_wait_alu 0xfffe
	s_xor_b64 s[10:11], s[12:13], s[10:11]
	v_add_co_u32 v4, vcc_lo, v4, v10
	s_wait_alu 0xfffe
	s_cvt_f32_u32 s2, s10
	s_cvt_f32_u32 s12, s11
	s_sub_nc_u64 s[16:17], 0, s[10:11]
	s_wait_alu 0xfffd
	v_add_co_ci_u32_e64 v5, null, v5, v10, vcc_lo
	s_wait_alu 0xfffe
	s_fmamk_f32 s2, s12, 0x4f800000, s2
	v_xor_b32_e32 v11, v4, v10
	s_delay_alu instid0(VALU_DEP_2) | instskip(SKIP_2) | instid1(TRANS32_DEP_1)
	v_xor_b32_e32 v12, v5, v10
	s_wait_alu 0xfffe
	v_s_rcp_f32 s2, s2
	s_mul_f32 s2, s2, 0x5f7ffffc
	s_wait_alu 0xfffe
	s_delay_alu instid0(SALU_CYCLE_2) | instskip(SKIP_1) | instid1(SALU_CYCLE_2)
	s_mul_f32 s12, s2, 0x2f800000
	s_wait_alu 0xfffe
	s_trunc_f32 s12, s12
	s_wait_alu 0xfffe
	s_delay_alu instid0(SALU_CYCLE_2) | instskip(SKIP_2) | instid1(SALU_CYCLE_1)
	s_fmamk_f32 s2, s12, 0xcf800000, s2
	s_cvt_u32_f32 s13, s12
	s_wait_alu 0xfffe
	s_cvt_u32_f32 s12, s2
	s_wait_alu 0xfffe
	s_delay_alu instid0(SALU_CYCLE_2) | instskip(NEXT) | instid1(SALU_CYCLE_1)
	s_mul_u64 s[18:19], s[16:17], s[12:13]
	s_mul_hi_u32 s23, s12, s19
	s_mul_i32 s22, s12, s19
	s_mul_hi_u32 s20, s12, s18
	s_mul_i32 s15, s13, s18
	s_add_nc_u64 s[22:23], s[20:21], s[22:23]
	s_mul_hi_u32 s2, s13, s18
	s_mul_hi_u32 s24, s13, s19
	s_add_co_u32 s15, s22, s15
	s_wait_alu 0xfffe
	s_add_co_ci_u32 s20, s23, s2
	s_mul_i32 s18, s13, s19
	s_add_co_ci_u32 s19, s24, 0
	s_delay_alu instid0(SALU_CYCLE_1) | instskip(NEXT) | instid1(SALU_CYCLE_1)
	s_add_nc_u64 s[18:19], s[20:21], s[18:19]
	s_add_co_u32 s12, s12, s18
	s_cselect_b32 s2, -1, 0
	s_wait_alu 0xfffe
	s_cmp_lg_u32 s2, 0
	s_add_co_ci_u32 s13, s13, s19
	s_wait_alu 0xfffe
	s_mul_u64 s[16:17], s[16:17], s[12:13]
	s_delay_alu instid0(SALU_CYCLE_1)
	s_mul_hi_u32 s19, s12, s17
	s_mul_i32 s18, s12, s17
	s_mul_hi_u32 s20, s12, s16
	s_mul_i32 s15, s13, s16
	s_add_nc_u64 s[18:19], s[20:21], s[18:19]
	s_mul_hi_u32 s2, s13, s16
	s_mul_hi_u32 s22, s13, s17
	s_add_co_u32 s15, s18, s15
	s_wait_alu 0xfffe
	s_add_co_ci_u32 s20, s19, s2
	s_mul_i32 s16, s13, s17
	s_add_co_ci_u32 s17, s22, 0
	s_delay_alu instid0(SALU_CYCLE_1) | instskip(NEXT) | instid1(SALU_CYCLE_1)
	s_add_nc_u64 s[16:17], s[20:21], s[16:17]
	s_add_co_u32 s2, s12, s16
	s_cselect_b32 s12, -1, 0
	s_wait_alu 0xfffe
	v_mul_hi_u32 v13, v11, s2
	s_cmp_lg_u32 s12, 0
	v_mad_co_u64_u32 v[6:7], null, v12, s2, 0
	s_add_co_ci_u32 s12, s13, s17
	s_wait_alu 0xfffe
	v_mad_co_u64_u32 v[4:5], null, v11, s12, 0
	v_mad_co_u64_u32 v[8:9], null, v12, s12, 0
	s_delay_alu instid0(VALU_DEP_2) | instskip(SKIP_1) | instid1(VALU_DEP_3)
	v_add_co_u32 v4, vcc_lo, v13, v4
	s_wait_alu 0xfffd
	v_add_co_ci_u32_e64 v5, null, 0, v5, vcc_lo
	s_delay_alu instid0(VALU_DEP_2) | instskip(SKIP_1) | instid1(VALU_DEP_2)
	v_add_co_u32 v4, vcc_lo, v4, v6
	s_wait_alu 0xfffd
	v_add_co_ci_u32_e32 v4, vcc_lo, v5, v7, vcc_lo
	s_wait_alu 0xfffd
	v_add_co_ci_u32_e32 v5, vcc_lo, 0, v9, vcc_lo
	s_delay_alu instid0(VALU_DEP_2) | instskip(SKIP_1) | instid1(VALU_DEP_2)
	v_add_co_u32 v4, vcc_lo, v4, v8
	s_wait_alu 0xfffd
	v_add_co_ci_u32_e64 v6, null, 0, v5, vcc_lo
	s_delay_alu instid0(VALU_DEP_2) | instskip(SKIP_1) | instid1(VALU_DEP_3)
	v_mul_lo_u32 v7, s11, v4
	v_mad_co_u64_u32 v[4:5], null, s10, v4, 0
	v_mul_lo_u32 v6, s10, v6
	s_delay_alu instid0(VALU_DEP_2) | instskip(NEXT) | instid1(VALU_DEP_2)
	v_sub_co_u32 v4, vcc_lo, v11, v4
	v_add3_u32 v5, v5, v6, v7
	s_delay_alu instid0(VALU_DEP_2) | instskip(NEXT) | instid1(VALU_DEP_2)
	v_cmp_le_u32_e64 s2, s10, v4
	v_sub_nc_u32_e32 v6, v12, v5
	s_wait_alu 0xfffd
	v_sub_co_ci_u32_e64 v5, null, v12, v5, vcc_lo
	s_wait_alu 0xf1ff
	v_cndmask_b32_e64 v9, 0, -1, s2
	v_subrev_co_ci_u32_e64 v6, null, s11, v6, vcc_lo
	v_sub_co_u32 v7, vcc_lo, v4, s10
	s_wait_alu 0xfffd
	s_delay_alu instid0(VALU_DEP_2) | instskip(NEXT) | instid1(VALU_DEP_2)
	v_subrev_co_ci_u32_e64 v8, null, 0, v6, vcc_lo
	v_cmp_le_u32_e64 s2, s10, v7
	v_subrev_co_ci_u32_e64 v6, null, s11, v6, vcc_lo
	v_cmp_le_u32_e32 vcc_lo, s11, v5
	s_wait_alu 0xf1ff
	s_delay_alu instid0(VALU_DEP_3)
	v_cndmask_b32_e64 v11, 0, -1, s2
	v_cmp_le_u32_e64 s2, s11, v8
	s_wait_alu 0xfffd
	v_cndmask_b32_e64 v13, 0, -1, vcc_lo
	v_cmp_eq_u32_e32 vcc_lo, s11, v8
	s_wait_alu 0xf1ff
	v_cndmask_b32_e64 v12, 0, -1, s2
	v_cmp_eq_u32_e64 s2, s11, v5
	s_wait_alu 0xfffd
	s_delay_alu instid0(VALU_DEP_2) | instskip(SKIP_3) | instid1(VALU_DEP_3)
	v_cndmask_b32_e32 v11, v12, v11, vcc_lo
	v_sub_co_u32 v12, vcc_lo, v7, s10
	s_wait_alu 0xfffd
	v_subrev_co_ci_u32_e64 v6, null, 0, v6, vcc_lo
	v_cmp_ne_u32_e32 vcc_lo, 0, v11
	s_wait_alu 0xf1ff
	v_cndmask_b32_e64 v9, v13, v9, s2
	s_wait_alu 0xfffd
	v_dual_cndmask_b32 v6, v8, v6 :: v_dual_cndmask_b32 v7, v7, v12
	s_delay_alu instid0(VALU_DEP_2) | instskip(SKIP_1) | instid1(VALU_DEP_2)
	v_cmp_ne_u32_e32 vcc_lo, 0, v9
	s_wait_alu 0xfffd
	v_dual_cndmask_b32 v5, v5, v6 :: v_dual_cndmask_b32 v4, v4, v7
	s_delay_alu instid0(VALU_DEP_1) | instskip(NEXT) | instid1(VALU_DEP_2)
	v_xor_b32_e32 v5, v5, v10
	v_xor_b32_e32 v4, v4, v10
	s_delay_alu instid0(VALU_DEP_1) | instskip(SKIP_1) | instid1(VALU_DEP_3)
	v_sub_co_u32 v6, vcc_lo, v4, v10
	s_wait_alu 0xfffd
	v_sub_co_ci_u32_e64 v7, null, v5, v10, vcc_lo
                                        ; implicit-def: $vgpr4_vgpr5
.LBB81_46:
	s_wait_alu 0xfffe
	s_and_not1_saveexec_b32 s2, s3
	s_cbranch_execz .LBB81_48
; %bb.47:
	v_cvt_f32_u32_e32 v5, s8
	s_sub_co_i32 s3, 0, s8
	v_mov_b32_e32 v7, 0
	s_delay_alu instid0(VALU_DEP_2) | instskip(NEXT) | instid1(TRANS32_DEP_1)
	v_rcp_iflag_f32_e32 v5, v5
	v_mul_f32_e32 v5, 0x4f7ffffe, v5
	s_delay_alu instid0(VALU_DEP_1) | instskip(SKIP_1) | instid1(VALU_DEP_1)
	v_cvt_u32_f32_e32 v5, v5
	s_wait_alu 0xfffe
	v_mul_lo_u32 v6, s3, v5
	s_delay_alu instid0(VALU_DEP_1) | instskip(NEXT) | instid1(VALU_DEP_1)
	v_mul_hi_u32 v6, v5, v6
	v_add_nc_u32_e32 v5, v5, v6
	s_delay_alu instid0(VALU_DEP_1) | instskip(NEXT) | instid1(VALU_DEP_1)
	v_mul_hi_u32 v5, v4, v5
	v_mul_lo_u32 v5, v5, s8
	s_delay_alu instid0(VALU_DEP_1) | instskip(NEXT) | instid1(VALU_DEP_1)
	v_sub_nc_u32_e32 v4, v4, v5
	v_subrev_nc_u32_e32 v5, s8, v4
	v_cmp_le_u32_e32 vcc_lo, s8, v4
	s_wait_alu 0xfffd
	s_delay_alu instid0(VALU_DEP_2) | instskip(NEXT) | instid1(VALU_DEP_1)
	v_cndmask_b32_e32 v4, v4, v5, vcc_lo
	v_subrev_nc_u32_e32 v5, s8, v4
	v_cmp_le_u32_e32 vcc_lo, s8, v4
	s_wait_alu 0xfffd
	s_delay_alu instid0(VALU_DEP_2)
	v_cndmask_b32_e32 v6, v4, v5, vcc_lo
.LBB81_48:
	s_wait_alu 0xfffe
	s_or_b32 exec_lo, exec_lo, s2
	v_mad_co_u64_u32 v[4:5], null, 0x70, s4, v[0:1]
	s_mul_u64 s[6:7], s[8:9], s[6:7]
	v_mad_co_u64_u32 v[8:9], null, 0x70, s5, v[5:6]
	s_delay_alu instid0(VALU_DEP_1)
	v_mov_b32_e32 v5, v8
	global_store_b64 v[4:5], v[6:7], off
	s_cmp_lt_i32 s14, 14
	s_cbranch_scc1 .LBB81_12
.LBB81_49:
	s_load_b64 s[8:9], s[0:1], 0x70
	s_wait_loadcnt 0x0
	v_or_b32_e32 v5, s7, v3
	v_mov_b32_e32 v4, 0
	s_delay_alu instid0(VALU_DEP_1)
	v_cmp_ne_u64_e32 vcc_lo, 0, v[4:5]
                                        ; implicit-def: $vgpr4_vgpr5
	s_and_saveexec_b32 s2, vcc_lo
	s_wait_alu 0xfffe
	s_xor_b32 s3, exec_lo, s2
	s_cbranch_execz .LBB81_51
; %bb.50:
	s_ashr_i32 s10, s7, 31
	s_mov_b32 s23, 0
	s_wait_alu 0xfffe
	s_mov_b32 s11, s10
	v_ashrrev_i32_e32 v10, 31, v3
	s_wait_alu 0xfffe
	s_add_nc_u64 s[12:13], s[6:7], s[10:11]
	s_wait_alu 0xfffe
	s_xor_b64 s[12:13], s[12:13], s[10:11]
	v_add_co_u32 v4, vcc_lo, v2, v10
	s_wait_alu 0xfffe
	s_cvt_f32_u32 s2, s12
	s_cvt_f32_u32 s11, s13
	s_sub_nc_u64 s[18:19], 0, s[12:13]
	s_wait_alu 0xfffd
	v_add_co_ci_u32_e64 v5, null, v3, v10, vcc_lo
	s_wait_alu 0xfffe
	s_fmamk_f32 s2, s11, 0x4f800000, s2
	v_xor_b32_e32 v11, v4, v10
	s_delay_alu instid0(VALU_DEP_2) | instskip(SKIP_2) | instid1(TRANS32_DEP_1)
	v_xor_b32_e32 v12, v5, v10
	s_wait_alu 0xfffe
	v_s_rcp_f32 s2, s2
	s_mul_f32 s2, s2, 0x5f7ffffc
	s_wait_alu 0xfffe
	s_delay_alu instid0(SALU_CYCLE_2) | instskip(SKIP_1) | instid1(SALU_CYCLE_2)
	s_mul_f32 s11, s2, 0x2f800000
	s_wait_alu 0xfffe
	s_trunc_f32 s11, s11
	s_wait_alu 0xfffe
	s_delay_alu instid0(SALU_CYCLE_2) | instskip(SKIP_2) | instid1(SALU_CYCLE_1)
	s_fmamk_f32 s2, s11, 0xcf800000, s2
	s_cvt_u32_f32 s17, s11
	s_wait_alu 0xfffe
	s_cvt_u32_f32 s16, s2
	s_delay_alu instid0(SALU_CYCLE_3) | instskip(NEXT) | instid1(SALU_CYCLE_1)
	s_mul_u64 s[20:21], s[18:19], s[16:17]
	s_mul_hi_u32 s25, s16, s21
	s_mul_i32 s24, s16, s21
	s_mul_hi_u32 s22, s16, s20
	s_mul_i32 s11, s17, s20
	s_add_nc_u64 s[24:25], s[22:23], s[24:25]
	s_mul_hi_u32 s2, s17, s20
	s_mul_hi_u32 s15, s17, s21
	s_wait_alu 0xfffe
	s_add_co_u32 s11, s24, s11
	s_add_co_ci_u32 s22, s25, s2
	s_mul_i32 s20, s17, s21
	s_add_co_ci_u32 s21, s15, 0
	s_delay_alu instid0(SALU_CYCLE_1) | instskip(NEXT) | instid1(SALU_CYCLE_1)
	s_add_nc_u64 s[20:21], s[22:23], s[20:21]
	s_add_co_u32 s16, s16, s20
	s_cselect_b32 s2, -1, 0
	s_wait_alu 0xfffe
	s_cmp_lg_u32 s2, 0
	s_add_co_ci_u32 s17, s17, s21
	s_delay_alu instid0(SALU_CYCLE_1) | instskip(NEXT) | instid1(SALU_CYCLE_1)
	s_mul_u64 s[18:19], s[18:19], s[16:17]
	s_mul_hi_u32 s21, s16, s19
	s_mul_i32 s20, s16, s19
	s_mul_hi_u32 s22, s16, s18
	s_mul_i32 s11, s17, s18
	s_add_nc_u64 s[20:21], s[22:23], s[20:21]
	s_mul_hi_u32 s2, s17, s18
	s_mul_hi_u32 s15, s17, s19
	s_wait_alu 0xfffe
	s_add_co_u32 s11, s20, s11
	s_add_co_ci_u32 s22, s21, s2
	s_mul_i32 s18, s17, s19
	s_add_co_ci_u32 s19, s15, 0
	s_delay_alu instid0(SALU_CYCLE_1) | instskip(NEXT) | instid1(SALU_CYCLE_1)
	s_add_nc_u64 s[18:19], s[22:23], s[18:19]
	s_add_co_u32 s2, s16, s18
	s_cselect_b32 s11, -1, 0
	s_wait_alu 0xfffe
	v_mul_hi_u32 v13, v11, s2
	s_cmp_lg_u32 s11, 0
	v_mad_co_u64_u32 v[6:7], null, v12, s2, 0
	s_add_co_ci_u32 s11, s17, s19
	s_wait_alu 0xfffe
	v_mad_co_u64_u32 v[4:5], null, v11, s11, 0
	v_mad_co_u64_u32 v[8:9], null, v12, s11, 0
	s_delay_alu instid0(VALU_DEP_2) | instskip(SKIP_1) | instid1(VALU_DEP_3)
	v_add_co_u32 v4, vcc_lo, v13, v4
	s_wait_alu 0xfffd
	v_add_co_ci_u32_e64 v5, null, 0, v5, vcc_lo
	s_delay_alu instid0(VALU_DEP_2) | instskip(SKIP_1) | instid1(VALU_DEP_2)
	v_add_co_u32 v4, vcc_lo, v4, v6
	s_wait_alu 0xfffd
	v_add_co_ci_u32_e32 v4, vcc_lo, v5, v7, vcc_lo
	s_wait_alu 0xfffd
	v_add_co_ci_u32_e32 v5, vcc_lo, 0, v9, vcc_lo
	s_delay_alu instid0(VALU_DEP_2) | instskip(SKIP_1) | instid1(VALU_DEP_2)
	v_add_co_u32 v6, vcc_lo, v4, v8
	s_wait_alu 0xfffd
	v_add_co_ci_u32_e64 v7, null, 0, v5, vcc_lo
	s_delay_alu instid0(VALU_DEP_2) | instskip(SKIP_1) | instid1(VALU_DEP_3)
	v_mul_lo_u32 v8, s13, v6
	v_mad_co_u64_u32 v[4:5], null, s12, v6, 0
	v_mul_lo_u32 v9, s12, v7
	s_delay_alu instid0(VALU_DEP_2) | instskip(NEXT) | instid1(VALU_DEP_2)
	v_sub_co_u32 v4, vcc_lo, v11, v4
	v_add3_u32 v5, v5, v9, v8
	v_add_co_u32 v9, s2, v6, 2
	s_wait_alu 0xf1ff
	v_add_co_ci_u32_e64 v11, null, 0, v7, s2
	s_delay_alu instid0(VALU_DEP_3) | instskip(SKIP_3) | instid1(VALU_DEP_3)
	v_sub_nc_u32_e32 v8, v12, v5
	v_sub_co_u32 v13, s2, v4, s12
	s_wait_alu 0xfffd
	v_sub_co_ci_u32_e64 v5, null, v12, v5, vcc_lo
	v_subrev_co_ci_u32_e64 v8, null, s13, v8, vcc_lo
	s_delay_alu instid0(VALU_DEP_3) | instskip(SKIP_1) | instid1(VALU_DEP_2)
	v_cmp_le_u32_e32 vcc_lo, s12, v13
	s_wait_alu 0xf1ff
	v_subrev_co_ci_u32_e64 v8, null, 0, v8, s2
	s_wait_alu 0xfffd
	v_cndmask_b32_e64 v12, 0, -1, vcc_lo
	s_delay_alu instid0(VALU_DEP_2)
	v_cmp_le_u32_e32 vcc_lo, s13, v8
	s_wait_alu 0xfffd
	v_cndmask_b32_e64 v13, 0, -1, vcc_lo
	v_cmp_le_u32_e32 vcc_lo, s12, v4
	s_wait_alu 0xfffd
	v_cndmask_b32_e64 v4, 0, -1, vcc_lo
	;; [unrolled: 3-line block ×3, first 2 shown]
	v_cmp_eq_u32_e32 vcc_lo, s13, v8
	s_wait_alu 0xfffd
	v_cndmask_b32_e32 v8, v13, v12, vcc_lo
	v_add_co_u32 v12, vcc_lo, v6, 1
	s_wait_alu 0xfffd
	v_add_co_ci_u32_e64 v13, null, 0, v7, vcc_lo
	v_cmp_eq_u32_e32 vcc_lo, s13, v5
	s_wait_alu 0xfffd
	v_cndmask_b32_e32 v4, v14, v4, vcc_lo
	v_cmp_ne_u32_e32 vcc_lo, 0, v8
	v_xor_b32_e32 v8, s10, v10
	s_wait_alu 0xfffd
	v_cndmask_b32_e32 v5, v13, v11, vcc_lo
	v_cmp_ne_u32_e64 s2, 0, v4
	v_cndmask_b32_e32 v4, v12, v9, vcc_lo
	s_wait_alu 0xf1ff
	s_delay_alu instid0(VALU_DEP_2) | instskip(NEXT) | instid1(VALU_DEP_2)
	v_cndmask_b32_e64 v5, v7, v5, s2
	v_cndmask_b32_e64 v4, v6, v4, s2
	s_delay_alu instid0(VALU_DEP_2) | instskip(NEXT) | instid1(VALU_DEP_2)
	v_xor_b32_e32 v5, v5, v8
	v_xor_b32_e32 v4, v4, v8
	s_delay_alu instid0(VALU_DEP_1) | instskip(SKIP_1) | instid1(VALU_DEP_3)
	v_sub_co_u32 v4, vcc_lo, v4, v8
	s_wait_alu 0xfffd
	v_sub_co_ci_u32_e64 v5, null, v5, v8, vcc_lo
.LBB81_51:
	s_wait_alu 0xfffe
	s_and_not1_saveexec_b32 s2, s3
	s_cbranch_execz .LBB81_53
; %bb.52:
	v_cvt_f32_u32_e32 v4, s6
	s_sub_co_i32 s3, 0, s6
	s_delay_alu instid0(VALU_DEP_1) | instskip(NEXT) | instid1(TRANS32_DEP_1)
	v_rcp_iflag_f32_e32 v4, v4
	v_mul_f32_e32 v4, 0x4f7ffffe, v4
	s_delay_alu instid0(VALU_DEP_1) | instskip(SKIP_1) | instid1(VALU_DEP_1)
	v_cvt_u32_f32_e32 v4, v4
	s_wait_alu 0xfffe
	v_mul_lo_u32 v5, s3, v4
	s_delay_alu instid0(VALU_DEP_1) | instskip(NEXT) | instid1(VALU_DEP_1)
	v_mul_hi_u32 v5, v4, v5
	v_add_nc_u32_e32 v4, v4, v5
	s_delay_alu instid0(VALU_DEP_1) | instskip(NEXT) | instid1(VALU_DEP_1)
	v_mul_hi_u32 v4, v2, v4
	v_mul_lo_u32 v5, v4, s6
	v_add_nc_u32_e32 v6, 1, v4
	s_delay_alu instid0(VALU_DEP_2) | instskip(NEXT) | instid1(VALU_DEP_1)
	v_sub_nc_u32_e32 v5, v2, v5
	v_subrev_nc_u32_e32 v7, s6, v5
	v_cmp_le_u32_e32 vcc_lo, s6, v5
	s_wait_alu 0xfffd
	s_delay_alu instid0(VALU_DEP_2) | instskip(NEXT) | instid1(VALU_DEP_1)
	v_dual_cndmask_b32 v5, v5, v7 :: v_dual_cndmask_b32 v4, v4, v6
	v_cmp_le_u32_e32 vcc_lo, s6, v5
	s_delay_alu instid0(VALU_DEP_2) | instskip(SKIP_1) | instid1(VALU_DEP_1)
	v_dual_mov_b32 v5, 0 :: v_dual_add_nc_u32 v6, 1, v4
	s_wait_alu 0xfffd
	v_cndmask_b32_e32 v4, v4, v6, vcc_lo
.LBB81_53:
	s_wait_alu 0xfffe
	s_or_b32 exec_lo, exec_lo, s2
	s_wait_kmcnt 0x0
	v_or_b32_e32 v7, s9, v5
	v_mov_b32_e32 v6, 0
	s_delay_alu instid0(VALU_DEP_1)
	v_cmp_ne_u64_e32 vcc_lo, 0, v[6:7]
                                        ; implicit-def: $vgpr6_vgpr7
	s_and_saveexec_b32 s2, vcc_lo
	s_wait_alu 0xfffe
	s_xor_b32 s3, exec_lo, s2
	s_cbranch_execz .LBB81_55
; %bb.54:
	s_ashr_i32 s10, s9, 31
	s_mov_b32 s21, 0
	s_wait_alu 0xfffe
	s_mov_b32 s11, s10
	v_ashrrev_i32_e32 v10, 31, v5
	s_wait_alu 0xfffe
	s_add_nc_u64 s[12:13], s[8:9], s[10:11]
	s_wait_alu 0xfffe
	s_xor_b64 s[10:11], s[12:13], s[10:11]
	v_add_co_u32 v4, vcc_lo, v4, v10
	s_wait_alu 0xfffe
	s_cvt_f32_u32 s2, s10
	s_cvt_f32_u32 s12, s11
	s_sub_nc_u64 s[16:17], 0, s[10:11]
	s_wait_alu 0xfffd
	v_add_co_ci_u32_e64 v5, null, v5, v10, vcc_lo
	s_wait_alu 0xfffe
	s_fmamk_f32 s2, s12, 0x4f800000, s2
	v_xor_b32_e32 v11, v4, v10
	s_delay_alu instid0(VALU_DEP_2) | instskip(SKIP_2) | instid1(TRANS32_DEP_1)
	v_xor_b32_e32 v12, v5, v10
	s_wait_alu 0xfffe
	v_s_rcp_f32 s2, s2
	s_mul_f32 s2, s2, 0x5f7ffffc
	s_wait_alu 0xfffe
	s_delay_alu instid0(SALU_CYCLE_2) | instskip(SKIP_1) | instid1(SALU_CYCLE_2)
	s_mul_f32 s12, s2, 0x2f800000
	s_wait_alu 0xfffe
	s_trunc_f32 s12, s12
	s_wait_alu 0xfffe
	s_delay_alu instid0(SALU_CYCLE_2) | instskip(SKIP_2) | instid1(SALU_CYCLE_1)
	s_fmamk_f32 s2, s12, 0xcf800000, s2
	s_cvt_u32_f32 s13, s12
	s_wait_alu 0xfffe
	s_cvt_u32_f32 s12, s2
	s_wait_alu 0xfffe
	s_delay_alu instid0(SALU_CYCLE_2) | instskip(NEXT) | instid1(SALU_CYCLE_1)
	s_mul_u64 s[18:19], s[16:17], s[12:13]
	s_mul_hi_u32 s23, s12, s19
	s_mul_i32 s22, s12, s19
	s_mul_hi_u32 s20, s12, s18
	s_mul_i32 s15, s13, s18
	s_add_nc_u64 s[22:23], s[20:21], s[22:23]
	s_mul_hi_u32 s2, s13, s18
	s_mul_hi_u32 s24, s13, s19
	s_add_co_u32 s15, s22, s15
	s_wait_alu 0xfffe
	s_add_co_ci_u32 s20, s23, s2
	s_mul_i32 s18, s13, s19
	s_add_co_ci_u32 s19, s24, 0
	s_delay_alu instid0(SALU_CYCLE_1) | instskip(NEXT) | instid1(SALU_CYCLE_1)
	s_add_nc_u64 s[18:19], s[20:21], s[18:19]
	s_add_co_u32 s12, s12, s18
	s_cselect_b32 s2, -1, 0
	s_wait_alu 0xfffe
	s_cmp_lg_u32 s2, 0
	s_add_co_ci_u32 s13, s13, s19
	s_wait_alu 0xfffe
	s_mul_u64 s[16:17], s[16:17], s[12:13]
	s_delay_alu instid0(SALU_CYCLE_1)
	s_mul_hi_u32 s19, s12, s17
	s_mul_i32 s18, s12, s17
	s_mul_hi_u32 s20, s12, s16
	s_mul_i32 s15, s13, s16
	s_add_nc_u64 s[18:19], s[20:21], s[18:19]
	s_mul_hi_u32 s2, s13, s16
	s_mul_hi_u32 s22, s13, s17
	s_add_co_u32 s15, s18, s15
	s_wait_alu 0xfffe
	s_add_co_ci_u32 s20, s19, s2
	s_mul_i32 s16, s13, s17
	s_add_co_ci_u32 s17, s22, 0
	s_delay_alu instid0(SALU_CYCLE_1) | instskip(NEXT) | instid1(SALU_CYCLE_1)
	s_add_nc_u64 s[16:17], s[20:21], s[16:17]
	s_add_co_u32 s2, s12, s16
	s_cselect_b32 s12, -1, 0
	s_wait_alu 0xfffe
	v_mul_hi_u32 v13, v11, s2
	s_cmp_lg_u32 s12, 0
	v_mad_co_u64_u32 v[6:7], null, v12, s2, 0
	s_add_co_ci_u32 s12, s13, s17
	s_wait_alu 0xfffe
	v_mad_co_u64_u32 v[4:5], null, v11, s12, 0
	v_mad_co_u64_u32 v[8:9], null, v12, s12, 0
	s_delay_alu instid0(VALU_DEP_2) | instskip(SKIP_1) | instid1(VALU_DEP_3)
	v_add_co_u32 v4, vcc_lo, v13, v4
	s_wait_alu 0xfffd
	v_add_co_ci_u32_e64 v5, null, 0, v5, vcc_lo
	s_delay_alu instid0(VALU_DEP_2) | instskip(SKIP_1) | instid1(VALU_DEP_2)
	v_add_co_u32 v4, vcc_lo, v4, v6
	s_wait_alu 0xfffd
	v_add_co_ci_u32_e32 v4, vcc_lo, v5, v7, vcc_lo
	s_wait_alu 0xfffd
	v_add_co_ci_u32_e32 v5, vcc_lo, 0, v9, vcc_lo
	s_delay_alu instid0(VALU_DEP_2) | instskip(SKIP_1) | instid1(VALU_DEP_2)
	v_add_co_u32 v4, vcc_lo, v4, v8
	s_wait_alu 0xfffd
	v_add_co_ci_u32_e64 v6, null, 0, v5, vcc_lo
	s_delay_alu instid0(VALU_DEP_2) | instskip(SKIP_1) | instid1(VALU_DEP_3)
	v_mul_lo_u32 v7, s11, v4
	v_mad_co_u64_u32 v[4:5], null, s10, v4, 0
	v_mul_lo_u32 v6, s10, v6
	s_delay_alu instid0(VALU_DEP_2) | instskip(NEXT) | instid1(VALU_DEP_2)
	v_sub_co_u32 v4, vcc_lo, v11, v4
	v_add3_u32 v5, v5, v6, v7
	s_delay_alu instid0(VALU_DEP_2) | instskip(NEXT) | instid1(VALU_DEP_2)
	v_cmp_le_u32_e64 s2, s10, v4
	v_sub_nc_u32_e32 v6, v12, v5
	s_wait_alu 0xfffd
	v_sub_co_ci_u32_e64 v5, null, v12, v5, vcc_lo
	s_wait_alu 0xf1ff
	v_cndmask_b32_e64 v9, 0, -1, s2
	v_subrev_co_ci_u32_e64 v6, null, s11, v6, vcc_lo
	v_sub_co_u32 v7, vcc_lo, v4, s10
	s_wait_alu 0xfffd
	s_delay_alu instid0(VALU_DEP_2) | instskip(NEXT) | instid1(VALU_DEP_2)
	v_subrev_co_ci_u32_e64 v8, null, 0, v6, vcc_lo
	v_cmp_le_u32_e64 s2, s10, v7
	v_subrev_co_ci_u32_e64 v6, null, s11, v6, vcc_lo
	v_cmp_le_u32_e32 vcc_lo, s11, v5
	s_wait_alu 0xf1ff
	s_delay_alu instid0(VALU_DEP_3)
	v_cndmask_b32_e64 v11, 0, -1, s2
	v_cmp_le_u32_e64 s2, s11, v8
	s_wait_alu 0xfffd
	v_cndmask_b32_e64 v13, 0, -1, vcc_lo
	v_cmp_eq_u32_e32 vcc_lo, s11, v8
	s_wait_alu 0xf1ff
	v_cndmask_b32_e64 v12, 0, -1, s2
	v_cmp_eq_u32_e64 s2, s11, v5
	s_wait_alu 0xfffd
	s_delay_alu instid0(VALU_DEP_2) | instskip(SKIP_3) | instid1(VALU_DEP_3)
	v_cndmask_b32_e32 v11, v12, v11, vcc_lo
	v_sub_co_u32 v12, vcc_lo, v7, s10
	s_wait_alu 0xfffd
	v_subrev_co_ci_u32_e64 v6, null, 0, v6, vcc_lo
	v_cmp_ne_u32_e32 vcc_lo, 0, v11
	s_wait_alu 0xf1ff
	v_cndmask_b32_e64 v9, v13, v9, s2
	s_wait_alu 0xfffd
	v_dual_cndmask_b32 v6, v8, v6 :: v_dual_cndmask_b32 v7, v7, v12
	s_delay_alu instid0(VALU_DEP_2) | instskip(SKIP_1) | instid1(VALU_DEP_2)
	v_cmp_ne_u32_e32 vcc_lo, 0, v9
	s_wait_alu 0xfffd
	v_dual_cndmask_b32 v5, v5, v6 :: v_dual_cndmask_b32 v4, v4, v7
	s_delay_alu instid0(VALU_DEP_1) | instskip(NEXT) | instid1(VALU_DEP_2)
	v_xor_b32_e32 v5, v5, v10
	v_xor_b32_e32 v4, v4, v10
	s_delay_alu instid0(VALU_DEP_1) | instskip(SKIP_1) | instid1(VALU_DEP_3)
	v_sub_co_u32 v6, vcc_lo, v4, v10
	s_wait_alu 0xfffd
	v_sub_co_ci_u32_e64 v7, null, v5, v10, vcc_lo
                                        ; implicit-def: $vgpr4_vgpr5
.LBB81_55:
	s_wait_alu 0xfffe
	s_and_not1_saveexec_b32 s2, s3
	s_cbranch_execz .LBB81_57
; %bb.56:
	v_cvt_f32_u32_e32 v5, s8
	s_sub_co_i32 s3, 0, s8
	v_mov_b32_e32 v7, 0
	s_delay_alu instid0(VALU_DEP_2) | instskip(NEXT) | instid1(TRANS32_DEP_1)
	v_rcp_iflag_f32_e32 v5, v5
	v_mul_f32_e32 v5, 0x4f7ffffe, v5
	s_delay_alu instid0(VALU_DEP_1) | instskip(SKIP_1) | instid1(VALU_DEP_1)
	v_cvt_u32_f32_e32 v5, v5
	s_wait_alu 0xfffe
	v_mul_lo_u32 v6, s3, v5
	s_delay_alu instid0(VALU_DEP_1) | instskip(NEXT) | instid1(VALU_DEP_1)
	v_mul_hi_u32 v6, v5, v6
	v_add_nc_u32_e32 v5, v5, v6
	s_delay_alu instid0(VALU_DEP_1) | instskip(NEXT) | instid1(VALU_DEP_1)
	v_mul_hi_u32 v5, v4, v5
	v_mul_lo_u32 v5, v5, s8
	s_delay_alu instid0(VALU_DEP_1) | instskip(NEXT) | instid1(VALU_DEP_1)
	v_sub_nc_u32_e32 v4, v4, v5
	v_subrev_nc_u32_e32 v5, s8, v4
	v_cmp_le_u32_e32 vcc_lo, s8, v4
	s_wait_alu 0xfffd
	s_delay_alu instid0(VALU_DEP_2) | instskip(NEXT) | instid1(VALU_DEP_1)
	v_cndmask_b32_e32 v4, v4, v5, vcc_lo
	v_subrev_nc_u32_e32 v5, s8, v4
	v_cmp_le_u32_e32 vcc_lo, s8, v4
	s_wait_alu 0xfffd
	s_delay_alu instid0(VALU_DEP_2)
	v_cndmask_b32_e32 v6, v4, v5, vcc_lo
.LBB81_57:
	s_wait_alu 0xfffe
	s_or_b32 exec_lo, exec_lo, s2
	v_mad_co_u64_u32 v[4:5], null, 0x68, s4, v[0:1]
	s_mul_u64 s[6:7], s[8:9], s[6:7]
	v_mad_co_u64_u32 v[8:9], null, 0x68, s5, v[5:6]
	s_delay_alu instid0(VALU_DEP_1)
	v_mov_b32_e32 v5, v8
	global_store_b64 v[4:5], v[6:7], off
	s_cmp_lt_i32 s14, 13
	s_cbranch_scc1 .LBB81_13
.LBB81_58:
	s_load_b64 s[8:9], s[0:1], 0x68
	s_wait_loadcnt 0x0
	v_or_b32_e32 v5, s7, v3
	v_mov_b32_e32 v4, 0
	s_delay_alu instid0(VALU_DEP_1)
	v_cmp_ne_u64_e32 vcc_lo, 0, v[4:5]
                                        ; implicit-def: $vgpr4_vgpr5
	s_and_saveexec_b32 s2, vcc_lo
	s_wait_alu 0xfffe
	s_xor_b32 s3, exec_lo, s2
	s_cbranch_execz .LBB81_60
; %bb.59:
	s_ashr_i32 s10, s7, 31
	s_mov_b32 s23, 0
	s_wait_alu 0xfffe
	s_mov_b32 s11, s10
	v_ashrrev_i32_e32 v10, 31, v3
	s_wait_alu 0xfffe
	s_add_nc_u64 s[12:13], s[6:7], s[10:11]
	s_wait_alu 0xfffe
	s_xor_b64 s[12:13], s[12:13], s[10:11]
	v_add_co_u32 v4, vcc_lo, v2, v10
	s_wait_alu 0xfffe
	s_cvt_f32_u32 s2, s12
	s_cvt_f32_u32 s11, s13
	s_sub_nc_u64 s[18:19], 0, s[12:13]
	s_wait_alu 0xfffd
	v_add_co_ci_u32_e64 v5, null, v3, v10, vcc_lo
	s_wait_alu 0xfffe
	s_fmamk_f32 s2, s11, 0x4f800000, s2
	v_xor_b32_e32 v11, v4, v10
	s_delay_alu instid0(VALU_DEP_2) | instskip(SKIP_2) | instid1(TRANS32_DEP_1)
	v_xor_b32_e32 v12, v5, v10
	s_wait_alu 0xfffe
	v_s_rcp_f32 s2, s2
	s_mul_f32 s2, s2, 0x5f7ffffc
	s_wait_alu 0xfffe
	s_delay_alu instid0(SALU_CYCLE_2) | instskip(SKIP_1) | instid1(SALU_CYCLE_2)
	s_mul_f32 s11, s2, 0x2f800000
	s_wait_alu 0xfffe
	s_trunc_f32 s11, s11
	s_wait_alu 0xfffe
	s_delay_alu instid0(SALU_CYCLE_2) | instskip(SKIP_2) | instid1(SALU_CYCLE_1)
	s_fmamk_f32 s2, s11, 0xcf800000, s2
	s_cvt_u32_f32 s17, s11
	s_wait_alu 0xfffe
	s_cvt_u32_f32 s16, s2
	s_delay_alu instid0(SALU_CYCLE_3) | instskip(NEXT) | instid1(SALU_CYCLE_1)
	s_mul_u64 s[20:21], s[18:19], s[16:17]
	s_mul_hi_u32 s25, s16, s21
	s_mul_i32 s24, s16, s21
	s_mul_hi_u32 s22, s16, s20
	s_mul_i32 s11, s17, s20
	s_add_nc_u64 s[24:25], s[22:23], s[24:25]
	s_mul_hi_u32 s2, s17, s20
	s_mul_hi_u32 s15, s17, s21
	s_wait_alu 0xfffe
	s_add_co_u32 s11, s24, s11
	s_add_co_ci_u32 s22, s25, s2
	s_mul_i32 s20, s17, s21
	s_add_co_ci_u32 s21, s15, 0
	s_delay_alu instid0(SALU_CYCLE_1) | instskip(NEXT) | instid1(SALU_CYCLE_1)
	s_add_nc_u64 s[20:21], s[22:23], s[20:21]
	s_add_co_u32 s16, s16, s20
	s_cselect_b32 s2, -1, 0
	s_wait_alu 0xfffe
	s_cmp_lg_u32 s2, 0
	s_add_co_ci_u32 s17, s17, s21
	s_delay_alu instid0(SALU_CYCLE_1) | instskip(NEXT) | instid1(SALU_CYCLE_1)
	s_mul_u64 s[18:19], s[18:19], s[16:17]
	s_mul_hi_u32 s21, s16, s19
	s_mul_i32 s20, s16, s19
	s_mul_hi_u32 s22, s16, s18
	s_mul_i32 s11, s17, s18
	s_add_nc_u64 s[20:21], s[22:23], s[20:21]
	s_mul_hi_u32 s2, s17, s18
	s_mul_hi_u32 s15, s17, s19
	s_wait_alu 0xfffe
	s_add_co_u32 s11, s20, s11
	s_add_co_ci_u32 s22, s21, s2
	s_mul_i32 s18, s17, s19
	s_add_co_ci_u32 s19, s15, 0
	s_delay_alu instid0(SALU_CYCLE_1) | instskip(NEXT) | instid1(SALU_CYCLE_1)
	s_add_nc_u64 s[18:19], s[22:23], s[18:19]
	s_add_co_u32 s2, s16, s18
	s_cselect_b32 s11, -1, 0
	s_wait_alu 0xfffe
	v_mul_hi_u32 v13, v11, s2
	s_cmp_lg_u32 s11, 0
	v_mad_co_u64_u32 v[6:7], null, v12, s2, 0
	s_add_co_ci_u32 s11, s17, s19
	s_wait_alu 0xfffe
	v_mad_co_u64_u32 v[4:5], null, v11, s11, 0
	v_mad_co_u64_u32 v[8:9], null, v12, s11, 0
	s_delay_alu instid0(VALU_DEP_2) | instskip(SKIP_1) | instid1(VALU_DEP_3)
	v_add_co_u32 v4, vcc_lo, v13, v4
	s_wait_alu 0xfffd
	v_add_co_ci_u32_e64 v5, null, 0, v5, vcc_lo
	s_delay_alu instid0(VALU_DEP_2) | instskip(SKIP_1) | instid1(VALU_DEP_2)
	v_add_co_u32 v4, vcc_lo, v4, v6
	s_wait_alu 0xfffd
	v_add_co_ci_u32_e32 v4, vcc_lo, v5, v7, vcc_lo
	s_wait_alu 0xfffd
	v_add_co_ci_u32_e32 v5, vcc_lo, 0, v9, vcc_lo
	s_delay_alu instid0(VALU_DEP_2) | instskip(SKIP_1) | instid1(VALU_DEP_2)
	v_add_co_u32 v6, vcc_lo, v4, v8
	s_wait_alu 0xfffd
	v_add_co_ci_u32_e64 v7, null, 0, v5, vcc_lo
	s_delay_alu instid0(VALU_DEP_2) | instskip(SKIP_1) | instid1(VALU_DEP_3)
	v_mul_lo_u32 v8, s13, v6
	v_mad_co_u64_u32 v[4:5], null, s12, v6, 0
	v_mul_lo_u32 v9, s12, v7
	s_delay_alu instid0(VALU_DEP_2) | instskip(NEXT) | instid1(VALU_DEP_2)
	v_sub_co_u32 v4, vcc_lo, v11, v4
	v_add3_u32 v5, v5, v9, v8
	v_add_co_u32 v9, s2, v6, 2
	s_wait_alu 0xf1ff
	v_add_co_ci_u32_e64 v11, null, 0, v7, s2
	s_delay_alu instid0(VALU_DEP_3) | instskip(SKIP_3) | instid1(VALU_DEP_3)
	v_sub_nc_u32_e32 v8, v12, v5
	v_sub_co_u32 v13, s2, v4, s12
	s_wait_alu 0xfffd
	v_sub_co_ci_u32_e64 v5, null, v12, v5, vcc_lo
	v_subrev_co_ci_u32_e64 v8, null, s13, v8, vcc_lo
	s_delay_alu instid0(VALU_DEP_3) | instskip(SKIP_1) | instid1(VALU_DEP_2)
	v_cmp_le_u32_e32 vcc_lo, s12, v13
	s_wait_alu 0xf1ff
	v_subrev_co_ci_u32_e64 v8, null, 0, v8, s2
	s_wait_alu 0xfffd
	v_cndmask_b32_e64 v12, 0, -1, vcc_lo
	s_delay_alu instid0(VALU_DEP_2)
	v_cmp_le_u32_e32 vcc_lo, s13, v8
	s_wait_alu 0xfffd
	v_cndmask_b32_e64 v13, 0, -1, vcc_lo
	v_cmp_le_u32_e32 vcc_lo, s12, v4
	s_wait_alu 0xfffd
	v_cndmask_b32_e64 v4, 0, -1, vcc_lo
	;; [unrolled: 3-line block ×3, first 2 shown]
	v_cmp_eq_u32_e32 vcc_lo, s13, v8
	s_wait_alu 0xfffd
	v_cndmask_b32_e32 v8, v13, v12, vcc_lo
	v_add_co_u32 v12, vcc_lo, v6, 1
	s_wait_alu 0xfffd
	v_add_co_ci_u32_e64 v13, null, 0, v7, vcc_lo
	v_cmp_eq_u32_e32 vcc_lo, s13, v5
	s_wait_alu 0xfffd
	v_cndmask_b32_e32 v4, v14, v4, vcc_lo
	v_cmp_ne_u32_e32 vcc_lo, 0, v8
	v_xor_b32_e32 v8, s10, v10
	s_wait_alu 0xfffd
	v_cndmask_b32_e32 v5, v13, v11, vcc_lo
	v_cmp_ne_u32_e64 s2, 0, v4
	v_cndmask_b32_e32 v4, v12, v9, vcc_lo
	s_wait_alu 0xf1ff
	s_delay_alu instid0(VALU_DEP_2) | instskip(NEXT) | instid1(VALU_DEP_2)
	v_cndmask_b32_e64 v5, v7, v5, s2
	v_cndmask_b32_e64 v4, v6, v4, s2
	s_delay_alu instid0(VALU_DEP_2) | instskip(NEXT) | instid1(VALU_DEP_2)
	v_xor_b32_e32 v5, v5, v8
	v_xor_b32_e32 v4, v4, v8
	s_delay_alu instid0(VALU_DEP_1) | instskip(SKIP_1) | instid1(VALU_DEP_3)
	v_sub_co_u32 v4, vcc_lo, v4, v8
	s_wait_alu 0xfffd
	v_sub_co_ci_u32_e64 v5, null, v5, v8, vcc_lo
.LBB81_60:
	s_wait_alu 0xfffe
	s_and_not1_saveexec_b32 s2, s3
	s_cbranch_execz .LBB81_62
; %bb.61:
	v_cvt_f32_u32_e32 v4, s6
	s_sub_co_i32 s3, 0, s6
	s_delay_alu instid0(VALU_DEP_1) | instskip(NEXT) | instid1(TRANS32_DEP_1)
	v_rcp_iflag_f32_e32 v4, v4
	v_mul_f32_e32 v4, 0x4f7ffffe, v4
	s_delay_alu instid0(VALU_DEP_1) | instskip(SKIP_1) | instid1(VALU_DEP_1)
	v_cvt_u32_f32_e32 v4, v4
	s_wait_alu 0xfffe
	v_mul_lo_u32 v5, s3, v4
	s_delay_alu instid0(VALU_DEP_1) | instskip(NEXT) | instid1(VALU_DEP_1)
	v_mul_hi_u32 v5, v4, v5
	v_add_nc_u32_e32 v4, v4, v5
	s_delay_alu instid0(VALU_DEP_1) | instskip(NEXT) | instid1(VALU_DEP_1)
	v_mul_hi_u32 v4, v2, v4
	v_mul_lo_u32 v5, v4, s6
	v_add_nc_u32_e32 v6, 1, v4
	s_delay_alu instid0(VALU_DEP_2) | instskip(NEXT) | instid1(VALU_DEP_1)
	v_sub_nc_u32_e32 v5, v2, v5
	v_subrev_nc_u32_e32 v7, s6, v5
	v_cmp_le_u32_e32 vcc_lo, s6, v5
	s_wait_alu 0xfffd
	s_delay_alu instid0(VALU_DEP_2) | instskip(NEXT) | instid1(VALU_DEP_1)
	v_dual_cndmask_b32 v5, v5, v7 :: v_dual_cndmask_b32 v4, v4, v6
	v_cmp_le_u32_e32 vcc_lo, s6, v5
	s_delay_alu instid0(VALU_DEP_2) | instskip(SKIP_1) | instid1(VALU_DEP_1)
	v_dual_mov_b32 v5, 0 :: v_dual_add_nc_u32 v6, 1, v4
	s_wait_alu 0xfffd
	v_cndmask_b32_e32 v4, v4, v6, vcc_lo
.LBB81_62:
	s_wait_alu 0xfffe
	s_or_b32 exec_lo, exec_lo, s2
	s_wait_kmcnt 0x0
	v_or_b32_e32 v7, s9, v5
	v_mov_b32_e32 v6, 0
	s_delay_alu instid0(VALU_DEP_1)
	v_cmp_ne_u64_e32 vcc_lo, 0, v[6:7]
                                        ; implicit-def: $vgpr6_vgpr7
	s_and_saveexec_b32 s2, vcc_lo
	s_wait_alu 0xfffe
	s_xor_b32 s3, exec_lo, s2
	s_cbranch_execz .LBB81_64
; %bb.63:
	s_ashr_i32 s10, s9, 31
	s_mov_b32 s21, 0
	s_wait_alu 0xfffe
	s_mov_b32 s11, s10
	v_ashrrev_i32_e32 v10, 31, v5
	s_wait_alu 0xfffe
	s_add_nc_u64 s[12:13], s[8:9], s[10:11]
	s_wait_alu 0xfffe
	s_xor_b64 s[10:11], s[12:13], s[10:11]
	v_add_co_u32 v4, vcc_lo, v4, v10
	s_wait_alu 0xfffe
	s_cvt_f32_u32 s2, s10
	s_cvt_f32_u32 s12, s11
	s_sub_nc_u64 s[16:17], 0, s[10:11]
	s_wait_alu 0xfffd
	v_add_co_ci_u32_e64 v5, null, v5, v10, vcc_lo
	s_wait_alu 0xfffe
	s_fmamk_f32 s2, s12, 0x4f800000, s2
	v_xor_b32_e32 v11, v4, v10
	s_delay_alu instid0(VALU_DEP_2) | instskip(SKIP_2) | instid1(TRANS32_DEP_1)
	v_xor_b32_e32 v12, v5, v10
	s_wait_alu 0xfffe
	v_s_rcp_f32 s2, s2
	s_mul_f32 s2, s2, 0x5f7ffffc
	s_wait_alu 0xfffe
	s_delay_alu instid0(SALU_CYCLE_2) | instskip(SKIP_1) | instid1(SALU_CYCLE_2)
	s_mul_f32 s12, s2, 0x2f800000
	s_wait_alu 0xfffe
	s_trunc_f32 s12, s12
	s_wait_alu 0xfffe
	s_delay_alu instid0(SALU_CYCLE_2) | instskip(SKIP_2) | instid1(SALU_CYCLE_1)
	s_fmamk_f32 s2, s12, 0xcf800000, s2
	s_cvt_u32_f32 s13, s12
	s_wait_alu 0xfffe
	s_cvt_u32_f32 s12, s2
	s_wait_alu 0xfffe
	s_delay_alu instid0(SALU_CYCLE_2) | instskip(NEXT) | instid1(SALU_CYCLE_1)
	s_mul_u64 s[18:19], s[16:17], s[12:13]
	s_mul_hi_u32 s23, s12, s19
	s_mul_i32 s22, s12, s19
	s_mul_hi_u32 s20, s12, s18
	s_mul_i32 s15, s13, s18
	s_add_nc_u64 s[22:23], s[20:21], s[22:23]
	s_mul_hi_u32 s2, s13, s18
	s_mul_hi_u32 s24, s13, s19
	s_add_co_u32 s15, s22, s15
	s_wait_alu 0xfffe
	s_add_co_ci_u32 s20, s23, s2
	s_mul_i32 s18, s13, s19
	s_add_co_ci_u32 s19, s24, 0
	s_delay_alu instid0(SALU_CYCLE_1) | instskip(NEXT) | instid1(SALU_CYCLE_1)
	s_add_nc_u64 s[18:19], s[20:21], s[18:19]
	s_add_co_u32 s12, s12, s18
	s_cselect_b32 s2, -1, 0
	s_wait_alu 0xfffe
	s_cmp_lg_u32 s2, 0
	s_add_co_ci_u32 s13, s13, s19
	s_wait_alu 0xfffe
	s_mul_u64 s[16:17], s[16:17], s[12:13]
	s_delay_alu instid0(SALU_CYCLE_1)
	s_mul_hi_u32 s19, s12, s17
	s_mul_i32 s18, s12, s17
	s_mul_hi_u32 s20, s12, s16
	s_mul_i32 s15, s13, s16
	s_add_nc_u64 s[18:19], s[20:21], s[18:19]
	s_mul_hi_u32 s2, s13, s16
	s_mul_hi_u32 s22, s13, s17
	s_add_co_u32 s15, s18, s15
	s_wait_alu 0xfffe
	s_add_co_ci_u32 s20, s19, s2
	s_mul_i32 s16, s13, s17
	s_add_co_ci_u32 s17, s22, 0
	s_delay_alu instid0(SALU_CYCLE_1) | instskip(NEXT) | instid1(SALU_CYCLE_1)
	s_add_nc_u64 s[16:17], s[20:21], s[16:17]
	s_add_co_u32 s2, s12, s16
	s_cselect_b32 s12, -1, 0
	s_wait_alu 0xfffe
	v_mul_hi_u32 v13, v11, s2
	s_cmp_lg_u32 s12, 0
	v_mad_co_u64_u32 v[6:7], null, v12, s2, 0
	s_add_co_ci_u32 s12, s13, s17
	s_wait_alu 0xfffe
	v_mad_co_u64_u32 v[4:5], null, v11, s12, 0
	v_mad_co_u64_u32 v[8:9], null, v12, s12, 0
	s_delay_alu instid0(VALU_DEP_2) | instskip(SKIP_1) | instid1(VALU_DEP_3)
	v_add_co_u32 v4, vcc_lo, v13, v4
	s_wait_alu 0xfffd
	v_add_co_ci_u32_e64 v5, null, 0, v5, vcc_lo
	s_delay_alu instid0(VALU_DEP_2) | instskip(SKIP_1) | instid1(VALU_DEP_2)
	v_add_co_u32 v4, vcc_lo, v4, v6
	s_wait_alu 0xfffd
	v_add_co_ci_u32_e32 v4, vcc_lo, v5, v7, vcc_lo
	s_wait_alu 0xfffd
	v_add_co_ci_u32_e32 v5, vcc_lo, 0, v9, vcc_lo
	s_delay_alu instid0(VALU_DEP_2) | instskip(SKIP_1) | instid1(VALU_DEP_2)
	v_add_co_u32 v4, vcc_lo, v4, v8
	s_wait_alu 0xfffd
	v_add_co_ci_u32_e64 v6, null, 0, v5, vcc_lo
	s_delay_alu instid0(VALU_DEP_2) | instskip(SKIP_1) | instid1(VALU_DEP_3)
	v_mul_lo_u32 v7, s11, v4
	v_mad_co_u64_u32 v[4:5], null, s10, v4, 0
	v_mul_lo_u32 v6, s10, v6
	s_delay_alu instid0(VALU_DEP_2) | instskip(NEXT) | instid1(VALU_DEP_2)
	v_sub_co_u32 v4, vcc_lo, v11, v4
	v_add3_u32 v5, v5, v6, v7
	s_delay_alu instid0(VALU_DEP_2) | instskip(NEXT) | instid1(VALU_DEP_2)
	v_cmp_le_u32_e64 s2, s10, v4
	v_sub_nc_u32_e32 v6, v12, v5
	s_wait_alu 0xfffd
	v_sub_co_ci_u32_e64 v5, null, v12, v5, vcc_lo
	s_wait_alu 0xf1ff
	v_cndmask_b32_e64 v9, 0, -1, s2
	v_subrev_co_ci_u32_e64 v6, null, s11, v6, vcc_lo
	v_sub_co_u32 v7, vcc_lo, v4, s10
	s_wait_alu 0xfffd
	s_delay_alu instid0(VALU_DEP_2) | instskip(NEXT) | instid1(VALU_DEP_2)
	v_subrev_co_ci_u32_e64 v8, null, 0, v6, vcc_lo
	v_cmp_le_u32_e64 s2, s10, v7
	v_subrev_co_ci_u32_e64 v6, null, s11, v6, vcc_lo
	v_cmp_le_u32_e32 vcc_lo, s11, v5
	s_wait_alu 0xf1ff
	s_delay_alu instid0(VALU_DEP_3)
	v_cndmask_b32_e64 v11, 0, -1, s2
	v_cmp_le_u32_e64 s2, s11, v8
	s_wait_alu 0xfffd
	v_cndmask_b32_e64 v13, 0, -1, vcc_lo
	v_cmp_eq_u32_e32 vcc_lo, s11, v8
	s_wait_alu 0xf1ff
	v_cndmask_b32_e64 v12, 0, -1, s2
	v_cmp_eq_u32_e64 s2, s11, v5
	s_wait_alu 0xfffd
	s_delay_alu instid0(VALU_DEP_2) | instskip(SKIP_3) | instid1(VALU_DEP_3)
	v_cndmask_b32_e32 v11, v12, v11, vcc_lo
	v_sub_co_u32 v12, vcc_lo, v7, s10
	s_wait_alu 0xfffd
	v_subrev_co_ci_u32_e64 v6, null, 0, v6, vcc_lo
	v_cmp_ne_u32_e32 vcc_lo, 0, v11
	s_wait_alu 0xf1ff
	v_cndmask_b32_e64 v9, v13, v9, s2
	s_wait_alu 0xfffd
	v_dual_cndmask_b32 v6, v8, v6 :: v_dual_cndmask_b32 v7, v7, v12
	s_delay_alu instid0(VALU_DEP_2) | instskip(SKIP_1) | instid1(VALU_DEP_2)
	v_cmp_ne_u32_e32 vcc_lo, 0, v9
	s_wait_alu 0xfffd
	v_dual_cndmask_b32 v5, v5, v6 :: v_dual_cndmask_b32 v4, v4, v7
	s_delay_alu instid0(VALU_DEP_1) | instskip(NEXT) | instid1(VALU_DEP_2)
	v_xor_b32_e32 v5, v5, v10
	v_xor_b32_e32 v4, v4, v10
	s_delay_alu instid0(VALU_DEP_1) | instskip(SKIP_1) | instid1(VALU_DEP_3)
	v_sub_co_u32 v6, vcc_lo, v4, v10
	s_wait_alu 0xfffd
	v_sub_co_ci_u32_e64 v7, null, v5, v10, vcc_lo
                                        ; implicit-def: $vgpr4_vgpr5
.LBB81_64:
	s_wait_alu 0xfffe
	s_and_not1_saveexec_b32 s2, s3
	s_cbranch_execz .LBB81_66
; %bb.65:
	v_cvt_f32_u32_e32 v5, s8
	s_sub_co_i32 s3, 0, s8
	v_mov_b32_e32 v7, 0
	s_delay_alu instid0(VALU_DEP_2) | instskip(NEXT) | instid1(TRANS32_DEP_1)
	v_rcp_iflag_f32_e32 v5, v5
	v_mul_f32_e32 v5, 0x4f7ffffe, v5
	s_delay_alu instid0(VALU_DEP_1) | instskip(SKIP_1) | instid1(VALU_DEP_1)
	v_cvt_u32_f32_e32 v5, v5
	s_wait_alu 0xfffe
	v_mul_lo_u32 v6, s3, v5
	s_delay_alu instid0(VALU_DEP_1) | instskip(NEXT) | instid1(VALU_DEP_1)
	v_mul_hi_u32 v6, v5, v6
	v_add_nc_u32_e32 v5, v5, v6
	s_delay_alu instid0(VALU_DEP_1) | instskip(NEXT) | instid1(VALU_DEP_1)
	v_mul_hi_u32 v5, v4, v5
	v_mul_lo_u32 v5, v5, s8
	s_delay_alu instid0(VALU_DEP_1) | instskip(NEXT) | instid1(VALU_DEP_1)
	v_sub_nc_u32_e32 v4, v4, v5
	v_subrev_nc_u32_e32 v5, s8, v4
	v_cmp_le_u32_e32 vcc_lo, s8, v4
	s_wait_alu 0xfffd
	s_delay_alu instid0(VALU_DEP_2) | instskip(NEXT) | instid1(VALU_DEP_1)
	v_cndmask_b32_e32 v4, v4, v5, vcc_lo
	v_subrev_nc_u32_e32 v5, s8, v4
	v_cmp_le_u32_e32 vcc_lo, s8, v4
	s_wait_alu 0xfffd
	s_delay_alu instid0(VALU_DEP_2)
	v_cndmask_b32_e32 v6, v4, v5, vcc_lo
.LBB81_66:
	s_wait_alu 0xfffe
	s_or_b32 exec_lo, exec_lo, s2
	v_mad_co_u64_u32 v[4:5], null, 0x60, s4, v[0:1]
	s_mul_u64 s[6:7], s[8:9], s[6:7]
	v_mad_co_u64_u32 v[8:9], null, 0x60, s5, v[5:6]
	s_delay_alu instid0(VALU_DEP_1)
	v_mov_b32_e32 v5, v8
	global_store_b64 v[4:5], v[6:7], off
	s_cmp_lt_i32 s14, 12
	s_cbranch_scc1 .LBB81_14
.LBB81_67:
	s_load_b64 s[8:9], s[0:1], 0x60
	s_wait_loadcnt 0x0
	v_or_b32_e32 v5, s7, v3
	v_mov_b32_e32 v4, 0
	s_delay_alu instid0(VALU_DEP_1)
	v_cmp_ne_u64_e32 vcc_lo, 0, v[4:5]
                                        ; implicit-def: $vgpr4_vgpr5
	s_and_saveexec_b32 s2, vcc_lo
	s_wait_alu 0xfffe
	s_xor_b32 s3, exec_lo, s2
	s_cbranch_execz .LBB81_69
; %bb.68:
	s_ashr_i32 s10, s7, 31
	s_mov_b32 s23, 0
	s_wait_alu 0xfffe
	s_mov_b32 s11, s10
	v_ashrrev_i32_e32 v10, 31, v3
	s_wait_alu 0xfffe
	s_add_nc_u64 s[12:13], s[6:7], s[10:11]
	s_wait_alu 0xfffe
	s_xor_b64 s[12:13], s[12:13], s[10:11]
	v_add_co_u32 v4, vcc_lo, v2, v10
	s_wait_alu 0xfffe
	s_cvt_f32_u32 s2, s12
	s_cvt_f32_u32 s11, s13
	s_sub_nc_u64 s[18:19], 0, s[12:13]
	s_wait_alu 0xfffd
	v_add_co_ci_u32_e64 v5, null, v3, v10, vcc_lo
	s_wait_alu 0xfffe
	s_fmamk_f32 s2, s11, 0x4f800000, s2
	v_xor_b32_e32 v11, v4, v10
	s_delay_alu instid0(VALU_DEP_2) | instskip(SKIP_2) | instid1(TRANS32_DEP_1)
	v_xor_b32_e32 v12, v5, v10
	s_wait_alu 0xfffe
	v_s_rcp_f32 s2, s2
	s_mul_f32 s2, s2, 0x5f7ffffc
	s_wait_alu 0xfffe
	s_delay_alu instid0(SALU_CYCLE_2) | instskip(SKIP_1) | instid1(SALU_CYCLE_2)
	s_mul_f32 s11, s2, 0x2f800000
	s_wait_alu 0xfffe
	s_trunc_f32 s11, s11
	s_wait_alu 0xfffe
	s_delay_alu instid0(SALU_CYCLE_2) | instskip(SKIP_2) | instid1(SALU_CYCLE_1)
	s_fmamk_f32 s2, s11, 0xcf800000, s2
	s_cvt_u32_f32 s17, s11
	s_wait_alu 0xfffe
	s_cvt_u32_f32 s16, s2
	s_delay_alu instid0(SALU_CYCLE_3) | instskip(NEXT) | instid1(SALU_CYCLE_1)
	s_mul_u64 s[20:21], s[18:19], s[16:17]
	s_mul_hi_u32 s25, s16, s21
	s_mul_i32 s24, s16, s21
	s_mul_hi_u32 s22, s16, s20
	s_mul_i32 s11, s17, s20
	s_add_nc_u64 s[24:25], s[22:23], s[24:25]
	s_mul_hi_u32 s2, s17, s20
	s_mul_hi_u32 s15, s17, s21
	s_wait_alu 0xfffe
	s_add_co_u32 s11, s24, s11
	s_add_co_ci_u32 s22, s25, s2
	s_mul_i32 s20, s17, s21
	s_add_co_ci_u32 s21, s15, 0
	s_delay_alu instid0(SALU_CYCLE_1) | instskip(NEXT) | instid1(SALU_CYCLE_1)
	s_add_nc_u64 s[20:21], s[22:23], s[20:21]
	s_add_co_u32 s16, s16, s20
	s_cselect_b32 s2, -1, 0
	s_wait_alu 0xfffe
	s_cmp_lg_u32 s2, 0
	s_add_co_ci_u32 s17, s17, s21
	s_delay_alu instid0(SALU_CYCLE_1) | instskip(NEXT) | instid1(SALU_CYCLE_1)
	s_mul_u64 s[18:19], s[18:19], s[16:17]
	s_mul_hi_u32 s21, s16, s19
	s_mul_i32 s20, s16, s19
	s_mul_hi_u32 s22, s16, s18
	s_mul_i32 s11, s17, s18
	s_add_nc_u64 s[20:21], s[22:23], s[20:21]
	s_mul_hi_u32 s2, s17, s18
	s_mul_hi_u32 s15, s17, s19
	s_wait_alu 0xfffe
	s_add_co_u32 s11, s20, s11
	s_add_co_ci_u32 s22, s21, s2
	s_mul_i32 s18, s17, s19
	s_add_co_ci_u32 s19, s15, 0
	s_delay_alu instid0(SALU_CYCLE_1) | instskip(NEXT) | instid1(SALU_CYCLE_1)
	s_add_nc_u64 s[18:19], s[22:23], s[18:19]
	s_add_co_u32 s2, s16, s18
	s_cselect_b32 s11, -1, 0
	s_wait_alu 0xfffe
	v_mul_hi_u32 v13, v11, s2
	s_cmp_lg_u32 s11, 0
	v_mad_co_u64_u32 v[6:7], null, v12, s2, 0
	s_add_co_ci_u32 s11, s17, s19
	s_wait_alu 0xfffe
	v_mad_co_u64_u32 v[4:5], null, v11, s11, 0
	v_mad_co_u64_u32 v[8:9], null, v12, s11, 0
	s_delay_alu instid0(VALU_DEP_2) | instskip(SKIP_1) | instid1(VALU_DEP_3)
	v_add_co_u32 v4, vcc_lo, v13, v4
	s_wait_alu 0xfffd
	v_add_co_ci_u32_e64 v5, null, 0, v5, vcc_lo
	s_delay_alu instid0(VALU_DEP_2) | instskip(SKIP_1) | instid1(VALU_DEP_2)
	v_add_co_u32 v4, vcc_lo, v4, v6
	s_wait_alu 0xfffd
	v_add_co_ci_u32_e32 v4, vcc_lo, v5, v7, vcc_lo
	s_wait_alu 0xfffd
	v_add_co_ci_u32_e32 v5, vcc_lo, 0, v9, vcc_lo
	s_delay_alu instid0(VALU_DEP_2) | instskip(SKIP_1) | instid1(VALU_DEP_2)
	v_add_co_u32 v6, vcc_lo, v4, v8
	s_wait_alu 0xfffd
	v_add_co_ci_u32_e64 v7, null, 0, v5, vcc_lo
	s_delay_alu instid0(VALU_DEP_2) | instskip(SKIP_1) | instid1(VALU_DEP_3)
	v_mul_lo_u32 v8, s13, v6
	v_mad_co_u64_u32 v[4:5], null, s12, v6, 0
	v_mul_lo_u32 v9, s12, v7
	s_delay_alu instid0(VALU_DEP_2) | instskip(NEXT) | instid1(VALU_DEP_2)
	v_sub_co_u32 v4, vcc_lo, v11, v4
	v_add3_u32 v5, v5, v9, v8
	v_add_co_u32 v9, s2, v6, 2
	s_wait_alu 0xf1ff
	v_add_co_ci_u32_e64 v11, null, 0, v7, s2
	s_delay_alu instid0(VALU_DEP_3) | instskip(SKIP_3) | instid1(VALU_DEP_3)
	v_sub_nc_u32_e32 v8, v12, v5
	v_sub_co_u32 v13, s2, v4, s12
	s_wait_alu 0xfffd
	v_sub_co_ci_u32_e64 v5, null, v12, v5, vcc_lo
	v_subrev_co_ci_u32_e64 v8, null, s13, v8, vcc_lo
	s_delay_alu instid0(VALU_DEP_3) | instskip(SKIP_1) | instid1(VALU_DEP_2)
	v_cmp_le_u32_e32 vcc_lo, s12, v13
	s_wait_alu 0xf1ff
	v_subrev_co_ci_u32_e64 v8, null, 0, v8, s2
	s_wait_alu 0xfffd
	v_cndmask_b32_e64 v12, 0, -1, vcc_lo
	s_delay_alu instid0(VALU_DEP_2)
	v_cmp_le_u32_e32 vcc_lo, s13, v8
	s_wait_alu 0xfffd
	v_cndmask_b32_e64 v13, 0, -1, vcc_lo
	v_cmp_le_u32_e32 vcc_lo, s12, v4
	s_wait_alu 0xfffd
	v_cndmask_b32_e64 v4, 0, -1, vcc_lo
	;; [unrolled: 3-line block ×3, first 2 shown]
	v_cmp_eq_u32_e32 vcc_lo, s13, v8
	s_wait_alu 0xfffd
	v_cndmask_b32_e32 v8, v13, v12, vcc_lo
	v_add_co_u32 v12, vcc_lo, v6, 1
	s_wait_alu 0xfffd
	v_add_co_ci_u32_e64 v13, null, 0, v7, vcc_lo
	v_cmp_eq_u32_e32 vcc_lo, s13, v5
	s_wait_alu 0xfffd
	v_cndmask_b32_e32 v4, v14, v4, vcc_lo
	v_cmp_ne_u32_e32 vcc_lo, 0, v8
	v_xor_b32_e32 v8, s10, v10
	s_wait_alu 0xfffd
	v_cndmask_b32_e32 v5, v13, v11, vcc_lo
	v_cmp_ne_u32_e64 s2, 0, v4
	v_cndmask_b32_e32 v4, v12, v9, vcc_lo
	s_wait_alu 0xf1ff
	s_delay_alu instid0(VALU_DEP_2) | instskip(NEXT) | instid1(VALU_DEP_2)
	v_cndmask_b32_e64 v5, v7, v5, s2
	v_cndmask_b32_e64 v4, v6, v4, s2
	s_delay_alu instid0(VALU_DEP_2) | instskip(NEXT) | instid1(VALU_DEP_2)
	v_xor_b32_e32 v5, v5, v8
	v_xor_b32_e32 v4, v4, v8
	s_delay_alu instid0(VALU_DEP_1) | instskip(SKIP_1) | instid1(VALU_DEP_3)
	v_sub_co_u32 v4, vcc_lo, v4, v8
	s_wait_alu 0xfffd
	v_sub_co_ci_u32_e64 v5, null, v5, v8, vcc_lo
.LBB81_69:
	s_wait_alu 0xfffe
	s_and_not1_saveexec_b32 s2, s3
	s_cbranch_execz .LBB81_71
; %bb.70:
	v_cvt_f32_u32_e32 v4, s6
	s_sub_co_i32 s3, 0, s6
	s_delay_alu instid0(VALU_DEP_1) | instskip(NEXT) | instid1(TRANS32_DEP_1)
	v_rcp_iflag_f32_e32 v4, v4
	v_mul_f32_e32 v4, 0x4f7ffffe, v4
	s_delay_alu instid0(VALU_DEP_1) | instskip(SKIP_1) | instid1(VALU_DEP_1)
	v_cvt_u32_f32_e32 v4, v4
	s_wait_alu 0xfffe
	v_mul_lo_u32 v5, s3, v4
	s_delay_alu instid0(VALU_DEP_1) | instskip(NEXT) | instid1(VALU_DEP_1)
	v_mul_hi_u32 v5, v4, v5
	v_add_nc_u32_e32 v4, v4, v5
	s_delay_alu instid0(VALU_DEP_1) | instskip(NEXT) | instid1(VALU_DEP_1)
	v_mul_hi_u32 v4, v2, v4
	v_mul_lo_u32 v5, v4, s6
	v_add_nc_u32_e32 v6, 1, v4
	s_delay_alu instid0(VALU_DEP_2) | instskip(NEXT) | instid1(VALU_DEP_1)
	v_sub_nc_u32_e32 v5, v2, v5
	v_subrev_nc_u32_e32 v7, s6, v5
	v_cmp_le_u32_e32 vcc_lo, s6, v5
	s_wait_alu 0xfffd
	s_delay_alu instid0(VALU_DEP_2) | instskip(NEXT) | instid1(VALU_DEP_1)
	v_dual_cndmask_b32 v5, v5, v7 :: v_dual_cndmask_b32 v4, v4, v6
	v_cmp_le_u32_e32 vcc_lo, s6, v5
	s_delay_alu instid0(VALU_DEP_2) | instskip(SKIP_1) | instid1(VALU_DEP_1)
	v_dual_mov_b32 v5, 0 :: v_dual_add_nc_u32 v6, 1, v4
	s_wait_alu 0xfffd
	v_cndmask_b32_e32 v4, v4, v6, vcc_lo
.LBB81_71:
	s_wait_alu 0xfffe
	s_or_b32 exec_lo, exec_lo, s2
	s_wait_kmcnt 0x0
	v_or_b32_e32 v7, s9, v5
	v_mov_b32_e32 v6, 0
	s_delay_alu instid0(VALU_DEP_1)
	v_cmp_ne_u64_e32 vcc_lo, 0, v[6:7]
                                        ; implicit-def: $vgpr6_vgpr7
	s_and_saveexec_b32 s2, vcc_lo
	s_wait_alu 0xfffe
	s_xor_b32 s3, exec_lo, s2
	s_cbranch_execz .LBB81_73
; %bb.72:
	s_ashr_i32 s10, s9, 31
	s_mov_b32 s21, 0
	s_wait_alu 0xfffe
	s_mov_b32 s11, s10
	v_ashrrev_i32_e32 v10, 31, v5
	s_wait_alu 0xfffe
	s_add_nc_u64 s[12:13], s[8:9], s[10:11]
	s_wait_alu 0xfffe
	s_xor_b64 s[10:11], s[12:13], s[10:11]
	v_add_co_u32 v4, vcc_lo, v4, v10
	s_wait_alu 0xfffe
	s_cvt_f32_u32 s2, s10
	s_cvt_f32_u32 s12, s11
	s_sub_nc_u64 s[16:17], 0, s[10:11]
	s_wait_alu 0xfffd
	v_add_co_ci_u32_e64 v5, null, v5, v10, vcc_lo
	s_wait_alu 0xfffe
	s_fmamk_f32 s2, s12, 0x4f800000, s2
	v_xor_b32_e32 v11, v4, v10
	s_delay_alu instid0(VALU_DEP_2) | instskip(SKIP_2) | instid1(TRANS32_DEP_1)
	v_xor_b32_e32 v12, v5, v10
	s_wait_alu 0xfffe
	v_s_rcp_f32 s2, s2
	s_mul_f32 s2, s2, 0x5f7ffffc
	s_wait_alu 0xfffe
	s_delay_alu instid0(SALU_CYCLE_2) | instskip(SKIP_1) | instid1(SALU_CYCLE_2)
	s_mul_f32 s12, s2, 0x2f800000
	s_wait_alu 0xfffe
	s_trunc_f32 s12, s12
	s_wait_alu 0xfffe
	s_delay_alu instid0(SALU_CYCLE_2) | instskip(SKIP_2) | instid1(SALU_CYCLE_1)
	s_fmamk_f32 s2, s12, 0xcf800000, s2
	s_cvt_u32_f32 s13, s12
	s_wait_alu 0xfffe
	s_cvt_u32_f32 s12, s2
	s_wait_alu 0xfffe
	s_delay_alu instid0(SALU_CYCLE_2) | instskip(NEXT) | instid1(SALU_CYCLE_1)
	s_mul_u64 s[18:19], s[16:17], s[12:13]
	s_mul_hi_u32 s23, s12, s19
	s_mul_i32 s22, s12, s19
	s_mul_hi_u32 s20, s12, s18
	s_mul_i32 s15, s13, s18
	s_add_nc_u64 s[22:23], s[20:21], s[22:23]
	s_mul_hi_u32 s2, s13, s18
	s_mul_hi_u32 s24, s13, s19
	s_add_co_u32 s15, s22, s15
	s_wait_alu 0xfffe
	s_add_co_ci_u32 s20, s23, s2
	s_mul_i32 s18, s13, s19
	s_add_co_ci_u32 s19, s24, 0
	s_delay_alu instid0(SALU_CYCLE_1) | instskip(NEXT) | instid1(SALU_CYCLE_1)
	s_add_nc_u64 s[18:19], s[20:21], s[18:19]
	s_add_co_u32 s12, s12, s18
	s_cselect_b32 s2, -1, 0
	s_wait_alu 0xfffe
	s_cmp_lg_u32 s2, 0
	s_add_co_ci_u32 s13, s13, s19
	s_wait_alu 0xfffe
	s_mul_u64 s[16:17], s[16:17], s[12:13]
	s_delay_alu instid0(SALU_CYCLE_1)
	s_mul_hi_u32 s19, s12, s17
	s_mul_i32 s18, s12, s17
	s_mul_hi_u32 s20, s12, s16
	s_mul_i32 s15, s13, s16
	s_add_nc_u64 s[18:19], s[20:21], s[18:19]
	s_mul_hi_u32 s2, s13, s16
	s_mul_hi_u32 s22, s13, s17
	s_add_co_u32 s15, s18, s15
	s_wait_alu 0xfffe
	s_add_co_ci_u32 s20, s19, s2
	s_mul_i32 s16, s13, s17
	s_add_co_ci_u32 s17, s22, 0
	s_delay_alu instid0(SALU_CYCLE_1) | instskip(NEXT) | instid1(SALU_CYCLE_1)
	s_add_nc_u64 s[16:17], s[20:21], s[16:17]
	s_add_co_u32 s2, s12, s16
	s_cselect_b32 s12, -1, 0
	s_wait_alu 0xfffe
	v_mul_hi_u32 v13, v11, s2
	s_cmp_lg_u32 s12, 0
	v_mad_co_u64_u32 v[6:7], null, v12, s2, 0
	s_add_co_ci_u32 s12, s13, s17
	s_wait_alu 0xfffe
	v_mad_co_u64_u32 v[4:5], null, v11, s12, 0
	v_mad_co_u64_u32 v[8:9], null, v12, s12, 0
	s_delay_alu instid0(VALU_DEP_2) | instskip(SKIP_1) | instid1(VALU_DEP_3)
	v_add_co_u32 v4, vcc_lo, v13, v4
	s_wait_alu 0xfffd
	v_add_co_ci_u32_e64 v5, null, 0, v5, vcc_lo
	s_delay_alu instid0(VALU_DEP_2) | instskip(SKIP_1) | instid1(VALU_DEP_2)
	v_add_co_u32 v4, vcc_lo, v4, v6
	s_wait_alu 0xfffd
	v_add_co_ci_u32_e32 v4, vcc_lo, v5, v7, vcc_lo
	s_wait_alu 0xfffd
	v_add_co_ci_u32_e32 v5, vcc_lo, 0, v9, vcc_lo
	s_delay_alu instid0(VALU_DEP_2) | instskip(SKIP_1) | instid1(VALU_DEP_2)
	v_add_co_u32 v4, vcc_lo, v4, v8
	s_wait_alu 0xfffd
	v_add_co_ci_u32_e64 v6, null, 0, v5, vcc_lo
	s_delay_alu instid0(VALU_DEP_2) | instskip(SKIP_1) | instid1(VALU_DEP_3)
	v_mul_lo_u32 v7, s11, v4
	v_mad_co_u64_u32 v[4:5], null, s10, v4, 0
	v_mul_lo_u32 v6, s10, v6
	s_delay_alu instid0(VALU_DEP_2) | instskip(NEXT) | instid1(VALU_DEP_2)
	v_sub_co_u32 v4, vcc_lo, v11, v4
	v_add3_u32 v5, v5, v6, v7
	s_delay_alu instid0(VALU_DEP_2) | instskip(NEXT) | instid1(VALU_DEP_2)
	v_cmp_le_u32_e64 s2, s10, v4
	v_sub_nc_u32_e32 v6, v12, v5
	s_wait_alu 0xfffd
	v_sub_co_ci_u32_e64 v5, null, v12, v5, vcc_lo
	s_wait_alu 0xf1ff
	v_cndmask_b32_e64 v9, 0, -1, s2
	v_subrev_co_ci_u32_e64 v6, null, s11, v6, vcc_lo
	v_sub_co_u32 v7, vcc_lo, v4, s10
	s_wait_alu 0xfffd
	s_delay_alu instid0(VALU_DEP_2) | instskip(NEXT) | instid1(VALU_DEP_2)
	v_subrev_co_ci_u32_e64 v8, null, 0, v6, vcc_lo
	v_cmp_le_u32_e64 s2, s10, v7
	v_subrev_co_ci_u32_e64 v6, null, s11, v6, vcc_lo
	v_cmp_le_u32_e32 vcc_lo, s11, v5
	s_wait_alu 0xf1ff
	s_delay_alu instid0(VALU_DEP_3)
	v_cndmask_b32_e64 v11, 0, -1, s2
	v_cmp_le_u32_e64 s2, s11, v8
	s_wait_alu 0xfffd
	v_cndmask_b32_e64 v13, 0, -1, vcc_lo
	v_cmp_eq_u32_e32 vcc_lo, s11, v8
	s_wait_alu 0xf1ff
	v_cndmask_b32_e64 v12, 0, -1, s2
	v_cmp_eq_u32_e64 s2, s11, v5
	s_wait_alu 0xfffd
	s_delay_alu instid0(VALU_DEP_2) | instskip(SKIP_3) | instid1(VALU_DEP_3)
	v_cndmask_b32_e32 v11, v12, v11, vcc_lo
	v_sub_co_u32 v12, vcc_lo, v7, s10
	s_wait_alu 0xfffd
	v_subrev_co_ci_u32_e64 v6, null, 0, v6, vcc_lo
	v_cmp_ne_u32_e32 vcc_lo, 0, v11
	s_wait_alu 0xf1ff
	v_cndmask_b32_e64 v9, v13, v9, s2
	s_wait_alu 0xfffd
	v_dual_cndmask_b32 v6, v8, v6 :: v_dual_cndmask_b32 v7, v7, v12
	s_delay_alu instid0(VALU_DEP_2) | instskip(SKIP_1) | instid1(VALU_DEP_2)
	v_cmp_ne_u32_e32 vcc_lo, 0, v9
	s_wait_alu 0xfffd
	v_dual_cndmask_b32 v5, v5, v6 :: v_dual_cndmask_b32 v4, v4, v7
	s_delay_alu instid0(VALU_DEP_1) | instskip(NEXT) | instid1(VALU_DEP_2)
	v_xor_b32_e32 v5, v5, v10
	v_xor_b32_e32 v4, v4, v10
	s_delay_alu instid0(VALU_DEP_1) | instskip(SKIP_1) | instid1(VALU_DEP_3)
	v_sub_co_u32 v6, vcc_lo, v4, v10
	s_wait_alu 0xfffd
	v_sub_co_ci_u32_e64 v7, null, v5, v10, vcc_lo
                                        ; implicit-def: $vgpr4_vgpr5
.LBB81_73:
	s_wait_alu 0xfffe
	s_and_not1_saveexec_b32 s2, s3
	s_cbranch_execz .LBB81_75
; %bb.74:
	v_cvt_f32_u32_e32 v5, s8
	s_sub_co_i32 s3, 0, s8
	v_mov_b32_e32 v7, 0
	s_delay_alu instid0(VALU_DEP_2) | instskip(NEXT) | instid1(TRANS32_DEP_1)
	v_rcp_iflag_f32_e32 v5, v5
	v_mul_f32_e32 v5, 0x4f7ffffe, v5
	s_delay_alu instid0(VALU_DEP_1) | instskip(SKIP_1) | instid1(VALU_DEP_1)
	v_cvt_u32_f32_e32 v5, v5
	s_wait_alu 0xfffe
	v_mul_lo_u32 v6, s3, v5
	s_delay_alu instid0(VALU_DEP_1) | instskip(NEXT) | instid1(VALU_DEP_1)
	v_mul_hi_u32 v6, v5, v6
	v_add_nc_u32_e32 v5, v5, v6
	s_delay_alu instid0(VALU_DEP_1) | instskip(NEXT) | instid1(VALU_DEP_1)
	v_mul_hi_u32 v5, v4, v5
	v_mul_lo_u32 v5, v5, s8
	s_delay_alu instid0(VALU_DEP_1) | instskip(NEXT) | instid1(VALU_DEP_1)
	v_sub_nc_u32_e32 v4, v4, v5
	v_subrev_nc_u32_e32 v5, s8, v4
	v_cmp_le_u32_e32 vcc_lo, s8, v4
	s_wait_alu 0xfffd
	s_delay_alu instid0(VALU_DEP_2) | instskip(NEXT) | instid1(VALU_DEP_1)
	v_cndmask_b32_e32 v4, v4, v5, vcc_lo
	v_subrev_nc_u32_e32 v5, s8, v4
	v_cmp_le_u32_e32 vcc_lo, s8, v4
	s_wait_alu 0xfffd
	s_delay_alu instid0(VALU_DEP_2)
	v_cndmask_b32_e32 v6, v4, v5, vcc_lo
.LBB81_75:
	s_wait_alu 0xfffe
	s_or_b32 exec_lo, exec_lo, s2
	v_mad_co_u64_u32 v[4:5], null, 0x58, s4, v[0:1]
	s_mul_u64 s[6:7], s[8:9], s[6:7]
	v_mad_co_u64_u32 v[8:9], null, 0x58, s5, v[5:6]
	s_delay_alu instid0(VALU_DEP_1)
	v_mov_b32_e32 v5, v8
	global_store_b64 v[4:5], v[6:7], off
	s_cmp_lt_i32 s14, 11
	s_cbranch_scc1 .LBB81_15
.LBB81_76:
	s_load_b64 s[8:9], s[0:1], 0x58
	s_wait_loadcnt 0x0
	v_or_b32_e32 v5, s7, v3
	v_mov_b32_e32 v4, 0
	s_delay_alu instid0(VALU_DEP_1)
	v_cmp_ne_u64_e32 vcc_lo, 0, v[4:5]
                                        ; implicit-def: $vgpr4_vgpr5
	s_and_saveexec_b32 s2, vcc_lo
	s_wait_alu 0xfffe
	s_xor_b32 s3, exec_lo, s2
	s_cbranch_execz .LBB81_78
; %bb.77:
	s_ashr_i32 s10, s7, 31
	s_mov_b32 s23, 0
	s_wait_alu 0xfffe
	s_mov_b32 s11, s10
	v_ashrrev_i32_e32 v10, 31, v3
	s_wait_alu 0xfffe
	s_add_nc_u64 s[12:13], s[6:7], s[10:11]
	s_wait_alu 0xfffe
	s_xor_b64 s[12:13], s[12:13], s[10:11]
	v_add_co_u32 v4, vcc_lo, v2, v10
	s_wait_alu 0xfffe
	s_cvt_f32_u32 s2, s12
	s_cvt_f32_u32 s11, s13
	s_sub_nc_u64 s[18:19], 0, s[12:13]
	s_wait_alu 0xfffd
	v_add_co_ci_u32_e64 v5, null, v3, v10, vcc_lo
	s_wait_alu 0xfffe
	s_fmamk_f32 s2, s11, 0x4f800000, s2
	v_xor_b32_e32 v11, v4, v10
	s_delay_alu instid0(VALU_DEP_2) | instskip(SKIP_2) | instid1(TRANS32_DEP_1)
	v_xor_b32_e32 v12, v5, v10
	s_wait_alu 0xfffe
	v_s_rcp_f32 s2, s2
	s_mul_f32 s2, s2, 0x5f7ffffc
	s_wait_alu 0xfffe
	s_delay_alu instid0(SALU_CYCLE_2) | instskip(SKIP_1) | instid1(SALU_CYCLE_2)
	s_mul_f32 s11, s2, 0x2f800000
	s_wait_alu 0xfffe
	s_trunc_f32 s11, s11
	s_wait_alu 0xfffe
	s_delay_alu instid0(SALU_CYCLE_2) | instskip(SKIP_2) | instid1(SALU_CYCLE_1)
	s_fmamk_f32 s2, s11, 0xcf800000, s2
	s_cvt_u32_f32 s17, s11
	s_wait_alu 0xfffe
	s_cvt_u32_f32 s16, s2
	s_delay_alu instid0(SALU_CYCLE_3) | instskip(NEXT) | instid1(SALU_CYCLE_1)
	s_mul_u64 s[20:21], s[18:19], s[16:17]
	s_mul_hi_u32 s25, s16, s21
	s_mul_i32 s24, s16, s21
	s_mul_hi_u32 s22, s16, s20
	s_mul_i32 s11, s17, s20
	s_add_nc_u64 s[24:25], s[22:23], s[24:25]
	s_mul_hi_u32 s2, s17, s20
	s_mul_hi_u32 s15, s17, s21
	s_wait_alu 0xfffe
	s_add_co_u32 s11, s24, s11
	s_add_co_ci_u32 s22, s25, s2
	s_mul_i32 s20, s17, s21
	s_add_co_ci_u32 s21, s15, 0
	s_delay_alu instid0(SALU_CYCLE_1) | instskip(NEXT) | instid1(SALU_CYCLE_1)
	s_add_nc_u64 s[20:21], s[22:23], s[20:21]
	s_add_co_u32 s16, s16, s20
	s_cselect_b32 s2, -1, 0
	s_wait_alu 0xfffe
	s_cmp_lg_u32 s2, 0
	s_add_co_ci_u32 s17, s17, s21
	s_delay_alu instid0(SALU_CYCLE_1) | instskip(NEXT) | instid1(SALU_CYCLE_1)
	s_mul_u64 s[18:19], s[18:19], s[16:17]
	s_mul_hi_u32 s21, s16, s19
	s_mul_i32 s20, s16, s19
	s_mul_hi_u32 s22, s16, s18
	s_mul_i32 s11, s17, s18
	s_add_nc_u64 s[20:21], s[22:23], s[20:21]
	s_mul_hi_u32 s2, s17, s18
	s_mul_hi_u32 s15, s17, s19
	s_wait_alu 0xfffe
	s_add_co_u32 s11, s20, s11
	s_add_co_ci_u32 s22, s21, s2
	s_mul_i32 s18, s17, s19
	s_add_co_ci_u32 s19, s15, 0
	s_delay_alu instid0(SALU_CYCLE_1) | instskip(NEXT) | instid1(SALU_CYCLE_1)
	s_add_nc_u64 s[18:19], s[22:23], s[18:19]
	s_add_co_u32 s2, s16, s18
	s_cselect_b32 s11, -1, 0
	s_wait_alu 0xfffe
	v_mul_hi_u32 v13, v11, s2
	s_cmp_lg_u32 s11, 0
	v_mad_co_u64_u32 v[6:7], null, v12, s2, 0
	s_add_co_ci_u32 s11, s17, s19
	s_wait_alu 0xfffe
	v_mad_co_u64_u32 v[4:5], null, v11, s11, 0
	v_mad_co_u64_u32 v[8:9], null, v12, s11, 0
	s_delay_alu instid0(VALU_DEP_2) | instskip(SKIP_1) | instid1(VALU_DEP_3)
	v_add_co_u32 v4, vcc_lo, v13, v4
	s_wait_alu 0xfffd
	v_add_co_ci_u32_e64 v5, null, 0, v5, vcc_lo
	s_delay_alu instid0(VALU_DEP_2) | instskip(SKIP_1) | instid1(VALU_DEP_2)
	v_add_co_u32 v4, vcc_lo, v4, v6
	s_wait_alu 0xfffd
	v_add_co_ci_u32_e32 v4, vcc_lo, v5, v7, vcc_lo
	s_wait_alu 0xfffd
	v_add_co_ci_u32_e32 v5, vcc_lo, 0, v9, vcc_lo
	s_delay_alu instid0(VALU_DEP_2) | instskip(SKIP_1) | instid1(VALU_DEP_2)
	v_add_co_u32 v6, vcc_lo, v4, v8
	s_wait_alu 0xfffd
	v_add_co_ci_u32_e64 v7, null, 0, v5, vcc_lo
	s_delay_alu instid0(VALU_DEP_2) | instskip(SKIP_1) | instid1(VALU_DEP_3)
	v_mul_lo_u32 v8, s13, v6
	v_mad_co_u64_u32 v[4:5], null, s12, v6, 0
	v_mul_lo_u32 v9, s12, v7
	s_delay_alu instid0(VALU_DEP_2) | instskip(NEXT) | instid1(VALU_DEP_2)
	v_sub_co_u32 v4, vcc_lo, v11, v4
	v_add3_u32 v5, v5, v9, v8
	v_add_co_u32 v9, s2, v6, 2
	s_wait_alu 0xf1ff
	v_add_co_ci_u32_e64 v11, null, 0, v7, s2
	s_delay_alu instid0(VALU_DEP_3) | instskip(SKIP_3) | instid1(VALU_DEP_3)
	v_sub_nc_u32_e32 v8, v12, v5
	v_sub_co_u32 v13, s2, v4, s12
	s_wait_alu 0xfffd
	v_sub_co_ci_u32_e64 v5, null, v12, v5, vcc_lo
	v_subrev_co_ci_u32_e64 v8, null, s13, v8, vcc_lo
	s_delay_alu instid0(VALU_DEP_3) | instskip(SKIP_1) | instid1(VALU_DEP_2)
	v_cmp_le_u32_e32 vcc_lo, s12, v13
	s_wait_alu 0xf1ff
	v_subrev_co_ci_u32_e64 v8, null, 0, v8, s2
	s_wait_alu 0xfffd
	v_cndmask_b32_e64 v12, 0, -1, vcc_lo
	s_delay_alu instid0(VALU_DEP_2)
	v_cmp_le_u32_e32 vcc_lo, s13, v8
	s_wait_alu 0xfffd
	v_cndmask_b32_e64 v13, 0, -1, vcc_lo
	v_cmp_le_u32_e32 vcc_lo, s12, v4
	s_wait_alu 0xfffd
	v_cndmask_b32_e64 v4, 0, -1, vcc_lo
	;; [unrolled: 3-line block ×3, first 2 shown]
	v_cmp_eq_u32_e32 vcc_lo, s13, v8
	s_wait_alu 0xfffd
	v_cndmask_b32_e32 v8, v13, v12, vcc_lo
	v_add_co_u32 v12, vcc_lo, v6, 1
	s_wait_alu 0xfffd
	v_add_co_ci_u32_e64 v13, null, 0, v7, vcc_lo
	v_cmp_eq_u32_e32 vcc_lo, s13, v5
	s_wait_alu 0xfffd
	v_cndmask_b32_e32 v4, v14, v4, vcc_lo
	v_cmp_ne_u32_e32 vcc_lo, 0, v8
	v_xor_b32_e32 v8, s10, v10
	s_wait_alu 0xfffd
	v_cndmask_b32_e32 v5, v13, v11, vcc_lo
	v_cmp_ne_u32_e64 s2, 0, v4
	v_cndmask_b32_e32 v4, v12, v9, vcc_lo
	s_wait_alu 0xf1ff
	s_delay_alu instid0(VALU_DEP_2) | instskip(NEXT) | instid1(VALU_DEP_2)
	v_cndmask_b32_e64 v5, v7, v5, s2
	v_cndmask_b32_e64 v4, v6, v4, s2
	s_delay_alu instid0(VALU_DEP_2) | instskip(NEXT) | instid1(VALU_DEP_2)
	v_xor_b32_e32 v5, v5, v8
	v_xor_b32_e32 v4, v4, v8
	s_delay_alu instid0(VALU_DEP_1) | instskip(SKIP_1) | instid1(VALU_DEP_3)
	v_sub_co_u32 v4, vcc_lo, v4, v8
	s_wait_alu 0xfffd
	v_sub_co_ci_u32_e64 v5, null, v5, v8, vcc_lo
.LBB81_78:
	s_wait_alu 0xfffe
	s_and_not1_saveexec_b32 s2, s3
	s_cbranch_execz .LBB81_80
; %bb.79:
	v_cvt_f32_u32_e32 v4, s6
	s_sub_co_i32 s3, 0, s6
	s_delay_alu instid0(VALU_DEP_1) | instskip(NEXT) | instid1(TRANS32_DEP_1)
	v_rcp_iflag_f32_e32 v4, v4
	v_mul_f32_e32 v4, 0x4f7ffffe, v4
	s_delay_alu instid0(VALU_DEP_1) | instskip(SKIP_1) | instid1(VALU_DEP_1)
	v_cvt_u32_f32_e32 v4, v4
	s_wait_alu 0xfffe
	v_mul_lo_u32 v5, s3, v4
	s_delay_alu instid0(VALU_DEP_1) | instskip(NEXT) | instid1(VALU_DEP_1)
	v_mul_hi_u32 v5, v4, v5
	v_add_nc_u32_e32 v4, v4, v5
	s_delay_alu instid0(VALU_DEP_1) | instskip(NEXT) | instid1(VALU_DEP_1)
	v_mul_hi_u32 v4, v2, v4
	v_mul_lo_u32 v5, v4, s6
	v_add_nc_u32_e32 v6, 1, v4
	s_delay_alu instid0(VALU_DEP_2) | instskip(NEXT) | instid1(VALU_DEP_1)
	v_sub_nc_u32_e32 v5, v2, v5
	v_subrev_nc_u32_e32 v7, s6, v5
	v_cmp_le_u32_e32 vcc_lo, s6, v5
	s_wait_alu 0xfffd
	s_delay_alu instid0(VALU_DEP_2) | instskip(NEXT) | instid1(VALU_DEP_1)
	v_dual_cndmask_b32 v5, v5, v7 :: v_dual_cndmask_b32 v4, v4, v6
	v_cmp_le_u32_e32 vcc_lo, s6, v5
	s_delay_alu instid0(VALU_DEP_2) | instskip(SKIP_1) | instid1(VALU_DEP_1)
	v_dual_mov_b32 v5, 0 :: v_dual_add_nc_u32 v6, 1, v4
	s_wait_alu 0xfffd
	v_cndmask_b32_e32 v4, v4, v6, vcc_lo
.LBB81_80:
	s_wait_alu 0xfffe
	s_or_b32 exec_lo, exec_lo, s2
	s_wait_kmcnt 0x0
	v_or_b32_e32 v7, s9, v5
	v_mov_b32_e32 v6, 0
	s_delay_alu instid0(VALU_DEP_1)
	v_cmp_ne_u64_e32 vcc_lo, 0, v[6:7]
                                        ; implicit-def: $vgpr6_vgpr7
	s_and_saveexec_b32 s2, vcc_lo
	s_wait_alu 0xfffe
	s_xor_b32 s3, exec_lo, s2
	s_cbranch_execz .LBB81_82
; %bb.81:
	s_ashr_i32 s10, s9, 31
	s_mov_b32 s21, 0
	s_wait_alu 0xfffe
	s_mov_b32 s11, s10
	v_ashrrev_i32_e32 v10, 31, v5
	s_wait_alu 0xfffe
	s_add_nc_u64 s[12:13], s[8:9], s[10:11]
	s_wait_alu 0xfffe
	s_xor_b64 s[10:11], s[12:13], s[10:11]
	v_add_co_u32 v4, vcc_lo, v4, v10
	s_wait_alu 0xfffe
	s_cvt_f32_u32 s2, s10
	s_cvt_f32_u32 s12, s11
	s_sub_nc_u64 s[16:17], 0, s[10:11]
	s_wait_alu 0xfffd
	v_add_co_ci_u32_e64 v5, null, v5, v10, vcc_lo
	s_wait_alu 0xfffe
	s_fmamk_f32 s2, s12, 0x4f800000, s2
	v_xor_b32_e32 v11, v4, v10
	s_delay_alu instid0(VALU_DEP_2) | instskip(SKIP_2) | instid1(TRANS32_DEP_1)
	v_xor_b32_e32 v12, v5, v10
	s_wait_alu 0xfffe
	v_s_rcp_f32 s2, s2
	s_mul_f32 s2, s2, 0x5f7ffffc
	s_wait_alu 0xfffe
	s_delay_alu instid0(SALU_CYCLE_2) | instskip(SKIP_1) | instid1(SALU_CYCLE_2)
	s_mul_f32 s12, s2, 0x2f800000
	s_wait_alu 0xfffe
	s_trunc_f32 s12, s12
	s_wait_alu 0xfffe
	s_delay_alu instid0(SALU_CYCLE_2) | instskip(SKIP_2) | instid1(SALU_CYCLE_1)
	s_fmamk_f32 s2, s12, 0xcf800000, s2
	s_cvt_u32_f32 s13, s12
	s_wait_alu 0xfffe
	s_cvt_u32_f32 s12, s2
	s_wait_alu 0xfffe
	s_delay_alu instid0(SALU_CYCLE_2) | instskip(NEXT) | instid1(SALU_CYCLE_1)
	s_mul_u64 s[18:19], s[16:17], s[12:13]
	s_mul_hi_u32 s23, s12, s19
	s_mul_i32 s22, s12, s19
	s_mul_hi_u32 s20, s12, s18
	s_mul_i32 s15, s13, s18
	s_add_nc_u64 s[22:23], s[20:21], s[22:23]
	s_mul_hi_u32 s2, s13, s18
	s_mul_hi_u32 s24, s13, s19
	s_add_co_u32 s15, s22, s15
	s_wait_alu 0xfffe
	s_add_co_ci_u32 s20, s23, s2
	s_mul_i32 s18, s13, s19
	s_add_co_ci_u32 s19, s24, 0
	s_delay_alu instid0(SALU_CYCLE_1) | instskip(NEXT) | instid1(SALU_CYCLE_1)
	s_add_nc_u64 s[18:19], s[20:21], s[18:19]
	s_add_co_u32 s12, s12, s18
	s_cselect_b32 s2, -1, 0
	s_wait_alu 0xfffe
	s_cmp_lg_u32 s2, 0
	s_add_co_ci_u32 s13, s13, s19
	s_wait_alu 0xfffe
	s_mul_u64 s[16:17], s[16:17], s[12:13]
	s_delay_alu instid0(SALU_CYCLE_1)
	s_mul_hi_u32 s19, s12, s17
	s_mul_i32 s18, s12, s17
	s_mul_hi_u32 s20, s12, s16
	s_mul_i32 s15, s13, s16
	s_add_nc_u64 s[18:19], s[20:21], s[18:19]
	s_mul_hi_u32 s2, s13, s16
	s_mul_hi_u32 s22, s13, s17
	s_add_co_u32 s15, s18, s15
	s_wait_alu 0xfffe
	s_add_co_ci_u32 s20, s19, s2
	s_mul_i32 s16, s13, s17
	s_add_co_ci_u32 s17, s22, 0
	s_delay_alu instid0(SALU_CYCLE_1) | instskip(NEXT) | instid1(SALU_CYCLE_1)
	s_add_nc_u64 s[16:17], s[20:21], s[16:17]
	s_add_co_u32 s2, s12, s16
	s_cselect_b32 s12, -1, 0
	s_wait_alu 0xfffe
	v_mul_hi_u32 v13, v11, s2
	s_cmp_lg_u32 s12, 0
	v_mad_co_u64_u32 v[6:7], null, v12, s2, 0
	s_add_co_ci_u32 s12, s13, s17
	s_wait_alu 0xfffe
	v_mad_co_u64_u32 v[4:5], null, v11, s12, 0
	v_mad_co_u64_u32 v[8:9], null, v12, s12, 0
	s_delay_alu instid0(VALU_DEP_2) | instskip(SKIP_1) | instid1(VALU_DEP_3)
	v_add_co_u32 v4, vcc_lo, v13, v4
	s_wait_alu 0xfffd
	v_add_co_ci_u32_e64 v5, null, 0, v5, vcc_lo
	s_delay_alu instid0(VALU_DEP_2) | instskip(SKIP_1) | instid1(VALU_DEP_2)
	v_add_co_u32 v4, vcc_lo, v4, v6
	s_wait_alu 0xfffd
	v_add_co_ci_u32_e32 v4, vcc_lo, v5, v7, vcc_lo
	s_wait_alu 0xfffd
	v_add_co_ci_u32_e32 v5, vcc_lo, 0, v9, vcc_lo
	s_delay_alu instid0(VALU_DEP_2) | instskip(SKIP_1) | instid1(VALU_DEP_2)
	v_add_co_u32 v4, vcc_lo, v4, v8
	s_wait_alu 0xfffd
	v_add_co_ci_u32_e64 v6, null, 0, v5, vcc_lo
	s_delay_alu instid0(VALU_DEP_2) | instskip(SKIP_1) | instid1(VALU_DEP_3)
	v_mul_lo_u32 v7, s11, v4
	v_mad_co_u64_u32 v[4:5], null, s10, v4, 0
	v_mul_lo_u32 v6, s10, v6
	s_delay_alu instid0(VALU_DEP_2) | instskip(NEXT) | instid1(VALU_DEP_2)
	v_sub_co_u32 v4, vcc_lo, v11, v4
	v_add3_u32 v5, v5, v6, v7
	s_delay_alu instid0(VALU_DEP_2) | instskip(NEXT) | instid1(VALU_DEP_2)
	v_cmp_le_u32_e64 s2, s10, v4
	v_sub_nc_u32_e32 v6, v12, v5
	s_wait_alu 0xfffd
	v_sub_co_ci_u32_e64 v5, null, v12, v5, vcc_lo
	s_wait_alu 0xf1ff
	v_cndmask_b32_e64 v9, 0, -1, s2
	v_subrev_co_ci_u32_e64 v6, null, s11, v6, vcc_lo
	v_sub_co_u32 v7, vcc_lo, v4, s10
	s_wait_alu 0xfffd
	s_delay_alu instid0(VALU_DEP_2) | instskip(NEXT) | instid1(VALU_DEP_2)
	v_subrev_co_ci_u32_e64 v8, null, 0, v6, vcc_lo
	v_cmp_le_u32_e64 s2, s10, v7
	v_subrev_co_ci_u32_e64 v6, null, s11, v6, vcc_lo
	v_cmp_le_u32_e32 vcc_lo, s11, v5
	s_wait_alu 0xf1ff
	s_delay_alu instid0(VALU_DEP_3)
	v_cndmask_b32_e64 v11, 0, -1, s2
	v_cmp_le_u32_e64 s2, s11, v8
	s_wait_alu 0xfffd
	v_cndmask_b32_e64 v13, 0, -1, vcc_lo
	v_cmp_eq_u32_e32 vcc_lo, s11, v8
	s_wait_alu 0xf1ff
	v_cndmask_b32_e64 v12, 0, -1, s2
	v_cmp_eq_u32_e64 s2, s11, v5
	s_wait_alu 0xfffd
	s_delay_alu instid0(VALU_DEP_2) | instskip(SKIP_3) | instid1(VALU_DEP_3)
	v_cndmask_b32_e32 v11, v12, v11, vcc_lo
	v_sub_co_u32 v12, vcc_lo, v7, s10
	s_wait_alu 0xfffd
	v_subrev_co_ci_u32_e64 v6, null, 0, v6, vcc_lo
	v_cmp_ne_u32_e32 vcc_lo, 0, v11
	s_wait_alu 0xf1ff
	v_cndmask_b32_e64 v9, v13, v9, s2
	s_wait_alu 0xfffd
	v_dual_cndmask_b32 v6, v8, v6 :: v_dual_cndmask_b32 v7, v7, v12
	s_delay_alu instid0(VALU_DEP_2) | instskip(SKIP_1) | instid1(VALU_DEP_2)
	v_cmp_ne_u32_e32 vcc_lo, 0, v9
	s_wait_alu 0xfffd
	v_dual_cndmask_b32 v5, v5, v6 :: v_dual_cndmask_b32 v4, v4, v7
	s_delay_alu instid0(VALU_DEP_1) | instskip(NEXT) | instid1(VALU_DEP_2)
	v_xor_b32_e32 v5, v5, v10
	v_xor_b32_e32 v4, v4, v10
	s_delay_alu instid0(VALU_DEP_1) | instskip(SKIP_1) | instid1(VALU_DEP_3)
	v_sub_co_u32 v6, vcc_lo, v4, v10
	s_wait_alu 0xfffd
	v_sub_co_ci_u32_e64 v7, null, v5, v10, vcc_lo
                                        ; implicit-def: $vgpr4_vgpr5
.LBB81_82:
	s_wait_alu 0xfffe
	s_and_not1_saveexec_b32 s2, s3
	s_cbranch_execz .LBB81_84
; %bb.83:
	v_cvt_f32_u32_e32 v5, s8
	s_sub_co_i32 s3, 0, s8
	v_mov_b32_e32 v7, 0
	s_delay_alu instid0(VALU_DEP_2) | instskip(NEXT) | instid1(TRANS32_DEP_1)
	v_rcp_iflag_f32_e32 v5, v5
	v_mul_f32_e32 v5, 0x4f7ffffe, v5
	s_delay_alu instid0(VALU_DEP_1) | instskip(SKIP_1) | instid1(VALU_DEP_1)
	v_cvt_u32_f32_e32 v5, v5
	s_wait_alu 0xfffe
	v_mul_lo_u32 v6, s3, v5
	s_delay_alu instid0(VALU_DEP_1) | instskip(NEXT) | instid1(VALU_DEP_1)
	v_mul_hi_u32 v6, v5, v6
	v_add_nc_u32_e32 v5, v5, v6
	s_delay_alu instid0(VALU_DEP_1) | instskip(NEXT) | instid1(VALU_DEP_1)
	v_mul_hi_u32 v5, v4, v5
	v_mul_lo_u32 v5, v5, s8
	s_delay_alu instid0(VALU_DEP_1) | instskip(NEXT) | instid1(VALU_DEP_1)
	v_sub_nc_u32_e32 v4, v4, v5
	v_subrev_nc_u32_e32 v5, s8, v4
	v_cmp_le_u32_e32 vcc_lo, s8, v4
	s_wait_alu 0xfffd
	s_delay_alu instid0(VALU_DEP_2) | instskip(NEXT) | instid1(VALU_DEP_1)
	v_cndmask_b32_e32 v4, v4, v5, vcc_lo
	v_subrev_nc_u32_e32 v5, s8, v4
	v_cmp_le_u32_e32 vcc_lo, s8, v4
	s_wait_alu 0xfffd
	s_delay_alu instid0(VALU_DEP_2)
	v_cndmask_b32_e32 v6, v4, v5, vcc_lo
.LBB81_84:
	s_wait_alu 0xfffe
	s_or_b32 exec_lo, exec_lo, s2
	v_mad_co_u64_u32 v[4:5], null, 0x50, s4, v[0:1]
	s_mul_u64 s[6:7], s[8:9], s[6:7]
	v_mad_co_u64_u32 v[8:9], null, 0x50, s5, v[5:6]
	s_delay_alu instid0(VALU_DEP_1)
	v_mov_b32_e32 v5, v8
	global_store_b64 v[4:5], v[6:7], off
	s_cmp_lt_i32 s14, 10
	s_cbranch_scc1 .LBB81_16
.LBB81_85:
	s_load_b64 s[8:9], s[0:1], 0x50
	s_wait_loadcnt 0x0
	v_or_b32_e32 v5, s7, v3
	v_mov_b32_e32 v4, 0
	s_delay_alu instid0(VALU_DEP_1)
	v_cmp_ne_u64_e32 vcc_lo, 0, v[4:5]
                                        ; implicit-def: $vgpr4_vgpr5
	s_and_saveexec_b32 s2, vcc_lo
	s_wait_alu 0xfffe
	s_xor_b32 s3, exec_lo, s2
	s_cbranch_execz .LBB81_87
; %bb.86:
	s_ashr_i32 s10, s7, 31
	s_mov_b32 s23, 0
	s_wait_alu 0xfffe
	s_mov_b32 s11, s10
	v_ashrrev_i32_e32 v10, 31, v3
	s_wait_alu 0xfffe
	s_add_nc_u64 s[12:13], s[6:7], s[10:11]
	s_wait_alu 0xfffe
	s_xor_b64 s[12:13], s[12:13], s[10:11]
	v_add_co_u32 v4, vcc_lo, v2, v10
	s_wait_alu 0xfffe
	s_cvt_f32_u32 s2, s12
	s_cvt_f32_u32 s11, s13
	s_sub_nc_u64 s[18:19], 0, s[12:13]
	s_wait_alu 0xfffd
	v_add_co_ci_u32_e64 v5, null, v3, v10, vcc_lo
	s_wait_alu 0xfffe
	s_fmamk_f32 s2, s11, 0x4f800000, s2
	v_xor_b32_e32 v11, v4, v10
	s_delay_alu instid0(VALU_DEP_2) | instskip(SKIP_2) | instid1(TRANS32_DEP_1)
	v_xor_b32_e32 v12, v5, v10
	s_wait_alu 0xfffe
	v_s_rcp_f32 s2, s2
	s_mul_f32 s2, s2, 0x5f7ffffc
	s_wait_alu 0xfffe
	s_delay_alu instid0(SALU_CYCLE_2) | instskip(SKIP_1) | instid1(SALU_CYCLE_2)
	s_mul_f32 s11, s2, 0x2f800000
	s_wait_alu 0xfffe
	s_trunc_f32 s11, s11
	s_wait_alu 0xfffe
	s_delay_alu instid0(SALU_CYCLE_2) | instskip(SKIP_2) | instid1(SALU_CYCLE_1)
	s_fmamk_f32 s2, s11, 0xcf800000, s2
	s_cvt_u32_f32 s17, s11
	s_wait_alu 0xfffe
	s_cvt_u32_f32 s16, s2
	s_delay_alu instid0(SALU_CYCLE_3) | instskip(NEXT) | instid1(SALU_CYCLE_1)
	s_mul_u64 s[20:21], s[18:19], s[16:17]
	s_mul_hi_u32 s25, s16, s21
	s_mul_i32 s24, s16, s21
	s_mul_hi_u32 s22, s16, s20
	s_mul_i32 s11, s17, s20
	s_add_nc_u64 s[24:25], s[22:23], s[24:25]
	s_mul_hi_u32 s2, s17, s20
	s_mul_hi_u32 s15, s17, s21
	s_wait_alu 0xfffe
	s_add_co_u32 s11, s24, s11
	s_add_co_ci_u32 s22, s25, s2
	s_mul_i32 s20, s17, s21
	s_add_co_ci_u32 s21, s15, 0
	s_delay_alu instid0(SALU_CYCLE_1) | instskip(NEXT) | instid1(SALU_CYCLE_1)
	s_add_nc_u64 s[20:21], s[22:23], s[20:21]
	s_add_co_u32 s16, s16, s20
	s_cselect_b32 s2, -1, 0
	s_wait_alu 0xfffe
	s_cmp_lg_u32 s2, 0
	s_add_co_ci_u32 s17, s17, s21
	s_delay_alu instid0(SALU_CYCLE_1) | instskip(NEXT) | instid1(SALU_CYCLE_1)
	s_mul_u64 s[18:19], s[18:19], s[16:17]
	s_mul_hi_u32 s21, s16, s19
	s_mul_i32 s20, s16, s19
	s_mul_hi_u32 s22, s16, s18
	s_mul_i32 s11, s17, s18
	s_add_nc_u64 s[20:21], s[22:23], s[20:21]
	s_mul_hi_u32 s2, s17, s18
	s_mul_hi_u32 s15, s17, s19
	s_wait_alu 0xfffe
	s_add_co_u32 s11, s20, s11
	s_add_co_ci_u32 s22, s21, s2
	s_mul_i32 s18, s17, s19
	s_add_co_ci_u32 s19, s15, 0
	s_delay_alu instid0(SALU_CYCLE_1) | instskip(NEXT) | instid1(SALU_CYCLE_1)
	s_add_nc_u64 s[18:19], s[22:23], s[18:19]
	s_add_co_u32 s2, s16, s18
	s_cselect_b32 s11, -1, 0
	s_wait_alu 0xfffe
	v_mul_hi_u32 v13, v11, s2
	s_cmp_lg_u32 s11, 0
	v_mad_co_u64_u32 v[6:7], null, v12, s2, 0
	s_add_co_ci_u32 s11, s17, s19
	s_wait_alu 0xfffe
	v_mad_co_u64_u32 v[4:5], null, v11, s11, 0
	v_mad_co_u64_u32 v[8:9], null, v12, s11, 0
	s_delay_alu instid0(VALU_DEP_2) | instskip(SKIP_1) | instid1(VALU_DEP_3)
	v_add_co_u32 v4, vcc_lo, v13, v4
	s_wait_alu 0xfffd
	v_add_co_ci_u32_e64 v5, null, 0, v5, vcc_lo
	s_delay_alu instid0(VALU_DEP_2) | instskip(SKIP_1) | instid1(VALU_DEP_2)
	v_add_co_u32 v4, vcc_lo, v4, v6
	s_wait_alu 0xfffd
	v_add_co_ci_u32_e32 v4, vcc_lo, v5, v7, vcc_lo
	s_wait_alu 0xfffd
	v_add_co_ci_u32_e32 v5, vcc_lo, 0, v9, vcc_lo
	s_delay_alu instid0(VALU_DEP_2) | instskip(SKIP_1) | instid1(VALU_DEP_2)
	v_add_co_u32 v6, vcc_lo, v4, v8
	s_wait_alu 0xfffd
	v_add_co_ci_u32_e64 v7, null, 0, v5, vcc_lo
	s_delay_alu instid0(VALU_DEP_2) | instskip(SKIP_1) | instid1(VALU_DEP_3)
	v_mul_lo_u32 v8, s13, v6
	v_mad_co_u64_u32 v[4:5], null, s12, v6, 0
	v_mul_lo_u32 v9, s12, v7
	s_delay_alu instid0(VALU_DEP_2) | instskip(NEXT) | instid1(VALU_DEP_2)
	v_sub_co_u32 v4, vcc_lo, v11, v4
	v_add3_u32 v5, v5, v9, v8
	v_add_co_u32 v9, s2, v6, 2
	s_wait_alu 0xf1ff
	v_add_co_ci_u32_e64 v11, null, 0, v7, s2
	s_delay_alu instid0(VALU_DEP_3) | instskip(SKIP_3) | instid1(VALU_DEP_3)
	v_sub_nc_u32_e32 v8, v12, v5
	v_sub_co_u32 v13, s2, v4, s12
	s_wait_alu 0xfffd
	v_sub_co_ci_u32_e64 v5, null, v12, v5, vcc_lo
	v_subrev_co_ci_u32_e64 v8, null, s13, v8, vcc_lo
	s_delay_alu instid0(VALU_DEP_3) | instskip(SKIP_1) | instid1(VALU_DEP_2)
	v_cmp_le_u32_e32 vcc_lo, s12, v13
	s_wait_alu 0xf1ff
	v_subrev_co_ci_u32_e64 v8, null, 0, v8, s2
	s_wait_alu 0xfffd
	v_cndmask_b32_e64 v12, 0, -1, vcc_lo
	s_delay_alu instid0(VALU_DEP_2)
	v_cmp_le_u32_e32 vcc_lo, s13, v8
	s_wait_alu 0xfffd
	v_cndmask_b32_e64 v13, 0, -1, vcc_lo
	v_cmp_le_u32_e32 vcc_lo, s12, v4
	s_wait_alu 0xfffd
	v_cndmask_b32_e64 v4, 0, -1, vcc_lo
	;; [unrolled: 3-line block ×3, first 2 shown]
	v_cmp_eq_u32_e32 vcc_lo, s13, v8
	s_wait_alu 0xfffd
	v_cndmask_b32_e32 v8, v13, v12, vcc_lo
	v_add_co_u32 v12, vcc_lo, v6, 1
	s_wait_alu 0xfffd
	v_add_co_ci_u32_e64 v13, null, 0, v7, vcc_lo
	v_cmp_eq_u32_e32 vcc_lo, s13, v5
	s_wait_alu 0xfffd
	v_cndmask_b32_e32 v4, v14, v4, vcc_lo
	v_cmp_ne_u32_e32 vcc_lo, 0, v8
	v_xor_b32_e32 v8, s10, v10
	s_wait_alu 0xfffd
	v_cndmask_b32_e32 v5, v13, v11, vcc_lo
	v_cmp_ne_u32_e64 s2, 0, v4
	v_cndmask_b32_e32 v4, v12, v9, vcc_lo
	s_wait_alu 0xf1ff
	s_delay_alu instid0(VALU_DEP_2) | instskip(NEXT) | instid1(VALU_DEP_2)
	v_cndmask_b32_e64 v5, v7, v5, s2
	v_cndmask_b32_e64 v4, v6, v4, s2
	s_delay_alu instid0(VALU_DEP_2) | instskip(NEXT) | instid1(VALU_DEP_2)
	v_xor_b32_e32 v5, v5, v8
	v_xor_b32_e32 v4, v4, v8
	s_delay_alu instid0(VALU_DEP_1) | instskip(SKIP_1) | instid1(VALU_DEP_3)
	v_sub_co_u32 v4, vcc_lo, v4, v8
	s_wait_alu 0xfffd
	v_sub_co_ci_u32_e64 v5, null, v5, v8, vcc_lo
.LBB81_87:
	s_wait_alu 0xfffe
	s_and_not1_saveexec_b32 s2, s3
	s_cbranch_execz .LBB81_89
; %bb.88:
	v_cvt_f32_u32_e32 v4, s6
	s_sub_co_i32 s3, 0, s6
	s_delay_alu instid0(VALU_DEP_1) | instskip(NEXT) | instid1(TRANS32_DEP_1)
	v_rcp_iflag_f32_e32 v4, v4
	v_mul_f32_e32 v4, 0x4f7ffffe, v4
	s_delay_alu instid0(VALU_DEP_1) | instskip(SKIP_1) | instid1(VALU_DEP_1)
	v_cvt_u32_f32_e32 v4, v4
	s_wait_alu 0xfffe
	v_mul_lo_u32 v5, s3, v4
	s_delay_alu instid0(VALU_DEP_1) | instskip(NEXT) | instid1(VALU_DEP_1)
	v_mul_hi_u32 v5, v4, v5
	v_add_nc_u32_e32 v4, v4, v5
	s_delay_alu instid0(VALU_DEP_1) | instskip(NEXT) | instid1(VALU_DEP_1)
	v_mul_hi_u32 v4, v2, v4
	v_mul_lo_u32 v5, v4, s6
	v_add_nc_u32_e32 v6, 1, v4
	s_delay_alu instid0(VALU_DEP_2) | instskip(NEXT) | instid1(VALU_DEP_1)
	v_sub_nc_u32_e32 v5, v2, v5
	v_subrev_nc_u32_e32 v7, s6, v5
	v_cmp_le_u32_e32 vcc_lo, s6, v5
	s_wait_alu 0xfffd
	s_delay_alu instid0(VALU_DEP_2) | instskip(NEXT) | instid1(VALU_DEP_1)
	v_dual_cndmask_b32 v5, v5, v7 :: v_dual_cndmask_b32 v4, v4, v6
	v_cmp_le_u32_e32 vcc_lo, s6, v5
	s_delay_alu instid0(VALU_DEP_2) | instskip(SKIP_1) | instid1(VALU_DEP_1)
	v_dual_mov_b32 v5, 0 :: v_dual_add_nc_u32 v6, 1, v4
	s_wait_alu 0xfffd
	v_cndmask_b32_e32 v4, v4, v6, vcc_lo
.LBB81_89:
	s_wait_alu 0xfffe
	s_or_b32 exec_lo, exec_lo, s2
	s_wait_kmcnt 0x0
	v_or_b32_e32 v7, s9, v5
	v_mov_b32_e32 v6, 0
	s_delay_alu instid0(VALU_DEP_1)
	v_cmp_ne_u64_e32 vcc_lo, 0, v[6:7]
                                        ; implicit-def: $vgpr6_vgpr7
	s_and_saveexec_b32 s2, vcc_lo
	s_wait_alu 0xfffe
	s_xor_b32 s3, exec_lo, s2
	s_cbranch_execz .LBB81_91
; %bb.90:
	s_ashr_i32 s10, s9, 31
	s_mov_b32 s21, 0
	s_wait_alu 0xfffe
	s_mov_b32 s11, s10
	v_ashrrev_i32_e32 v10, 31, v5
	s_wait_alu 0xfffe
	s_add_nc_u64 s[12:13], s[8:9], s[10:11]
	s_wait_alu 0xfffe
	s_xor_b64 s[10:11], s[12:13], s[10:11]
	v_add_co_u32 v4, vcc_lo, v4, v10
	s_wait_alu 0xfffe
	s_cvt_f32_u32 s2, s10
	s_cvt_f32_u32 s12, s11
	s_sub_nc_u64 s[16:17], 0, s[10:11]
	s_wait_alu 0xfffd
	v_add_co_ci_u32_e64 v5, null, v5, v10, vcc_lo
	s_wait_alu 0xfffe
	s_fmamk_f32 s2, s12, 0x4f800000, s2
	v_xor_b32_e32 v11, v4, v10
	s_delay_alu instid0(VALU_DEP_2) | instskip(SKIP_2) | instid1(TRANS32_DEP_1)
	v_xor_b32_e32 v12, v5, v10
	s_wait_alu 0xfffe
	v_s_rcp_f32 s2, s2
	s_mul_f32 s2, s2, 0x5f7ffffc
	s_wait_alu 0xfffe
	s_delay_alu instid0(SALU_CYCLE_2) | instskip(SKIP_1) | instid1(SALU_CYCLE_2)
	s_mul_f32 s12, s2, 0x2f800000
	s_wait_alu 0xfffe
	s_trunc_f32 s12, s12
	s_wait_alu 0xfffe
	s_delay_alu instid0(SALU_CYCLE_2) | instskip(SKIP_2) | instid1(SALU_CYCLE_1)
	s_fmamk_f32 s2, s12, 0xcf800000, s2
	s_cvt_u32_f32 s13, s12
	s_wait_alu 0xfffe
	s_cvt_u32_f32 s12, s2
	s_wait_alu 0xfffe
	s_delay_alu instid0(SALU_CYCLE_2) | instskip(NEXT) | instid1(SALU_CYCLE_1)
	s_mul_u64 s[18:19], s[16:17], s[12:13]
	s_mul_hi_u32 s23, s12, s19
	s_mul_i32 s22, s12, s19
	s_mul_hi_u32 s20, s12, s18
	s_mul_i32 s15, s13, s18
	s_add_nc_u64 s[22:23], s[20:21], s[22:23]
	s_mul_hi_u32 s2, s13, s18
	s_mul_hi_u32 s24, s13, s19
	s_add_co_u32 s15, s22, s15
	s_wait_alu 0xfffe
	s_add_co_ci_u32 s20, s23, s2
	s_mul_i32 s18, s13, s19
	s_add_co_ci_u32 s19, s24, 0
	s_delay_alu instid0(SALU_CYCLE_1) | instskip(NEXT) | instid1(SALU_CYCLE_1)
	s_add_nc_u64 s[18:19], s[20:21], s[18:19]
	s_add_co_u32 s12, s12, s18
	s_cselect_b32 s2, -1, 0
	s_wait_alu 0xfffe
	s_cmp_lg_u32 s2, 0
	s_add_co_ci_u32 s13, s13, s19
	s_wait_alu 0xfffe
	s_mul_u64 s[16:17], s[16:17], s[12:13]
	s_delay_alu instid0(SALU_CYCLE_1)
	s_mul_hi_u32 s19, s12, s17
	s_mul_i32 s18, s12, s17
	s_mul_hi_u32 s20, s12, s16
	s_mul_i32 s15, s13, s16
	s_add_nc_u64 s[18:19], s[20:21], s[18:19]
	s_mul_hi_u32 s2, s13, s16
	s_mul_hi_u32 s22, s13, s17
	s_add_co_u32 s15, s18, s15
	s_wait_alu 0xfffe
	s_add_co_ci_u32 s20, s19, s2
	s_mul_i32 s16, s13, s17
	s_add_co_ci_u32 s17, s22, 0
	s_delay_alu instid0(SALU_CYCLE_1) | instskip(NEXT) | instid1(SALU_CYCLE_1)
	s_add_nc_u64 s[16:17], s[20:21], s[16:17]
	s_add_co_u32 s2, s12, s16
	s_cselect_b32 s12, -1, 0
	s_wait_alu 0xfffe
	v_mul_hi_u32 v13, v11, s2
	s_cmp_lg_u32 s12, 0
	v_mad_co_u64_u32 v[6:7], null, v12, s2, 0
	s_add_co_ci_u32 s12, s13, s17
	s_wait_alu 0xfffe
	v_mad_co_u64_u32 v[4:5], null, v11, s12, 0
	v_mad_co_u64_u32 v[8:9], null, v12, s12, 0
	s_delay_alu instid0(VALU_DEP_2) | instskip(SKIP_1) | instid1(VALU_DEP_3)
	v_add_co_u32 v4, vcc_lo, v13, v4
	s_wait_alu 0xfffd
	v_add_co_ci_u32_e64 v5, null, 0, v5, vcc_lo
	s_delay_alu instid0(VALU_DEP_2) | instskip(SKIP_1) | instid1(VALU_DEP_2)
	v_add_co_u32 v4, vcc_lo, v4, v6
	s_wait_alu 0xfffd
	v_add_co_ci_u32_e32 v4, vcc_lo, v5, v7, vcc_lo
	s_wait_alu 0xfffd
	v_add_co_ci_u32_e32 v5, vcc_lo, 0, v9, vcc_lo
	s_delay_alu instid0(VALU_DEP_2) | instskip(SKIP_1) | instid1(VALU_DEP_2)
	v_add_co_u32 v4, vcc_lo, v4, v8
	s_wait_alu 0xfffd
	v_add_co_ci_u32_e64 v6, null, 0, v5, vcc_lo
	s_delay_alu instid0(VALU_DEP_2) | instskip(SKIP_1) | instid1(VALU_DEP_3)
	v_mul_lo_u32 v7, s11, v4
	v_mad_co_u64_u32 v[4:5], null, s10, v4, 0
	v_mul_lo_u32 v6, s10, v6
	s_delay_alu instid0(VALU_DEP_2) | instskip(NEXT) | instid1(VALU_DEP_2)
	v_sub_co_u32 v4, vcc_lo, v11, v4
	v_add3_u32 v5, v5, v6, v7
	s_delay_alu instid0(VALU_DEP_2) | instskip(NEXT) | instid1(VALU_DEP_2)
	v_cmp_le_u32_e64 s2, s10, v4
	v_sub_nc_u32_e32 v6, v12, v5
	s_wait_alu 0xfffd
	v_sub_co_ci_u32_e64 v5, null, v12, v5, vcc_lo
	s_wait_alu 0xf1ff
	v_cndmask_b32_e64 v9, 0, -1, s2
	v_subrev_co_ci_u32_e64 v6, null, s11, v6, vcc_lo
	v_sub_co_u32 v7, vcc_lo, v4, s10
	s_wait_alu 0xfffd
	s_delay_alu instid0(VALU_DEP_2) | instskip(NEXT) | instid1(VALU_DEP_2)
	v_subrev_co_ci_u32_e64 v8, null, 0, v6, vcc_lo
	v_cmp_le_u32_e64 s2, s10, v7
	v_subrev_co_ci_u32_e64 v6, null, s11, v6, vcc_lo
	v_cmp_le_u32_e32 vcc_lo, s11, v5
	s_wait_alu 0xf1ff
	s_delay_alu instid0(VALU_DEP_3)
	v_cndmask_b32_e64 v11, 0, -1, s2
	v_cmp_le_u32_e64 s2, s11, v8
	s_wait_alu 0xfffd
	v_cndmask_b32_e64 v13, 0, -1, vcc_lo
	v_cmp_eq_u32_e32 vcc_lo, s11, v8
	s_wait_alu 0xf1ff
	v_cndmask_b32_e64 v12, 0, -1, s2
	v_cmp_eq_u32_e64 s2, s11, v5
	s_wait_alu 0xfffd
	s_delay_alu instid0(VALU_DEP_2) | instskip(SKIP_3) | instid1(VALU_DEP_3)
	v_cndmask_b32_e32 v11, v12, v11, vcc_lo
	v_sub_co_u32 v12, vcc_lo, v7, s10
	s_wait_alu 0xfffd
	v_subrev_co_ci_u32_e64 v6, null, 0, v6, vcc_lo
	v_cmp_ne_u32_e32 vcc_lo, 0, v11
	s_wait_alu 0xf1ff
	v_cndmask_b32_e64 v9, v13, v9, s2
	s_wait_alu 0xfffd
	v_dual_cndmask_b32 v6, v8, v6 :: v_dual_cndmask_b32 v7, v7, v12
	s_delay_alu instid0(VALU_DEP_2) | instskip(SKIP_1) | instid1(VALU_DEP_2)
	v_cmp_ne_u32_e32 vcc_lo, 0, v9
	s_wait_alu 0xfffd
	v_dual_cndmask_b32 v5, v5, v6 :: v_dual_cndmask_b32 v4, v4, v7
	s_delay_alu instid0(VALU_DEP_1) | instskip(NEXT) | instid1(VALU_DEP_2)
	v_xor_b32_e32 v5, v5, v10
	v_xor_b32_e32 v4, v4, v10
	s_delay_alu instid0(VALU_DEP_1) | instskip(SKIP_1) | instid1(VALU_DEP_3)
	v_sub_co_u32 v6, vcc_lo, v4, v10
	s_wait_alu 0xfffd
	v_sub_co_ci_u32_e64 v7, null, v5, v10, vcc_lo
                                        ; implicit-def: $vgpr4_vgpr5
.LBB81_91:
	s_wait_alu 0xfffe
	s_and_not1_saveexec_b32 s2, s3
	s_cbranch_execz .LBB81_93
; %bb.92:
	v_cvt_f32_u32_e32 v5, s8
	s_sub_co_i32 s3, 0, s8
	v_mov_b32_e32 v7, 0
	s_delay_alu instid0(VALU_DEP_2) | instskip(NEXT) | instid1(TRANS32_DEP_1)
	v_rcp_iflag_f32_e32 v5, v5
	v_mul_f32_e32 v5, 0x4f7ffffe, v5
	s_delay_alu instid0(VALU_DEP_1) | instskip(SKIP_1) | instid1(VALU_DEP_1)
	v_cvt_u32_f32_e32 v5, v5
	s_wait_alu 0xfffe
	v_mul_lo_u32 v6, s3, v5
	s_delay_alu instid0(VALU_DEP_1) | instskip(NEXT) | instid1(VALU_DEP_1)
	v_mul_hi_u32 v6, v5, v6
	v_add_nc_u32_e32 v5, v5, v6
	s_delay_alu instid0(VALU_DEP_1) | instskip(NEXT) | instid1(VALU_DEP_1)
	v_mul_hi_u32 v5, v4, v5
	v_mul_lo_u32 v5, v5, s8
	s_delay_alu instid0(VALU_DEP_1) | instskip(NEXT) | instid1(VALU_DEP_1)
	v_sub_nc_u32_e32 v4, v4, v5
	v_subrev_nc_u32_e32 v5, s8, v4
	v_cmp_le_u32_e32 vcc_lo, s8, v4
	s_wait_alu 0xfffd
	s_delay_alu instid0(VALU_DEP_2) | instskip(NEXT) | instid1(VALU_DEP_1)
	v_cndmask_b32_e32 v4, v4, v5, vcc_lo
	v_subrev_nc_u32_e32 v5, s8, v4
	v_cmp_le_u32_e32 vcc_lo, s8, v4
	s_wait_alu 0xfffd
	s_delay_alu instid0(VALU_DEP_2)
	v_cndmask_b32_e32 v6, v4, v5, vcc_lo
.LBB81_93:
	s_wait_alu 0xfffe
	s_or_b32 exec_lo, exec_lo, s2
	v_mad_co_u64_u32 v[4:5], null, 0x48, s4, v[0:1]
	s_mul_u64 s[6:7], s[8:9], s[6:7]
	v_mad_co_u64_u32 v[8:9], null, 0x48, s5, v[5:6]
	s_delay_alu instid0(VALU_DEP_1)
	v_mov_b32_e32 v5, v8
	global_store_b64 v[4:5], v[6:7], off
	s_cmp_lt_i32 s14, 9
	s_cbranch_scc1 .LBB81_17
.LBB81_94:
	s_load_b64 s[8:9], s[0:1], 0x48
	s_wait_loadcnt 0x0
	v_or_b32_e32 v5, s7, v3
	v_mov_b32_e32 v4, 0
	s_delay_alu instid0(VALU_DEP_1)
	v_cmp_ne_u64_e32 vcc_lo, 0, v[4:5]
                                        ; implicit-def: $vgpr4_vgpr5
	s_and_saveexec_b32 s2, vcc_lo
	s_wait_alu 0xfffe
	s_xor_b32 s3, exec_lo, s2
	s_cbranch_execz .LBB81_96
; %bb.95:
	s_ashr_i32 s10, s7, 31
	s_mov_b32 s23, 0
	s_wait_alu 0xfffe
	s_mov_b32 s11, s10
	v_ashrrev_i32_e32 v10, 31, v3
	s_wait_alu 0xfffe
	s_add_nc_u64 s[12:13], s[6:7], s[10:11]
	s_wait_alu 0xfffe
	s_xor_b64 s[12:13], s[12:13], s[10:11]
	v_add_co_u32 v4, vcc_lo, v2, v10
	s_wait_alu 0xfffe
	s_cvt_f32_u32 s2, s12
	s_cvt_f32_u32 s11, s13
	s_sub_nc_u64 s[18:19], 0, s[12:13]
	s_wait_alu 0xfffd
	v_add_co_ci_u32_e64 v5, null, v3, v10, vcc_lo
	s_wait_alu 0xfffe
	s_fmamk_f32 s2, s11, 0x4f800000, s2
	v_xor_b32_e32 v11, v4, v10
	s_delay_alu instid0(VALU_DEP_2) | instskip(SKIP_2) | instid1(TRANS32_DEP_1)
	v_xor_b32_e32 v12, v5, v10
	s_wait_alu 0xfffe
	v_s_rcp_f32 s2, s2
	s_mul_f32 s2, s2, 0x5f7ffffc
	s_wait_alu 0xfffe
	s_delay_alu instid0(SALU_CYCLE_2) | instskip(SKIP_1) | instid1(SALU_CYCLE_2)
	s_mul_f32 s11, s2, 0x2f800000
	s_wait_alu 0xfffe
	s_trunc_f32 s11, s11
	s_wait_alu 0xfffe
	s_delay_alu instid0(SALU_CYCLE_2) | instskip(SKIP_2) | instid1(SALU_CYCLE_1)
	s_fmamk_f32 s2, s11, 0xcf800000, s2
	s_cvt_u32_f32 s17, s11
	s_wait_alu 0xfffe
	s_cvt_u32_f32 s16, s2
	s_delay_alu instid0(SALU_CYCLE_3) | instskip(NEXT) | instid1(SALU_CYCLE_1)
	s_mul_u64 s[20:21], s[18:19], s[16:17]
	s_mul_hi_u32 s25, s16, s21
	s_mul_i32 s24, s16, s21
	s_mul_hi_u32 s22, s16, s20
	s_mul_i32 s11, s17, s20
	s_add_nc_u64 s[24:25], s[22:23], s[24:25]
	s_mul_hi_u32 s2, s17, s20
	s_mul_hi_u32 s15, s17, s21
	s_wait_alu 0xfffe
	s_add_co_u32 s11, s24, s11
	s_add_co_ci_u32 s22, s25, s2
	s_mul_i32 s20, s17, s21
	s_add_co_ci_u32 s21, s15, 0
	s_delay_alu instid0(SALU_CYCLE_1) | instskip(NEXT) | instid1(SALU_CYCLE_1)
	s_add_nc_u64 s[20:21], s[22:23], s[20:21]
	s_add_co_u32 s16, s16, s20
	s_cselect_b32 s2, -1, 0
	s_wait_alu 0xfffe
	s_cmp_lg_u32 s2, 0
	s_add_co_ci_u32 s17, s17, s21
	s_delay_alu instid0(SALU_CYCLE_1) | instskip(NEXT) | instid1(SALU_CYCLE_1)
	s_mul_u64 s[18:19], s[18:19], s[16:17]
	s_mul_hi_u32 s21, s16, s19
	s_mul_i32 s20, s16, s19
	s_mul_hi_u32 s22, s16, s18
	s_mul_i32 s11, s17, s18
	s_add_nc_u64 s[20:21], s[22:23], s[20:21]
	s_mul_hi_u32 s2, s17, s18
	s_mul_hi_u32 s15, s17, s19
	s_wait_alu 0xfffe
	s_add_co_u32 s11, s20, s11
	s_add_co_ci_u32 s22, s21, s2
	s_mul_i32 s18, s17, s19
	s_add_co_ci_u32 s19, s15, 0
	s_delay_alu instid0(SALU_CYCLE_1) | instskip(NEXT) | instid1(SALU_CYCLE_1)
	s_add_nc_u64 s[18:19], s[22:23], s[18:19]
	s_add_co_u32 s2, s16, s18
	s_cselect_b32 s11, -1, 0
	s_wait_alu 0xfffe
	v_mul_hi_u32 v13, v11, s2
	s_cmp_lg_u32 s11, 0
	v_mad_co_u64_u32 v[6:7], null, v12, s2, 0
	s_add_co_ci_u32 s11, s17, s19
	s_wait_alu 0xfffe
	v_mad_co_u64_u32 v[4:5], null, v11, s11, 0
	v_mad_co_u64_u32 v[8:9], null, v12, s11, 0
	s_delay_alu instid0(VALU_DEP_2) | instskip(SKIP_1) | instid1(VALU_DEP_3)
	v_add_co_u32 v4, vcc_lo, v13, v4
	s_wait_alu 0xfffd
	v_add_co_ci_u32_e64 v5, null, 0, v5, vcc_lo
	s_delay_alu instid0(VALU_DEP_2) | instskip(SKIP_1) | instid1(VALU_DEP_2)
	v_add_co_u32 v4, vcc_lo, v4, v6
	s_wait_alu 0xfffd
	v_add_co_ci_u32_e32 v4, vcc_lo, v5, v7, vcc_lo
	s_wait_alu 0xfffd
	v_add_co_ci_u32_e32 v5, vcc_lo, 0, v9, vcc_lo
	s_delay_alu instid0(VALU_DEP_2) | instskip(SKIP_1) | instid1(VALU_DEP_2)
	v_add_co_u32 v6, vcc_lo, v4, v8
	s_wait_alu 0xfffd
	v_add_co_ci_u32_e64 v7, null, 0, v5, vcc_lo
	s_delay_alu instid0(VALU_DEP_2) | instskip(SKIP_1) | instid1(VALU_DEP_3)
	v_mul_lo_u32 v8, s13, v6
	v_mad_co_u64_u32 v[4:5], null, s12, v6, 0
	v_mul_lo_u32 v9, s12, v7
	s_delay_alu instid0(VALU_DEP_2) | instskip(NEXT) | instid1(VALU_DEP_2)
	v_sub_co_u32 v4, vcc_lo, v11, v4
	v_add3_u32 v5, v5, v9, v8
	v_add_co_u32 v9, s2, v6, 2
	s_wait_alu 0xf1ff
	v_add_co_ci_u32_e64 v11, null, 0, v7, s2
	s_delay_alu instid0(VALU_DEP_3) | instskip(SKIP_3) | instid1(VALU_DEP_3)
	v_sub_nc_u32_e32 v8, v12, v5
	v_sub_co_u32 v13, s2, v4, s12
	s_wait_alu 0xfffd
	v_sub_co_ci_u32_e64 v5, null, v12, v5, vcc_lo
	v_subrev_co_ci_u32_e64 v8, null, s13, v8, vcc_lo
	s_delay_alu instid0(VALU_DEP_3) | instskip(SKIP_1) | instid1(VALU_DEP_2)
	v_cmp_le_u32_e32 vcc_lo, s12, v13
	s_wait_alu 0xf1ff
	v_subrev_co_ci_u32_e64 v8, null, 0, v8, s2
	s_wait_alu 0xfffd
	v_cndmask_b32_e64 v12, 0, -1, vcc_lo
	s_delay_alu instid0(VALU_DEP_2)
	v_cmp_le_u32_e32 vcc_lo, s13, v8
	s_wait_alu 0xfffd
	v_cndmask_b32_e64 v13, 0, -1, vcc_lo
	v_cmp_le_u32_e32 vcc_lo, s12, v4
	s_wait_alu 0xfffd
	v_cndmask_b32_e64 v4, 0, -1, vcc_lo
	;; [unrolled: 3-line block ×3, first 2 shown]
	v_cmp_eq_u32_e32 vcc_lo, s13, v8
	s_wait_alu 0xfffd
	v_cndmask_b32_e32 v8, v13, v12, vcc_lo
	v_add_co_u32 v12, vcc_lo, v6, 1
	s_wait_alu 0xfffd
	v_add_co_ci_u32_e64 v13, null, 0, v7, vcc_lo
	v_cmp_eq_u32_e32 vcc_lo, s13, v5
	s_wait_alu 0xfffd
	v_cndmask_b32_e32 v4, v14, v4, vcc_lo
	v_cmp_ne_u32_e32 vcc_lo, 0, v8
	v_xor_b32_e32 v8, s10, v10
	s_wait_alu 0xfffd
	v_cndmask_b32_e32 v5, v13, v11, vcc_lo
	v_cmp_ne_u32_e64 s2, 0, v4
	v_cndmask_b32_e32 v4, v12, v9, vcc_lo
	s_wait_alu 0xf1ff
	s_delay_alu instid0(VALU_DEP_2) | instskip(NEXT) | instid1(VALU_DEP_2)
	v_cndmask_b32_e64 v5, v7, v5, s2
	v_cndmask_b32_e64 v4, v6, v4, s2
	s_delay_alu instid0(VALU_DEP_2) | instskip(NEXT) | instid1(VALU_DEP_2)
	v_xor_b32_e32 v5, v5, v8
	v_xor_b32_e32 v4, v4, v8
	s_delay_alu instid0(VALU_DEP_1) | instskip(SKIP_1) | instid1(VALU_DEP_3)
	v_sub_co_u32 v4, vcc_lo, v4, v8
	s_wait_alu 0xfffd
	v_sub_co_ci_u32_e64 v5, null, v5, v8, vcc_lo
.LBB81_96:
	s_wait_alu 0xfffe
	s_and_not1_saveexec_b32 s2, s3
	s_cbranch_execz .LBB81_98
; %bb.97:
	v_cvt_f32_u32_e32 v4, s6
	s_sub_co_i32 s3, 0, s6
	s_delay_alu instid0(VALU_DEP_1) | instskip(NEXT) | instid1(TRANS32_DEP_1)
	v_rcp_iflag_f32_e32 v4, v4
	v_mul_f32_e32 v4, 0x4f7ffffe, v4
	s_delay_alu instid0(VALU_DEP_1) | instskip(SKIP_1) | instid1(VALU_DEP_1)
	v_cvt_u32_f32_e32 v4, v4
	s_wait_alu 0xfffe
	v_mul_lo_u32 v5, s3, v4
	s_delay_alu instid0(VALU_DEP_1) | instskip(NEXT) | instid1(VALU_DEP_1)
	v_mul_hi_u32 v5, v4, v5
	v_add_nc_u32_e32 v4, v4, v5
	s_delay_alu instid0(VALU_DEP_1) | instskip(NEXT) | instid1(VALU_DEP_1)
	v_mul_hi_u32 v4, v2, v4
	v_mul_lo_u32 v5, v4, s6
	v_add_nc_u32_e32 v6, 1, v4
	s_delay_alu instid0(VALU_DEP_2) | instskip(NEXT) | instid1(VALU_DEP_1)
	v_sub_nc_u32_e32 v5, v2, v5
	v_subrev_nc_u32_e32 v7, s6, v5
	v_cmp_le_u32_e32 vcc_lo, s6, v5
	s_wait_alu 0xfffd
	s_delay_alu instid0(VALU_DEP_2) | instskip(NEXT) | instid1(VALU_DEP_1)
	v_dual_cndmask_b32 v5, v5, v7 :: v_dual_cndmask_b32 v4, v4, v6
	v_cmp_le_u32_e32 vcc_lo, s6, v5
	s_delay_alu instid0(VALU_DEP_2) | instskip(SKIP_1) | instid1(VALU_DEP_1)
	v_dual_mov_b32 v5, 0 :: v_dual_add_nc_u32 v6, 1, v4
	s_wait_alu 0xfffd
	v_cndmask_b32_e32 v4, v4, v6, vcc_lo
.LBB81_98:
	s_wait_alu 0xfffe
	s_or_b32 exec_lo, exec_lo, s2
	s_wait_kmcnt 0x0
	v_or_b32_e32 v7, s9, v5
	v_mov_b32_e32 v6, 0
	s_delay_alu instid0(VALU_DEP_1)
	v_cmp_ne_u64_e32 vcc_lo, 0, v[6:7]
                                        ; implicit-def: $vgpr6_vgpr7
	s_and_saveexec_b32 s2, vcc_lo
	s_wait_alu 0xfffe
	s_xor_b32 s3, exec_lo, s2
	s_cbranch_execz .LBB81_100
; %bb.99:
	s_ashr_i32 s10, s9, 31
	s_mov_b32 s21, 0
	s_wait_alu 0xfffe
	s_mov_b32 s11, s10
	v_ashrrev_i32_e32 v10, 31, v5
	s_wait_alu 0xfffe
	s_add_nc_u64 s[12:13], s[8:9], s[10:11]
	s_wait_alu 0xfffe
	s_xor_b64 s[10:11], s[12:13], s[10:11]
	v_add_co_u32 v4, vcc_lo, v4, v10
	s_wait_alu 0xfffe
	s_cvt_f32_u32 s2, s10
	s_cvt_f32_u32 s12, s11
	s_sub_nc_u64 s[16:17], 0, s[10:11]
	s_wait_alu 0xfffd
	v_add_co_ci_u32_e64 v5, null, v5, v10, vcc_lo
	s_wait_alu 0xfffe
	s_fmamk_f32 s2, s12, 0x4f800000, s2
	v_xor_b32_e32 v11, v4, v10
	s_delay_alu instid0(VALU_DEP_2) | instskip(SKIP_2) | instid1(TRANS32_DEP_1)
	v_xor_b32_e32 v12, v5, v10
	s_wait_alu 0xfffe
	v_s_rcp_f32 s2, s2
	s_mul_f32 s2, s2, 0x5f7ffffc
	s_wait_alu 0xfffe
	s_delay_alu instid0(SALU_CYCLE_2) | instskip(SKIP_1) | instid1(SALU_CYCLE_2)
	s_mul_f32 s12, s2, 0x2f800000
	s_wait_alu 0xfffe
	s_trunc_f32 s12, s12
	s_wait_alu 0xfffe
	s_delay_alu instid0(SALU_CYCLE_2) | instskip(SKIP_2) | instid1(SALU_CYCLE_1)
	s_fmamk_f32 s2, s12, 0xcf800000, s2
	s_cvt_u32_f32 s13, s12
	s_wait_alu 0xfffe
	s_cvt_u32_f32 s12, s2
	s_wait_alu 0xfffe
	s_delay_alu instid0(SALU_CYCLE_2) | instskip(NEXT) | instid1(SALU_CYCLE_1)
	s_mul_u64 s[18:19], s[16:17], s[12:13]
	s_mul_hi_u32 s23, s12, s19
	s_mul_i32 s22, s12, s19
	s_mul_hi_u32 s20, s12, s18
	s_mul_i32 s15, s13, s18
	s_add_nc_u64 s[22:23], s[20:21], s[22:23]
	s_mul_hi_u32 s2, s13, s18
	s_mul_hi_u32 s24, s13, s19
	s_add_co_u32 s15, s22, s15
	s_wait_alu 0xfffe
	s_add_co_ci_u32 s20, s23, s2
	s_mul_i32 s18, s13, s19
	s_add_co_ci_u32 s19, s24, 0
	s_delay_alu instid0(SALU_CYCLE_1) | instskip(NEXT) | instid1(SALU_CYCLE_1)
	s_add_nc_u64 s[18:19], s[20:21], s[18:19]
	s_add_co_u32 s12, s12, s18
	s_cselect_b32 s2, -1, 0
	s_wait_alu 0xfffe
	s_cmp_lg_u32 s2, 0
	s_add_co_ci_u32 s13, s13, s19
	s_wait_alu 0xfffe
	s_mul_u64 s[16:17], s[16:17], s[12:13]
	s_delay_alu instid0(SALU_CYCLE_1)
	s_mul_hi_u32 s19, s12, s17
	s_mul_i32 s18, s12, s17
	s_mul_hi_u32 s20, s12, s16
	s_mul_i32 s15, s13, s16
	s_add_nc_u64 s[18:19], s[20:21], s[18:19]
	s_mul_hi_u32 s2, s13, s16
	s_mul_hi_u32 s22, s13, s17
	s_add_co_u32 s15, s18, s15
	s_wait_alu 0xfffe
	s_add_co_ci_u32 s20, s19, s2
	s_mul_i32 s16, s13, s17
	s_add_co_ci_u32 s17, s22, 0
	s_delay_alu instid0(SALU_CYCLE_1) | instskip(NEXT) | instid1(SALU_CYCLE_1)
	s_add_nc_u64 s[16:17], s[20:21], s[16:17]
	s_add_co_u32 s2, s12, s16
	s_cselect_b32 s12, -1, 0
	s_wait_alu 0xfffe
	v_mul_hi_u32 v13, v11, s2
	s_cmp_lg_u32 s12, 0
	v_mad_co_u64_u32 v[6:7], null, v12, s2, 0
	s_add_co_ci_u32 s12, s13, s17
	s_wait_alu 0xfffe
	v_mad_co_u64_u32 v[4:5], null, v11, s12, 0
	v_mad_co_u64_u32 v[8:9], null, v12, s12, 0
	s_delay_alu instid0(VALU_DEP_2) | instskip(SKIP_1) | instid1(VALU_DEP_3)
	v_add_co_u32 v4, vcc_lo, v13, v4
	s_wait_alu 0xfffd
	v_add_co_ci_u32_e64 v5, null, 0, v5, vcc_lo
	s_delay_alu instid0(VALU_DEP_2) | instskip(SKIP_1) | instid1(VALU_DEP_2)
	v_add_co_u32 v4, vcc_lo, v4, v6
	s_wait_alu 0xfffd
	v_add_co_ci_u32_e32 v4, vcc_lo, v5, v7, vcc_lo
	s_wait_alu 0xfffd
	v_add_co_ci_u32_e32 v5, vcc_lo, 0, v9, vcc_lo
	s_delay_alu instid0(VALU_DEP_2) | instskip(SKIP_1) | instid1(VALU_DEP_2)
	v_add_co_u32 v4, vcc_lo, v4, v8
	s_wait_alu 0xfffd
	v_add_co_ci_u32_e64 v6, null, 0, v5, vcc_lo
	s_delay_alu instid0(VALU_DEP_2) | instskip(SKIP_1) | instid1(VALU_DEP_3)
	v_mul_lo_u32 v7, s11, v4
	v_mad_co_u64_u32 v[4:5], null, s10, v4, 0
	v_mul_lo_u32 v6, s10, v6
	s_delay_alu instid0(VALU_DEP_2) | instskip(NEXT) | instid1(VALU_DEP_2)
	v_sub_co_u32 v4, vcc_lo, v11, v4
	v_add3_u32 v5, v5, v6, v7
	s_delay_alu instid0(VALU_DEP_2) | instskip(NEXT) | instid1(VALU_DEP_2)
	v_cmp_le_u32_e64 s2, s10, v4
	v_sub_nc_u32_e32 v6, v12, v5
	s_wait_alu 0xfffd
	v_sub_co_ci_u32_e64 v5, null, v12, v5, vcc_lo
	s_wait_alu 0xf1ff
	v_cndmask_b32_e64 v9, 0, -1, s2
	v_subrev_co_ci_u32_e64 v6, null, s11, v6, vcc_lo
	v_sub_co_u32 v7, vcc_lo, v4, s10
	s_wait_alu 0xfffd
	s_delay_alu instid0(VALU_DEP_2) | instskip(NEXT) | instid1(VALU_DEP_2)
	v_subrev_co_ci_u32_e64 v8, null, 0, v6, vcc_lo
	v_cmp_le_u32_e64 s2, s10, v7
	v_subrev_co_ci_u32_e64 v6, null, s11, v6, vcc_lo
	v_cmp_le_u32_e32 vcc_lo, s11, v5
	s_wait_alu 0xf1ff
	s_delay_alu instid0(VALU_DEP_3)
	v_cndmask_b32_e64 v11, 0, -1, s2
	v_cmp_le_u32_e64 s2, s11, v8
	s_wait_alu 0xfffd
	v_cndmask_b32_e64 v13, 0, -1, vcc_lo
	v_cmp_eq_u32_e32 vcc_lo, s11, v8
	s_wait_alu 0xf1ff
	v_cndmask_b32_e64 v12, 0, -1, s2
	v_cmp_eq_u32_e64 s2, s11, v5
	s_wait_alu 0xfffd
	s_delay_alu instid0(VALU_DEP_2) | instskip(SKIP_3) | instid1(VALU_DEP_3)
	v_cndmask_b32_e32 v11, v12, v11, vcc_lo
	v_sub_co_u32 v12, vcc_lo, v7, s10
	s_wait_alu 0xfffd
	v_subrev_co_ci_u32_e64 v6, null, 0, v6, vcc_lo
	v_cmp_ne_u32_e32 vcc_lo, 0, v11
	s_wait_alu 0xf1ff
	v_cndmask_b32_e64 v9, v13, v9, s2
	s_wait_alu 0xfffd
	v_dual_cndmask_b32 v6, v8, v6 :: v_dual_cndmask_b32 v7, v7, v12
	s_delay_alu instid0(VALU_DEP_2) | instskip(SKIP_1) | instid1(VALU_DEP_2)
	v_cmp_ne_u32_e32 vcc_lo, 0, v9
	s_wait_alu 0xfffd
	v_dual_cndmask_b32 v5, v5, v6 :: v_dual_cndmask_b32 v4, v4, v7
	s_delay_alu instid0(VALU_DEP_1) | instskip(NEXT) | instid1(VALU_DEP_2)
	v_xor_b32_e32 v5, v5, v10
	v_xor_b32_e32 v4, v4, v10
	s_delay_alu instid0(VALU_DEP_1) | instskip(SKIP_1) | instid1(VALU_DEP_3)
	v_sub_co_u32 v6, vcc_lo, v4, v10
	s_wait_alu 0xfffd
	v_sub_co_ci_u32_e64 v7, null, v5, v10, vcc_lo
                                        ; implicit-def: $vgpr4_vgpr5
.LBB81_100:
	s_wait_alu 0xfffe
	s_and_not1_saveexec_b32 s2, s3
	s_cbranch_execz .LBB81_102
; %bb.101:
	v_cvt_f32_u32_e32 v5, s8
	s_sub_co_i32 s3, 0, s8
	v_mov_b32_e32 v7, 0
	s_delay_alu instid0(VALU_DEP_2) | instskip(NEXT) | instid1(TRANS32_DEP_1)
	v_rcp_iflag_f32_e32 v5, v5
	v_mul_f32_e32 v5, 0x4f7ffffe, v5
	s_delay_alu instid0(VALU_DEP_1) | instskip(SKIP_1) | instid1(VALU_DEP_1)
	v_cvt_u32_f32_e32 v5, v5
	s_wait_alu 0xfffe
	v_mul_lo_u32 v6, s3, v5
	s_delay_alu instid0(VALU_DEP_1) | instskip(NEXT) | instid1(VALU_DEP_1)
	v_mul_hi_u32 v6, v5, v6
	v_add_nc_u32_e32 v5, v5, v6
	s_delay_alu instid0(VALU_DEP_1) | instskip(NEXT) | instid1(VALU_DEP_1)
	v_mul_hi_u32 v5, v4, v5
	v_mul_lo_u32 v5, v5, s8
	s_delay_alu instid0(VALU_DEP_1) | instskip(NEXT) | instid1(VALU_DEP_1)
	v_sub_nc_u32_e32 v4, v4, v5
	v_subrev_nc_u32_e32 v5, s8, v4
	v_cmp_le_u32_e32 vcc_lo, s8, v4
	s_wait_alu 0xfffd
	s_delay_alu instid0(VALU_DEP_2) | instskip(NEXT) | instid1(VALU_DEP_1)
	v_cndmask_b32_e32 v4, v4, v5, vcc_lo
	v_subrev_nc_u32_e32 v5, s8, v4
	v_cmp_le_u32_e32 vcc_lo, s8, v4
	s_wait_alu 0xfffd
	s_delay_alu instid0(VALU_DEP_2)
	v_cndmask_b32_e32 v6, v4, v5, vcc_lo
.LBB81_102:
	s_wait_alu 0xfffe
	s_or_b32 exec_lo, exec_lo, s2
	s_lshl_b64 s[2:3], s[4:5], 6
	s_mul_u64 s[6:7], s[8:9], s[6:7]
	s_wait_alu 0xfffe
	v_add_co_u32 v4, vcc_lo, v0, s2
	s_wait_alu 0xfffd
	v_add_co_ci_u32_e64 v5, null, s3, v1, vcc_lo
	global_store_b64 v[4:5], v[6:7], off
	s_cmp_lt_i32 s14, 8
	s_cbranch_scc1 .LBB81_18
.LBB81_103:
	s_load_b64 s[8:9], s[0:1], 0x40
	s_wait_loadcnt 0x0
	v_or_b32_e32 v5, s7, v3
	v_mov_b32_e32 v4, 0
	s_delay_alu instid0(VALU_DEP_1)
	v_cmp_ne_u64_e32 vcc_lo, 0, v[4:5]
                                        ; implicit-def: $vgpr4_vgpr5
	s_and_saveexec_b32 s2, vcc_lo
	s_wait_alu 0xfffe
	s_xor_b32 s3, exec_lo, s2
	s_cbranch_execz .LBB81_105
; %bb.104:
	s_ashr_i32 s10, s7, 31
	s_mov_b32 s23, 0
	s_wait_alu 0xfffe
	s_mov_b32 s11, s10
	v_ashrrev_i32_e32 v10, 31, v3
	s_wait_alu 0xfffe
	s_add_nc_u64 s[12:13], s[6:7], s[10:11]
	s_wait_alu 0xfffe
	s_xor_b64 s[12:13], s[12:13], s[10:11]
	v_add_co_u32 v4, vcc_lo, v2, v10
	s_wait_alu 0xfffe
	s_cvt_f32_u32 s2, s12
	s_cvt_f32_u32 s11, s13
	s_sub_nc_u64 s[18:19], 0, s[12:13]
	s_wait_alu 0xfffd
	v_add_co_ci_u32_e64 v5, null, v3, v10, vcc_lo
	s_wait_alu 0xfffe
	s_fmamk_f32 s2, s11, 0x4f800000, s2
	v_xor_b32_e32 v11, v4, v10
	s_delay_alu instid0(VALU_DEP_2) | instskip(SKIP_2) | instid1(TRANS32_DEP_1)
	v_xor_b32_e32 v12, v5, v10
	s_wait_alu 0xfffe
	v_s_rcp_f32 s2, s2
	s_mul_f32 s2, s2, 0x5f7ffffc
	s_wait_alu 0xfffe
	s_delay_alu instid0(SALU_CYCLE_2) | instskip(SKIP_1) | instid1(SALU_CYCLE_2)
	s_mul_f32 s11, s2, 0x2f800000
	s_wait_alu 0xfffe
	s_trunc_f32 s11, s11
	s_wait_alu 0xfffe
	s_delay_alu instid0(SALU_CYCLE_2) | instskip(SKIP_2) | instid1(SALU_CYCLE_1)
	s_fmamk_f32 s2, s11, 0xcf800000, s2
	s_cvt_u32_f32 s17, s11
	s_wait_alu 0xfffe
	s_cvt_u32_f32 s16, s2
	s_delay_alu instid0(SALU_CYCLE_3) | instskip(NEXT) | instid1(SALU_CYCLE_1)
	s_mul_u64 s[20:21], s[18:19], s[16:17]
	s_mul_hi_u32 s25, s16, s21
	s_mul_i32 s24, s16, s21
	s_mul_hi_u32 s22, s16, s20
	s_mul_i32 s11, s17, s20
	s_add_nc_u64 s[24:25], s[22:23], s[24:25]
	s_mul_hi_u32 s2, s17, s20
	s_mul_hi_u32 s15, s17, s21
	s_wait_alu 0xfffe
	s_add_co_u32 s11, s24, s11
	s_add_co_ci_u32 s22, s25, s2
	s_mul_i32 s20, s17, s21
	s_add_co_ci_u32 s21, s15, 0
	s_delay_alu instid0(SALU_CYCLE_1) | instskip(NEXT) | instid1(SALU_CYCLE_1)
	s_add_nc_u64 s[20:21], s[22:23], s[20:21]
	s_add_co_u32 s16, s16, s20
	s_cselect_b32 s2, -1, 0
	s_wait_alu 0xfffe
	s_cmp_lg_u32 s2, 0
	s_add_co_ci_u32 s17, s17, s21
	s_delay_alu instid0(SALU_CYCLE_1) | instskip(NEXT) | instid1(SALU_CYCLE_1)
	s_mul_u64 s[18:19], s[18:19], s[16:17]
	s_mul_hi_u32 s21, s16, s19
	s_mul_i32 s20, s16, s19
	s_mul_hi_u32 s22, s16, s18
	s_mul_i32 s11, s17, s18
	s_add_nc_u64 s[20:21], s[22:23], s[20:21]
	s_mul_hi_u32 s2, s17, s18
	s_mul_hi_u32 s15, s17, s19
	s_wait_alu 0xfffe
	s_add_co_u32 s11, s20, s11
	s_add_co_ci_u32 s22, s21, s2
	s_mul_i32 s18, s17, s19
	s_add_co_ci_u32 s19, s15, 0
	s_delay_alu instid0(SALU_CYCLE_1) | instskip(NEXT) | instid1(SALU_CYCLE_1)
	s_add_nc_u64 s[18:19], s[22:23], s[18:19]
	s_add_co_u32 s2, s16, s18
	s_cselect_b32 s11, -1, 0
	s_wait_alu 0xfffe
	v_mul_hi_u32 v13, v11, s2
	s_cmp_lg_u32 s11, 0
	v_mad_co_u64_u32 v[6:7], null, v12, s2, 0
	s_add_co_ci_u32 s11, s17, s19
	s_wait_alu 0xfffe
	v_mad_co_u64_u32 v[4:5], null, v11, s11, 0
	v_mad_co_u64_u32 v[8:9], null, v12, s11, 0
	s_delay_alu instid0(VALU_DEP_2) | instskip(SKIP_1) | instid1(VALU_DEP_3)
	v_add_co_u32 v4, vcc_lo, v13, v4
	s_wait_alu 0xfffd
	v_add_co_ci_u32_e64 v5, null, 0, v5, vcc_lo
	s_delay_alu instid0(VALU_DEP_2) | instskip(SKIP_1) | instid1(VALU_DEP_2)
	v_add_co_u32 v4, vcc_lo, v4, v6
	s_wait_alu 0xfffd
	v_add_co_ci_u32_e32 v4, vcc_lo, v5, v7, vcc_lo
	s_wait_alu 0xfffd
	v_add_co_ci_u32_e32 v5, vcc_lo, 0, v9, vcc_lo
	s_delay_alu instid0(VALU_DEP_2) | instskip(SKIP_1) | instid1(VALU_DEP_2)
	v_add_co_u32 v6, vcc_lo, v4, v8
	s_wait_alu 0xfffd
	v_add_co_ci_u32_e64 v7, null, 0, v5, vcc_lo
	s_delay_alu instid0(VALU_DEP_2) | instskip(SKIP_1) | instid1(VALU_DEP_3)
	v_mul_lo_u32 v8, s13, v6
	v_mad_co_u64_u32 v[4:5], null, s12, v6, 0
	v_mul_lo_u32 v9, s12, v7
	s_delay_alu instid0(VALU_DEP_2) | instskip(NEXT) | instid1(VALU_DEP_2)
	v_sub_co_u32 v4, vcc_lo, v11, v4
	v_add3_u32 v5, v5, v9, v8
	v_add_co_u32 v9, s2, v6, 2
	s_wait_alu 0xf1ff
	v_add_co_ci_u32_e64 v11, null, 0, v7, s2
	s_delay_alu instid0(VALU_DEP_3) | instskip(SKIP_3) | instid1(VALU_DEP_3)
	v_sub_nc_u32_e32 v8, v12, v5
	v_sub_co_u32 v13, s2, v4, s12
	s_wait_alu 0xfffd
	v_sub_co_ci_u32_e64 v5, null, v12, v5, vcc_lo
	v_subrev_co_ci_u32_e64 v8, null, s13, v8, vcc_lo
	s_delay_alu instid0(VALU_DEP_3) | instskip(SKIP_1) | instid1(VALU_DEP_2)
	v_cmp_le_u32_e32 vcc_lo, s12, v13
	s_wait_alu 0xf1ff
	v_subrev_co_ci_u32_e64 v8, null, 0, v8, s2
	s_wait_alu 0xfffd
	v_cndmask_b32_e64 v12, 0, -1, vcc_lo
	s_delay_alu instid0(VALU_DEP_2)
	v_cmp_le_u32_e32 vcc_lo, s13, v8
	s_wait_alu 0xfffd
	v_cndmask_b32_e64 v13, 0, -1, vcc_lo
	v_cmp_le_u32_e32 vcc_lo, s12, v4
	s_wait_alu 0xfffd
	v_cndmask_b32_e64 v4, 0, -1, vcc_lo
	;; [unrolled: 3-line block ×3, first 2 shown]
	v_cmp_eq_u32_e32 vcc_lo, s13, v8
	s_wait_alu 0xfffd
	v_cndmask_b32_e32 v8, v13, v12, vcc_lo
	v_add_co_u32 v12, vcc_lo, v6, 1
	s_wait_alu 0xfffd
	v_add_co_ci_u32_e64 v13, null, 0, v7, vcc_lo
	v_cmp_eq_u32_e32 vcc_lo, s13, v5
	s_wait_alu 0xfffd
	v_cndmask_b32_e32 v4, v14, v4, vcc_lo
	v_cmp_ne_u32_e32 vcc_lo, 0, v8
	v_xor_b32_e32 v8, s10, v10
	s_wait_alu 0xfffd
	v_cndmask_b32_e32 v5, v13, v11, vcc_lo
	v_cmp_ne_u32_e64 s2, 0, v4
	v_cndmask_b32_e32 v4, v12, v9, vcc_lo
	s_wait_alu 0xf1ff
	s_delay_alu instid0(VALU_DEP_2) | instskip(NEXT) | instid1(VALU_DEP_2)
	v_cndmask_b32_e64 v5, v7, v5, s2
	v_cndmask_b32_e64 v4, v6, v4, s2
	s_delay_alu instid0(VALU_DEP_2) | instskip(NEXT) | instid1(VALU_DEP_2)
	v_xor_b32_e32 v5, v5, v8
	v_xor_b32_e32 v4, v4, v8
	s_delay_alu instid0(VALU_DEP_1) | instskip(SKIP_1) | instid1(VALU_DEP_3)
	v_sub_co_u32 v4, vcc_lo, v4, v8
	s_wait_alu 0xfffd
	v_sub_co_ci_u32_e64 v5, null, v5, v8, vcc_lo
.LBB81_105:
	s_wait_alu 0xfffe
	s_and_not1_saveexec_b32 s2, s3
	s_cbranch_execz .LBB81_107
; %bb.106:
	v_cvt_f32_u32_e32 v4, s6
	s_sub_co_i32 s3, 0, s6
	s_delay_alu instid0(VALU_DEP_1) | instskip(NEXT) | instid1(TRANS32_DEP_1)
	v_rcp_iflag_f32_e32 v4, v4
	v_mul_f32_e32 v4, 0x4f7ffffe, v4
	s_delay_alu instid0(VALU_DEP_1) | instskip(SKIP_1) | instid1(VALU_DEP_1)
	v_cvt_u32_f32_e32 v4, v4
	s_wait_alu 0xfffe
	v_mul_lo_u32 v5, s3, v4
	s_delay_alu instid0(VALU_DEP_1) | instskip(NEXT) | instid1(VALU_DEP_1)
	v_mul_hi_u32 v5, v4, v5
	v_add_nc_u32_e32 v4, v4, v5
	s_delay_alu instid0(VALU_DEP_1) | instskip(NEXT) | instid1(VALU_DEP_1)
	v_mul_hi_u32 v4, v2, v4
	v_mul_lo_u32 v5, v4, s6
	v_add_nc_u32_e32 v6, 1, v4
	s_delay_alu instid0(VALU_DEP_2) | instskip(NEXT) | instid1(VALU_DEP_1)
	v_sub_nc_u32_e32 v5, v2, v5
	v_subrev_nc_u32_e32 v7, s6, v5
	v_cmp_le_u32_e32 vcc_lo, s6, v5
	s_wait_alu 0xfffd
	s_delay_alu instid0(VALU_DEP_2) | instskip(NEXT) | instid1(VALU_DEP_1)
	v_dual_cndmask_b32 v5, v5, v7 :: v_dual_cndmask_b32 v4, v4, v6
	v_cmp_le_u32_e32 vcc_lo, s6, v5
	s_delay_alu instid0(VALU_DEP_2) | instskip(SKIP_1) | instid1(VALU_DEP_1)
	v_dual_mov_b32 v5, 0 :: v_dual_add_nc_u32 v6, 1, v4
	s_wait_alu 0xfffd
	v_cndmask_b32_e32 v4, v4, v6, vcc_lo
.LBB81_107:
	s_wait_alu 0xfffe
	s_or_b32 exec_lo, exec_lo, s2
	s_wait_kmcnt 0x0
	v_or_b32_e32 v7, s9, v5
	v_mov_b32_e32 v6, 0
	s_delay_alu instid0(VALU_DEP_1)
	v_cmp_ne_u64_e32 vcc_lo, 0, v[6:7]
                                        ; implicit-def: $vgpr6_vgpr7
	s_and_saveexec_b32 s2, vcc_lo
	s_wait_alu 0xfffe
	s_xor_b32 s3, exec_lo, s2
	s_cbranch_execz .LBB81_109
; %bb.108:
	s_ashr_i32 s10, s9, 31
	s_mov_b32 s21, 0
	s_wait_alu 0xfffe
	s_mov_b32 s11, s10
	v_ashrrev_i32_e32 v10, 31, v5
	s_wait_alu 0xfffe
	s_add_nc_u64 s[12:13], s[8:9], s[10:11]
	s_wait_alu 0xfffe
	s_xor_b64 s[10:11], s[12:13], s[10:11]
	v_add_co_u32 v4, vcc_lo, v4, v10
	s_wait_alu 0xfffe
	s_cvt_f32_u32 s2, s10
	s_cvt_f32_u32 s12, s11
	s_sub_nc_u64 s[16:17], 0, s[10:11]
	s_wait_alu 0xfffd
	v_add_co_ci_u32_e64 v5, null, v5, v10, vcc_lo
	s_wait_alu 0xfffe
	s_fmamk_f32 s2, s12, 0x4f800000, s2
	v_xor_b32_e32 v11, v4, v10
	s_delay_alu instid0(VALU_DEP_2) | instskip(SKIP_2) | instid1(TRANS32_DEP_1)
	v_xor_b32_e32 v12, v5, v10
	s_wait_alu 0xfffe
	v_s_rcp_f32 s2, s2
	s_mul_f32 s2, s2, 0x5f7ffffc
	s_wait_alu 0xfffe
	s_delay_alu instid0(SALU_CYCLE_2) | instskip(SKIP_1) | instid1(SALU_CYCLE_2)
	s_mul_f32 s12, s2, 0x2f800000
	s_wait_alu 0xfffe
	s_trunc_f32 s12, s12
	s_wait_alu 0xfffe
	s_delay_alu instid0(SALU_CYCLE_2) | instskip(SKIP_2) | instid1(SALU_CYCLE_1)
	s_fmamk_f32 s2, s12, 0xcf800000, s2
	s_cvt_u32_f32 s13, s12
	s_wait_alu 0xfffe
	s_cvt_u32_f32 s12, s2
	s_wait_alu 0xfffe
	s_delay_alu instid0(SALU_CYCLE_2) | instskip(NEXT) | instid1(SALU_CYCLE_1)
	s_mul_u64 s[18:19], s[16:17], s[12:13]
	s_mul_hi_u32 s23, s12, s19
	s_mul_i32 s22, s12, s19
	s_mul_hi_u32 s20, s12, s18
	s_mul_i32 s15, s13, s18
	s_add_nc_u64 s[22:23], s[20:21], s[22:23]
	s_mul_hi_u32 s2, s13, s18
	s_mul_hi_u32 s24, s13, s19
	s_add_co_u32 s15, s22, s15
	s_wait_alu 0xfffe
	s_add_co_ci_u32 s20, s23, s2
	s_mul_i32 s18, s13, s19
	s_add_co_ci_u32 s19, s24, 0
	s_delay_alu instid0(SALU_CYCLE_1) | instskip(NEXT) | instid1(SALU_CYCLE_1)
	s_add_nc_u64 s[18:19], s[20:21], s[18:19]
	s_add_co_u32 s12, s12, s18
	s_cselect_b32 s2, -1, 0
	s_wait_alu 0xfffe
	s_cmp_lg_u32 s2, 0
	s_add_co_ci_u32 s13, s13, s19
	s_wait_alu 0xfffe
	s_mul_u64 s[16:17], s[16:17], s[12:13]
	s_delay_alu instid0(SALU_CYCLE_1)
	s_mul_hi_u32 s19, s12, s17
	s_mul_i32 s18, s12, s17
	s_mul_hi_u32 s20, s12, s16
	s_mul_i32 s15, s13, s16
	s_add_nc_u64 s[18:19], s[20:21], s[18:19]
	s_mul_hi_u32 s2, s13, s16
	s_mul_hi_u32 s22, s13, s17
	s_add_co_u32 s15, s18, s15
	s_wait_alu 0xfffe
	s_add_co_ci_u32 s20, s19, s2
	s_mul_i32 s16, s13, s17
	s_add_co_ci_u32 s17, s22, 0
	s_delay_alu instid0(SALU_CYCLE_1) | instskip(NEXT) | instid1(SALU_CYCLE_1)
	s_add_nc_u64 s[16:17], s[20:21], s[16:17]
	s_add_co_u32 s2, s12, s16
	s_cselect_b32 s12, -1, 0
	s_wait_alu 0xfffe
	v_mul_hi_u32 v13, v11, s2
	s_cmp_lg_u32 s12, 0
	v_mad_co_u64_u32 v[6:7], null, v12, s2, 0
	s_add_co_ci_u32 s12, s13, s17
	s_wait_alu 0xfffe
	v_mad_co_u64_u32 v[4:5], null, v11, s12, 0
	v_mad_co_u64_u32 v[8:9], null, v12, s12, 0
	s_delay_alu instid0(VALU_DEP_2) | instskip(SKIP_1) | instid1(VALU_DEP_3)
	v_add_co_u32 v4, vcc_lo, v13, v4
	s_wait_alu 0xfffd
	v_add_co_ci_u32_e64 v5, null, 0, v5, vcc_lo
	s_delay_alu instid0(VALU_DEP_2) | instskip(SKIP_1) | instid1(VALU_DEP_2)
	v_add_co_u32 v4, vcc_lo, v4, v6
	s_wait_alu 0xfffd
	v_add_co_ci_u32_e32 v4, vcc_lo, v5, v7, vcc_lo
	s_wait_alu 0xfffd
	v_add_co_ci_u32_e32 v5, vcc_lo, 0, v9, vcc_lo
	s_delay_alu instid0(VALU_DEP_2) | instskip(SKIP_1) | instid1(VALU_DEP_2)
	v_add_co_u32 v4, vcc_lo, v4, v8
	s_wait_alu 0xfffd
	v_add_co_ci_u32_e64 v6, null, 0, v5, vcc_lo
	s_delay_alu instid0(VALU_DEP_2) | instskip(SKIP_1) | instid1(VALU_DEP_3)
	v_mul_lo_u32 v7, s11, v4
	v_mad_co_u64_u32 v[4:5], null, s10, v4, 0
	v_mul_lo_u32 v6, s10, v6
	s_delay_alu instid0(VALU_DEP_2) | instskip(NEXT) | instid1(VALU_DEP_2)
	v_sub_co_u32 v4, vcc_lo, v11, v4
	v_add3_u32 v5, v5, v6, v7
	s_delay_alu instid0(VALU_DEP_2) | instskip(NEXT) | instid1(VALU_DEP_2)
	v_cmp_le_u32_e64 s2, s10, v4
	v_sub_nc_u32_e32 v6, v12, v5
	s_wait_alu 0xfffd
	v_sub_co_ci_u32_e64 v5, null, v12, v5, vcc_lo
	s_wait_alu 0xf1ff
	v_cndmask_b32_e64 v9, 0, -1, s2
	v_subrev_co_ci_u32_e64 v6, null, s11, v6, vcc_lo
	v_sub_co_u32 v7, vcc_lo, v4, s10
	s_wait_alu 0xfffd
	s_delay_alu instid0(VALU_DEP_2) | instskip(NEXT) | instid1(VALU_DEP_2)
	v_subrev_co_ci_u32_e64 v8, null, 0, v6, vcc_lo
	v_cmp_le_u32_e64 s2, s10, v7
	v_subrev_co_ci_u32_e64 v6, null, s11, v6, vcc_lo
	v_cmp_le_u32_e32 vcc_lo, s11, v5
	s_wait_alu 0xf1ff
	s_delay_alu instid0(VALU_DEP_3)
	v_cndmask_b32_e64 v11, 0, -1, s2
	v_cmp_le_u32_e64 s2, s11, v8
	s_wait_alu 0xfffd
	v_cndmask_b32_e64 v13, 0, -1, vcc_lo
	v_cmp_eq_u32_e32 vcc_lo, s11, v8
	s_wait_alu 0xf1ff
	v_cndmask_b32_e64 v12, 0, -1, s2
	v_cmp_eq_u32_e64 s2, s11, v5
	s_wait_alu 0xfffd
	s_delay_alu instid0(VALU_DEP_2) | instskip(SKIP_3) | instid1(VALU_DEP_3)
	v_cndmask_b32_e32 v11, v12, v11, vcc_lo
	v_sub_co_u32 v12, vcc_lo, v7, s10
	s_wait_alu 0xfffd
	v_subrev_co_ci_u32_e64 v6, null, 0, v6, vcc_lo
	v_cmp_ne_u32_e32 vcc_lo, 0, v11
	s_wait_alu 0xf1ff
	v_cndmask_b32_e64 v9, v13, v9, s2
	s_wait_alu 0xfffd
	v_dual_cndmask_b32 v6, v8, v6 :: v_dual_cndmask_b32 v7, v7, v12
	s_delay_alu instid0(VALU_DEP_2) | instskip(SKIP_1) | instid1(VALU_DEP_2)
	v_cmp_ne_u32_e32 vcc_lo, 0, v9
	s_wait_alu 0xfffd
	v_dual_cndmask_b32 v5, v5, v6 :: v_dual_cndmask_b32 v4, v4, v7
	s_delay_alu instid0(VALU_DEP_1) | instskip(NEXT) | instid1(VALU_DEP_2)
	v_xor_b32_e32 v5, v5, v10
	v_xor_b32_e32 v4, v4, v10
	s_delay_alu instid0(VALU_DEP_1) | instskip(SKIP_1) | instid1(VALU_DEP_3)
	v_sub_co_u32 v6, vcc_lo, v4, v10
	s_wait_alu 0xfffd
	v_sub_co_ci_u32_e64 v7, null, v5, v10, vcc_lo
                                        ; implicit-def: $vgpr4_vgpr5
.LBB81_109:
	s_wait_alu 0xfffe
	s_and_not1_saveexec_b32 s2, s3
	s_cbranch_execz .LBB81_111
; %bb.110:
	v_cvt_f32_u32_e32 v5, s8
	s_sub_co_i32 s3, 0, s8
	v_mov_b32_e32 v7, 0
	s_delay_alu instid0(VALU_DEP_2) | instskip(NEXT) | instid1(TRANS32_DEP_1)
	v_rcp_iflag_f32_e32 v5, v5
	v_mul_f32_e32 v5, 0x4f7ffffe, v5
	s_delay_alu instid0(VALU_DEP_1) | instskip(SKIP_1) | instid1(VALU_DEP_1)
	v_cvt_u32_f32_e32 v5, v5
	s_wait_alu 0xfffe
	v_mul_lo_u32 v6, s3, v5
	s_delay_alu instid0(VALU_DEP_1) | instskip(NEXT) | instid1(VALU_DEP_1)
	v_mul_hi_u32 v6, v5, v6
	v_add_nc_u32_e32 v5, v5, v6
	s_delay_alu instid0(VALU_DEP_1) | instskip(NEXT) | instid1(VALU_DEP_1)
	v_mul_hi_u32 v5, v4, v5
	v_mul_lo_u32 v5, v5, s8
	s_delay_alu instid0(VALU_DEP_1) | instskip(NEXT) | instid1(VALU_DEP_1)
	v_sub_nc_u32_e32 v4, v4, v5
	v_subrev_nc_u32_e32 v5, s8, v4
	v_cmp_le_u32_e32 vcc_lo, s8, v4
	s_wait_alu 0xfffd
	s_delay_alu instid0(VALU_DEP_2) | instskip(NEXT) | instid1(VALU_DEP_1)
	v_cndmask_b32_e32 v4, v4, v5, vcc_lo
	v_subrev_nc_u32_e32 v5, s8, v4
	v_cmp_le_u32_e32 vcc_lo, s8, v4
	s_wait_alu 0xfffd
	s_delay_alu instid0(VALU_DEP_2)
	v_cndmask_b32_e32 v6, v4, v5, vcc_lo
.LBB81_111:
	s_wait_alu 0xfffe
	s_or_b32 exec_lo, exec_lo, s2
	v_mad_co_u64_u32 v[4:5], null, s4, 56, v[0:1]
	s_mul_u64 s[6:7], s[8:9], s[6:7]
	v_mad_co_u64_u32 v[8:9], null, s5, 56, v[5:6]
	s_delay_alu instid0(VALU_DEP_1)
	v_mov_b32_e32 v5, v8
	global_store_b64 v[4:5], v[6:7], off
	s_cmp_lt_i32 s14, 7
	s_cbranch_scc1 .LBB81_19
.LBB81_112:
	s_load_b64 s[8:9], s[0:1], 0x38
	s_wait_loadcnt 0x0
	v_or_b32_e32 v5, s7, v3
	v_mov_b32_e32 v4, 0
	s_delay_alu instid0(VALU_DEP_1)
	v_cmp_ne_u64_e32 vcc_lo, 0, v[4:5]
                                        ; implicit-def: $vgpr4_vgpr5
	s_and_saveexec_b32 s2, vcc_lo
	s_wait_alu 0xfffe
	s_xor_b32 s3, exec_lo, s2
	s_cbranch_execz .LBB81_114
; %bb.113:
	s_ashr_i32 s10, s7, 31
	s_mov_b32 s23, 0
	s_wait_alu 0xfffe
	s_mov_b32 s11, s10
	v_ashrrev_i32_e32 v10, 31, v3
	s_wait_alu 0xfffe
	s_add_nc_u64 s[12:13], s[6:7], s[10:11]
	s_wait_alu 0xfffe
	s_xor_b64 s[12:13], s[12:13], s[10:11]
	v_add_co_u32 v4, vcc_lo, v2, v10
	s_wait_alu 0xfffe
	s_cvt_f32_u32 s2, s12
	s_cvt_f32_u32 s11, s13
	s_sub_nc_u64 s[18:19], 0, s[12:13]
	s_wait_alu 0xfffd
	v_add_co_ci_u32_e64 v5, null, v3, v10, vcc_lo
	s_wait_alu 0xfffe
	s_fmamk_f32 s2, s11, 0x4f800000, s2
	v_xor_b32_e32 v11, v4, v10
	s_delay_alu instid0(VALU_DEP_2) | instskip(SKIP_2) | instid1(TRANS32_DEP_1)
	v_xor_b32_e32 v12, v5, v10
	s_wait_alu 0xfffe
	v_s_rcp_f32 s2, s2
	s_mul_f32 s2, s2, 0x5f7ffffc
	s_wait_alu 0xfffe
	s_delay_alu instid0(SALU_CYCLE_2) | instskip(SKIP_1) | instid1(SALU_CYCLE_2)
	s_mul_f32 s11, s2, 0x2f800000
	s_wait_alu 0xfffe
	s_trunc_f32 s11, s11
	s_wait_alu 0xfffe
	s_delay_alu instid0(SALU_CYCLE_2) | instskip(SKIP_2) | instid1(SALU_CYCLE_1)
	s_fmamk_f32 s2, s11, 0xcf800000, s2
	s_cvt_u32_f32 s17, s11
	s_wait_alu 0xfffe
	s_cvt_u32_f32 s16, s2
	s_delay_alu instid0(SALU_CYCLE_3) | instskip(NEXT) | instid1(SALU_CYCLE_1)
	s_mul_u64 s[20:21], s[18:19], s[16:17]
	s_mul_hi_u32 s25, s16, s21
	s_mul_i32 s24, s16, s21
	s_mul_hi_u32 s22, s16, s20
	s_mul_i32 s11, s17, s20
	s_add_nc_u64 s[24:25], s[22:23], s[24:25]
	s_mul_hi_u32 s2, s17, s20
	s_mul_hi_u32 s15, s17, s21
	s_wait_alu 0xfffe
	s_add_co_u32 s11, s24, s11
	s_add_co_ci_u32 s22, s25, s2
	s_mul_i32 s20, s17, s21
	s_add_co_ci_u32 s21, s15, 0
	s_delay_alu instid0(SALU_CYCLE_1) | instskip(NEXT) | instid1(SALU_CYCLE_1)
	s_add_nc_u64 s[20:21], s[22:23], s[20:21]
	s_add_co_u32 s16, s16, s20
	s_cselect_b32 s2, -1, 0
	s_wait_alu 0xfffe
	s_cmp_lg_u32 s2, 0
	s_add_co_ci_u32 s17, s17, s21
	s_delay_alu instid0(SALU_CYCLE_1) | instskip(NEXT) | instid1(SALU_CYCLE_1)
	s_mul_u64 s[18:19], s[18:19], s[16:17]
	s_mul_hi_u32 s21, s16, s19
	s_mul_i32 s20, s16, s19
	s_mul_hi_u32 s22, s16, s18
	s_mul_i32 s11, s17, s18
	s_add_nc_u64 s[20:21], s[22:23], s[20:21]
	s_mul_hi_u32 s2, s17, s18
	s_mul_hi_u32 s15, s17, s19
	s_wait_alu 0xfffe
	s_add_co_u32 s11, s20, s11
	s_add_co_ci_u32 s22, s21, s2
	s_mul_i32 s18, s17, s19
	s_add_co_ci_u32 s19, s15, 0
	s_delay_alu instid0(SALU_CYCLE_1) | instskip(NEXT) | instid1(SALU_CYCLE_1)
	s_add_nc_u64 s[18:19], s[22:23], s[18:19]
	s_add_co_u32 s2, s16, s18
	s_cselect_b32 s11, -1, 0
	s_wait_alu 0xfffe
	v_mul_hi_u32 v13, v11, s2
	s_cmp_lg_u32 s11, 0
	v_mad_co_u64_u32 v[6:7], null, v12, s2, 0
	s_add_co_ci_u32 s11, s17, s19
	s_wait_alu 0xfffe
	v_mad_co_u64_u32 v[4:5], null, v11, s11, 0
	v_mad_co_u64_u32 v[8:9], null, v12, s11, 0
	s_delay_alu instid0(VALU_DEP_2) | instskip(SKIP_1) | instid1(VALU_DEP_3)
	v_add_co_u32 v4, vcc_lo, v13, v4
	s_wait_alu 0xfffd
	v_add_co_ci_u32_e64 v5, null, 0, v5, vcc_lo
	s_delay_alu instid0(VALU_DEP_2) | instskip(SKIP_1) | instid1(VALU_DEP_2)
	v_add_co_u32 v4, vcc_lo, v4, v6
	s_wait_alu 0xfffd
	v_add_co_ci_u32_e32 v4, vcc_lo, v5, v7, vcc_lo
	s_wait_alu 0xfffd
	v_add_co_ci_u32_e32 v5, vcc_lo, 0, v9, vcc_lo
	s_delay_alu instid0(VALU_DEP_2) | instskip(SKIP_1) | instid1(VALU_DEP_2)
	v_add_co_u32 v6, vcc_lo, v4, v8
	s_wait_alu 0xfffd
	v_add_co_ci_u32_e64 v7, null, 0, v5, vcc_lo
	s_delay_alu instid0(VALU_DEP_2) | instskip(SKIP_1) | instid1(VALU_DEP_3)
	v_mul_lo_u32 v8, s13, v6
	v_mad_co_u64_u32 v[4:5], null, s12, v6, 0
	v_mul_lo_u32 v9, s12, v7
	s_delay_alu instid0(VALU_DEP_2) | instskip(NEXT) | instid1(VALU_DEP_2)
	v_sub_co_u32 v4, vcc_lo, v11, v4
	v_add3_u32 v5, v5, v9, v8
	v_add_co_u32 v9, s2, v6, 2
	s_wait_alu 0xf1ff
	v_add_co_ci_u32_e64 v11, null, 0, v7, s2
	s_delay_alu instid0(VALU_DEP_3) | instskip(SKIP_3) | instid1(VALU_DEP_3)
	v_sub_nc_u32_e32 v8, v12, v5
	v_sub_co_u32 v13, s2, v4, s12
	s_wait_alu 0xfffd
	v_sub_co_ci_u32_e64 v5, null, v12, v5, vcc_lo
	v_subrev_co_ci_u32_e64 v8, null, s13, v8, vcc_lo
	s_delay_alu instid0(VALU_DEP_3) | instskip(SKIP_1) | instid1(VALU_DEP_2)
	v_cmp_le_u32_e32 vcc_lo, s12, v13
	s_wait_alu 0xf1ff
	v_subrev_co_ci_u32_e64 v8, null, 0, v8, s2
	s_wait_alu 0xfffd
	v_cndmask_b32_e64 v12, 0, -1, vcc_lo
	s_delay_alu instid0(VALU_DEP_2)
	v_cmp_le_u32_e32 vcc_lo, s13, v8
	s_wait_alu 0xfffd
	v_cndmask_b32_e64 v13, 0, -1, vcc_lo
	v_cmp_le_u32_e32 vcc_lo, s12, v4
	s_wait_alu 0xfffd
	v_cndmask_b32_e64 v4, 0, -1, vcc_lo
	;; [unrolled: 3-line block ×3, first 2 shown]
	v_cmp_eq_u32_e32 vcc_lo, s13, v8
	s_wait_alu 0xfffd
	v_cndmask_b32_e32 v8, v13, v12, vcc_lo
	v_add_co_u32 v12, vcc_lo, v6, 1
	s_wait_alu 0xfffd
	v_add_co_ci_u32_e64 v13, null, 0, v7, vcc_lo
	v_cmp_eq_u32_e32 vcc_lo, s13, v5
	s_wait_alu 0xfffd
	v_cndmask_b32_e32 v4, v14, v4, vcc_lo
	v_cmp_ne_u32_e32 vcc_lo, 0, v8
	v_xor_b32_e32 v8, s10, v10
	s_wait_alu 0xfffd
	v_cndmask_b32_e32 v5, v13, v11, vcc_lo
	v_cmp_ne_u32_e64 s2, 0, v4
	v_cndmask_b32_e32 v4, v12, v9, vcc_lo
	s_wait_alu 0xf1ff
	s_delay_alu instid0(VALU_DEP_2) | instskip(NEXT) | instid1(VALU_DEP_2)
	v_cndmask_b32_e64 v5, v7, v5, s2
	v_cndmask_b32_e64 v4, v6, v4, s2
	s_delay_alu instid0(VALU_DEP_2) | instskip(NEXT) | instid1(VALU_DEP_2)
	v_xor_b32_e32 v5, v5, v8
	v_xor_b32_e32 v4, v4, v8
	s_delay_alu instid0(VALU_DEP_1) | instskip(SKIP_1) | instid1(VALU_DEP_3)
	v_sub_co_u32 v4, vcc_lo, v4, v8
	s_wait_alu 0xfffd
	v_sub_co_ci_u32_e64 v5, null, v5, v8, vcc_lo
.LBB81_114:
	s_wait_alu 0xfffe
	s_and_not1_saveexec_b32 s2, s3
	s_cbranch_execz .LBB81_116
; %bb.115:
	v_cvt_f32_u32_e32 v4, s6
	s_sub_co_i32 s3, 0, s6
	s_delay_alu instid0(VALU_DEP_1) | instskip(NEXT) | instid1(TRANS32_DEP_1)
	v_rcp_iflag_f32_e32 v4, v4
	v_mul_f32_e32 v4, 0x4f7ffffe, v4
	s_delay_alu instid0(VALU_DEP_1) | instskip(SKIP_1) | instid1(VALU_DEP_1)
	v_cvt_u32_f32_e32 v4, v4
	s_wait_alu 0xfffe
	v_mul_lo_u32 v5, s3, v4
	s_delay_alu instid0(VALU_DEP_1) | instskip(NEXT) | instid1(VALU_DEP_1)
	v_mul_hi_u32 v5, v4, v5
	v_add_nc_u32_e32 v4, v4, v5
	s_delay_alu instid0(VALU_DEP_1) | instskip(NEXT) | instid1(VALU_DEP_1)
	v_mul_hi_u32 v4, v2, v4
	v_mul_lo_u32 v5, v4, s6
	v_add_nc_u32_e32 v6, 1, v4
	s_delay_alu instid0(VALU_DEP_2) | instskip(NEXT) | instid1(VALU_DEP_1)
	v_sub_nc_u32_e32 v5, v2, v5
	v_subrev_nc_u32_e32 v7, s6, v5
	v_cmp_le_u32_e32 vcc_lo, s6, v5
	s_wait_alu 0xfffd
	s_delay_alu instid0(VALU_DEP_2) | instskip(NEXT) | instid1(VALU_DEP_1)
	v_dual_cndmask_b32 v5, v5, v7 :: v_dual_cndmask_b32 v4, v4, v6
	v_cmp_le_u32_e32 vcc_lo, s6, v5
	s_delay_alu instid0(VALU_DEP_2) | instskip(SKIP_1) | instid1(VALU_DEP_1)
	v_dual_mov_b32 v5, 0 :: v_dual_add_nc_u32 v6, 1, v4
	s_wait_alu 0xfffd
	v_cndmask_b32_e32 v4, v4, v6, vcc_lo
.LBB81_116:
	s_wait_alu 0xfffe
	s_or_b32 exec_lo, exec_lo, s2
	s_wait_kmcnt 0x0
	v_or_b32_e32 v7, s9, v5
	v_mov_b32_e32 v6, 0
	s_delay_alu instid0(VALU_DEP_1)
	v_cmp_ne_u64_e32 vcc_lo, 0, v[6:7]
                                        ; implicit-def: $vgpr6_vgpr7
	s_and_saveexec_b32 s2, vcc_lo
	s_wait_alu 0xfffe
	s_xor_b32 s3, exec_lo, s2
	s_cbranch_execz .LBB81_118
; %bb.117:
	s_ashr_i32 s10, s9, 31
	s_mov_b32 s21, 0
	s_wait_alu 0xfffe
	s_mov_b32 s11, s10
	v_ashrrev_i32_e32 v10, 31, v5
	s_wait_alu 0xfffe
	s_add_nc_u64 s[12:13], s[8:9], s[10:11]
	s_wait_alu 0xfffe
	s_xor_b64 s[10:11], s[12:13], s[10:11]
	v_add_co_u32 v4, vcc_lo, v4, v10
	s_wait_alu 0xfffe
	s_cvt_f32_u32 s2, s10
	s_cvt_f32_u32 s12, s11
	s_sub_nc_u64 s[16:17], 0, s[10:11]
	s_wait_alu 0xfffd
	v_add_co_ci_u32_e64 v5, null, v5, v10, vcc_lo
	s_wait_alu 0xfffe
	s_fmamk_f32 s2, s12, 0x4f800000, s2
	v_xor_b32_e32 v11, v4, v10
	s_delay_alu instid0(VALU_DEP_2) | instskip(SKIP_2) | instid1(TRANS32_DEP_1)
	v_xor_b32_e32 v12, v5, v10
	s_wait_alu 0xfffe
	v_s_rcp_f32 s2, s2
	s_mul_f32 s2, s2, 0x5f7ffffc
	s_wait_alu 0xfffe
	s_delay_alu instid0(SALU_CYCLE_2) | instskip(SKIP_1) | instid1(SALU_CYCLE_2)
	s_mul_f32 s12, s2, 0x2f800000
	s_wait_alu 0xfffe
	s_trunc_f32 s12, s12
	s_wait_alu 0xfffe
	s_delay_alu instid0(SALU_CYCLE_2) | instskip(SKIP_2) | instid1(SALU_CYCLE_1)
	s_fmamk_f32 s2, s12, 0xcf800000, s2
	s_cvt_u32_f32 s13, s12
	s_wait_alu 0xfffe
	s_cvt_u32_f32 s12, s2
	s_wait_alu 0xfffe
	s_delay_alu instid0(SALU_CYCLE_2) | instskip(NEXT) | instid1(SALU_CYCLE_1)
	s_mul_u64 s[18:19], s[16:17], s[12:13]
	s_mul_hi_u32 s23, s12, s19
	s_mul_i32 s22, s12, s19
	s_mul_hi_u32 s20, s12, s18
	s_mul_i32 s15, s13, s18
	s_add_nc_u64 s[22:23], s[20:21], s[22:23]
	s_mul_hi_u32 s2, s13, s18
	s_mul_hi_u32 s24, s13, s19
	s_add_co_u32 s15, s22, s15
	s_wait_alu 0xfffe
	s_add_co_ci_u32 s20, s23, s2
	s_mul_i32 s18, s13, s19
	s_add_co_ci_u32 s19, s24, 0
	s_delay_alu instid0(SALU_CYCLE_1) | instskip(NEXT) | instid1(SALU_CYCLE_1)
	s_add_nc_u64 s[18:19], s[20:21], s[18:19]
	s_add_co_u32 s12, s12, s18
	s_cselect_b32 s2, -1, 0
	s_wait_alu 0xfffe
	s_cmp_lg_u32 s2, 0
	s_add_co_ci_u32 s13, s13, s19
	s_wait_alu 0xfffe
	s_mul_u64 s[16:17], s[16:17], s[12:13]
	s_delay_alu instid0(SALU_CYCLE_1)
	s_mul_hi_u32 s19, s12, s17
	s_mul_i32 s18, s12, s17
	s_mul_hi_u32 s20, s12, s16
	s_mul_i32 s15, s13, s16
	s_add_nc_u64 s[18:19], s[20:21], s[18:19]
	s_mul_hi_u32 s2, s13, s16
	s_mul_hi_u32 s22, s13, s17
	s_add_co_u32 s15, s18, s15
	s_wait_alu 0xfffe
	s_add_co_ci_u32 s20, s19, s2
	s_mul_i32 s16, s13, s17
	s_add_co_ci_u32 s17, s22, 0
	s_delay_alu instid0(SALU_CYCLE_1) | instskip(NEXT) | instid1(SALU_CYCLE_1)
	s_add_nc_u64 s[16:17], s[20:21], s[16:17]
	s_add_co_u32 s2, s12, s16
	s_cselect_b32 s12, -1, 0
	s_wait_alu 0xfffe
	v_mul_hi_u32 v13, v11, s2
	s_cmp_lg_u32 s12, 0
	v_mad_co_u64_u32 v[6:7], null, v12, s2, 0
	s_add_co_ci_u32 s12, s13, s17
	s_wait_alu 0xfffe
	v_mad_co_u64_u32 v[4:5], null, v11, s12, 0
	v_mad_co_u64_u32 v[8:9], null, v12, s12, 0
	s_delay_alu instid0(VALU_DEP_2) | instskip(SKIP_1) | instid1(VALU_DEP_3)
	v_add_co_u32 v4, vcc_lo, v13, v4
	s_wait_alu 0xfffd
	v_add_co_ci_u32_e64 v5, null, 0, v5, vcc_lo
	s_delay_alu instid0(VALU_DEP_2) | instskip(SKIP_1) | instid1(VALU_DEP_2)
	v_add_co_u32 v4, vcc_lo, v4, v6
	s_wait_alu 0xfffd
	v_add_co_ci_u32_e32 v4, vcc_lo, v5, v7, vcc_lo
	s_wait_alu 0xfffd
	v_add_co_ci_u32_e32 v5, vcc_lo, 0, v9, vcc_lo
	s_delay_alu instid0(VALU_DEP_2) | instskip(SKIP_1) | instid1(VALU_DEP_2)
	v_add_co_u32 v4, vcc_lo, v4, v8
	s_wait_alu 0xfffd
	v_add_co_ci_u32_e64 v6, null, 0, v5, vcc_lo
	s_delay_alu instid0(VALU_DEP_2) | instskip(SKIP_1) | instid1(VALU_DEP_3)
	v_mul_lo_u32 v7, s11, v4
	v_mad_co_u64_u32 v[4:5], null, s10, v4, 0
	v_mul_lo_u32 v6, s10, v6
	s_delay_alu instid0(VALU_DEP_2) | instskip(NEXT) | instid1(VALU_DEP_2)
	v_sub_co_u32 v4, vcc_lo, v11, v4
	v_add3_u32 v5, v5, v6, v7
	s_delay_alu instid0(VALU_DEP_2) | instskip(NEXT) | instid1(VALU_DEP_2)
	v_cmp_le_u32_e64 s2, s10, v4
	v_sub_nc_u32_e32 v6, v12, v5
	s_wait_alu 0xfffd
	v_sub_co_ci_u32_e64 v5, null, v12, v5, vcc_lo
	s_wait_alu 0xf1ff
	v_cndmask_b32_e64 v9, 0, -1, s2
	v_subrev_co_ci_u32_e64 v6, null, s11, v6, vcc_lo
	v_sub_co_u32 v7, vcc_lo, v4, s10
	s_wait_alu 0xfffd
	s_delay_alu instid0(VALU_DEP_2) | instskip(NEXT) | instid1(VALU_DEP_2)
	v_subrev_co_ci_u32_e64 v8, null, 0, v6, vcc_lo
	v_cmp_le_u32_e64 s2, s10, v7
	v_subrev_co_ci_u32_e64 v6, null, s11, v6, vcc_lo
	v_cmp_le_u32_e32 vcc_lo, s11, v5
	s_wait_alu 0xf1ff
	s_delay_alu instid0(VALU_DEP_3)
	v_cndmask_b32_e64 v11, 0, -1, s2
	v_cmp_le_u32_e64 s2, s11, v8
	s_wait_alu 0xfffd
	v_cndmask_b32_e64 v13, 0, -1, vcc_lo
	v_cmp_eq_u32_e32 vcc_lo, s11, v8
	s_wait_alu 0xf1ff
	v_cndmask_b32_e64 v12, 0, -1, s2
	v_cmp_eq_u32_e64 s2, s11, v5
	s_wait_alu 0xfffd
	s_delay_alu instid0(VALU_DEP_2) | instskip(SKIP_3) | instid1(VALU_DEP_3)
	v_cndmask_b32_e32 v11, v12, v11, vcc_lo
	v_sub_co_u32 v12, vcc_lo, v7, s10
	s_wait_alu 0xfffd
	v_subrev_co_ci_u32_e64 v6, null, 0, v6, vcc_lo
	v_cmp_ne_u32_e32 vcc_lo, 0, v11
	s_wait_alu 0xf1ff
	v_cndmask_b32_e64 v9, v13, v9, s2
	s_wait_alu 0xfffd
	v_dual_cndmask_b32 v6, v8, v6 :: v_dual_cndmask_b32 v7, v7, v12
	s_delay_alu instid0(VALU_DEP_2) | instskip(SKIP_1) | instid1(VALU_DEP_2)
	v_cmp_ne_u32_e32 vcc_lo, 0, v9
	s_wait_alu 0xfffd
	v_dual_cndmask_b32 v5, v5, v6 :: v_dual_cndmask_b32 v4, v4, v7
	s_delay_alu instid0(VALU_DEP_1) | instskip(NEXT) | instid1(VALU_DEP_2)
	v_xor_b32_e32 v5, v5, v10
	v_xor_b32_e32 v4, v4, v10
	s_delay_alu instid0(VALU_DEP_1) | instskip(SKIP_1) | instid1(VALU_DEP_3)
	v_sub_co_u32 v6, vcc_lo, v4, v10
	s_wait_alu 0xfffd
	v_sub_co_ci_u32_e64 v7, null, v5, v10, vcc_lo
                                        ; implicit-def: $vgpr4_vgpr5
.LBB81_118:
	s_wait_alu 0xfffe
	s_and_not1_saveexec_b32 s2, s3
	s_cbranch_execz .LBB81_120
; %bb.119:
	v_cvt_f32_u32_e32 v5, s8
	s_sub_co_i32 s3, 0, s8
	v_mov_b32_e32 v7, 0
	s_delay_alu instid0(VALU_DEP_2) | instskip(NEXT) | instid1(TRANS32_DEP_1)
	v_rcp_iflag_f32_e32 v5, v5
	v_mul_f32_e32 v5, 0x4f7ffffe, v5
	s_delay_alu instid0(VALU_DEP_1) | instskip(SKIP_1) | instid1(VALU_DEP_1)
	v_cvt_u32_f32_e32 v5, v5
	s_wait_alu 0xfffe
	v_mul_lo_u32 v6, s3, v5
	s_delay_alu instid0(VALU_DEP_1) | instskip(NEXT) | instid1(VALU_DEP_1)
	v_mul_hi_u32 v6, v5, v6
	v_add_nc_u32_e32 v5, v5, v6
	s_delay_alu instid0(VALU_DEP_1) | instskip(NEXT) | instid1(VALU_DEP_1)
	v_mul_hi_u32 v5, v4, v5
	v_mul_lo_u32 v5, v5, s8
	s_delay_alu instid0(VALU_DEP_1) | instskip(NEXT) | instid1(VALU_DEP_1)
	v_sub_nc_u32_e32 v4, v4, v5
	v_subrev_nc_u32_e32 v5, s8, v4
	v_cmp_le_u32_e32 vcc_lo, s8, v4
	s_wait_alu 0xfffd
	s_delay_alu instid0(VALU_DEP_2) | instskip(NEXT) | instid1(VALU_DEP_1)
	v_cndmask_b32_e32 v4, v4, v5, vcc_lo
	v_subrev_nc_u32_e32 v5, s8, v4
	v_cmp_le_u32_e32 vcc_lo, s8, v4
	s_wait_alu 0xfffd
	s_delay_alu instid0(VALU_DEP_2)
	v_cndmask_b32_e32 v6, v4, v5, vcc_lo
.LBB81_120:
	s_wait_alu 0xfffe
	s_or_b32 exec_lo, exec_lo, s2
	v_mad_co_u64_u32 v[4:5], null, s4, 48, v[0:1]
	s_mul_u64 s[6:7], s[8:9], s[6:7]
	v_mad_co_u64_u32 v[8:9], null, s5, 48, v[5:6]
	s_delay_alu instid0(VALU_DEP_1)
	v_mov_b32_e32 v5, v8
	global_store_b64 v[4:5], v[6:7], off
	s_cmp_lt_i32 s14, 6
	s_cbranch_scc1 .LBB81_20
.LBB81_121:
	s_load_b64 s[8:9], s[0:1], 0x30
	s_wait_loadcnt 0x0
	v_or_b32_e32 v5, s7, v3
	v_mov_b32_e32 v4, 0
	s_delay_alu instid0(VALU_DEP_1)
	v_cmp_ne_u64_e32 vcc_lo, 0, v[4:5]
                                        ; implicit-def: $vgpr4_vgpr5
	s_and_saveexec_b32 s2, vcc_lo
	s_wait_alu 0xfffe
	s_xor_b32 s3, exec_lo, s2
	s_cbranch_execz .LBB81_123
; %bb.122:
	s_ashr_i32 s10, s7, 31
	s_mov_b32 s23, 0
	s_wait_alu 0xfffe
	s_mov_b32 s11, s10
	v_ashrrev_i32_e32 v10, 31, v3
	s_wait_alu 0xfffe
	s_add_nc_u64 s[12:13], s[6:7], s[10:11]
	s_wait_alu 0xfffe
	s_xor_b64 s[12:13], s[12:13], s[10:11]
	v_add_co_u32 v4, vcc_lo, v2, v10
	s_wait_alu 0xfffe
	s_cvt_f32_u32 s2, s12
	s_cvt_f32_u32 s11, s13
	s_sub_nc_u64 s[18:19], 0, s[12:13]
	s_wait_alu 0xfffd
	v_add_co_ci_u32_e64 v5, null, v3, v10, vcc_lo
	s_wait_alu 0xfffe
	s_fmamk_f32 s2, s11, 0x4f800000, s2
	v_xor_b32_e32 v11, v4, v10
	s_delay_alu instid0(VALU_DEP_2) | instskip(SKIP_2) | instid1(TRANS32_DEP_1)
	v_xor_b32_e32 v12, v5, v10
	s_wait_alu 0xfffe
	v_s_rcp_f32 s2, s2
	s_mul_f32 s2, s2, 0x5f7ffffc
	s_wait_alu 0xfffe
	s_delay_alu instid0(SALU_CYCLE_2) | instskip(SKIP_1) | instid1(SALU_CYCLE_2)
	s_mul_f32 s11, s2, 0x2f800000
	s_wait_alu 0xfffe
	s_trunc_f32 s11, s11
	s_wait_alu 0xfffe
	s_delay_alu instid0(SALU_CYCLE_2) | instskip(SKIP_2) | instid1(SALU_CYCLE_1)
	s_fmamk_f32 s2, s11, 0xcf800000, s2
	s_cvt_u32_f32 s17, s11
	s_wait_alu 0xfffe
	s_cvt_u32_f32 s16, s2
	s_delay_alu instid0(SALU_CYCLE_3) | instskip(NEXT) | instid1(SALU_CYCLE_1)
	s_mul_u64 s[20:21], s[18:19], s[16:17]
	s_mul_hi_u32 s25, s16, s21
	s_mul_i32 s24, s16, s21
	s_mul_hi_u32 s22, s16, s20
	s_mul_i32 s11, s17, s20
	s_add_nc_u64 s[24:25], s[22:23], s[24:25]
	s_mul_hi_u32 s2, s17, s20
	s_mul_hi_u32 s15, s17, s21
	s_wait_alu 0xfffe
	s_add_co_u32 s11, s24, s11
	s_add_co_ci_u32 s22, s25, s2
	s_mul_i32 s20, s17, s21
	s_add_co_ci_u32 s21, s15, 0
	s_delay_alu instid0(SALU_CYCLE_1) | instskip(NEXT) | instid1(SALU_CYCLE_1)
	s_add_nc_u64 s[20:21], s[22:23], s[20:21]
	s_add_co_u32 s16, s16, s20
	s_cselect_b32 s2, -1, 0
	s_wait_alu 0xfffe
	s_cmp_lg_u32 s2, 0
	s_add_co_ci_u32 s17, s17, s21
	s_delay_alu instid0(SALU_CYCLE_1) | instskip(NEXT) | instid1(SALU_CYCLE_1)
	s_mul_u64 s[18:19], s[18:19], s[16:17]
	s_mul_hi_u32 s21, s16, s19
	s_mul_i32 s20, s16, s19
	s_mul_hi_u32 s22, s16, s18
	s_mul_i32 s11, s17, s18
	s_add_nc_u64 s[20:21], s[22:23], s[20:21]
	s_mul_hi_u32 s2, s17, s18
	s_mul_hi_u32 s15, s17, s19
	s_wait_alu 0xfffe
	s_add_co_u32 s11, s20, s11
	s_add_co_ci_u32 s22, s21, s2
	s_mul_i32 s18, s17, s19
	s_add_co_ci_u32 s19, s15, 0
	s_delay_alu instid0(SALU_CYCLE_1) | instskip(NEXT) | instid1(SALU_CYCLE_1)
	s_add_nc_u64 s[18:19], s[22:23], s[18:19]
	s_add_co_u32 s2, s16, s18
	s_cselect_b32 s11, -1, 0
	s_wait_alu 0xfffe
	v_mul_hi_u32 v13, v11, s2
	s_cmp_lg_u32 s11, 0
	v_mad_co_u64_u32 v[6:7], null, v12, s2, 0
	s_add_co_ci_u32 s11, s17, s19
	s_wait_alu 0xfffe
	v_mad_co_u64_u32 v[4:5], null, v11, s11, 0
	v_mad_co_u64_u32 v[8:9], null, v12, s11, 0
	s_delay_alu instid0(VALU_DEP_2) | instskip(SKIP_1) | instid1(VALU_DEP_3)
	v_add_co_u32 v4, vcc_lo, v13, v4
	s_wait_alu 0xfffd
	v_add_co_ci_u32_e64 v5, null, 0, v5, vcc_lo
	s_delay_alu instid0(VALU_DEP_2) | instskip(SKIP_1) | instid1(VALU_DEP_2)
	v_add_co_u32 v4, vcc_lo, v4, v6
	s_wait_alu 0xfffd
	v_add_co_ci_u32_e32 v4, vcc_lo, v5, v7, vcc_lo
	s_wait_alu 0xfffd
	v_add_co_ci_u32_e32 v5, vcc_lo, 0, v9, vcc_lo
	s_delay_alu instid0(VALU_DEP_2) | instskip(SKIP_1) | instid1(VALU_DEP_2)
	v_add_co_u32 v6, vcc_lo, v4, v8
	s_wait_alu 0xfffd
	v_add_co_ci_u32_e64 v7, null, 0, v5, vcc_lo
	s_delay_alu instid0(VALU_DEP_2) | instskip(SKIP_1) | instid1(VALU_DEP_3)
	v_mul_lo_u32 v8, s13, v6
	v_mad_co_u64_u32 v[4:5], null, s12, v6, 0
	v_mul_lo_u32 v9, s12, v7
	s_delay_alu instid0(VALU_DEP_2) | instskip(NEXT) | instid1(VALU_DEP_2)
	v_sub_co_u32 v4, vcc_lo, v11, v4
	v_add3_u32 v5, v5, v9, v8
	v_add_co_u32 v9, s2, v6, 2
	s_wait_alu 0xf1ff
	v_add_co_ci_u32_e64 v11, null, 0, v7, s2
	s_delay_alu instid0(VALU_DEP_3) | instskip(SKIP_3) | instid1(VALU_DEP_3)
	v_sub_nc_u32_e32 v8, v12, v5
	v_sub_co_u32 v13, s2, v4, s12
	s_wait_alu 0xfffd
	v_sub_co_ci_u32_e64 v5, null, v12, v5, vcc_lo
	v_subrev_co_ci_u32_e64 v8, null, s13, v8, vcc_lo
	s_delay_alu instid0(VALU_DEP_3) | instskip(SKIP_1) | instid1(VALU_DEP_2)
	v_cmp_le_u32_e32 vcc_lo, s12, v13
	s_wait_alu 0xf1ff
	v_subrev_co_ci_u32_e64 v8, null, 0, v8, s2
	s_wait_alu 0xfffd
	v_cndmask_b32_e64 v12, 0, -1, vcc_lo
	s_delay_alu instid0(VALU_DEP_2)
	v_cmp_le_u32_e32 vcc_lo, s13, v8
	s_wait_alu 0xfffd
	v_cndmask_b32_e64 v13, 0, -1, vcc_lo
	v_cmp_le_u32_e32 vcc_lo, s12, v4
	s_wait_alu 0xfffd
	v_cndmask_b32_e64 v4, 0, -1, vcc_lo
	;; [unrolled: 3-line block ×3, first 2 shown]
	v_cmp_eq_u32_e32 vcc_lo, s13, v8
	s_wait_alu 0xfffd
	v_cndmask_b32_e32 v8, v13, v12, vcc_lo
	v_add_co_u32 v12, vcc_lo, v6, 1
	s_wait_alu 0xfffd
	v_add_co_ci_u32_e64 v13, null, 0, v7, vcc_lo
	v_cmp_eq_u32_e32 vcc_lo, s13, v5
	s_wait_alu 0xfffd
	v_cndmask_b32_e32 v4, v14, v4, vcc_lo
	v_cmp_ne_u32_e32 vcc_lo, 0, v8
	v_xor_b32_e32 v8, s10, v10
	s_wait_alu 0xfffd
	v_cndmask_b32_e32 v5, v13, v11, vcc_lo
	v_cmp_ne_u32_e64 s2, 0, v4
	v_cndmask_b32_e32 v4, v12, v9, vcc_lo
	s_wait_alu 0xf1ff
	s_delay_alu instid0(VALU_DEP_2) | instskip(NEXT) | instid1(VALU_DEP_2)
	v_cndmask_b32_e64 v5, v7, v5, s2
	v_cndmask_b32_e64 v4, v6, v4, s2
	s_delay_alu instid0(VALU_DEP_2) | instskip(NEXT) | instid1(VALU_DEP_2)
	v_xor_b32_e32 v5, v5, v8
	v_xor_b32_e32 v4, v4, v8
	s_delay_alu instid0(VALU_DEP_1) | instskip(SKIP_1) | instid1(VALU_DEP_3)
	v_sub_co_u32 v4, vcc_lo, v4, v8
	s_wait_alu 0xfffd
	v_sub_co_ci_u32_e64 v5, null, v5, v8, vcc_lo
.LBB81_123:
	s_wait_alu 0xfffe
	s_and_not1_saveexec_b32 s2, s3
	s_cbranch_execz .LBB81_125
; %bb.124:
	v_cvt_f32_u32_e32 v4, s6
	s_sub_co_i32 s3, 0, s6
	s_delay_alu instid0(VALU_DEP_1) | instskip(NEXT) | instid1(TRANS32_DEP_1)
	v_rcp_iflag_f32_e32 v4, v4
	v_mul_f32_e32 v4, 0x4f7ffffe, v4
	s_delay_alu instid0(VALU_DEP_1) | instskip(SKIP_1) | instid1(VALU_DEP_1)
	v_cvt_u32_f32_e32 v4, v4
	s_wait_alu 0xfffe
	v_mul_lo_u32 v5, s3, v4
	s_delay_alu instid0(VALU_DEP_1) | instskip(NEXT) | instid1(VALU_DEP_1)
	v_mul_hi_u32 v5, v4, v5
	v_add_nc_u32_e32 v4, v4, v5
	s_delay_alu instid0(VALU_DEP_1) | instskip(NEXT) | instid1(VALU_DEP_1)
	v_mul_hi_u32 v4, v2, v4
	v_mul_lo_u32 v5, v4, s6
	v_add_nc_u32_e32 v6, 1, v4
	s_delay_alu instid0(VALU_DEP_2) | instskip(NEXT) | instid1(VALU_DEP_1)
	v_sub_nc_u32_e32 v5, v2, v5
	v_subrev_nc_u32_e32 v7, s6, v5
	v_cmp_le_u32_e32 vcc_lo, s6, v5
	s_wait_alu 0xfffd
	s_delay_alu instid0(VALU_DEP_2) | instskip(NEXT) | instid1(VALU_DEP_1)
	v_dual_cndmask_b32 v5, v5, v7 :: v_dual_cndmask_b32 v4, v4, v6
	v_cmp_le_u32_e32 vcc_lo, s6, v5
	s_delay_alu instid0(VALU_DEP_2) | instskip(SKIP_1) | instid1(VALU_DEP_1)
	v_dual_mov_b32 v5, 0 :: v_dual_add_nc_u32 v6, 1, v4
	s_wait_alu 0xfffd
	v_cndmask_b32_e32 v4, v4, v6, vcc_lo
.LBB81_125:
	s_wait_alu 0xfffe
	s_or_b32 exec_lo, exec_lo, s2
	s_wait_kmcnt 0x0
	v_or_b32_e32 v7, s9, v5
	v_mov_b32_e32 v6, 0
	s_delay_alu instid0(VALU_DEP_1)
	v_cmp_ne_u64_e32 vcc_lo, 0, v[6:7]
                                        ; implicit-def: $vgpr6_vgpr7
	s_and_saveexec_b32 s2, vcc_lo
	s_wait_alu 0xfffe
	s_xor_b32 s3, exec_lo, s2
	s_cbranch_execz .LBB81_127
; %bb.126:
	s_ashr_i32 s10, s9, 31
	s_mov_b32 s21, 0
	s_wait_alu 0xfffe
	s_mov_b32 s11, s10
	v_ashrrev_i32_e32 v10, 31, v5
	s_wait_alu 0xfffe
	s_add_nc_u64 s[12:13], s[8:9], s[10:11]
	s_wait_alu 0xfffe
	s_xor_b64 s[10:11], s[12:13], s[10:11]
	v_add_co_u32 v4, vcc_lo, v4, v10
	s_wait_alu 0xfffe
	s_cvt_f32_u32 s2, s10
	s_cvt_f32_u32 s12, s11
	s_sub_nc_u64 s[16:17], 0, s[10:11]
	s_wait_alu 0xfffd
	v_add_co_ci_u32_e64 v5, null, v5, v10, vcc_lo
	s_wait_alu 0xfffe
	s_fmamk_f32 s2, s12, 0x4f800000, s2
	v_xor_b32_e32 v11, v4, v10
	s_delay_alu instid0(VALU_DEP_2) | instskip(SKIP_2) | instid1(TRANS32_DEP_1)
	v_xor_b32_e32 v12, v5, v10
	s_wait_alu 0xfffe
	v_s_rcp_f32 s2, s2
	s_mul_f32 s2, s2, 0x5f7ffffc
	s_wait_alu 0xfffe
	s_delay_alu instid0(SALU_CYCLE_2) | instskip(SKIP_1) | instid1(SALU_CYCLE_2)
	s_mul_f32 s12, s2, 0x2f800000
	s_wait_alu 0xfffe
	s_trunc_f32 s12, s12
	s_wait_alu 0xfffe
	s_delay_alu instid0(SALU_CYCLE_2) | instskip(SKIP_2) | instid1(SALU_CYCLE_1)
	s_fmamk_f32 s2, s12, 0xcf800000, s2
	s_cvt_u32_f32 s13, s12
	s_wait_alu 0xfffe
	s_cvt_u32_f32 s12, s2
	s_wait_alu 0xfffe
	s_delay_alu instid0(SALU_CYCLE_2) | instskip(NEXT) | instid1(SALU_CYCLE_1)
	s_mul_u64 s[18:19], s[16:17], s[12:13]
	s_mul_hi_u32 s23, s12, s19
	s_mul_i32 s22, s12, s19
	s_mul_hi_u32 s20, s12, s18
	s_mul_i32 s15, s13, s18
	s_add_nc_u64 s[22:23], s[20:21], s[22:23]
	s_mul_hi_u32 s2, s13, s18
	s_mul_hi_u32 s24, s13, s19
	s_add_co_u32 s15, s22, s15
	s_wait_alu 0xfffe
	s_add_co_ci_u32 s20, s23, s2
	s_mul_i32 s18, s13, s19
	s_add_co_ci_u32 s19, s24, 0
	s_delay_alu instid0(SALU_CYCLE_1) | instskip(NEXT) | instid1(SALU_CYCLE_1)
	s_add_nc_u64 s[18:19], s[20:21], s[18:19]
	s_add_co_u32 s12, s12, s18
	s_cselect_b32 s2, -1, 0
	s_wait_alu 0xfffe
	s_cmp_lg_u32 s2, 0
	s_add_co_ci_u32 s13, s13, s19
	s_wait_alu 0xfffe
	s_mul_u64 s[16:17], s[16:17], s[12:13]
	s_delay_alu instid0(SALU_CYCLE_1)
	s_mul_hi_u32 s19, s12, s17
	s_mul_i32 s18, s12, s17
	s_mul_hi_u32 s20, s12, s16
	s_mul_i32 s15, s13, s16
	s_add_nc_u64 s[18:19], s[20:21], s[18:19]
	s_mul_hi_u32 s2, s13, s16
	s_mul_hi_u32 s22, s13, s17
	s_add_co_u32 s15, s18, s15
	s_wait_alu 0xfffe
	s_add_co_ci_u32 s20, s19, s2
	s_mul_i32 s16, s13, s17
	s_add_co_ci_u32 s17, s22, 0
	s_delay_alu instid0(SALU_CYCLE_1) | instskip(NEXT) | instid1(SALU_CYCLE_1)
	s_add_nc_u64 s[16:17], s[20:21], s[16:17]
	s_add_co_u32 s2, s12, s16
	s_cselect_b32 s12, -1, 0
	s_wait_alu 0xfffe
	v_mul_hi_u32 v13, v11, s2
	s_cmp_lg_u32 s12, 0
	v_mad_co_u64_u32 v[6:7], null, v12, s2, 0
	s_add_co_ci_u32 s12, s13, s17
	s_wait_alu 0xfffe
	v_mad_co_u64_u32 v[4:5], null, v11, s12, 0
	v_mad_co_u64_u32 v[8:9], null, v12, s12, 0
	s_delay_alu instid0(VALU_DEP_2) | instskip(SKIP_1) | instid1(VALU_DEP_3)
	v_add_co_u32 v4, vcc_lo, v13, v4
	s_wait_alu 0xfffd
	v_add_co_ci_u32_e64 v5, null, 0, v5, vcc_lo
	s_delay_alu instid0(VALU_DEP_2) | instskip(SKIP_1) | instid1(VALU_DEP_2)
	v_add_co_u32 v4, vcc_lo, v4, v6
	s_wait_alu 0xfffd
	v_add_co_ci_u32_e32 v4, vcc_lo, v5, v7, vcc_lo
	s_wait_alu 0xfffd
	v_add_co_ci_u32_e32 v5, vcc_lo, 0, v9, vcc_lo
	s_delay_alu instid0(VALU_DEP_2) | instskip(SKIP_1) | instid1(VALU_DEP_2)
	v_add_co_u32 v4, vcc_lo, v4, v8
	s_wait_alu 0xfffd
	v_add_co_ci_u32_e64 v6, null, 0, v5, vcc_lo
	s_delay_alu instid0(VALU_DEP_2) | instskip(SKIP_1) | instid1(VALU_DEP_3)
	v_mul_lo_u32 v7, s11, v4
	v_mad_co_u64_u32 v[4:5], null, s10, v4, 0
	v_mul_lo_u32 v6, s10, v6
	s_delay_alu instid0(VALU_DEP_2) | instskip(NEXT) | instid1(VALU_DEP_2)
	v_sub_co_u32 v4, vcc_lo, v11, v4
	v_add3_u32 v5, v5, v6, v7
	s_delay_alu instid0(VALU_DEP_2) | instskip(NEXT) | instid1(VALU_DEP_2)
	v_cmp_le_u32_e64 s2, s10, v4
	v_sub_nc_u32_e32 v6, v12, v5
	s_wait_alu 0xfffd
	v_sub_co_ci_u32_e64 v5, null, v12, v5, vcc_lo
	s_wait_alu 0xf1ff
	v_cndmask_b32_e64 v9, 0, -1, s2
	v_subrev_co_ci_u32_e64 v6, null, s11, v6, vcc_lo
	v_sub_co_u32 v7, vcc_lo, v4, s10
	s_wait_alu 0xfffd
	s_delay_alu instid0(VALU_DEP_2) | instskip(NEXT) | instid1(VALU_DEP_2)
	v_subrev_co_ci_u32_e64 v8, null, 0, v6, vcc_lo
	v_cmp_le_u32_e64 s2, s10, v7
	v_subrev_co_ci_u32_e64 v6, null, s11, v6, vcc_lo
	v_cmp_le_u32_e32 vcc_lo, s11, v5
	s_wait_alu 0xf1ff
	s_delay_alu instid0(VALU_DEP_3)
	v_cndmask_b32_e64 v11, 0, -1, s2
	v_cmp_le_u32_e64 s2, s11, v8
	s_wait_alu 0xfffd
	v_cndmask_b32_e64 v13, 0, -1, vcc_lo
	v_cmp_eq_u32_e32 vcc_lo, s11, v8
	s_wait_alu 0xf1ff
	v_cndmask_b32_e64 v12, 0, -1, s2
	v_cmp_eq_u32_e64 s2, s11, v5
	s_wait_alu 0xfffd
	s_delay_alu instid0(VALU_DEP_2) | instskip(SKIP_3) | instid1(VALU_DEP_3)
	v_cndmask_b32_e32 v11, v12, v11, vcc_lo
	v_sub_co_u32 v12, vcc_lo, v7, s10
	s_wait_alu 0xfffd
	v_subrev_co_ci_u32_e64 v6, null, 0, v6, vcc_lo
	v_cmp_ne_u32_e32 vcc_lo, 0, v11
	s_wait_alu 0xf1ff
	v_cndmask_b32_e64 v9, v13, v9, s2
	s_wait_alu 0xfffd
	v_dual_cndmask_b32 v6, v8, v6 :: v_dual_cndmask_b32 v7, v7, v12
	s_delay_alu instid0(VALU_DEP_2) | instskip(SKIP_1) | instid1(VALU_DEP_2)
	v_cmp_ne_u32_e32 vcc_lo, 0, v9
	s_wait_alu 0xfffd
	v_dual_cndmask_b32 v5, v5, v6 :: v_dual_cndmask_b32 v4, v4, v7
	s_delay_alu instid0(VALU_DEP_1) | instskip(NEXT) | instid1(VALU_DEP_2)
	v_xor_b32_e32 v5, v5, v10
	v_xor_b32_e32 v4, v4, v10
	s_delay_alu instid0(VALU_DEP_1) | instskip(SKIP_1) | instid1(VALU_DEP_3)
	v_sub_co_u32 v6, vcc_lo, v4, v10
	s_wait_alu 0xfffd
	v_sub_co_ci_u32_e64 v7, null, v5, v10, vcc_lo
                                        ; implicit-def: $vgpr4_vgpr5
.LBB81_127:
	s_wait_alu 0xfffe
	s_and_not1_saveexec_b32 s2, s3
	s_cbranch_execz .LBB81_129
; %bb.128:
	v_cvt_f32_u32_e32 v5, s8
	s_sub_co_i32 s3, 0, s8
	v_mov_b32_e32 v7, 0
	s_delay_alu instid0(VALU_DEP_2) | instskip(NEXT) | instid1(TRANS32_DEP_1)
	v_rcp_iflag_f32_e32 v5, v5
	v_mul_f32_e32 v5, 0x4f7ffffe, v5
	s_delay_alu instid0(VALU_DEP_1) | instskip(SKIP_1) | instid1(VALU_DEP_1)
	v_cvt_u32_f32_e32 v5, v5
	s_wait_alu 0xfffe
	v_mul_lo_u32 v6, s3, v5
	s_delay_alu instid0(VALU_DEP_1) | instskip(NEXT) | instid1(VALU_DEP_1)
	v_mul_hi_u32 v6, v5, v6
	v_add_nc_u32_e32 v5, v5, v6
	s_delay_alu instid0(VALU_DEP_1) | instskip(NEXT) | instid1(VALU_DEP_1)
	v_mul_hi_u32 v5, v4, v5
	v_mul_lo_u32 v5, v5, s8
	s_delay_alu instid0(VALU_DEP_1) | instskip(NEXT) | instid1(VALU_DEP_1)
	v_sub_nc_u32_e32 v4, v4, v5
	v_subrev_nc_u32_e32 v5, s8, v4
	v_cmp_le_u32_e32 vcc_lo, s8, v4
	s_wait_alu 0xfffd
	s_delay_alu instid0(VALU_DEP_2) | instskip(NEXT) | instid1(VALU_DEP_1)
	v_cndmask_b32_e32 v4, v4, v5, vcc_lo
	v_subrev_nc_u32_e32 v5, s8, v4
	v_cmp_le_u32_e32 vcc_lo, s8, v4
	s_wait_alu 0xfffd
	s_delay_alu instid0(VALU_DEP_2)
	v_cndmask_b32_e32 v6, v4, v5, vcc_lo
.LBB81_129:
	s_wait_alu 0xfffe
	s_or_b32 exec_lo, exec_lo, s2
	v_mad_co_u64_u32 v[4:5], null, s4, 40, v[0:1]
	s_mul_u64 s[6:7], s[8:9], s[6:7]
	v_mad_co_u64_u32 v[8:9], null, s5, 40, v[5:6]
	s_delay_alu instid0(VALU_DEP_1)
	v_mov_b32_e32 v5, v8
	global_store_b64 v[4:5], v[6:7], off
	s_cmp_lt_i32 s14, 5
	s_cbranch_scc1 .LBB81_21
.LBB81_130:
	s_load_b64 s[8:9], s[0:1], 0x28
	s_wait_loadcnt 0x0
	v_or_b32_e32 v5, s7, v3
	v_mov_b32_e32 v4, 0
	s_delay_alu instid0(VALU_DEP_1)
	v_cmp_ne_u64_e32 vcc_lo, 0, v[4:5]
                                        ; implicit-def: $vgpr4_vgpr5
	s_and_saveexec_b32 s2, vcc_lo
	s_wait_alu 0xfffe
	s_xor_b32 s3, exec_lo, s2
	s_cbranch_execz .LBB81_132
; %bb.131:
	s_ashr_i32 s10, s7, 31
	s_mov_b32 s23, 0
	s_wait_alu 0xfffe
	s_mov_b32 s11, s10
	v_ashrrev_i32_e32 v10, 31, v3
	s_wait_alu 0xfffe
	s_add_nc_u64 s[12:13], s[6:7], s[10:11]
	s_wait_alu 0xfffe
	s_xor_b64 s[12:13], s[12:13], s[10:11]
	v_add_co_u32 v4, vcc_lo, v2, v10
	s_wait_alu 0xfffe
	s_cvt_f32_u32 s2, s12
	s_cvt_f32_u32 s11, s13
	s_sub_nc_u64 s[18:19], 0, s[12:13]
	s_wait_alu 0xfffd
	v_add_co_ci_u32_e64 v5, null, v3, v10, vcc_lo
	s_wait_alu 0xfffe
	s_fmamk_f32 s2, s11, 0x4f800000, s2
	v_xor_b32_e32 v11, v4, v10
	s_delay_alu instid0(VALU_DEP_2) | instskip(SKIP_2) | instid1(TRANS32_DEP_1)
	v_xor_b32_e32 v12, v5, v10
	s_wait_alu 0xfffe
	v_s_rcp_f32 s2, s2
	s_mul_f32 s2, s2, 0x5f7ffffc
	s_wait_alu 0xfffe
	s_delay_alu instid0(SALU_CYCLE_2) | instskip(SKIP_1) | instid1(SALU_CYCLE_2)
	s_mul_f32 s11, s2, 0x2f800000
	s_wait_alu 0xfffe
	s_trunc_f32 s11, s11
	s_wait_alu 0xfffe
	s_delay_alu instid0(SALU_CYCLE_2) | instskip(SKIP_2) | instid1(SALU_CYCLE_1)
	s_fmamk_f32 s2, s11, 0xcf800000, s2
	s_cvt_u32_f32 s17, s11
	s_wait_alu 0xfffe
	s_cvt_u32_f32 s16, s2
	s_delay_alu instid0(SALU_CYCLE_3) | instskip(NEXT) | instid1(SALU_CYCLE_1)
	s_mul_u64 s[20:21], s[18:19], s[16:17]
	s_mul_hi_u32 s25, s16, s21
	s_mul_i32 s24, s16, s21
	s_mul_hi_u32 s22, s16, s20
	s_mul_i32 s11, s17, s20
	s_add_nc_u64 s[24:25], s[22:23], s[24:25]
	s_mul_hi_u32 s2, s17, s20
	s_mul_hi_u32 s15, s17, s21
	s_wait_alu 0xfffe
	s_add_co_u32 s11, s24, s11
	s_add_co_ci_u32 s22, s25, s2
	s_mul_i32 s20, s17, s21
	s_add_co_ci_u32 s21, s15, 0
	s_delay_alu instid0(SALU_CYCLE_1) | instskip(NEXT) | instid1(SALU_CYCLE_1)
	s_add_nc_u64 s[20:21], s[22:23], s[20:21]
	s_add_co_u32 s16, s16, s20
	s_cselect_b32 s2, -1, 0
	s_wait_alu 0xfffe
	s_cmp_lg_u32 s2, 0
	s_add_co_ci_u32 s17, s17, s21
	s_delay_alu instid0(SALU_CYCLE_1) | instskip(NEXT) | instid1(SALU_CYCLE_1)
	s_mul_u64 s[18:19], s[18:19], s[16:17]
	s_mul_hi_u32 s21, s16, s19
	s_mul_i32 s20, s16, s19
	s_mul_hi_u32 s22, s16, s18
	s_mul_i32 s11, s17, s18
	s_add_nc_u64 s[20:21], s[22:23], s[20:21]
	s_mul_hi_u32 s2, s17, s18
	s_mul_hi_u32 s15, s17, s19
	s_wait_alu 0xfffe
	s_add_co_u32 s11, s20, s11
	s_add_co_ci_u32 s22, s21, s2
	s_mul_i32 s18, s17, s19
	s_add_co_ci_u32 s19, s15, 0
	s_delay_alu instid0(SALU_CYCLE_1) | instskip(NEXT) | instid1(SALU_CYCLE_1)
	s_add_nc_u64 s[18:19], s[22:23], s[18:19]
	s_add_co_u32 s2, s16, s18
	s_cselect_b32 s11, -1, 0
	s_wait_alu 0xfffe
	v_mul_hi_u32 v13, v11, s2
	s_cmp_lg_u32 s11, 0
	v_mad_co_u64_u32 v[6:7], null, v12, s2, 0
	s_add_co_ci_u32 s11, s17, s19
	s_wait_alu 0xfffe
	v_mad_co_u64_u32 v[4:5], null, v11, s11, 0
	v_mad_co_u64_u32 v[8:9], null, v12, s11, 0
	s_delay_alu instid0(VALU_DEP_2) | instskip(SKIP_1) | instid1(VALU_DEP_3)
	v_add_co_u32 v4, vcc_lo, v13, v4
	s_wait_alu 0xfffd
	v_add_co_ci_u32_e64 v5, null, 0, v5, vcc_lo
	s_delay_alu instid0(VALU_DEP_2) | instskip(SKIP_1) | instid1(VALU_DEP_2)
	v_add_co_u32 v4, vcc_lo, v4, v6
	s_wait_alu 0xfffd
	v_add_co_ci_u32_e32 v4, vcc_lo, v5, v7, vcc_lo
	s_wait_alu 0xfffd
	v_add_co_ci_u32_e32 v5, vcc_lo, 0, v9, vcc_lo
	s_delay_alu instid0(VALU_DEP_2) | instskip(SKIP_1) | instid1(VALU_DEP_2)
	v_add_co_u32 v6, vcc_lo, v4, v8
	s_wait_alu 0xfffd
	v_add_co_ci_u32_e64 v7, null, 0, v5, vcc_lo
	s_delay_alu instid0(VALU_DEP_2) | instskip(SKIP_1) | instid1(VALU_DEP_3)
	v_mul_lo_u32 v8, s13, v6
	v_mad_co_u64_u32 v[4:5], null, s12, v6, 0
	v_mul_lo_u32 v9, s12, v7
	s_delay_alu instid0(VALU_DEP_2) | instskip(NEXT) | instid1(VALU_DEP_2)
	v_sub_co_u32 v4, vcc_lo, v11, v4
	v_add3_u32 v5, v5, v9, v8
	v_add_co_u32 v9, s2, v6, 2
	s_wait_alu 0xf1ff
	v_add_co_ci_u32_e64 v11, null, 0, v7, s2
	s_delay_alu instid0(VALU_DEP_3) | instskip(SKIP_3) | instid1(VALU_DEP_3)
	v_sub_nc_u32_e32 v8, v12, v5
	v_sub_co_u32 v13, s2, v4, s12
	s_wait_alu 0xfffd
	v_sub_co_ci_u32_e64 v5, null, v12, v5, vcc_lo
	v_subrev_co_ci_u32_e64 v8, null, s13, v8, vcc_lo
	s_delay_alu instid0(VALU_DEP_3) | instskip(SKIP_1) | instid1(VALU_DEP_2)
	v_cmp_le_u32_e32 vcc_lo, s12, v13
	s_wait_alu 0xf1ff
	v_subrev_co_ci_u32_e64 v8, null, 0, v8, s2
	s_wait_alu 0xfffd
	v_cndmask_b32_e64 v12, 0, -1, vcc_lo
	s_delay_alu instid0(VALU_DEP_2)
	v_cmp_le_u32_e32 vcc_lo, s13, v8
	s_wait_alu 0xfffd
	v_cndmask_b32_e64 v13, 0, -1, vcc_lo
	v_cmp_le_u32_e32 vcc_lo, s12, v4
	s_wait_alu 0xfffd
	v_cndmask_b32_e64 v4, 0, -1, vcc_lo
	;; [unrolled: 3-line block ×3, first 2 shown]
	v_cmp_eq_u32_e32 vcc_lo, s13, v8
	s_wait_alu 0xfffd
	v_cndmask_b32_e32 v8, v13, v12, vcc_lo
	v_add_co_u32 v12, vcc_lo, v6, 1
	s_wait_alu 0xfffd
	v_add_co_ci_u32_e64 v13, null, 0, v7, vcc_lo
	v_cmp_eq_u32_e32 vcc_lo, s13, v5
	s_wait_alu 0xfffd
	v_cndmask_b32_e32 v4, v14, v4, vcc_lo
	v_cmp_ne_u32_e32 vcc_lo, 0, v8
	v_xor_b32_e32 v8, s10, v10
	s_wait_alu 0xfffd
	v_cndmask_b32_e32 v5, v13, v11, vcc_lo
	v_cmp_ne_u32_e64 s2, 0, v4
	v_cndmask_b32_e32 v4, v12, v9, vcc_lo
	s_wait_alu 0xf1ff
	s_delay_alu instid0(VALU_DEP_2) | instskip(NEXT) | instid1(VALU_DEP_2)
	v_cndmask_b32_e64 v5, v7, v5, s2
	v_cndmask_b32_e64 v4, v6, v4, s2
	s_delay_alu instid0(VALU_DEP_2) | instskip(NEXT) | instid1(VALU_DEP_2)
	v_xor_b32_e32 v5, v5, v8
	v_xor_b32_e32 v4, v4, v8
	s_delay_alu instid0(VALU_DEP_1) | instskip(SKIP_1) | instid1(VALU_DEP_3)
	v_sub_co_u32 v4, vcc_lo, v4, v8
	s_wait_alu 0xfffd
	v_sub_co_ci_u32_e64 v5, null, v5, v8, vcc_lo
.LBB81_132:
	s_wait_alu 0xfffe
	s_and_not1_saveexec_b32 s2, s3
	s_cbranch_execz .LBB81_134
; %bb.133:
	v_cvt_f32_u32_e32 v4, s6
	s_sub_co_i32 s3, 0, s6
	s_delay_alu instid0(VALU_DEP_1) | instskip(NEXT) | instid1(TRANS32_DEP_1)
	v_rcp_iflag_f32_e32 v4, v4
	v_mul_f32_e32 v4, 0x4f7ffffe, v4
	s_delay_alu instid0(VALU_DEP_1) | instskip(SKIP_1) | instid1(VALU_DEP_1)
	v_cvt_u32_f32_e32 v4, v4
	s_wait_alu 0xfffe
	v_mul_lo_u32 v5, s3, v4
	s_delay_alu instid0(VALU_DEP_1) | instskip(NEXT) | instid1(VALU_DEP_1)
	v_mul_hi_u32 v5, v4, v5
	v_add_nc_u32_e32 v4, v4, v5
	s_delay_alu instid0(VALU_DEP_1) | instskip(NEXT) | instid1(VALU_DEP_1)
	v_mul_hi_u32 v4, v2, v4
	v_mul_lo_u32 v5, v4, s6
	v_add_nc_u32_e32 v6, 1, v4
	s_delay_alu instid0(VALU_DEP_2) | instskip(NEXT) | instid1(VALU_DEP_1)
	v_sub_nc_u32_e32 v5, v2, v5
	v_subrev_nc_u32_e32 v7, s6, v5
	v_cmp_le_u32_e32 vcc_lo, s6, v5
	s_wait_alu 0xfffd
	s_delay_alu instid0(VALU_DEP_2) | instskip(NEXT) | instid1(VALU_DEP_1)
	v_dual_cndmask_b32 v5, v5, v7 :: v_dual_cndmask_b32 v4, v4, v6
	v_cmp_le_u32_e32 vcc_lo, s6, v5
	s_delay_alu instid0(VALU_DEP_2) | instskip(SKIP_1) | instid1(VALU_DEP_1)
	v_dual_mov_b32 v5, 0 :: v_dual_add_nc_u32 v6, 1, v4
	s_wait_alu 0xfffd
	v_cndmask_b32_e32 v4, v4, v6, vcc_lo
.LBB81_134:
	s_wait_alu 0xfffe
	s_or_b32 exec_lo, exec_lo, s2
	s_wait_kmcnt 0x0
	v_or_b32_e32 v7, s9, v5
	v_mov_b32_e32 v6, 0
	s_delay_alu instid0(VALU_DEP_1)
	v_cmp_ne_u64_e32 vcc_lo, 0, v[6:7]
                                        ; implicit-def: $vgpr6_vgpr7
	s_and_saveexec_b32 s2, vcc_lo
	s_wait_alu 0xfffe
	s_xor_b32 s3, exec_lo, s2
	s_cbranch_execz .LBB81_136
; %bb.135:
	s_ashr_i32 s10, s9, 31
	s_mov_b32 s21, 0
	s_wait_alu 0xfffe
	s_mov_b32 s11, s10
	v_ashrrev_i32_e32 v10, 31, v5
	s_wait_alu 0xfffe
	s_add_nc_u64 s[12:13], s[8:9], s[10:11]
	s_wait_alu 0xfffe
	s_xor_b64 s[10:11], s[12:13], s[10:11]
	v_add_co_u32 v4, vcc_lo, v4, v10
	s_wait_alu 0xfffe
	s_cvt_f32_u32 s2, s10
	s_cvt_f32_u32 s12, s11
	s_sub_nc_u64 s[16:17], 0, s[10:11]
	s_wait_alu 0xfffd
	v_add_co_ci_u32_e64 v5, null, v5, v10, vcc_lo
	s_wait_alu 0xfffe
	s_fmamk_f32 s2, s12, 0x4f800000, s2
	v_xor_b32_e32 v11, v4, v10
	s_delay_alu instid0(VALU_DEP_2) | instskip(SKIP_2) | instid1(TRANS32_DEP_1)
	v_xor_b32_e32 v12, v5, v10
	s_wait_alu 0xfffe
	v_s_rcp_f32 s2, s2
	s_mul_f32 s2, s2, 0x5f7ffffc
	s_wait_alu 0xfffe
	s_delay_alu instid0(SALU_CYCLE_2) | instskip(SKIP_1) | instid1(SALU_CYCLE_2)
	s_mul_f32 s12, s2, 0x2f800000
	s_wait_alu 0xfffe
	s_trunc_f32 s12, s12
	s_wait_alu 0xfffe
	s_delay_alu instid0(SALU_CYCLE_2) | instskip(SKIP_2) | instid1(SALU_CYCLE_1)
	s_fmamk_f32 s2, s12, 0xcf800000, s2
	s_cvt_u32_f32 s13, s12
	s_wait_alu 0xfffe
	s_cvt_u32_f32 s12, s2
	s_wait_alu 0xfffe
	s_delay_alu instid0(SALU_CYCLE_2) | instskip(NEXT) | instid1(SALU_CYCLE_1)
	s_mul_u64 s[18:19], s[16:17], s[12:13]
	s_mul_hi_u32 s23, s12, s19
	s_mul_i32 s22, s12, s19
	s_mul_hi_u32 s20, s12, s18
	s_mul_i32 s15, s13, s18
	s_add_nc_u64 s[22:23], s[20:21], s[22:23]
	s_mul_hi_u32 s2, s13, s18
	s_mul_hi_u32 s24, s13, s19
	s_add_co_u32 s15, s22, s15
	s_wait_alu 0xfffe
	s_add_co_ci_u32 s20, s23, s2
	s_mul_i32 s18, s13, s19
	s_add_co_ci_u32 s19, s24, 0
	s_delay_alu instid0(SALU_CYCLE_1) | instskip(NEXT) | instid1(SALU_CYCLE_1)
	s_add_nc_u64 s[18:19], s[20:21], s[18:19]
	s_add_co_u32 s12, s12, s18
	s_cselect_b32 s2, -1, 0
	s_wait_alu 0xfffe
	s_cmp_lg_u32 s2, 0
	s_add_co_ci_u32 s13, s13, s19
	s_wait_alu 0xfffe
	s_mul_u64 s[16:17], s[16:17], s[12:13]
	s_delay_alu instid0(SALU_CYCLE_1)
	s_mul_hi_u32 s19, s12, s17
	s_mul_i32 s18, s12, s17
	s_mul_hi_u32 s20, s12, s16
	s_mul_i32 s15, s13, s16
	s_add_nc_u64 s[18:19], s[20:21], s[18:19]
	s_mul_hi_u32 s2, s13, s16
	s_mul_hi_u32 s22, s13, s17
	s_add_co_u32 s15, s18, s15
	s_wait_alu 0xfffe
	s_add_co_ci_u32 s20, s19, s2
	s_mul_i32 s16, s13, s17
	s_add_co_ci_u32 s17, s22, 0
	s_delay_alu instid0(SALU_CYCLE_1) | instskip(NEXT) | instid1(SALU_CYCLE_1)
	s_add_nc_u64 s[16:17], s[20:21], s[16:17]
	s_add_co_u32 s2, s12, s16
	s_cselect_b32 s12, -1, 0
	s_wait_alu 0xfffe
	v_mul_hi_u32 v13, v11, s2
	s_cmp_lg_u32 s12, 0
	v_mad_co_u64_u32 v[6:7], null, v12, s2, 0
	s_add_co_ci_u32 s12, s13, s17
	s_wait_alu 0xfffe
	v_mad_co_u64_u32 v[4:5], null, v11, s12, 0
	v_mad_co_u64_u32 v[8:9], null, v12, s12, 0
	s_delay_alu instid0(VALU_DEP_2) | instskip(SKIP_1) | instid1(VALU_DEP_3)
	v_add_co_u32 v4, vcc_lo, v13, v4
	s_wait_alu 0xfffd
	v_add_co_ci_u32_e64 v5, null, 0, v5, vcc_lo
	s_delay_alu instid0(VALU_DEP_2) | instskip(SKIP_1) | instid1(VALU_DEP_2)
	v_add_co_u32 v4, vcc_lo, v4, v6
	s_wait_alu 0xfffd
	v_add_co_ci_u32_e32 v4, vcc_lo, v5, v7, vcc_lo
	s_wait_alu 0xfffd
	v_add_co_ci_u32_e32 v5, vcc_lo, 0, v9, vcc_lo
	s_delay_alu instid0(VALU_DEP_2) | instskip(SKIP_1) | instid1(VALU_DEP_2)
	v_add_co_u32 v4, vcc_lo, v4, v8
	s_wait_alu 0xfffd
	v_add_co_ci_u32_e64 v6, null, 0, v5, vcc_lo
	s_delay_alu instid0(VALU_DEP_2) | instskip(SKIP_1) | instid1(VALU_DEP_3)
	v_mul_lo_u32 v7, s11, v4
	v_mad_co_u64_u32 v[4:5], null, s10, v4, 0
	v_mul_lo_u32 v6, s10, v6
	s_delay_alu instid0(VALU_DEP_2) | instskip(NEXT) | instid1(VALU_DEP_2)
	v_sub_co_u32 v4, vcc_lo, v11, v4
	v_add3_u32 v5, v5, v6, v7
	s_delay_alu instid0(VALU_DEP_2) | instskip(NEXT) | instid1(VALU_DEP_2)
	v_cmp_le_u32_e64 s2, s10, v4
	v_sub_nc_u32_e32 v6, v12, v5
	s_wait_alu 0xfffd
	v_sub_co_ci_u32_e64 v5, null, v12, v5, vcc_lo
	s_wait_alu 0xf1ff
	v_cndmask_b32_e64 v9, 0, -1, s2
	v_subrev_co_ci_u32_e64 v6, null, s11, v6, vcc_lo
	v_sub_co_u32 v7, vcc_lo, v4, s10
	s_wait_alu 0xfffd
	s_delay_alu instid0(VALU_DEP_2) | instskip(NEXT) | instid1(VALU_DEP_2)
	v_subrev_co_ci_u32_e64 v8, null, 0, v6, vcc_lo
	v_cmp_le_u32_e64 s2, s10, v7
	v_subrev_co_ci_u32_e64 v6, null, s11, v6, vcc_lo
	v_cmp_le_u32_e32 vcc_lo, s11, v5
	s_wait_alu 0xf1ff
	s_delay_alu instid0(VALU_DEP_3)
	v_cndmask_b32_e64 v11, 0, -1, s2
	v_cmp_le_u32_e64 s2, s11, v8
	s_wait_alu 0xfffd
	v_cndmask_b32_e64 v13, 0, -1, vcc_lo
	v_cmp_eq_u32_e32 vcc_lo, s11, v8
	s_wait_alu 0xf1ff
	v_cndmask_b32_e64 v12, 0, -1, s2
	v_cmp_eq_u32_e64 s2, s11, v5
	s_wait_alu 0xfffd
	s_delay_alu instid0(VALU_DEP_2) | instskip(SKIP_3) | instid1(VALU_DEP_3)
	v_cndmask_b32_e32 v11, v12, v11, vcc_lo
	v_sub_co_u32 v12, vcc_lo, v7, s10
	s_wait_alu 0xfffd
	v_subrev_co_ci_u32_e64 v6, null, 0, v6, vcc_lo
	v_cmp_ne_u32_e32 vcc_lo, 0, v11
	s_wait_alu 0xf1ff
	v_cndmask_b32_e64 v9, v13, v9, s2
	s_wait_alu 0xfffd
	v_dual_cndmask_b32 v6, v8, v6 :: v_dual_cndmask_b32 v7, v7, v12
	s_delay_alu instid0(VALU_DEP_2) | instskip(SKIP_1) | instid1(VALU_DEP_2)
	v_cmp_ne_u32_e32 vcc_lo, 0, v9
	s_wait_alu 0xfffd
	v_dual_cndmask_b32 v5, v5, v6 :: v_dual_cndmask_b32 v4, v4, v7
	s_delay_alu instid0(VALU_DEP_1) | instskip(NEXT) | instid1(VALU_DEP_2)
	v_xor_b32_e32 v5, v5, v10
	v_xor_b32_e32 v4, v4, v10
	s_delay_alu instid0(VALU_DEP_1) | instskip(SKIP_1) | instid1(VALU_DEP_3)
	v_sub_co_u32 v6, vcc_lo, v4, v10
	s_wait_alu 0xfffd
	v_sub_co_ci_u32_e64 v7, null, v5, v10, vcc_lo
                                        ; implicit-def: $vgpr4_vgpr5
.LBB81_136:
	s_wait_alu 0xfffe
	s_and_not1_saveexec_b32 s2, s3
	s_cbranch_execz .LBB81_138
; %bb.137:
	v_cvt_f32_u32_e32 v5, s8
	s_sub_co_i32 s3, 0, s8
	v_mov_b32_e32 v7, 0
	s_delay_alu instid0(VALU_DEP_2) | instskip(NEXT) | instid1(TRANS32_DEP_1)
	v_rcp_iflag_f32_e32 v5, v5
	v_mul_f32_e32 v5, 0x4f7ffffe, v5
	s_delay_alu instid0(VALU_DEP_1) | instskip(SKIP_1) | instid1(VALU_DEP_1)
	v_cvt_u32_f32_e32 v5, v5
	s_wait_alu 0xfffe
	v_mul_lo_u32 v6, s3, v5
	s_delay_alu instid0(VALU_DEP_1) | instskip(NEXT) | instid1(VALU_DEP_1)
	v_mul_hi_u32 v6, v5, v6
	v_add_nc_u32_e32 v5, v5, v6
	s_delay_alu instid0(VALU_DEP_1) | instskip(NEXT) | instid1(VALU_DEP_1)
	v_mul_hi_u32 v5, v4, v5
	v_mul_lo_u32 v5, v5, s8
	s_delay_alu instid0(VALU_DEP_1) | instskip(NEXT) | instid1(VALU_DEP_1)
	v_sub_nc_u32_e32 v4, v4, v5
	v_subrev_nc_u32_e32 v5, s8, v4
	v_cmp_le_u32_e32 vcc_lo, s8, v4
	s_wait_alu 0xfffd
	s_delay_alu instid0(VALU_DEP_2) | instskip(NEXT) | instid1(VALU_DEP_1)
	v_cndmask_b32_e32 v4, v4, v5, vcc_lo
	v_subrev_nc_u32_e32 v5, s8, v4
	v_cmp_le_u32_e32 vcc_lo, s8, v4
	s_wait_alu 0xfffd
	s_delay_alu instid0(VALU_DEP_2)
	v_cndmask_b32_e32 v6, v4, v5, vcc_lo
.LBB81_138:
	s_wait_alu 0xfffe
	s_or_b32 exec_lo, exec_lo, s2
	s_lshl_b64 s[2:3], s[4:5], 5
	s_mul_u64 s[6:7], s[8:9], s[6:7]
	s_wait_alu 0xfffe
	v_add_co_u32 v4, vcc_lo, v0, s2
	s_wait_alu 0xfffd
	v_add_co_ci_u32_e64 v5, null, s3, v1, vcc_lo
	global_store_b64 v[4:5], v[6:7], off
	s_cmp_lt_i32 s14, 4
	s_cbranch_scc1 .LBB81_22
.LBB81_139:
	s_load_b64 s[8:9], s[0:1], 0x20
	s_wait_loadcnt 0x0
	v_or_b32_e32 v5, s7, v3
	v_mov_b32_e32 v4, 0
	s_delay_alu instid0(VALU_DEP_1)
	v_cmp_ne_u64_e32 vcc_lo, 0, v[4:5]
                                        ; implicit-def: $vgpr4_vgpr5
	s_and_saveexec_b32 s2, vcc_lo
	s_wait_alu 0xfffe
	s_xor_b32 s3, exec_lo, s2
	s_cbranch_execz .LBB81_141
; %bb.140:
	s_ashr_i32 s10, s7, 31
	s_mov_b32 s23, 0
	s_wait_alu 0xfffe
	s_mov_b32 s11, s10
	v_ashrrev_i32_e32 v10, 31, v3
	s_wait_alu 0xfffe
	s_add_nc_u64 s[12:13], s[6:7], s[10:11]
	s_wait_alu 0xfffe
	s_xor_b64 s[12:13], s[12:13], s[10:11]
	v_add_co_u32 v4, vcc_lo, v2, v10
	s_wait_alu 0xfffe
	s_cvt_f32_u32 s2, s12
	s_cvt_f32_u32 s11, s13
	s_sub_nc_u64 s[18:19], 0, s[12:13]
	s_wait_alu 0xfffd
	v_add_co_ci_u32_e64 v5, null, v3, v10, vcc_lo
	s_wait_alu 0xfffe
	s_fmamk_f32 s2, s11, 0x4f800000, s2
	v_xor_b32_e32 v11, v4, v10
	s_delay_alu instid0(VALU_DEP_2) | instskip(SKIP_2) | instid1(TRANS32_DEP_1)
	v_xor_b32_e32 v12, v5, v10
	s_wait_alu 0xfffe
	v_s_rcp_f32 s2, s2
	s_mul_f32 s2, s2, 0x5f7ffffc
	s_wait_alu 0xfffe
	s_delay_alu instid0(SALU_CYCLE_2) | instskip(SKIP_1) | instid1(SALU_CYCLE_2)
	s_mul_f32 s11, s2, 0x2f800000
	s_wait_alu 0xfffe
	s_trunc_f32 s11, s11
	s_wait_alu 0xfffe
	s_delay_alu instid0(SALU_CYCLE_2) | instskip(SKIP_2) | instid1(SALU_CYCLE_1)
	s_fmamk_f32 s2, s11, 0xcf800000, s2
	s_cvt_u32_f32 s17, s11
	s_wait_alu 0xfffe
	s_cvt_u32_f32 s16, s2
	s_delay_alu instid0(SALU_CYCLE_3) | instskip(NEXT) | instid1(SALU_CYCLE_1)
	s_mul_u64 s[20:21], s[18:19], s[16:17]
	s_mul_hi_u32 s25, s16, s21
	s_mul_i32 s24, s16, s21
	s_mul_hi_u32 s22, s16, s20
	s_mul_i32 s11, s17, s20
	s_add_nc_u64 s[24:25], s[22:23], s[24:25]
	s_mul_hi_u32 s2, s17, s20
	s_mul_hi_u32 s15, s17, s21
	s_wait_alu 0xfffe
	s_add_co_u32 s11, s24, s11
	s_add_co_ci_u32 s22, s25, s2
	s_mul_i32 s20, s17, s21
	s_add_co_ci_u32 s21, s15, 0
	s_delay_alu instid0(SALU_CYCLE_1) | instskip(NEXT) | instid1(SALU_CYCLE_1)
	s_add_nc_u64 s[20:21], s[22:23], s[20:21]
	s_add_co_u32 s16, s16, s20
	s_cselect_b32 s2, -1, 0
	s_wait_alu 0xfffe
	s_cmp_lg_u32 s2, 0
	s_add_co_ci_u32 s17, s17, s21
	s_delay_alu instid0(SALU_CYCLE_1) | instskip(NEXT) | instid1(SALU_CYCLE_1)
	s_mul_u64 s[18:19], s[18:19], s[16:17]
	s_mul_hi_u32 s21, s16, s19
	s_mul_i32 s20, s16, s19
	s_mul_hi_u32 s22, s16, s18
	s_mul_i32 s11, s17, s18
	s_add_nc_u64 s[20:21], s[22:23], s[20:21]
	s_mul_hi_u32 s2, s17, s18
	s_mul_hi_u32 s15, s17, s19
	s_wait_alu 0xfffe
	s_add_co_u32 s11, s20, s11
	s_add_co_ci_u32 s22, s21, s2
	s_mul_i32 s18, s17, s19
	s_add_co_ci_u32 s19, s15, 0
	s_delay_alu instid0(SALU_CYCLE_1) | instskip(NEXT) | instid1(SALU_CYCLE_1)
	s_add_nc_u64 s[18:19], s[22:23], s[18:19]
	s_add_co_u32 s2, s16, s18
	s_cselect_b32 s11, -1, 0
	s_wait_alu 0xfffe
	v_mul_hi_u32 v13, v11, s2
	s_cmp_lg_u32 s11, 0
	v_mad_co_u64_u32 v[6:7], null, v12, s2, 0
	s_add_co_ci_u32 s11, s17, s19
	s_wait_alu 0xfffe
	v_mad_co_u64_u32 v[4:5], null, v11, s11, 0
	v_mad_co_u64_u32 v[8:9], null, v12, s11, 0
	s_delay_alu instid0(VALU_DEP_2) | instskip(SKIP_1) | instid1(VALU_DEP_3)
	v_add_co_u32 v4, vcc_lo, v13, v4
	s_wait_alu 0xfffd
	v_add_co_ci_u32_e64 v5, null, 0, v5, vcc_lo
	s_delay_alu instid0(VALU_DEP_2) | instskip(SKIP_1) | instid1(VALU_DEP_2)
	v_add_co_u32 v4, vcc_lo, v4, v6
	s_wait_alu 0xfffd
	v_add_co_ci_u32_e32 v4, vcc_lo, v5, v7, vcc_lo
	s_wait_alu 0xfffd
	v_add_co_ci_u32_e32 v5, vcc_lo, 0, v9, vcc_lo
	s_delay_alu instid0(VALU_DEP_2) | instskip(SKIP_1) | instid1(VALU_DEP_2)
	v_add_co_u32 v6, vcc_lo, v4, v8
	s_wait_alu 0xfffd
	v_add_co_ci_u32_e64 v7, null, 0, v5, vcc_lo
	s_delay_alu instid0(VALU_DEP_2) | instskip(SKIP_1) | instid1(VALU_DEP_3)
	v_mul_lo_u32 v8, s13, v6
	v_mad_co_u64_u32 v[4:5], null, s12, v6, 0
	v_mul_lo_u32 v9, s12, v7
	s_delay_alu instid0(VALU_DEP_2) | instskip(NEXT) | instid1(VALU_DEP_2)
	v_sub_co_u32 v4, vcc_lo, v11, v4
	v_add3_u32 v5, v5, v9, v8
	v_add_co_u32 v9, s2, v6, 2
	s_wait_alu 0xf1ff
	v_add_co_ci_u32_e64 v11, null, 0, v7, s2
	s_delay_alu instid0(VALU_DEP_3) | instskip(SKIP_3) | instid1(VALU_DEP_3)
	v_sub_nc_u32_e32 v8, v12, v5
	v_sub_co_u32 v13, s2, v4, s12
	s_wait_alu 0xfffd
	v_sub_co_ci_u32_e64 v5, null, v12, v5, vcc_lo
	v_subrev_co_ci_u32_e64 v8, null, s13, v8, vcc_lo
	s_delay_alu instid0(VALU_DEP_3) | instskip(SKIP_1) | instid1(VALU_DEP_2)
	v_cmp_le_u32_e32 vcc_lo, s12, v13
	s_wait_alu 0xf1ff
	v_subrev_co_ci_u32_e64 v8, null, 0, v8, s2
	s_wait_alu 0xfffd
	v_cndmask_b32_e64 v12, 0, -1, vcc_lo
	s_delay_alu instid0(VALU_DEP_2)
	v_cmp_le_u32_e32 vcc_lo, s13, v8
	s_wait_alu 0xfffd
	v_cndmask_b32_e64 v13, 0, -1, vcc_lo
	v_cmp_le_u32_e32 vcc_lo, s12, v4
	s_wait_alu 0xfffd
	v_cndmask_b32_e64 v4, 0, -1, vcc_lo
	;; [unrolled: 3-line block ×3, first 2 shown]
	v_cmp_eq_u32_e32 vcc_lo, s13, v8
	s_wait_alu 0xfffd
	v_cndmask_b32_e32 v8, v13, v12, vcc_lo
	v_add_co_u32 v12, vcc_lo, v6, 1
	s_wait_alu 0xfffd
	v_add_co_ci_u32_e64 v13, null, 0, v7, vcc_lo
	v_cmp_eq_u32_e32 vcc_lo, s13, v5
	s_wait_alu 0xfffd
	v_cndmask_b32_e32 v4, v14, v4, vcc_lo
	v_cmp_ne_u32_e32 vcc_lo, 0, v8
	v_xor_b32_e32 v8, s10, v10
	s_wait_alu 0xfffd
	v_cndmask_b32_e32 v5, v13, v11, vcc_lo
	v_cmp_ne_u32_e64 s2, 0, v4
	v_cndmask_b32_e32 v4, v12, v9, vcc_lo
	s_wait_alu 0xf1ff
	s_delay_alu instid0(VALU_DEP_2) | instskip(NEXT) | instid1(VALU_DEP_2)
	v_cndmask_b32_e64 v5, v7, v5, s2
	v_cndmask_b32_e64 v4, v6, v4, s2
	s_delay_alu instid0(VALU_DEP_2) | instskip(NEXT) | instid1(VALU_DEP_2)
	v_xor_b32_e32 v5, v5, v8
	v_xor_b32_e32 v4, v4, v8
	s_delay_alu instid0(VALU_DEP_1) | instskip(SKIP_1) | instid1(VALU_DEP_3)
	v_sub_co_u32 v4, vcc_lo, v4, v8
	s_wait_alu 0xfffd
	v_sub_co_ci_u32_e64 v5, null, v5, v8, vcc_lo
.LBB81_141:
	s_wait_alu 0xfffe
	s_and_not1_saveexec_b32 s2, s3
	s_cbranch_execz .LBB81_143
; %bb.142:
	v_cvt_f32_u32_e32 v4, s6
	s_sub_co_i32 s3, 0, s6
	s_delay_alu instid0(VALU_DEP_1) | instskip(NEXT) | instid1(TRANS32_DEP_1)
	v_rcp_iflag_f32_e32 v4, v4
	v_mul_f32_e32 v4, 0x4f7ffffe, v4
	s_delay_alu instid0(VALU_DEP_1) | instskip(SKIP_1) | instid1(VALU_DEP_1)
	v_cvt_u32_f32_e32 v4, v4
	s_wait_alu 0xfffe
	v_mul_lo_u32 v5, s3, v4
	s_delay_alu instid0(VALU_DEP_1) | instskip(NEXT) | instid1(VALU_DEP_1)
	v_mul_hi_u32 v5, v4, v5
	v_add_nc_u32_e32 v4, v4, v5
	s_delay_alu instid0(VALU_DEP_1) | instskip(NEXT) | instid1(VALU_DEP_1)
	v_mul_hi_u32 v4, v2, v4
	v_mul_lo_u32 v5, v4, s6
	v_add_nc_u32_e32 v6, 1, v4
	s_delay_alu instid0(VALU_DEP_2) | instskip(NEXT) | instid1(VALU_DEP_1)
	v_sub_nc_u32_e32 v5, v2, v5
	v_subrev_nc_u32_e32 v7, s6, v5
	v_cmp_le_u32_e32 vcc_lo, s6, v5
	s_wait_alu 0xfffd
	s_delay_alu instid0(VALU_DEP_2) | instskip(NEXT) | instid1(VALU_DEP_1)
	v_dual_cndmask_b32 v5, v5, v7 :: v_dual_cndmask_b32 v4, v4, v6
	v_cmp_le_u32_e32 vcc_lo, s6, v5
	s_delay_alu instid0(VALU_DEP_2) | instskip(SKIP_1) | instid1(VALU_DEP_1)
	v_dual_mov_b32 v5, 0 :: v_dual_add_nc_u32 v6, 1, v4
	s_wait_alu 0xfffd
	v_cndmask_b32_e32 v4, v4, v6, vcc_lo
.LBB81_143:
	s_wait_alu 0xfffe
	s_or_b32 exec_lo, exec_lo, s2
	s_wait_kmcnt 0x0
	v_or_b32_e32 v7, s9, v5
	v_mov_b32_e32 v6, 0
	s_delay_alu instid0(VALU_DEP_1)
	v_cmp_ne_u64_e32 vcc_lo, 0, v[6:7]
                                        ; implicit-def: $vgpr6_vgpr7
	s_and_saveexec_b32 s2, vcc_lo
	s_wait_alu 0xfffe
	s_xor_b32 s3, exec_lo, s2
	s_cbranch_execz .LBB81_145
; %bb.144:
	s_ashr_i32 s10, s9, 31
	s_mov_b32 s21, 0
	s_wait_alu 0xfffe
	s_mov_b32 s11, s10
	v_ashrrev_i32_e32 v10, 31, v5
	s_wait_alu 0xfffe
	s_add_nc_u64 s[12:13], s[8:9], s[10:11]
	s_wait_alu 0xfffe
	s_xor_b64 s[10:11], s[12:13], s[10:11]
	v_add_co_u32 v4, vcc_lo, v4, v10
	s_wait_alu 0xfffe
	s_cvt_f32_u32 s2, s10
	s_cvt_f32_u32 s12, s11
	s_sub_nc_u64 s[16:17], 0, s[10:11]
	s_wait_alu 0xfffd
	v_add_co_ci_u32_e64 v5, null, v5, v10, vcc_lo
	s_wait_alu 0xfffe
	s_fmamk_f32 s2, s12, 0x4f800000, s2
	v_xor_b32_e32 v11, v4, v10
	s_delay_alu instid0(VALU_DEP_2) | instskip(SKIP_2) | instid1(TRANS32_DEP_1)
	v_xor_b32_e32 v12, v5, v10
	s_wait_alu 0xfffe
	v_s_rcp_f32 s2, s2
	s_mul_f32 s2, s2, 0x5f7ffffc
	s_wait_alu 0xfffe
	s_delay_alu instid0(SALU_CYCLE_2) | instskip(SKIP_1) | instid1(SALU_CYCLE_2)
	s_mul_f32 s12, s2, 0x2f800000
	s_wait_alu 0xfffe
	s_trunc_f32 s12, s12
	s_wait_alu 0xfffe
	s_delay_alu instid0(SALU_CYCLE_2) | instskip(SKIP_2) | instid1(SALU_CYCLE_1)
	s_fmamk_f32 s2, s12, 0xcf800000, s2
	s_cvt_u32_f32 s13, s12
	s_wait_alu 0xfffe
	s_cvt_u32_f32 s12, s2
	s_wait_alu 0xfffe
	s_delay_alu instid0(SALU_CYCLE_2) | instskip(NEXT) | instid1(SALU_CYCLE_1)
	s_mul_u64 s[18:19], s[16:17], s[12:13]
	s_mul_hi_u32 s23, s12, s19
	s_mul_i32 s22, s12, s19
	s_mul_hi_u32 s20, s12, s18
	s_mul_i32 s15, s13, s18
	s_add_nc_u64 s[22:23], s[20:21], s[22:23]
	s_mul_hi_u32 s2, s13, s18
	s_mul_hi_u32 s24, s13, s19
	s_add_co_u32 s15, s22, s15
	s_wait_alu 0xfffe
	s_add_co_ci_u32 s20, s23, s2
	s_mul_i32 s18, s13, s19
	s_add_co_ci_u32 s19, s24, 0
	s_delay_alu instid0(SALU_CYCLE_1) | instskip(NEXT) | instid1(SALU_CYCLE_1)
	s_add_nc_u64 s[18:19], s[20:21], s[18:19]
	s_add_co_u32 s12, s12, s18
	s_cselect_b32 s2, -1, 0
	s_wait_alu 0xfffe
	s_cmp_lg_u32 s2, 0
	s_add_co_ci_u32 s13, s13, s19
	s_wait_alu 0xfffe
	s_mul_u64 s[16:17], s[16:17], s[12:13]
	s_delay_alu instid0(SALU_CYCLE_1)
	s_mul_hi_u32 s19, s12, s17
	s_mul_i32 s18, s12, s17
	s_mul_hi_u32 s20, s12, s16
	s_mul_i32 s15, s13, s16
	s_add_nc_u64 s[18:19], s[20:21], s[18:19]
	s_mul_hi_u32 s2, s13, s16
	s_mul_hi_u32 s22, s13, s17
	s_add_co_u32 s15, s18, s15
	s_wait_alu 0xfffe
	s_add_co_ci_u32 s20, s19, s2
	s_mul_i32 s16, s13, s17
	s_add_co_ci_u32 s17, s22, 0
	s_delay_alu instid0(SALU_CYCLE_1) | instskip(NEXT) | instid1(SALU_CYCLE_1)
	s_add_nc_u64 s[16:17], s[20:21], s[16:17]
	s_add_co_u32 s2, s12, s16
	s_cselect_b32 s12, -1, 0
	s_wait_alu 0xfffe
	v_mul_hi_u32 v13, v11, s2
	s_cmp_lg_u32 s12, 0
	v_mad_co_u64_u32 v[6:7], null, v12, s2, 0
	s_add_co_ci_u32 s12, s13, s17
	s_wait_alu 0xfffe
	v_mad_co_u64_u32 v[4:5], null, v11, s12, 0
	v_mad_co_u64_u32 v[8:9], null, v12, s12, 0
	s_delay_alu instid0(VALU_DEP_2) | instskip(SKIP_1) | instid1(VALU_DEP_3)
	v_add_co_u32 v4, vcc_lo, v13, v4
	s_wait_alu 0xfffd
	v_add_co_ci_u32_e64 v5, null, 0, v5, vcc_lo
	s_delay_alu instid0(VALU_DEP_2) | instskip(SKIP_1) | instid1(VALU_DEP_2)
	v_add_co_u32 v4, vcc_lo, v4, v6
	s_wait_alu 0xfffd
	v_add_co_ci_u32_e32 v4, vcc_lo, v5, v7, vcc_lo
	s_wait_alu 0xfffd
	v_add_co_ci_u32_e32 v5, vcc_lo, 0, v9, vcc_lo
	s_delay_alu instid0(VALU_DEP_2) | instskip(SKIP_1) | instid1(VALU_DEP_2)
	v_add_co_u32 v4, vcc_lo, v4, v8
	s_wait_alu 0xfffd
	v_add_co_ci_u32_e64 v6, null, 0, v5, vcc_lo
	s_delay_alu instid0(VALU_DEP_2) | instskip(SKIP_1) | instid1(VALU_DEP_3)
	v_mul_lo_u32 v7, s11, v4
	v_mad_co_u64_u32 v[4:5], null, s10, v4, 0
	v_mul_lo_u32 v6, s10, v6
	s_delay_alu instid0(VALU_DEP_2) | instskip(NEXT) | instid1(VALU_DEP_2)
	v_sub_co_u32 v4, vcc_lo, v11, v4
	v_add3_u32 v5, v5, v6, v7
	s_delay_alu instid0(VALU_DEP_2) | instskip(NEXT) | instid1(VALU_DEP_2)
	v_cmp_le_u32_e64 s2, s10, v4
	v_sub_nc_u32_e32 v6, v12, v5
	s_wait_alu 0xfffd
	v_sub_co_ci_u32_e64 v5, null, v12, v5, vcc_lo
	s_wait_alu 0xf1ff
	v_cndmask_b32_e64 v9, 0, -1, s2
	v_subrev_co_ci_u32_e64 v6, null, s11, v6, vcc_lo
	v_sub_co_u32 v7, vcc_lo, v4, s10
	s_wait_alu 0xfffd
	s_delay_alu instid0(VALU_DEP_2) | instskip(NEXT) | instid1(VALU_DEP_2)
	v_subrev_co_ci_u32_e64 v8, null, 0, v6, vcc_lo
	v_cmp_le_u32_e64 s2, s10, v7
	v_subrev_co_ci_u32_e64 v6, null, s11, v6, vcc_lo
	v_cmp_le_u32_e32 vcc_lo, s11, v5
	s_wait_alu 0xf1ff
	s_delay_alu instid0(VALU_DEP_3)
	v_cndmask_b32_e64 v11, 0, -1, s2
	v_cmp_le_u32_e64 s2, s11, v8
	s_wait_alu 0xfffd
	v_cndmask_b32_e64 v13, 0, -1, vcc_lo
	v_cmp_eq_u32_e32 vcc_lo, s11, v8
	s_wait_alu 0xf1ff
	v_cndmask_b32_e64 v12, 0, -1, s2
	v_cmp_eq_u32_e64 s2, s11, v5
	s_wait_alu 0xfffd
	s_delay_alu instid0(VALU_DEP_2) | instskip(SKIP_3) | instid1(VALU_DEP_3)
	v_cndmask_b32_e32 v11, v12, v11, vcc_lo
	v_sub_co_u32 v12, vcc_lo, v7, s10
	s_wait_alu 0xfffd
	v_subrev_co_ci_u32_e64 v6, null, 0, v6, vcc_lo
	v_cmp_ne_u32_e32 vcc_lo, 0, v11
	s_wait_alu 0xf1ff
	v_cndmask_b32_e64 v9, v13, v9, s2
	s_wait_alu 0xfffd
	v_dual_cndmask_b32 v6, v8, v6 :: v_dual_cndmask_b32 v7, v7, v12
	s_delay_alu instid0(VALU_DEP_2) | instskip(SKIP_1) | instid1(VALU_DEP_2)
	v_cmp_ne_u32_e32 vcc_lo, 0, v9
	s_wait_alu 0xfffd
	v_dual_cndmask_b32 v5, v5, v6 :: v_dual_cndmask_b32 v4, v4, v7
	s_delay_alu instid0(VALU_DEP_1) | instskip(NEXT) | instid1(VALU_DEP_2)
	v_xor_b32_e32 v5, v5, v10
	v_xor_b32_e32 v4, v4, v10
	s_delay_alu instid0(VALU_DEP_1) | instskip(SKIP_1) | instid1(VALU_DEP_3)
	v_sub_co_u32 v6, vcc_lo, v4, v10
	s_wait_alu 0xfffd
	v_sub_co_ci_u32_e64 v7, null, v5, v10, vcc_lo
                                        ; implicit-def: $vgpr4_vgpr5
.LBB81_145:
	s_wait_alu 0xfffe
	s_and_not1_saveexec_b32 s2, s3
	s_cbranch_execz .LBB81_147
; %bb.146:
	v_cvt_f32_u32_e32 v5, s8
	s_sub_co_i32 s3, 0, s8
	v_mov_b32_e32 v7, 0
	s_delay_alu instid0(VALU_DEP_2) | instskip(NEXT) | instid1(TRANS32_DEP_1)
	v_rcp_iflag_f32_e32 v5, v5
	v_mul_f32_e32 v5, 0x4f7ffffe, v5
	s_delay_alu instid0(VALU_DEP_1) | instskip(SKIP_1) | instid1(VALU_DEP_1)
	v_cvt_u32_f32_e32 v5, v5
	s_wait_alu 0xfffe
	v_mul_lo_u32 v6, s3, v5
	s_delay_alu instid0(VALU_DEP_1) | instskip(NEXT) | instid1(VALU_DEP_1)
	v_mul_hi_u32 v6, v5, v6
	v_add_nc_u32_e32 v5, v5, v6
	s_delay_alu instid0(VALU_DEP_1) | instskip(NEXT) | instid1(VALU_DEP_1)
	v_mul_hi_u32 v5, v4, v5
	v_mul_lo_u32 v5, v5, s8
	s_delay_alu instid0(VALU_DEP_1) | instskip(NEXT) | instid1(VALU_DEP_1)
	v_sub_nc_u32_e32 v4, v4, v5
	v_subrev_nc_u32_e32 v5, s8, v4
	v_cmp_le_u32_e32 vcc_lo, s8, v4
	s_wait_alu 0xfffd
	s_delay_alu instid0(VALU_DEP_2) | instskip(NEXT) | instid1(VALU_DEP_1)
	v_cndmask_b32_e32 v4, v4, v5, vcc_lo
	v_subrev_nc_u32_e32 v5, s8, v4
	v_cmp_le_u32_e32 vcc_lo, s8, v4
	s_wait_alu 0xfffd
	s_delay_alu instid0(VALU_DEP_2)
	v_cndmask_b32_e32 v6, v4, v5, vcc_lo
.LBB81_147:
	s_wait_alu 0xfffe
	s_or_b32 exec_lo, exec_lo, s2
	v_mad_co_u64_u32 v[4:5], null, s4, 24, v[0:1]
	s_mul_u64 s[6:7], s[8:9], s[6:7]
	v_mad_co_u64_u32 v[8:9], null, s5, 24, v[5:6]
	s_delay_alu instid0(VALU_DEP_1)
	v_mov_b32_e32 v5, v8
	global_store_b64 v[4:5], v[6:7], off
	s_cmp_lt_i32 s14, 3
	s_cbranch_scc1 .LBB81_23
.LBB81_148:
	s_load_b64 s[8:9], s[0:1], 0x18
	s_wait_loadcnt 0x0
	v_or_b32_e32 v5, s7, v3
	v_mov_b32_e32 v4, 0
	s_delay_alu instid0(VALU_DEP_1)
	v_cmp_ne_u64_e32 vcc_lo, 0, v[4:5]
                                        ; implicit-def: $vgpr4_vgpr5
	s_and_saveexec_b32 s2, vcc_lo
	s_wait_alu 0xfffe
	s_xor_b32 s3, exec_lo, s2
	s_cbranch_execz .LBB81_150
; %bb.149:
	s_ashr_i32 s10, s7, 31
	s_mov_b32 s23, 0
	s_wait_alu 0xfffe
	s_mov_b32 s11, s10
	v_ashrrev_i32_e32 v10, 31, v3
	s_wait_alu 0xfffe
	s_add_nc_u64 s[12:13], s[6:7], s[10:11]
	s_wait_alu 0xfffe
	s_xor_b64 s[12:13], s[12:13], s[10:11]
	v_add_co_u32 v4, vcc_lo, v2, v10
	s_wait_alu 0xfffe
	s_cvt_f32_u32 s2, s12
	s_cvt_f32_u32 s11, s13
	s_sub_nc_u64 s[18:19], 0, s[12:13]
	s_wait_alu 0xfffd
	v_add_co_ci_u32_e64 v5, null, v3, v10, vcc_lo
	s_wait_alu 0xfffe
	s_fmamk_f32 s2, s11, 0x4f800000, s2
	v_xor_b32_e32 v11, v4, v10
	s_delay_alu instid0(VALU_DEP_2) | instskip(SKIP_2) | instid1(TRANS32_DEP_1)
	v_xor_b32_e32 v12, v5, v10
	s_wait_alu 0xfffe
	v_s_rcp_f32 s2, s2
	s_mul_f32 s2, s2, 0x5f7ffffc
	s_wait_alu 0xfffe
	s_delay_alu instid0(SALU_CYCLE_2) | instskip(SKIP_1) | instid1(SALU_CYCLE_2)
	s_mul_f32 s11, s2, 0x2f800000
	s_wait_alu 0xfffe
	s_trunc_f32 s11, s11
	s_wait_alu 0xfffe
	s_delay_alu instid0(SALU_CYCLE_2) | instskip(SKIP_2) | instid1(SALU_CYCLE_1)
	s_fmamk_f32 s2, s11, 0xcf800000, s2
	s_cvt_u32_f32 s17, s11
	s_wait_alu 0xfffe
	s_cvt_u32_f32 s16, s2
	s_delay_alu instid0(SALU_CYCLE_3) | instskip(NEXT) | instid1(SALU_CYCLE_1)
	s_mul_u64 s[20:21], s[18:19], s[16:17]
	s_mul_hi_u32 s25, s16, s21
	s_mul_i32 s24, s16, s21
	s_mul_hi_u32 s22, s16, s20
	s_mul_i32 s11, s17, s20
	s_add_nc_u64 s[24:25], s[22:23], s[24:25]
	s_mul_hi_u32 s2, s17, s20
	s_mul_hi_u32 s15, s17, s21
	s_wait_alu 0xfffe
	s_add_co_u32 s11, s24, s11
	s_add_co_ci_u32 s22, s25, s2
	s_mul_i32 s20, s17, s21
	s_add_co_ci_u32 s21, s15, 0
	s_delay_alu instid0(SALU_CYCLE_1) | instskip(NEXT) | instid1(SALU_CYCLE_1)
	s_add_nc_u64 s[20:21], s[22:23], s[20:21]
	s_add_co_u32 s16, s16, s20
	s_cselect_b32 s2, -1, 0
	s_wait_alu 0xfffe
	s_cmp_lg_u32 s2, 0
	s_add_co_ci_u32 s17, s17, s21
	s_delay_alu instid0(SALU_CYCLE_1) | instskip(NEXT) | instid1(SALU_CYCLE_1)
	s_mul_u64 s[18:19], s[18:19], s[16:17]
	s_mul_hi_u32 s21, s16, s19
	s_mul_i32 s20, s16, s19
	s_mul_hi_u32 s22, s16, s18
	s_mul_i32 s11, s17, s18
	s_add_nc_u64 s[20:21], s[22:23], s[20:21]
	s_mul_hi_u32 s2, s17, s18
	s_mul_hi_u32 s15, s17, s19
	s_wait_alu 0xfffe
	s_add_co_u32 s11, s20, s11
	s_add_co_ci_u32 s22, s21, s2
	s_mul_i32 s18, s17, s19
	s_add_co_ci_u32 s19, s15, 0
	s_delay_alu instid0(SALU_CYCLE_1) | instskip(NEXT) | instid1(SALU_CYCLE_1)
	s_add_nc_u64 s[18:19], s[22:23], s[18:19]
	s_add_co_u32 s2, s16, s18
	s_cselect_b32 s11, -1, 0
	s_wait_alu 0xfffe
	v_mul_hi_u32 v13, v11, s2
	s_cmp_lg_u32 s11, 0
	v_mad_co_u64_u32 v[6:7], null, v12, s2, 0
	s_add_co_ci_u32 s11, s17, s19
	s_wait_alu 0xfffe
	v_mad_co_u64_u32 v[4:5], null, v11, s11, 0
	v_mad_co_u64_u32 v[8:9], null, v12, s11, 0
	s_delay_alu instid0(VALU_DEP_2) | instskip(SKIP_1) | instid1(VALU_DEP_3)
	v_add_co_u32 v4, vcc_lo, v13, v4
	s_wait_alu 0xfffd
	v_add_co_ci_u32_e64 v5, null, 0, v5, vcc_lo
	s_delay_alu instid0(VALU_DEP_2) | instskip(SKIP_1) | instid1(VALU_DEP_2)
	v_add_co_u32 v4, vcc_lo, v4, v6
	s_wait_alu 0xfffd
	v_add_co_ci_u32_e32 v4, vcc_lo, v5, v7, vcc_lo
	s_wait_alu 0xfffd
	v_add_co_ci_u32_e32 v5, vcc_lo, 0, v9, vcc_lo
	s_delay_alu instid0(VALU_DEP_2) | instskip(SKIP_1) | instid1(VALU_DEP_2)
	v_add_co_u32 v6, vcc_lo, v4, v8
	s_wait_alu 0xfffd
	v_add_co_ci_u32_e64 v7, null, 0, v5, vcc_lo
	s_delay_alu instid0(VALU_DEP_2) | instskip(SKIP_1) | instid1(VALU_DEP_3)
	v_mul_lo_u32 v8, s13, v6
	v_mad_co_u64_u32 v[4:5], null, s12, v6, 0
	v_mul_lo_u32 v9, s12, v7
	s_delay_alu instid0(VALU_DEP_2) | instskip(NEXT) | instid1(VALU_DEP_2)
	v_sub_co_u32 v4, vcc_lo, v11, v4
	v_add3_u32 v5, v5, v9, v8
	v_add_co_u32 v9, s2, v6, 2
	s_wait_alu 0xf1ff
	v_add_co_ci_u32_e64 v11, null, 0, v7, s2
	s_delay_alu instid0(VALU_DEP_3) | instskip(SKIP_3) | instid1(VALU_DEP_3)
	v_sub_nc_u32_e32 v8, v12, v5
	v_sub_co_u32 v13, s2, v4, s12
	s_wait_alu 0xfffd
	v_sub_co_ci_u32_e64 v5, null, v12, v5, vcc_lo
	v_subrev_co_ci_u32_e64 v8, null, s13, v8, vcc_lo
	s_delay_alu instid0(VALU_DEP_3) | instskip(SKIP_1) | instid1(VALU_DEP_2)
	v_cmp_le_u32_e32 vcc_lo, s12, v13
	s_wait_alu 0xf1ff
	v_subrev_co_ci_u32_e64 v8, null, 0, v8, s2
	s_wait_alu 0xfffd
	v_cndmask_b32_e64 v12, 0, -1, vcc_lo
	s_delay_alu instid0(VALU_DEP_2)
	v_cmp_le_u32_e32 vcc_lo, s13, v8
	s_wait_alu 0xfffd
	v_cndmask_b32_e64 v13, 0, -1, vcc_lo
	v_cmp_le_u32_e32 vcc_lo, s12, v4
	s_wait_alu 0xfffd
	v_cndmask_b32_e64 v4, 0, -1, vcc_lo
	;; [unrolled: 3-line block ×3, first 2 shown]
	v_cmp_eq_u32_e32 vcc_lo, s13, v8
	s_wait_alu 0xfffd
	v_cndmask_b32_e32 v8, v13, v12, vcc_lo
	v_add_co_u32 v12, vcc_lo, v6, 1
	s_wait_alu 0xfffd
	v_add_co_ci_u32_e64 v13, null, 0, v7, vcc_lo
	v_cmp_eq_u32_e32 vcc_lo, s13, v5
	s_wait_alu 0xfffd
	v_cndmask_b32_e32 v4, v14, v4, vcc_lo
	v_cmp_ne_u32_e32 vcc_lo, 0, v8
	v_xor_b32_e32 v8, s10, v10
	s_wait_alu 0xfffd
	v_cndmask_b32_e32 v5, v13, v11, vcc_lo
	v_cmp_ne_u32_e64 s2, 0, v4
	v_cndmask_b32_e32 v4, v12, v9, vcc_lo
	s_wait_alu 0xf1ff
	s_delay_alu instid0(VALU_DEP_2) | instskip(NEXT) | instid1(VALU_DEP_2)
	v_cndmask_b32_e64 v5, v7, v5, s2
	v_cndmask_b32_e64 v4, v6, v4, s2
	s_delay_alu instid0(VALU_DEP_2) | instskip(NEXT) | instid1(VALU_DEP_2)
	v_xor_b32_e32 v5, v5, v8
	v_xor_b32_e32 v4, v4, v8
	s_delay_alu instid0(VALU_DEP_1) | instskip(SKIP_1) | instid1(VALU_DEP_3)
	v_sub_co_u32 v4, vcc_lo, v4, v8
	s_wait_alu 0xfffd
	v_sub_co_ci_u32_e64 v5, null, v5, v8, vcc_lo
.LBB81_150:
	s_wait_alu 0xfffe
	s_and_not1_saveexec_b32 s2, s3
	s_cbranch_execz .LBB81_152
; %bb.151:
	v_cvt_f32_u32_e32 v4, s6
	s_sub_co_i32 s3, 0, s6
	s_delay_alu instid0(VALU_DEP_1) | instskip(NEXT) | instid1(TRANS32_DEP_1)
	v_rcp_iflag_f32_e32 v4, v4
	v_mul_f32_e32 v4, 0x4f7ffffe, v4
	s_delay_alu instid0(VALU_DEP_1) | instskip(SKIP_1) | instid1(VALU_DEP_1)
	v_cvt_u32_f32_e32 v4, v4
	s_wait_alu 0xfffe
	v_mul_lo_u32 v5, s3, v4
	s_delay_alu instid0(VALU_DEP_1) | instskip(NEXT) | instid1(VALU_DEP_1)
	v_mul_hi_u32 v5, v4, v5
	v_add_nc_u32_e32 v4, v4, v5
	s_delay_alu instid0(VALU_DEP_1) | instskip(NEXT) | instid1(VALU_DEP_1)
	v_mul_hi_u32 v4, v2, v4
	v_mul_lo_u32 v5, v4, s6
	v_add_nc_u32_e32 v6, 1, v4
	s_delay_alu instid0(VALU_DEP_2) | instskip(NEXT) | instid1(VALU_DEP_1)
	v_sub_nc_u32_e32 v5, v2, v5
	v_subrev_nc_u32_e32 v7, s6, v5
	v_cmp_le_u32_e32 vcc_lo, s6, v5
	s_wait_alu 0xfffd
	s_delay_alu instid0(VALU_DEP_2) | instskip(NEXT) | instid1(VALU_DEP_1)
	v_dual_cndmask_b32 v5, v5, v7 :: v_dual_cndmask_b32 v4, v4, v6
	v_cmp_le_u32_e32 vcc_lo, s6, v5
	s_delay_alu instid0(VALU_DEP_2) | instskip(SKIP_1) | instid1(VALU_DEP_1)
	v_dual_mov_b32 v5, 0 :: v_dual_add_nc_u32 v6, 1, v4
	s_wait_alu 0xfffd
	v_cndmask_b32_e32 v4, v4, v6, vcc_lo
.LBB81_152:
	s_wait_alu 0xfffe
	s_or_b32 exec_lo, exec_lo, s2
	s_wait_kmcnt 0x0
	v_or_b32_e32 v7, s9, v5
	v_mov_b32_e32 v6, 0
	s_delay_alu instid0(VALU_DEP_1)
	v_cmp_ne_u64_e32 vcc_lo, 0, v[6:7]
                                        ; implicit-def: $vgpr6_vgpr7
	s_and_saveexec_b32 s2, vcc_lo
	s_wait_alu 0xfffe
	s_xor_b32 s3, exec_lo, s2
	s_cbranch_execz .LBB81_154
; %bb.153:
	s_ashr_i32 s10, s9, 31
	s_mov_b32 s21, 0
	s_wait_alu 0xfffe
	s_mov_b32 s11, s10
	v_ashrrev_i32_e32 v10, 31, v5
	s_wait_alu 0xfffe
	s_add_nc_u64 s[12:13], s[8:9], s[10:11]
	s_wait_alu 0xfffe
	s_xor_b64 s[10:11], s[12:13], s[10:11]
	v_add_co_u32 v4, vcc_lo, v4, v10
	s_wait_alu 0xfffe
	s_cvt_f32_u32 s2, s10
	s_cvt_f32_u32 s12, s11
	s_sub_nc_u64 s[16:17], 0, s[10:11]
	s_wait_alu 0xfffd
	v_add_co_ci_u32_e64 v5, null, v5, v10, vcc_lo
	s_wait_alu 0xfffe
	s_fmamk_f32 s2, s12, 0x4f800000, s2
	v_xor_b32_e32 v11, v4, v10
	s_delay_alu instid0(VALU_DEP_2) | instskip(SKIP_2) | instid1(TRANS32_DEP_1)
	v_xor_b32_e32 v12, v5, v10
	s_wait_alu 0xfffe
	v_s_rcp_f32 s2, s2
	s_mul_f32 s2, s2, 0x5f7ffffc
	s_wait_alu 0xfffe
	s_delay_alu instid0(SALU_CYCLE_2) | instskip(SKIP_1) | instid1(SALU_CYCLE_2)
	s_mul_f32 s12, s2, 0x2f800000
	s_wait_alu 0xfffe
	s_trunc_f32 s12, s12
	s_wait_alu 0xfffe
	s_delay_alu instid0(SALU_CYCLE_2) | instskip(SKIP_2) | instid1(SALU_CYCLE_1)
	s_fmamk_f32 s2, s12, 0xcf800000, s2
	s_cvt_u32_f32 s13, s12
	s_wait_alu 0xfffe
	s_cvt_u32_f32 s12, s2
	s_wait_alu 0xfffe
	s_delay_alu instid0(SALU_CYCLE_2) | instskip(NEXT) | instid1(SALU_CYCLE_1)
	s_mul_u64 s[18:19], s[16:17], s[12:13]
	s_mul_hi_u32 s23, s12, s19
	s_mul_i32 s22, s12, s19
	s_mul_hi_u32 s20, s12, s18
	s_mul_i32 s15, s13, s18
	s_add_nc_u64 s[22:23], s[20:21], s[22:23]
	s_mul_hi_u32 s2, s13, s18
	s_mul_hi_u32 s24, s13, s19
	s_add_co_u32 s15, s22, s15
	s_wait_alu 0xfffe
	s_add_co_ci_u32 s20, s23, s2
	s_mul_i32 s18, s13, s19
	s_add_co_ci_u32 s19, s24, 0
	s_delay_alu instid0(SALU_CYCLE_1) | instskip(NEXT) | instid1(SALU_CYCLE_1)
	s_add_nc_u64 s[18:19], s[20:21], s[18:19]
	s_add_co_u32 s12, s12, s18
	s_cselect_b32 s2, -1, 0
	s_wait_alu 0xfffe
	s_cmp_lg_u32 s2, 0
	s_add_co_ci_u32 s13, s13, s19
	s_wait_alu 0xfffe
	s_mul_u64 s[16:17], s[16:17], s[12:13]
	s_delay_alu instid0(SALU_CYCLE_1)
	s_mul_hi_u32 s19, s12, s17
	s_mul_i32 s18, s12, s17
	s_mul_hi_u32 s20, s12, s16
	s_mul_i32 s15, s13, s16
	s_add_nc_u64 s[18:19], s[20:21], s[18:19]
	s_mul_hi_u32 s2, s13, s16
	s_mul_hi_u32 s22, s13, s17
	s_add_co_u32 s15, s18, s15
	s_wait_alu 0xfffe
	s_add_co_ci_u32 s20, s19, s2
	s_mul_i32 s16, s13, s17
	s_add_co_ci_u32 s17, s22, 0
	s_delay_alu instid0(SALU_CYCLE_1) | instskip(NEXT) | instid1(SALU_CYCLE_1)
	s_add_nc_u64 s[16:17], s[20:21], s[16:17]
	s_add_co_u32 s2, s12, s16
	s_cselect_b32 s12, -1, 0
	s_wait_alu 0xfffe
	v_mul_hi_u32 v13, v11, s2
	s_cmp_lg_u32 s12, 0
	v_mad_co_u64_u32 v[6:7], null, v12, s2, 0
	s_add_co_ci_u32 s12, s13, s17
	s_wait_alu 0xfffe
	v_mad_co_u64_u32 v[4:5], null, v11, s12, 0
	v_mad_co_u64_u32 v[8:9], null, v12, s12, 0
	s_delay_alu instid0(VALU_DEP_2) | instskip(SKIP_1) | instid1(VALU_DEP_3)
	v_add_co_u32 v4, vcc_lo, v13, v4
	s_wait_alu 0xfffd
	v_add_co_ci_u32_e64 v5, null, 0, v5, vcc_lo
	s_delay_alu instid0(VALU_DEP_2) | instskip(SKIP_1) | instid1(VALU_DEP_2)
	v_add_co_u32 v4, vcc_lo, v4, v6
	s_wait_alu 0xfffd
	v_add_co_ci_u32_e32 v4, vcc_lo, v5, v7, vcc_lo
	s_wait_alu 0xfffd
	v_add_co_ci_u32_e32 v5, vcc_lo, 0, v9, vcc_lo
	s_delay_alu instid0(VALU_DEP_2) | instskip(SKIP_1) | instid1(VALU_DEP_2)
	v_add_co_u32 v4, vcc_lo, v4, v8
	s_wait_alu 0xfffd
	v_add_co_ci_u32_e64 v6, null, 0, v5, vcc_lo
	s_delay_alu instid0(VALU_DEP_2) | instskip(SKIP_1) | instid1(VALU_DEP_3)
	v_mul_lo_u32 v7, s11, v4
	v_mad_co_u64_u32 v[4:5], null, s10, v4, 0
	v_mul_lo_u32 v6, s10, v6
	s_delay_alu instid0(VALU_DEP_2) | instskip(NEXT) | instid1(VALU_DEP_2)
	v_sub_co_u32 v4, vcc_lo, v11, v4
	v_add3_u32 v5, v5, v6, v7
	s_delay_alu instid0(VALU_DEP_2) | instskip(NEXT) | instid1(VALU_DEP_2)
	v_cmp_le_u32_e64 s2, s10, v4
	v_sub_nc_u32_e32 v6, v12, v5
	s_wait_alu 0xfffd
	v_sub_co_ci_u32_e64 v5, null, v12, v5, vcc_lo
	s_wait_alu 0xf1ff
	v_cndmask_b32_e64 v9, 0, -1, s2
	v_subrev_co_ci_u32_e64 v6, null, s11, v6, vcc_lo
	v_sub_co_u32 v7, vcc_lo, v4, s10
	s_wait_alu 0xfffd
	s_delay_alu instid0(VALU_DEP_2) | instskip(NEXT) | instid1(VALU_DEP_2)
	v_subrev_co_ci_u32_e64 v8, null, 0, v6, vcc_lo
	v_cmp_le_u32_e64 s2, s10, v7
	v_subrev_co_ci_u32_e64 v6, null, s11, v6, vcc_lo
	v_cmp_le_u32_e32 vcc_lo, s11, v5
	s_wait_alu 0xf1ff
	s_delay_alu instid0(VALU_DEP_3)
	v_cndmask_b32_e64 v11, 0, -1, s2
	v_cmp_le_u32_e64 s2, s11, v8
	s_wait_alu 0xfffd
	v_cndmask_b32_e64 v13, 0, -1, vcc_lo
	v_cmp_eq_u32_e32 vcc_lo, s11, v8
	s_wait_alu 0xf1ff
	v_cndmask_b32_e64 v12, 0, -1, s2
	v_cmp_eq_u32_e64 s2, s11, v5
	s_wait_alu 0xfffd
	s_delay_alu instid0(VALU_DEP_2) | instskip(SKIP_3) | instid1(VALU_DEP_3)
	v_cndmask_b32_e32 v11, v12, v11, vcc_lo
	v_sub_co_u32 v12, vcc_lo, v7, s10
	s_wait_alu 0xfffd
	v_subrev_co_ci_u32_e64 v6, null, 0, v6, vcc_lo
	v_cmp_ne_u32_e32 vcc_lo, 0, v11
	s_wait_alu 0xf1ff
	v_cndmask_b32_e64 v9, v13, v9, s2
	s_wait_alu 0xfffd
	v_dual_cndmask_b32 v6, v8, v6 :: v_dual_cndmask_b32 v7, v7, v12
	s_delay_alu instid0(VALU_DEP_2) | instskip(SKIP_1) | instid1(VALU_DEP_2)
	v_cmp_ne_u32_e32 vcc_lo, 0, v9
	s_wait_alu 0xfffd
	v_dual_cndmask_b32 v5, v5, v6 :: v_dual_cndmask_b32 v4, v4, v7
	s_delay_alu instid0(VALU_DEP_1) | instskip(NEXT) | instid1(VALU_DEP_2)
	v_xor_b32_e32 v5, v5, v10
	v_xor_b32_e32 v4, v4, v10
	s_delay_alu instid0(VALU_DEP_1) | instskip(SKIP_1) | instid1(VALU_DEP_3)
	v_sub_co_u32 v6, vcc_lo, v4, v10
	s_wait_alu 0xfffd
	v_sub_co_ci_u32_e64 v7, null, v5, v10, vcc_lo
                                        ; implicit-def: $vgpr4_vgpr5
.LBB81_154:
	s_wait_alu 0xfffe
	s_and_not1_saveexec_b32 s2, s3
	s_cbranch_execz .LBB81_156
; %bb.155:
	v_cvt_f32_u32_e32 v5, s8
	s_sub_co_i32 s3, 0, s8
	v_mov_b32_e32 v7, 0
	s_delay_alu instid0(VALU_DEP_2) | instskip(NEXT) | instid1(TRANS32_DEP_1)
	v_rcp_iflag_f32_e32 v5, v5
	v_mul_f32_e32 v5, 0x4f7ffffe, v5
	s_delay_alu instid0(VALU_DEP_1) | instskip(SKIP_1) | instid1(VALU_DEP_1)
	v_cvt_u32_f32_e32 v5, v5
	s_wait_alu 0xfffe
	v_mul_lo_u32 v6, s3, v5
	s_delay_alu instid0(VALU_DEP_1) | instskip(NEXT) | instid1(VALU_DEP_1)
	v_mul_hi_u32 v6, v5, v6
	v_add_nc_u32_e32 v5, v5, v6
	s_delay_alu instid0(VALU_DEP_1) | instskip(NEXT) | instid1(VALU_DEP_1)
	v_mul_hi_u32 v5, v4, v5
	v_mul_lo_u32 v5, v5, s8
	s_delay_alu instid0(VALU_DEP_1) | instskip(NEXT) | instid1(VALU_DEP_1)
	v_sub_nc_u32_e32 v4, v4, v5
	v_subrev_nc_u32_e32 v5, s8, v4
	v_cmp_le_u32_e32 vcc_lo, s8, v4
	s_wait_alu 0xfffd
	s_delay_alu instid0(VALU_DEP_2) | instskip(NEXT) | instid1(VALU_DEP_1)
	v_cndmask_b32_e32 v4, v4, v5, vcc_lo
	v_subrev_nc_u32_e32 v5, s8, v4
	v_cmp_le_u32_e32 vcc_lo, s8, v4
	s_wait_alu 0xfffd
	s_delay_alu instid0(VALU_DEP_2)
	v_cndmask_b32_e32 v6, v4, v5, vcc_lo
.LBB81_156:
	s_wait_alu 0xfffe
	s_or_b32 exec_lo, exec_lo, s2
	s_lshl_b64 s[2:3], s[4:5], 4
	s_mul_u64 s[6:7], s[8:9], s[6:7]
	s_wait_alu 0xfffe
	v_add_co_u32 v4, vcc_lo, v0, s2
	s_wait_alu 0xfffd
	v_add_co_ci_u32_e64 v5, null, s3, v1, vcc_lo
	global_store_b64 v[4:5], v[6:7], off
	s_cmp_lt_i32 s14, 2
	s_cbranch_scc1 .LBB81_24
.LBB81_157:
	s_load_b64 s[8:9], s[0:1], 0x10
	s_wait_loadcnt 0x0
	v_or_b32_e32 v5, s7, v3
	v_mov_b32_e32 v4, 0
	s_delay_alu instid0(VALU_DEP_1)
	v_cmp_ne_u64_e32 vcc_lo, 0, v[4:5]
                                        ; implicit-def: $vgpr4_vgpr5
	s_and_saveexec_b32 s2, vcc_lo
	s_wait_alu 0xfffe
	s_xor_b32 s3, exec_lo, s2
	s_cbranch_execz .LBB81_159
; %bb.158:
	s_ashr_i32 s10, s7, 31
	s_mov_b32 s23, 0
	s_wait_alu 0xfffe
	s_mov_b32 s11, s10
	v_ashrrev_i32_e32 v10, 31, v3
	s_wait_alu 0xfffe
	s_add_nc_u64 s[12:13], s[6:7], s[10:11]
	s_wait_alu 0xfffe
	s_xor_b64 s[12:13], s[12:13], s[10:11]
	v_add_co_u32 v4, vcc_lo, v2, v10
	s_wait_alu 0xfffe
	s_cvt_f32_u32 s2, s12
	s_cvt_f32_u32 s11, s13
	s_sub_nc_u64 s[18:19], 0, s[12:13]
	s_wait_alu 0xfffd
	v_add_co_ci_u32_e64 v5, null, v3, v10, vcc_lo
	s_wait_alu 0xfffe
	s_fmamk_f32 s2, s11, 0x4f800000, s2
	v_xor_b32_e32 v11, v4, v10
	s_delay_alu instid0(VALU_DEP_2) | instskip(SKIP_2) | instid1(TRANS32_DEP_1)
	v_xor_b32_e32 v12, v5, v10
	s_wait_alu 0xfffe
	v_s_rcp_f32 s2, s2
	s_mul_f32 s2, s2, 0x5f7ffffc
	s_wait_alu 0xfffe
	s_delay_alu instid0(SALU_CYCLE_2) | instskip(SKIP_1) | instid1(SALU_CYCLE_2)
	s_mul_f32 s11, s2, 0x2f800000
	s_wait_alu 0xfffe
	s_trunc_f32 s11, s11
	s_wait_alu 0xfffe
	s_delay_alu instid0(SALU_CYCLE_2) | instskip(SKIP_2) | instid1(SALU_CYCLE_1)
	s_fmamk_f32 s2, s11, 0xcf800000, s2
	s_cvt_u32_f32 s17, s11
	s_wait_alu 0xfffe
	s_cvt_u32_f32 s16, s2
	s_delay_alu instid0(SALU_CYCLE_3) | instskip(NEXT) | instid1(SALU_CYCLE_1)
	s_mul_u64 s[20:21], s[18:19], s[16:17]
	s_mul_hi_u32 s25, s16, s21
	s_mul_i32 s24, s16, s21
	s_mul_hi_u32 s22, s16, s20
	s_mul_i32 s11, s17, s20
	s_add_nc_u64 s[24:25], s[22:23], s[24:25]
	s_mul_hi_u32 s2, s17, s20
	s_mul_hi_u32 s15, s17, s21
	s_wait_alu 0xfffe
	s_add_co_u32 s11, s24, s11
	s_add_co_ci_u32 s22, s25, s2
	s_mul_i32 s20, s17, s21
	s_add_co_ci_u32 s21, s15, 0
	s_delay_alu instid0(SALU_CYCLE_1) | instskip(NEXT) | instid1(SALU_CYCLE_1)
	s_add_nc_u64 s[20:21], s[22:23], s[20:21]
	s_add_co_u32 s16, s16, s20
	s_cselect_b32 s2, -1, 0
	s_wait_alu 0xfffe
	s_cmp_lg_u32 s2, 0
	s_add_co_ci_u32 s17, s17, s21
	s_delay_alu instid0(SALU_CYCLE_1) | instskip(NEXT) | instid1(SALU_CYCLE_1)
	s_mul_u64 s[18:19], s[18:19], s[16:17]
	s_mul_hi_u32 s21, s16, s19
	s_mul_i32 s20, s16, s19
	s_mul_hi_u32 s22, s16, s18
	s_mul_i32 s11, s17, s18
	s_add_nc_u64 s[20:21], s[22:23], s[20:21]
	s_mul_hi_u32 s2, s17, s18
	s_mul_hi_u32 s15, s17, s19
	s_wait_alu 0xfffe
	s_add_co_u32 s11, s20, s11
	s_add_co_ci_u32 s22, s21, s2
	s_mul_i32 s18, s17, s19
	s_add_co_ci_u32 s19, s15, 0
	s_delay_alu instid0(SALU_CYCLE_1) | instskip(NEXT) | instid1(SALU_CYCLE_1)
	s_add_nc_u64 s[18:19], s[22:23], s[18:19]
	s_add_co_u32 s2, s16, s18
	s_cselect_b32 s11, -1, 0
	s_wait_alu 0xfffe
	v_mul_hi_u32 v13, v11, s2
	s_cmp_lg_u32 s11, 0
	v_mad_co_u64_u32 v[6:7], null, v12, s2, 0
	s_add_co_ci_u32 s11, s17, s19
	s_wait_alu 0xfffe
	v_mad_co_u64_u32 v[4:5], null, v11, s11, 0
	v_mad_co_u64_u32 v[8:9], null, v12, s11, 0
	s_delay_alu instid0(VALU_DEP_2) | instskip(SKIP_1) | instid1(VALU_DEP_3)
	v_add_co_u32 v4, vcc_lo, v13, v4
	s_wait_alu 0xfffd
	v_add_co_ci_u32_e64 v5, null, 0, v5, vcc_lo
	s_delay_alu instid0(VALU_DEP_2) | instskip(SKIP_1) | instid1(VALU_DEP_2)
	v_add_co_u32 v4, vcc_lo, v4, v6
	s_wait_alu 0xfffd
	v_add_co_ci_u32_e32 v4, vcc_lo, v5, v7, vcc_lo
	s_wait_alu 0xfffd
	v_add_co_ci_u32_e32 v5, vcc_lo, 0, v9, vcc_lo
	s_delay_alu instid0(VALU_DEP_2) | instskip(SKIP_1) | instid1(VALU_DEP_2)
	v_add_co_u32 v6, vcc_lo, v4, v8
	s_wait_alu 0xfffd
	v_add_co_ci_u32_e64 v7, null, 0, v5, vcc_lo
	s_delay_alu instid0(VALU_DEP_2) | instskip(SKIP_1) | instid1(VALU_DEP_3)
	v_mul_lo_u32 v8, s13, v6
	v_mad_co_u64_u32 v[4:5], null, s12, v6, 0
	v_mul_lo_u32 v9, s12, v7
	s_delay_alu instid0(VALU_DEP_2) | instskip(NEXT) | instid1(VALU_DEP_2)
	v_sub_co_u32 v4, vcc_lo, v11, v4
	v_add3_u32 v5, v5, v9, v8
	v_add_co_u32 v9, s2, v6, 2
	s_wait_alu 0xf1ff
	v_add_co_ci_u32_e64 v11, null, 0, v7, s2
	s_delay_alu instid0(VALU_DEP_3) | instskip(SKIP_3) | instid1(VALU_DEP_3)
	v_sub_nc_u32_e32 v8, v12, v5
	v_sub_co_u32 v13, s2, v4, s12
	s_wait_alu 0xfffd
	v_sub_co_ci_u32_e64 v5, null, v12, v5, vcc_lo
	v_subrev_co_ci_u32_e64 v8, null, s13, v8, vcc_lo
	s_delay_alu instid0(VALU_DEP_3) | instskip(SKIP_1) | instid1(VALU_DEP_2)
	v_cmp_le_u32_e32 vcc_lo, s12, v13
	s_wait_alu 0xf1ff
	v_subrev_co_ci_u32_e64 v8, null, 0, v8, s2
	s_wait_alu 0xfffd
	v_cndmask_b32_e64 v12, 0, -1, vcc_lo
	s_delay_alu instid0(VALU_DEP_2)
	v_cmp_le_u32_e32 vcc_lo, s13, v8
	s_wait_alu 0xfffd
	v_cndmask_b32_e64 v13, 0, -1, vcc_lo
	v_cmp_le_u32_e32 vcc_lo, s12, v4
	s_wait_alu 0xfffd
	v_cndmask_b32_e64 v4, 0, -1, vcc_lo
	;; [unrolled: 3-line block ×3, first 2 shown]
	v_cmp_eq_u32_e32 vcc_lo, s13, v8
	s_wait_alu 0xfffd
	v_cndmask_b32_e32 v8, v13, v12, vcc_lo
	v_add_co_u32 v12, vcc_lo, v6, 1
	s_wait_alu 0xfffd
	v_add_co_ci_u32_e64 v13, null, 0, v7, vcc_lo
	v_cmp_eq_u32_e32 vcc_lo, s13, v5
	s_wait_alu 0xfffd
	v_cndmask_b32_e32 v4, v14, v4, vcc_lo
	v_cmp_ne_u32_e32 vcc_lo, 0, v8
	v_xor_b32_e32 v8, s10, v10
	s_wait_alu 0xfffd
	v_cndmask_b32_e32 v5, v13, v11, vcc_lo
	v_cmp_ne_u32_e64 s2, 0, v4
	v_cndmask_b32_e32 v4, v12, v9, vcc_lo
	s_wait_alu 0xf1ff
	s_delay_alu instid0(VALU_DEP_2) | instskip(NEXT) | instid1(VALU_DEP_2)
	v_cndmask_b32_e64 v5, v7, v5, s2
	v_cndmask_b32_e64 v4, v6, v4, s2
	s_delay_alu instid0(VALU_DEP_2) | instskip(NEXT) | instid1(VALU_DEP_2)
	v_xor_b32_e32 v5, v5, v8
	v_xor_b32_e32 v4, v4, v8
	s_delay_alu instid0(VALU_DEP_1) | instskip(SKIP_1) | instid1(VALU_DEP_3)
	v_sub_co_u32 v4, vcc_lo, v4, v8
	s_wait_alu 0xfffd
	v_sub_co_ci_u32_e64 v5, null, v5, v8, vcc_lo
.LBB81_159:
	s_wait_alu 0xfffe
	s_and_not1_saveexec_b32 s2, s3
	s_cbranch_execz .LBB81_161
; %bb.160:
	v_cvt_f32_u32_e32 v4, s6
	s_sub_co_i32 s3, 0, s6
	s_delay_alu instid0(VALU_DEP_1) | instskip(NEXT) | instid1(TRANS32_DEP_1)
	v_rcp_iflag_f32_e32 v4, v4
	v_mul_f32_e32 v4, 0x4f7ffffe, v4
	s_delay_alu instid0(VALU_DEP_1) | instskip(SKIP_1) | instid1(VALU_DEP_1)
	v_cvt_u32_f32_e32 v4, v4
	s_wait_alu 0xfffe
	v_mul_lo_u32 v5, s3, v4
	s_delay_alu instid0(VALU_DEP_1) | instskip(NEXT) | instid1(VALU_DEP_1)
	v_mul_hi_u32 v5, v4, v5
	v_add_nc_u32_e32 v4, v4, v5
	s_delay_alu instid0(VALU_DEP_1) | instskip(NEXT) | instid1(VALU_DEP_1)
	v_mul_hi_u32 v4, v2, v4
	v_mul_lo_u32 v5, v4, s6
	v_add_nc_u32_e32 v6, 1, v4
	s_delay_alu instid0(VALU_DEP_2) | instskip(NEXT) | instid1(VALU_DEP_1)
	v_sub_nc_u32_e32 v5, v2, v5
	v_subrev_nc_u32_e32 v7, s6, v5
	v_cmp_le_u32_e32 vcc_lo, s6, v5
	s_wait_alu 0xfffd
	s_delay_alu instid0(VALU_DEP_2) | instskip(NEXT) | instid1(VALU_DEP_1)
	v_dual_cndmask_b32 v5, v5, v7 :: v_dual_cndmask_b32 v4, v4, v6
	v_cmp_le_u32_e32 vcc_lo, s6, v5
	s_delay_alu instid0(VALU_DEP_2) | instskip(SKIP_1) | instid1(VALU_DEP_1)
	v_dual_mov_b32 v5, 0 :: v_dual_add_nc_u32 v6, 1, v4
	s_wait_alu 0xfffd
	v_cndmask_b32_e32 v4, v4, v6, vcc_lo
.LBB81_161:
	s_wait_alu 0xfffe
	s_or_b32 exec_lo, exec_lo, s2
	s_wait_kmcnt 0x0
	v_or_b32_e32 v7, s9, v5
	v_mov_b32_e32 v6, 0
	s_delay_alu instid0(VALU_DEP_1)
	v_cmp_ne_u64_e32 vcc_lo, 0, v[6:7]
                                        ; implicit-def: $vgpr6_vgpr7
	s_and_saveexec_b32 s2, vcc_lo
	s_wait_alu 0xfffe
	s_xor_b32 s3, exec_lo, s2
	s_cbranch_execz .LBB81_163
; %bb.162:
	s_ashr_i32 s10, s9, 31
	s_mov_b32 s21, 0
	s_wait_alu 0xfffe
	s_mov_b32 s11, s10
	v_ashrrev_i32_e32 v10, 31, v5
	s_wait_alu 0xfffe
	s_add_nc_u64 s[12:13], s[8:9], s[10:11]
	s_wait_alu 0xfffe
	s_xor_b64 s[10:11], s[12:13], s[10:11]
	v_add_co_u32 v4, vcc_lo, v4, v10
	s_wait_alu 0xfffe
	s_cvt_f32_u32 s2, s10
	s_cvt_f32_u32 s12, s11
	s_sub_nc_u64 s[16:17], 0, s[10:11]
	s_wait_alu 0xfffd
	v_add_co_ci_u32_e64 v5, null, v5, v10, vcc_lo
	s_wait_alu 0xfffe
	s_fmamk_f32 s2, s12, 0x4f800000, s2
	v_xor_b32_e32 v11, v4, v10
	s_delay_alu instid0(VALU_DEP_2) | instskip(SKIP_2) | instid1(TRANS32_DEP_1)
	v_xor_b32_e32 v12, v5, v10
	s_wait_alu 0xfffe
	v_s_rcp_f32 s2, s2
	s_mul_f32 s2, s2, 0x5f7ffffc
	s_wait_alu 0xfffe
	s_delay_alu instid0(SALU_CYCLE_2) | instskip(SKIP_1) | instid1(SALU_CYCLE_2)
	s_mul_f32 s12, s2, 0x2f800000
	s_wait_alu 0xfffe
	s_trunc_f32 s12, s12
	s_wait_alu 0xfffe
	s_delay_alu instid0(SALU_CYCLE_2) | instskip(SKIP_2) | instid1(SALU_CYCLE_1)
	s_fmamk_f32 s2, s12, 0xcf800000, s2
	s_cvt_u32_f32 s13, s12
	s_wait_alu 0xfffe
	s_cvt_u32_f32 s12, s2
	s_wait_alu 0xfffe
	s_delay_alu instid0(SALU_CYCLE_2) | instskip(NEXT) | instid1(SALU_CYCLE_1)
	s_mul_u64 s[18:19], s[16:17], s[12:13]
	s_mul_hi_u32 s23, s12, s19
	s_mul_i32 s22, s12, s19
	s_mul_hi_u32 s20, s12, s18
	s_mul_i32 s15, s13, s18
	s_add_nc_u64 s[22:23], s[20:21], s[22:23]
	s_mul_hi_u32 s2, s13, s18
	s_mul_hi_u32 s24, s13, s19
	s_add_co_u32 s15, s22, s15
	s_wait_alu 0xfffe
	s_add_co_ci_u32 s20, s23, s2
	s_mul_i32 s18, s13, s19
	s_add_co_ci_u32 s19, s24, 0
	s_delay_alu instid0(SALU_CYCLE_1) | instskip(NEXT) | instid1(SALU_CYCLE_1)
	s_add_nc_u64 s[18:19], s[20:21], s[18:19]
	s_add_co_u32 s12, s12, s18
	s_cselect_b32 s2, -1, 0
	s_wait_alu 0xfffe
	s_cmp_lg_u32 s2, 0
	s_add_co_ci_u32 s13, s13, s19
	s_wait_alu 0xfffe
	s_mul_u64 s[16:17], s[16:17], s[12:13]
	s_delay_alu instid0(SALU_CYCLE_1)
	s_mul_hi_u32 s19, s12, s17
	s_mul_i32 s18, s12, s17
	s_mul_hi_u32 s20, s12, s16
	s_mul_i32 s15, s13, s16
	s_add_nc_u64 s[18:19], s[20:21], s[18:19]
	s_mul_hi_u32 s2, s13, s16
	s_mul_hi_u32 s22, s13, s17
	s_add_co_u32 s15, s18, s15
	s_wait_alu 0xfffe
	s_add_co_ci_u32 s20, s19, s2
	s_mul_i32 s16, s13, s17
	s_add_co_ci_u32 s17, s22, 0
	s_delay_alu instid0(SALU_CYCLE_1) | instskip(NEXT) | instid1(SALU_CYCLE_1)
	s_add_nc_u64 s[16:17], s[20:21], s[16:17]
	s_add_co_u32 s2, s12, s16
	s_cselect_b32 s12, -1, 0
	s_wait_alu 0xfffe
	v_mul_hi_u32 v13, v11, s2
	s_cmp_lg_u32 s12, 0
	v_mad_co_u64_u32 v[6:7], null, v12, s2, 0
	s_add_co_ci_u32 s12, s13, s17
	s_wait_alu 0xfffe
	v_mad_co_u64_u32 v[4:5], null, v11, s12, 0
	v_mad_co_u64_u32 v[8:9], null, v12, s12, 0
	s_delay_alu instid0(VALU_DEP_2) | instskip(SKIP_1) | instid1(VALU_DEP_3)
	v_add_co_u32 v4, vcc_lo, v13, v4
	s_wait_alu 0xfffd
	v_add_co_ci_u32_e64 v5, null, 0, v5, vcc_lo
	s_delay_alu instid0(VALU_DEP_2) | instskip(SKIP_1) | instid1(VALU_DEP_2)
	v_add_co_u32 v4, vcc_lo, v4, v6
	s_wait_alu 0xfffd
	v_add_co_ci_u32_e32 v4, vcc_lo, v5, v7, vcc_lo
	s_wait_alu 0xfffd
	v_add_co_ci_u32_e32 v5, vcc_lo, 0, v9, vcc_lo
	s_delay_alu instid0(VALU_DEP_2) | instskip(SKIP_1) | instid1(VALU_DEP_2)
	v_add_co_u32 v4, vcc_lo, v4, v8
	s_wait_alu 0xfffd
	v_add_co_ci_u32_e64 v6, null, 0, v5, vcc_lo
	s_delay_alu instid0(VALU_DEP_2) | instskip(SKIP_1) | instid1(VALU_DEP_3)
	v_mul_lo_u32 v7, s11, v4
	v_mad_co_u64_u32 v[4:5], null, s10, v4, 0
	v_mul_lo_u32 v6, s10, v6
	s_delay_alu instid0(VALU_DEP_2) | instskip(NEXT) | instid1(VALU_DEP_2)
	v_sub_co_u32 v4, vcc_lo, v11, v4
	v_add3_u32 v5, v5, v6, v7
	s_delay_alu instid0(VALU_DEP_2) | instskip(NEXT) | instid1(VALU_DEP_2)
	v_cmp_le_u32_e64 s2, s10, v4
	v_sub_nc_u32_e32 v6, v12, v5
	s_wait_alu 0xfffd
	v_sub_co_ci_u32_e64 v5, null, v12, v5, vcc_lo
	s_wait_alu 0xf1ff
	v_cndmask_b32_e64 v9, 0, -1, s2
	v_subrev_co_ci_u32_e64 v6, null, s11, v6, vcc_lo
	v_sub_co_u32 v7, vcc_lo, v4, s10
	s_wait_alu 0xfffd
	s_delay_alu instid0(VALU_DEP_2) | instskip(NEXT) | instid1(VALU_DEP_2)
	v_subrev_co_ci_u32_e64 v8, null, 0, v6, vcc_lo
	v_cmp_le_u32_e64 s2, s10, v7
	v_subrev_co_ci_u32_e64 v6, null, s11, v6, vcc_lo
	v_cmp_le_u32_e32 vcc_lo, s11, v5
	s_wait_alu 0xf1ff
	s_delay_alu instid0(VALU_DEP_3)
	v_cndmask_b32_e64 v11, 0, -1, s2
	v_cmp_le_u32_e64 s2, s11, v8
	s_wait_alu 0xfffd
	v_cndmask_b32_e64 v13, 0, -1, vcc_lo
	v_cmp_eq_u32_e32 vcc_lo, s11, v8
	s_wait_alu 0xf1ff
	v_cndmask_b32_e64 v12, 0, -1, s2
	v_cmp_eq_u32_e64 s2, s11, v5
	s_wait_alu 0xfffd
	s_delay_alu instid0(VALU_DEP_2) | instskip(SKIP_3) | instid1(VALU_DEP_3)
	v_cndmask_b32_e32 v11, v12, v11, vcc_lo
	v_sub_co_u32 v12, vcc_lo, v7, s10
	s_wait_alu 0xfffd
	v_subrev_co_ci_u32_e64 v6, null, 0, v6, vcc_lo
	v_cmp_ne_u32_e32 vcc_lo, 0, v11
	s_wait_alu 0xf1ff
	v_cndmask_b32_e64 v9, v13, v9, s2
	s_wait_alu 0xfffd
	v_dual_cndmask_b32 v6, v8, v6 :: v_dual_cndmask_b32 v7, v7, v12
	s_delay_alu instid0(VALU_DEP_2) | instskip(SKIP_1) | instid1(VALU_DEP_2)
	v_cmp_ne_u32_e32 vcc_lo, 0, v9
	s_wait_alu 0xfffd
	v_dual_cndmask_b32 v5, v5, v6 :: v_dual_cndmask_b32 v4, v4, v7
	s_delay_alu instid0(VALU_DEP_1) | instskip(NEXT) | instid1(VALU_DEP_2)
	v_xor_b32_e32 v5, v5, v10
	v_xor_b32_e32 v4, v4, v10
	s_delay_alu instid0(VALU_DEP_1) | instskip(SKIP_1) | instid1(VALU_DEP_3)
	v_sub_co_u32 v6, vcc_lo, v4, v10
	s_wait_alu 0xfffd
	v_sub_co_ci_u32_e64 v7, null, v5, v10, vcc_lo
                                        ; implicit-def: $vgpr4_vgpr5
.LBB81_163:
	s_wait_alu 0xfffe
	s_and_not1_saveexec_b32 s2, s3
	s_cbranch_execz .LBB81_165
; %bb.164:
	v_cvt_f32_u32_e32 v5, s8
	s_sub_co_i32 s3, 0, s8
	v_mov_b32_e32 v7, 0
	s_delay_alu instid0(VALU_DEP_2) | instskip(NEXT) | instid1(TRANS32_DEP_1)
	v_rcp_iflag_f32_e32 v5, v5
	v_mul_f32_e32 v5, 0x4f7ffffe, v5
	s_delay_alu instid0(VALU_DEP_1) | instskip(SKIP_1) | instid1(VALU_DEP_1)
	v_cvt_u32_f32_e32 v5, v5
	s_wait_alu 0xfffe
	v_mul_lo_u32 v6, s3, v5
	s_delay_alu instid0(VALU_DEP_1) | instskip(NEXT) | instid1(VALU_DEP_1)
	v_mul_hi_u32 v6, v5, v6
	v_add_nc_u32_e32 v5, v5, v6
	s_delay_alu instid0(VALU_DEP_1) | instskip(NEXT) | instid1(VALU_DEP_1)
	v_mul_hi_u32 v5, v4, v5
	v_mul_lo_u32 v5, v5, s8
	s_delay_alu instid0(VALU_DEP_1) | instskip(NEXT) | instid1(VALU_DEP_1)
	v_sub_nc_u32_e32 v4, v4, v5
	v_subrev_nc_u32_e32 v5, s8, v4
	v_cmp_le_u32_e32 vcc_lo, s8, v4
	s_wait_alu 0xfffd
	s_delay_alu instid0(VALU_DEP_2) | instskip(NEXT) | instid1(VALU_DEP_1)
	v_cndmask_b32_e32 v4, v4, v5, vcc_lo
	v_subrev_nc_u32_e32 v5, s8, v4
	v_cmp_le_u32_e32 vcc_lo, s8, v4
	s_wait_alu 0xfffd
	s_delay_alu instid0(VALU_DEP_2)
	v_cndmask_b32_e32 v6, v4, v5, vcc_lo
.LBB81_165:
	s_wait_alu 0xfffe
	s_or_b32 exec_lo, exec_lo, s2
	s_lshl_b64 s[2:3], s[4:5], 3
	s_mul_u64 s[6:7], s[8:9], s[6:7]
	s_wait_alu 0xfffe
	v_add_co_u32 v4, vcc_lo, v0, s2
	s_wait_alu 0xfffd
	v_add_co_ci_u32_e64 v5, null, s3, v1, vcc_lo
	global_store_b64 v[4:5], v[6:7], off
	s_cmp_lt_i32 s14, 1
	s_cbranch_scc1 .LBB81_25
.LBB81_166:
	s_load_b64 s[2:3], s[0:1], 0x8
	s_wait_loadcnt 0x0
	v_or_b32_e32 v5, s7, v3
	v_mov_b32_e32 v4, 0
	s_delay_alu instid0(VALU_DEP_1)
	v_cmp_ne_u64_e32 vcc_lo, 0, v[4:5]
                                        ; implicit-def: $vgpr4_vgpr5
	s_and_saveexec_b32 s0, vcc_lo
	s_wait_alu 0xfffe
	s_xor_b32 s1, exec_lo, s0
	s_cbranch_execz .LBB81_168
; %bb.167:
	s_ashr_i32 s4, s7, 31
	s_mov_b32 s17, 0
	s_wait_alu 0xfffe
	s_mov_b32 s5, s4
	v_ashrrev_i32_e32 v8, 31, v3
	s_wait_alu 0xfffe
	s_add_nc_u64 s[8:9], s[6:7], s[4:5]
	s_wait_alu 0xfffe
	s_xor_b64 s[8:9], s[8:9], s[4:5]
	v_add_co_u32 v2, vcc_lo, v2, v8
	s_wait_alu 0xfffe
	s_cvt_f32_u32 s0, s8
	s_cvt_f32_u32 s5, s9
	s_sub_nc_u64 s[12:13], 0, s[8:9]
	s_wait_alu 0xfffd
	v_add_co_ci_u32_e64 v3, null, v3, v8, vcc_lo
	s_wait_alu 0xfffe
	s_fmamk_f32 s0, s5, 0x4f800000, s0
	v_xor_b32_e32 v9, v2, v8
	s_delay_alu instid0(VALU_DEP_2) | instskip(SKIP_2) | instid1(TRANS32_DEP_1)
	v_xor_b32_e32 v10, v3, v8
	s_wait_alu 0xfffe
	v_s_rcp_f32 s0, s0
	s_mul_f32 s0, s0, 0x5f7ffffc
	s_wait_alu 0xfffe
	s_delay_alu instid0(SALU_CYCLE_2) | instskip(SKIP_1) | instid1(SALU_CYCLE_2)
	s_mul_f32 s5, s0, 0x2f800000
	s_wait_alu 0xfffe
	s_trunc_f32 s5, s5
	s_wait_alu 0xfffe
	s_delay_alu instid0(SALU_CYCLE_2) | instskip(SKIP_2) | instid1(SALU_CYCLE_1)
	s_fmamk_f32 s0, s5, 0xcf800000, s0
	s_cvt_u32_f32 s11, s5
	s_wait_alu 0xfffe
	s_cvt_u32_f32 s10, s0
	s_wait_alu 0xfffe
	s_delay_alu instid0(SALU_CYCLE_2) | instskip(NEXT) | instid1(SALU_CYCLE_1)
	s_mul_u64 s[14:15], s[12:13], s[10:11]
	s_mul_hi_u32 s19, s10, s15
	s_mul_i32 s18, s10, s15
	s_mul_hi_u32 s16, s10, s14
	s_mul_i32 s5, s11, s14
	s_add_nc_u64 s[18:19], s[16:17], s[18:19]
	s_mul_hi_u32 s0, s11, s14
	s_mul_hi_u32 s7, s11, s15
	s_wait_alu 0xfffe
	s_add_co_u32 s5, s18, s5
	s_add_co_ci_u32 s16, s19, s0
	s_mul_i32 s14, s11, s15
	s_add_co_ci_u32 s15, s7, 0
	s_delay_alu instid0(SALU_CYCLE_1) | instskip(NEXT) | instid1(SALU_CYCLE_1)
	s_add_nc_u64 s[14:15], s[16:17], s[14:15]
	s_add_co_u32 s10, s10, s14
	s_cselect_b32 s0, -1, 0
	s_wait_alu 0xfffe
	s_cmp_lg_u32 s0, 0
	s_add_co_ci_u32 s11, s11, s15
	s_wait_alu 0xfffe
	s_mul_u64 s[12:13], s[12:13], s[10:11]
	s_wait_alu 0xfffe
	s_mul_hi_u32 s15, s10, s13
	s_mul_i32 s14, s10, s13
	s_mul_hi_u32 s16, s10, s12
	s_mul_i32 s5, s11, s12
	s_add_nc_u64 s[14:15], s[16:17], s[14:15]
	s_mul_hi_u32 s0, s11, s12
	s_mul_hi_u32 s7, s11, s13
	s_wait_alu 0xfffe
	s_add_co_u32 s5, s14, s5
	s_add_co_ci_u32 s16, s15, s0
	s_mul_i32 s12, s11, s13
	s_add_co_ci_u32 s13, s7, 0
	s_wait_alu 0xfffe
	s_add_nc_u64 s[12:13], s[16:17], s[12:13]
	s_wait_alu 0xfffe
	s_add_co_u32 s0, s10, s12
	s_cselect_b32 s5, -1, 0
	s_wait_alu 0xfffe
	v_mul_hi_u32 v11, v9, s0
	s_cmp_lg_u32 s5, 0
	v_mad_co_u64_u32 v[4:5], null, v10, s0, 0
	s_add_co_ci_u32 s5, s11, s13
	s_wait_alu 0xfffe
	v_mad_co_u64_u32 v[2:3], null, v9, s5, 0
	v_mad_co_u64_u32 v[6:7], null, v10, s5, 0
	s_delay_alu instid0(VALU_DEP_2) | instskip(SKIP_1) | instid1(VALU_DEP_3)
	v_add_co_u32 v2, vcc_lo, v11, v2
	s_wait_alu 0xfffd
	v_add_co_ci_u32_e64 v3, null, 0, v3, vcc_lo
	s_delay_alu instid0(VALU_DEP_2) | instskip(SKIP_1) | instid1(VALU_DEP_2)
	v_add_co_u32 v2, vcc_lo, v2, v4
	s_wait_alu 0xfffd
	v_add_co_ci_u32_e32 v2, vcc_lo, v3, v5, vcc_lo
	s_wait_alu 0xfffd
	v_add_co_ci_u32_e32 v3, vcc_lo, 0, v7, vcc_lo
	s_delay_alu instid0(VALU_DEP_2) | instskip(SKIP_1) | instid1(VALU_DEP_2)
	v_add_co_u32 v4, vcc_lo, v2, v6
	s_wait_alu 0xfffd
	v_add_co_ci_u32_e64 v5, null, 0, v3, vcc_lo
	s_delay_alu instid0(VALU_DEP_2) | instskip(SKIP_1) | instid1(VALU_DEP_3)
	v_mul_lo_u32 v6, s9, v4
	v_mad_co_u64_u32 v[2:3], null, s8, v4, 0
	v_mul_lo_u32 v7, s8, v5
	s_delay_alu instid0(VALU_DEP_2) | instskip(NEXT) | instid1(VALU_DEP_2)
	v_sub_co_u32 v2, vcc_lo, v9, v2
	v_add3_u32 v3, v3, v7, v6
	v_add_co_u32 v7, s0, v4, 2
	s_wait_alu 0xf1ff
	v_add_co_ci_u32_e64 v9, null, 0, v5, s0
	s_delay_alu instid0(VALU_DEP_3) | instskip(SKIP_3) | instid1(VALU_DEP_3)
	v_sub_nc_u32_e32 v6, v10, v3
	v_sub_co_u32 v11, s0, v2, s8
	s_wait_alu 0xfffd
	v_sub_co_ci_u32_e64 v3, null, v10, v3, vcc_lo
	v_subrev_co_ci_u32_e64 v6, null, s9, v6, vcc_lo
	s_delay_alu instid0(VALU_DEP_3) | instskip(SKIP_1) | instid1(VALU_DEP_2)
	v_cmp_le_u32_e32 vcc_lo, s8, v11
	s_wait_alu 0xf1ff
	v_subrev_co_ci_u32_e64 v6, null, 0, v6, s0
	s_wait_alu 0xfffd
	v_cndmask_b32_e64 v10, 0, -1, vcc_lo
	s_delay_alu instid0(VALU_DEP_2)
	v_cmp_le_u32_e32 vcc_lo, s9, v6
	s_wait_alu 0xfffd
	v_cndmask_b32_e64 v11, 0, -1, vcc_lo
	v_cmp_le_u32_e32 vcc_lo, s8, v2
	s_wait_alu 0xfffd
	v_cndmask_b32_e64 v2, 0, -1, vcc_lo
	;; [unrolled: 3-line block ×3, first 2 shown]
	v_cmp_eq_u32_e32 vcc_lo, s9, v6
	s_wait_alu 0xfffd
	v_cndmask_b32_e32 v6, v11, v10, vcc_lo
	v_add_co_u32 v10, vcc_lo, v4, 1
	s_wait_alu 0xfffd
	v_add_co_ci_u32_e64 v11, null, 0, v5, vcc_lo
	v_cmp_eq_u32_e32 vcc_lo, s9, v3
	s_wait_alu 0xfffd
	v_cndmask_b32_e32 v2, v12, v2, vcc_lo
	v_cmp_ne_u32_e32 vcc_lo, 0, v6
	v_xor_b32_e32 v6, s4, v8
	s_wait_alu 0xfffd
	v_cndmask_b32_e32 v3, v11, v9, vcc_lo
	v_cmp_ne_u32_e64 s0, 0, v2
	v_cndmask_b32_e32 v2, v10, v7, vcc_lo
	s_wait_alu 0xf1ff
	s_delay_alu instid0(VALU_DEP_2) | instskip(NEXT) | instid1(VALU_DEP_2)
	v_cndmask_b32_e64 v3, v5, v3, s0
	v_cndmask_b32_e64 v2, v4, v2, s0
	s_delay_alu instid0(VALU_DEP_2) | instskip(NEXT) | instid1(VALU_DEP_2)
	v_xor_b32_e32 v3, v3, v6
	v_xor_b32_e32 v2, v2, v6
	s_delay_alu instid0(VALU_DEP_1) | instskip(SKIP_1) | instid1(VALU_DEP_3)
	v_sub_co_u32 v4, vcc_lo, v2, v6
	s_wait_alu 0xfffd
	v_sub_co_ci_u32_e64 v5, null, v3, v6, vcc_lo
                                        ; implicit-def: $vgpr2_vgpr3
.LBB81_168:
	s_wait_alu 0xfffe
	s_and_not1_saveexec_b32 s0, s1
	s_cbranch_execz .LBB81_170
; %bb.169:
	v_cvt_f32_u32_e32 v3, s6
	s_sub_co_i32 s1, 0, s6
	s_delay_alu instid0(VALU_DEP_1) | instskip(NEXT) | instid1(TRANS32_DEP_1)
	v_rcp_iflag_f32_e32 v3, v3
	v_mul_f32_e32 v3, 0x4f7ffffe, v3
	s_delay_alu instid0(VALU_DEP_1) | instskip(SKIP_1) | instid1(VALU_DEP_1)
	v_cvt_u32_f32_e32 v3, v3
	s_wait_alu 0xfffe
	v_mul_lo_u32 v4, s1, v3
	s_delay_alu instid0(VALU_DEP_1) | instskip(NEXT) | instid1(VALU_DEP_1)
	v_mul_hi_u32 v4, v3, v4
	v_add_nc_u32_e32 v3, v3, v4
	s_delay_alu instid0(VALU_DEP_1) | instskip(NEXT) | instid1(VALU_DEP_1)
	v_mul_hi_u32 v3, v2, v3
	v_mul_lo_u32 v4, v3, s6
	s_delay_alu instid0(VALU_DEP_1) | instskip(SKIP_1) | instid1(VALU_DEP_2)
	v_sub_nc_u32_e32 v2, v2, v4
	v_add_nc_u32_e32 v4, 1, v3
	v_subrev_nc_u32_e32 v5, s6, v2
	v_cmp_le_u32_e32 vcc_lo, s6, v2
	s_wait_alu 0xfffd
	s_delay_alu instid0(VALU_DEP_2) | instskip(SKIP_1) | instid1(VALU_DEP_2)
	v_dual_cndmask_b32 v2, v2, v5 :: v_dual_mov_b32 v5, 0
	v_cndmask_b32_e32 v3, v3, v4, vcc_lo
	v_cmp_le_u32_e32 vcc_lo, s6, v2
	s_delay_alu instid0(VALU_DEP_2) | instskip(SKIP_1) | instid1(VALU_DEP_1)
	v_add_nc_u32_e32 v4, 1, v3
	s_wait_alu 0xfffd
	v_cndmask_b32_e32 v4, v3, v4, vcc_lo
.LBB81_170:
	s_wait_alu 0xfffe
	s_or_b32 exec_lo, exec_lo, s0
	s_wait_kmcnt 0x0
	v_or_b32_e32 v3, s3, v5
	v_mov_b32_e32 v2, 0
	s_delay_alu instid0(VALU_DEP_1)
	v_cmp_ne_u64_e32 vcc_lo, 0, v[2:3]
                                        ; implicit-def: $vgpr2_vgpr3
	s_and_saveexec_b32 s0, vcc_lo
	s_wait_alu 0xfffe
	s_xor_b32 s1, exec_lo, s0
	s_cbranch_execz .LBB81_172
; %bb.171:
	s_ashr_i32 s4, s3, 31
	s_mov_b32 s13, 0
	s_wait_alu 0xfffe
	s_mov_b32 s5, s4
	v_ashrrev_i32_e32 v8, 31, v5
	s_wait_alu 0xfffe
	s_add_nc_u64 s[6:7], s[2:3], s[4:5]
	s_wait_alu 0xfffe
	s_xor_b64 s[4:5], s[6:7], s[4:5]
	v_add_co_u32 v2, vcc_lo, v4, v8
	s_wait_alu 0xfffe
	s_cvt_f32_u32 s0, s4
	s_cvt_f32_u32 s3, s5
	s_sub_nc_u64 s[8:9], 0, s[4:5]
	s_wait_alu 0xfffd
	v_add_co_ci_u32_e64 v3, null, v5, v8, vcc_lo
	s_wait_alu 0xfffe
	s_fmamk_f32 s0, s3, 0x4f800000, s0
	v_xor_b32_e32 v9, v2, v8
	s_delay_alu instid0(VALU_DEP_2) | instskip(SKIP_2) | instid1(TRANS32_DEP_1)
	v_xor_b32_e32 v10, v3, v8
	s_wait_alu 0xfffe
	v_s_rcp_f32 s0, s0
	s_mul_f32 s0, s0, 0x5f7ffffc
	s_wait_alu 0xfffe
	s_delay_alu instid0(SALU_CYCLE_2) | instskip(SKIP_1) | instid1(SALU_CYCLE_2)
	s_mul_f32 s3, s0, 0x2f800000
	s_wait_alu 0xfffe
	s_trunc_f32 s3, s3
	s_wait_alu 0xfffe
	s_delay_alu instid0(SALU_CYCLE_2) | instskip(SKIP_2) | instid1(SALU_CYCLE_1)
	s_fmamk_f32 s0, s3, 0xcf800000, s0
	s_cvt_u32_f32 s7, s3
	s_wait_alu 0xfffe
	s_cvt_u32_f32 s6, s0
	s_wait_alu 0xfffe
	s_delay_alu instid0(SALU_CYCLE_2)
	s_mul_u64 s[10:11], s[8:9], s[6:7]
	s_wait_alu 0xfffe
	s_mul_hi_u32 s15, s6, s11
	s_mul_i32 s14, s6, s11
	s_mul_hi_u32 s12, s6, s10
	s_mul_i32 s3, s7, s10
	s_wait_alu 0xfffe
	s_add_nc_u64 s[14:15], s[12:13], s[14:15]
	s_mul_hi_u32 s0, s7, s10
	s_mul_hi_u32 s16, s7, s11
	s_add_co_u32 s3, s14, s3
	s_wait_alu 0xfffe
	s_add_co_ci_u32 s12, s15, s0
	s_mul_i32 s10, s7, s11
	s_add_co_ci_u32 s11, s16, 0
	s_wait_alu 0xfffe
	s_add_nc_u64 s[10:11], s[12:13], s[10:11]
	s_wait_alu 0xfffe
	s_add_co_u32 s6, s6, s10
	s_cselect_b32 s0, -1, 0
	s_wait_alu 0xfffe
	s_cmp_lg_u32 s0, 0
	s_add_co_ci_u32 s7, s7, s11
	s_wait_alu 0xfffe
	s_mul_u64 s[8:9], s[8:9], s[6:7]
	s_wait_alu 0xfffe
	s_mul_hi_u32 s11, s6, s9
	s_mul_i32 s10, s6, s9
	s_mul_hi_u32 s12, s6, s8
	s_mul_i32 s3, s7, s8
	s_wait_alu 0xfffe
	s_add_nc_u64 s[10:11], s[12:13], s[10:11]
	s_mul_hi_u32 s0, s7, s8
	s_mul_hi_u32 s14, s7, s9
	s_wait_alu 0xfffe
	s_add_co_u32 s3, s10, s3
	s_add_co_ci_u32 s12, s11, s0
	s_mul_i32 s8, s7, s9
	s_add_co_ci_u32 s9, s14, 0
	s_wait_alu 0xfffe
	s_add_nc_u64 s[8:9], s[12:13], s[8:9]
	s_wait_alu 0xfffe
	s_add_co_u32 s0, s6, s8
	s_cselect_b32 s3, -1, 0
	s_wait_alu 0xfffe
	v_mul_hi_u32 v11, v9, s0
	s_cmp_lg_u32 s3, 0
	v_mad_co_u64_u32 v[4:5], null, v10, s0, 0
	s_add_co_ci_u32 s3, s7, s9
	s_wait_alu 0xfffe
	v_mad_co_u64_u32 v[2:3], null, v9, s3, 0
	v_mad_co_u64_u32 v[6:7], null, v10, s3, 0
	s_delay_alu instid0(VALU_DEP_2) | instskip(SKIP_1) | instid1(VALU_DEP_3)
	v_add_co_u32 v2, vcc_lo, v11, v2
	s_wait_alu 0xfffd
	v_add_co_ci_u32_e64 v3, null, 0, v3, vcc_lo
	s_delay_alu instid0(VALU_DEP_2) | instskip(SKIP_1) | instid1(VALU_DEP_2)
	v_add_co_u32 v2, vcc_lo, v2, v4
	s_wait_alu 0xfffd
	v_add_co_ci_u32_e32 v2, vcc_lo, v3, v5, vcc_lo
	s_wait_alu 0xfffd
	v_add_co_ci_u32_e32 v3, vcc_lo, 0, v7, vcc_lo
	s_delay_alu instid0(VALU_DEP_2) | instskip(SKIP_1) | instid1(VALU_DEP_2)
	v_add_co_u32 v2, vcc_lo, v2, v6
	s_wait_alu 0xfffd
	v_add_co_ci_u32_e64 v4, null, 0, v3, vcc_lo
	s_delay_alu instid0(VALU_DEP_2) | instskip(SKIP_1) | instid1(VALU_DEP_3)
	v_mul_lo_u32 v5, s5, v2
	v_mad_co_u64_u32 v[2:3], null, s4, v2, 0
	v_mul_lo_u32 v4, s4, v4
	s_delay_alu instid0(VALU_DEP_2) | instskip(NEXT) | instid1(VALU_DEP_2)
	v_sub_co_u32 v2, vcc_lo, v9, v2
	v_add3_u32 v3, v3, v4, v5
	s_delay_alu instid0(VALU_DEP_2) | instskip(NEXT) | instid1(VALU_DEP_2)
	v_cmp_le_u32_e64 s0, s4, v2
	v_sub_nc_u32_e32 v4, v10, v3
	s_wait_alu 0xfffd
	v_sub_co_ci_u32_e64 v3, null, v10, v3, vcc_lo
	s_wait_alu 0xf1ff
	v_cndmask_b32_e64 v7, 0, -1, s0
	v_subrev_co_ci_u32_e64 v4, null, s5, v4, vcc_lo
	v_sub_co_u32 v5, vcc_lo, v2, s4
	s_wait_alu 0xfffd
	s_delay_alu instid0(VALU_DEP_2) | instskip(NEXT) | instid1(VALU_DEP_2)
	v_subrev_co_ci_u32_e64 v6, null, 0, v4, vcc_lo
	v_cmp_le_u32_e64 s0, s4, v5
	v_subrev_co_ci_u32_e64 v4, null, s5, v4, vcc_lo
	v_cmp_le_u32_e32 vcc_lo, s5, v3
	s_wait_alu 0xf1ff
	s_delay_alu instid0(VALU_DEP_3)
	v_cndmask_b32_e64 v9, 0, -1, s0
	v_cmp_le_u32_e64 s0, s5, v6
	s_wait_alu 0xfffd
	v_cndmask_b32_e64 v11, 0, -1, vcc_lo
	v_cmp_eq_u32_e32 vcc_lo, s5, v6
	s_wait_alu 0xf1ff
	v_cndmask_b32_e64 v10, 0, -1, s0
	v_cmp_eq_u32_e64 s0, s5, v3
	s_wait_alu 0xfffd
	s_delay_alu instid0(VALU_DEP_2) | instskip(SKIP_3) | instid1(VALU_DEP_3)
	v_cndmask_b32_e32 v9, v10, v9, vcc_lo
	v_sub_co_u32 v10, vcc_lo, v5, s4
	s_wait_alu 0xfffd
	v_subrev_co_ci_u32_e64 v4, null, 0, v4, vcc_lo
	v_cmp_ne_u32_e32 vcc_lo, 0, v9
	s_wait_alu 0xf1ff
	v_cndmask_b32_e64 v7, v11, v7, s0
	s_wait_alu 0xfffd
	v_dual_cndmask_b32 v4, v6, v4 :: v_dual_cndmask_b32 v5, v5, v10
	s_delay_alu instid0(VALU_DEP_2) | instskip(SKIP_1) | instid1(VALU_DEP_2)
	v_cmp_ne_u32_e32 vcc_lo, 0, v7
	s_wait_alu 0xfffd
	v_dual_cndmask_b32 v3, v3, v4 :: v_dual_cndmask_b32 v2, v2, v5
                                        ; implicit-def: $vgpr4_vgpr5
	s_delay_alu instid0(VALU_DEP_1) | instskip(NEXT) | instid1(VALU_DEP_2)
	v_xor_b32_e32 v3, v3, v8
	v_xor_b32_e32 v2, v2, v8
	s_delay_alu instid0(VALU_DEP_1) | instskip(SKIP_1) | instid1(VALU_DEP_3)
	v_sub_co_u32 v2, vcc_lo, v2, v8
	s_wait_alu 0xfffd
	v_sub_co_ci_u32_e64 v3, null, v3, v8, vcc_lo
.LBB81_172:
	s_wait_alu 0xfffe
	s_and_not1_saveexec_b32 s0, s1
	s_cbranch_execz .LBB81_174
; %bb.173:
	v_cvt_f32_u32_e32 v2, s2
	s_sub_co_i32 s1, 0, s2
	s_delay_alu instid0(VALU_DEP_1) | instskip(NEXT) | instid1(TRANS32_DEP_1)
	v_rcp_iflag_f32_e32 v2, v2
	v_mul_f32_e32 v2, 0x4f7ffffe, v2
	s_delay_alu instid0(VALU_DEP_1) | instskip(SKIP_1) | instid1(VALU_DEP_1)
	v_cvt_u32_f32_e32 v2, v2
	s_wait_alu 0xfffe
	v_mul_lo_u32 v3, s1, v2
	s_delay_alu instid0(VALU_DEP_1) | instskip(NEXT) | instid1(VALU_DEP_1)
	v_mul_hi_u32 v3, v2, v3
	v_add_nc_u32_e32 v2, v2, v3
	s_delay_alu instid0(VALU_DEP_1) | instskip(NEXT) | instid1(VALU_DEP_1)
	v_mul_hi_u32 v2, v4, v2
	v_mul_lo_u32 v2, v2, s2
	s_delay_alu instid0(VALU_DEP_1) | instskip(NEXT) | instid1(VALU_DEP_1)
	v_sub_nc_u32_e32 v2, v4, v2
	v_subrev_nc_u32_e32 v3, s2, v2
	v_cmp_le_u32_e32 vcc_lo, s2, v2
	s_wait_alu 0xfffd
	s_delay_alu instid0(VALU_DEP_2) | instskip(NEXT) | instid1(VALU_DEP_1)
	v_cndmask_b32_e32 v2, v2, v3, vcc_lo
	v_subrev_nc_u32_e32 v3, s2, v2
	v_cmp_le_u32_e32 vcc_lo, s2, v2
	s_wait_alu 0xfffd
	s_delay_alu instid0(VALU_DEP_2)
	v_dual_cndmask_b32 v2, v2, v3 :: v_dual_mov_b32 v3, 0
.LBB81_174:
	s_wait_alu 0xfffe
	s_or_b32 exec_lo, exec_lo, s0
	global_store_b64 v[0:1], v[2:3], off
	s_endpgm
	.section	.rodata,"a",@progbits
	.p2align	6, 0x0
	.amdhsa_kernel _ZN2at6native12_GLOBAL__N_113write_indicesIlEEvPlNS1_10TensorDimsIT_EEiS5_S3_l
		.amdhsa_group_segment_fixed_size 0
		.amdhsa_private_segment_fixed_size 0
		.amdhsa_kernarg_size 424
		.amdhsa_user_sgpr_count 2
		.amdhsa_user_sgpr_dispatch_ptr 0
		.amdhsa_user_sgpr_queue_ptr 0
		.amdhsa_user_sgpr_kernarg_segment_ptr 1
		.amdhsa_user_sgpr_dispatch_id 0
		.amdhsa_user_sgpr_private_segment_size 0
		.amdhsa_wavefront_size32 1
		.amdhsa_uses_dynamic_stack 0
		.amdhsa_enable_private_segment 0
		.amdhsa_system_sgpr_workgroup_id_x 1
		.amdhsa_system_sgpr_workgroup_id_y 0
		.amdhsa_system_sgpr_workgroup_id_z 0
		.amdhsa_system_sgpr_workgroup_info 0
		.amdhsa_system_vgpr_workitem_id 0
		.amdhsa_next_free_vgpr 15
		.amdhsa_next_free_sgpr 26
		.amdhsa_reserve_vcc 1
		.amdhsa_float_round_mode_32 0
		.amdhsa_float_round_mode_16_64 0
		.amdhsa_float_denorm_mode_32 3
		.amdhsa_float_denorm_mode_16_64 3
		.amdhsa_fp16_overflow 0
		.amdhsa_workgroup_processor_mode 1
		.amdhsa_memory_ordered 1
		.amdhsa_forward_progress 1
		.amdhsa_inst_pref_size 255
		.amdhsa_round_robin_scheduling 0
		.amdhsa_exception_fp_ieee_invalid_op 0
		.amdhsa_exception_fp_denorm_src 0
		.amdhsa_exception_fp_ieee_div_zero 0
		.amdhsa_exception_fp_ieee_overflow 0
		.amdhsa_exception_fp_ieee_underflow 0
		.amdhsa_exception_fp_ieee_inexact 0
		.amdhsa_exception_int_div_zero 0
	.end_amdhsa_kernel
	.section	.text._ZN2at6native12_GLOBAL__N_113write_indicesIlEEvPlNS1_10TensorDimsIT_EEiS5_S3_l,"axG",@progbits,_ZN2at6native12_GLOBAL__N_113write_indicesIlEEvPlNS1_10TensorDimsIT_EEiS5_S3_l,comdat
.Lfunc_end81:
	.size	_ZN2at6native12_GLOBAL__N_113write_indicesIlEEvPlNS1_10TensorDimsIT_EEiS5_S3_l, .Lfunc_end81-_ZN2at6native12_GLOBAL__N_113write_indicesIlEEvPlNS1_10TensorDimsIT_EEiS5_S3_l
                                        ; -- End function
	.set _ZN2at6native12_GLOBAL__N_113write_indicesIlEEvPlNS1_10TensorDimsIT_EEiS5_S3_l.num_vgpr, 15
	.set _ZN2at6native12_GLOBAL__N_113write_indicesIlEEvPlNS1_10TensorDimsIT_EEiS5_S3_l.num_agpr, 0
	.set _ZN2at6native12_GLOBAL__N_113write_indicesIlEEvPlNS1_10TensorDimsIT_EEiS5_S3_l.numbered_sgpr, 26
	.set _ZN2at6native12_GLOBAL__N_113write_indicesIlEEvPlNS1_10TensorDimsIT_EEiS5_S3_l.num_named_barrier, 0
	.set _ZN2at6native12_GLOBAL__N_113write_indicesIlEEvPlNS1_10TensorDimsIT_EEiS5_S3_l.private_seg_size, 0
	.set _ZN2at6native12_GLOBAL__N_113write_indicesIlEEvPlNS1_10TensorDimsIT_EEiS5_S3_l.uses_vcc, 1
	.set _ZN2at6native12_GLOBAL__N_113write_indicesIlEEvPlNS1_10TensorDimsIT_EEiS5_S3_l.uses_flat_scratch, 0
	.set _ZN2at6native12_GLOBAL__N_113write_indicesIlEEvPlNS1_10TensorDimsIT_EEiS5_S3_l.has_dyn_sized_stack, 0
	.set _ZN2at6native12_GLOBAL__N_113write_indicesIlEEvPlNS1_10TensorDimsIT_EEiS5_S3_l.has_recursion, 0
	.set _ZN2at6native12_GLOBAL__N_113write_indicesIlEEvPlNS1_10TensorDimsIT_EEiS5_S3_l.has_indirect_call, 0
	.section	.AMDGPU.csdata,"",@progbits
; Kernel info:
; codeLenInByte = 33236
; TotalNumSgprs: 28
; NumVgprs: 15
; ScratchSize: 0
; MemoryBound: 1
; FloatMode: 240
; IeeeMode: 1
; LDSByteSize: 0 bytes/workgroup (compile time only)
; SGPRBlocks: 0
; VGPRBlocks: 1
; NumSGPRsForWavesPerEU: 28
; NumVGPRsForWavesPerEU: 15
; Occupancy: 16
; WaveLimiterHint : 1
; COMPUTE_PGM_RSRC2:SCRATCH_EN: 0
; COMPUTE_PGM_RSRC2:USER_SGPR: 2
; COMPUTE_PGM_RSRC2:TRAP_HANDLER: 0
; COMPUTE_PGM_RSRC2:TGID_X_EN: 1
; COMPUTE_PGM_RSRC2:TGID_Y_EN: 0
; COMPUTE_PGM_RSRC2:TGID_Z_EN: 0
; COMPUTE_PGM_RSRC2:TIDIG_COMP_CNT: 0
	.section	.text._ZN7rocprim17ROCPRIM_400000_NS6detail17trampoline_kernelINS0_14default_configENS1_22reduce_config_selectorIiEEZNS1_11reduce_implILb1ES3_PiS7_iN6hipcub16HIPCUB_304000_NS6detail34convert_binary_result_type_wrapperINS9_3SumENS9_22TransformInputIteratorIbN2at6native12_GLOBAL__N_19NonZeroOpIaEEPKalEEiEEEE10hipError_tPvRmT1_T2_T3_mT4_P12ihipStream_tbEUlT_E0_NS1_11comp_targetILNS1_3genE0ELNS1_11target_archE4294967295ELNS1_3gpuE0ELNS1_3repE0EEENS1_30default_config_static_selectorELNS0_4arch9wavefront6targetE0EEEvSQ_,"axG",@progbits,_ZN7rocprim17ROCPRIM_400000_NS6detail17trampoline_kernelINS0_14default_configENS1_22reduce_config_selectorIiEEZNS1_11reduce_implILb1ES3_PiS7_iN6hipcub16HIPCUB_304000_NS6detail34convert_binary_result_type_wrapperINS9_3SumENS9_22TransformInputIteratorIbN2at6native12_GLOBAL__N_19NonZeroOpIaEEPKalEEiEEEE10hipError_tPvRmT1_T2_T3_mT4_P12ihipStream_tbEUlT_E0_NS1_11comp_targetILNS1_3genE0ELNS1_11target_archE4294967295ELNS1_3gpuE0ELNS1_3repE0EEENS1_30default_config_static_selectorELNS0_4arch9wavefront6targetE0EEEvSQ_,comdat
	.globl	_ZN7rocprim17ROCPRIM_400000_NS6detail17trampoline_kernelINS0_14default_configENS1_22reduce_config_selectorIiEEZNS1_11reduce_implILb1ES3_PiS7_iN6hipcub16HIPCUB_304000_NS6detail34convert_binary_result_type_wrapperINS9_3SumENS9_22TransformInputIteratorIbN2at6native12_GLOBAL__N_19NonZeroOpIaEEPKalEEiEEEE10hipError_tPvRmT1_T2_T3_mT4_P12ihipStream_tbEUlT_E0_NS1_11comp_targetILNS1_3genE0ELNS1_11target_archE4294967295ELNS1_3gpuE0ELNS1_3repE0EEENS1_30default_config_static_selectorELNS0_4arch9wavefront6targetE0EEEvSQ_ ; -- Begin function _ZN7rocprim17ROCPRIM_400000_NS6detail17trampoline_kernelINS0_14default_configENS1_22reduce_config_selectorIiEEZNS1_11reduce_implILb1ES3_PiS7_iN6hipcub16HIPCUB_304000_NS6detail34convert_binary_result_type_wrapperINS9_3SumENS9_22TransformInputIteratorIbN2at6native12_GLOBAL__N_19NonZeroOpIaEEPKalEEiEEEE10hipError_tPvRmT1_T2_T3_mT4_P12ihipStream_tbEUlT_E0_NS1_11comp_targetILNS1_3genE0ELNS1_11target_archE4294967295ELNS1_3gpuE0ELNS1_3repE0EEENS1_30default_config_static_selectorELNS0_4arch9wavefront6targetE0EEEvSQ_
	.p2align	8
	.type	_ZN7rocprim17ROCPRIM_400000_NS6detail17trampoline_kernelINS0_14default_configENS1_22reduce_config_selectorIiEEZNS1_11reduce_implILb1ES3_PiS7_iN6hipcub16HIPCUB_304000_NS6detail34convert_binary_result_type_wrapperINS9_3SumENS9_22TransformInputIteratorIbN2at6native12_GLOBAL__N_19NonZeroOpIaEEPKalEEiEEEE10hipError_tPvRmT1_T2_T3_mT4_P12ihipStream_tbEUlT_E0_NS1_11comp_targetILNS1_3genE0ELNS1_11target_archE4294967295ELNS1_3gpuE0ELNS1_3repE0EEENS1_30default_config_static_selectorELNS0_4arch9wavefront6targetE0EEEvSQ_,@function
_ZN7rocprim17ROCPRIM_400000_NS6detail17trampoline_kernelINS0_14default_configENS1_22reduce_config_selectorIiEEZNS1_11reduce_implILb1ES3_PiS7_iN6hipcub16HIPCUB_304000_NS6detail34convert_binary_result_type_wrapperINS9_3SumENS9_22TransformInputIteratorIbN2at6native12_GLOBAL__N_19NonZeroOpIaEEPKalEEiEEEE10hipError_tPvRmT1_T2_T3_mT4_P12ihipStream_tbEUlT_E0_NS1_11comp_targetILNS1_3genE0ELNS1_11target_archE4294967295ELNS1_3gpuE0ELNS1_3repE0EEENS1_30default_config_static_selectorELNS0_4arch9wavefront6targetE0EEEvSQ_: ; @_ZN7rocprim17ROCPRIM_400000_NS6detail17trampoline_kernelINS0_14default_configENS1_22reduce_config_selectorIiEEZNS1_11reduce_implILb1ES3_PiS7_iN6hipcub16HIPCUB_304000_NS6detail34convert_binary_result_type_wrapperINS9_3SumENS9_22TransformInputIteratorIbN2at6native12_GLOBAL__N_19NonZeroOpIaEEPKalEEiEEEE10hipError_tPvRmT1_T2_T3_mT4_P12ihipStream_tbEUlT_E0_NS1_11comp_targetILNS1_3genE0ELNS1_11target_archE4294967295ELNS1_3gpuE0ELNS1_3repE0EEENS1_30default_config_static_selectorELNS0_4arch9wavefront6targetE0EEEvSQ_
; %bb.0:
	.section	.rodata,"a",@progbits
	.p2align	6, 0x0
	.amdhsa_kernel _ZN7rocprim17ROCPRIM_400000_NS6detail17trampoline_kernelINS0_14default_configENS1_22reduce_config_selectorIiEEZNS1_11reduce_implILb1ES3_PiS7_iN6hipcub16HIPCUB_304000_NS6detail34convert_binary_result_type_wrapperINS9_3SumENS9_22TransformInputIteratorIbN2at6native12_GLOBAL__N_19NonZeroOpIaEEPKalEEiEEEE10hipError_tPvRmT1_T2_T3_mT4_P12ihipStream_tbEUlT_E0_NS1_11comp_targetILNS1_3genE0ELNS1_11target_archE4294967295ELNS1_3gpuE0ELNS1_3repE0EEENS1_30default_config_static_selectorELNS0_4arch9wavefront6targetE0EEEvSQ_
		.amdhsa_group_segment_fixed_size 0
		.amdhsa_private_segment_fixed_size 0
		.amdhsa_kernarg_size 56
		.amdhsa_user_sgpr_count 2
		.amdhsa_user_sgpr_dispatch_ptr 0
		.amdhsa_user_sgpr_queue_ptr 0
		.amdhsa_user_sgpr_kernarg_segment_ptr 1
		.amdhsa_user_sgpr_dispatch_id 0
		.amdhsa_user_sgpr_private_segment_size 0
		.amdhsa_wavefront_size32 1
		.amdhsa_uses_dynamic_stack 0
		.amdhsa_enable_private_segment 0
		.amdhsa_system_sgpr_workgroup_id_x 1
		.amdhsa_system_sgpr_workgroup_id_y 0
		.amdhsa_system_sgpr_workgroup_id_z 0
		.amdhsa_system_sgpr_workgroup_info 0
		.amdhsa_system_vgpr_workitem_id 0
		.amdhsa_next_free_vgpr 1
		.amdhsa_next_free_sgpr 1
		.amdhsa_reserve_vcc 0
		.amdhsa_float_round_mode_32 0
		.amdhsa_float_round_mode_16_64 0
		.amdhsa_float_denorm_mode_32 3
		.amdhsa_float_denorm_mode_16_64 3
		.amdhsa_fp16_overflow 0
		.amdhsa_workgroup_processor_mode 1
		.amdhsa_memory_ordered 1
		.amdhsa_forward_progress 1
		.amdhsa_inst_pref_size 0
		.amdhsa_round_robin_scheduling 0
		.amdhsa_exception_fp_ieee_invalid_op 0
		.amdhsa_exception_fp_denorm_src 0
		.amdhsa_exception_fp_ieee_div_zero 0
		.amdhsa_exception_fp_ieee_overflow 0
		.amdhsa_exception_fp_ieee_underflow 0
		.amdhsa_exception_fp_ieee_inexact 0
		.amdhsa_exception_int_div_zero 0
	.end_amdhsa_kernel
	.section	.text._ZN7rocprim17ROCPRIM_400000_NS6detail17trampoline_kernelINS0_14default_configENS1_22reduce_config_selectorIiEEZNS1_11reduce_implILb1ES3_PiS7_iN6hipcub16HIPCUB_304000_NS6detail34convert_binary_result_type_wrapperINS9_3SumENS9_22TransformInputIteratorIbN2at6native12_GLOBAL__N_19NonZeroOpIaEEPKalEEiEEEE10hipError_tPvRmT1_T2_T3_mT4_P12ihipStream_tbEUlT_E0_NS1_11comp_targetILNS1_3genE0ELNS1_11target_archE4294967295ELNS1_3gpuE0ELNS1_3repE0EEENS1_30default_config_static_selectorELNS0_4arch9wavefront6targetE0EEEvSQ_,"axG",@progbits,_ZN7rocprim17ROCPRIM_400000_NS6detail17trampoline_kernelINS0_14default_configENS1_22reduce_config_selectorIiEEZNS1_11reduce_implILb1ES3_PiS7_iN6hipcub16HIPCUB_304000_NS6detail34convert_binary_result_type_wrapperINS9_3SumENS9_22TransformInputIteratorIbN2at6native12_GLOBAL__N_19NonZeroOpIaEEPKalEEiEEEE10hipError_tPvRmT1_T2_T3_mT4_P12ihipStream_tbEUlT_E0_NS1_11comp_targetILNS1_3genE0ELNS1_11target_archE4294967295ELNS1_3gpuE0ELNS1_3repE0EEENS1_30default_config_static_selectorELNS0_4arch9wavefront6targetE0EEEvSQ_,comdat
.Lfunc_end82:
	.size	_ZN7rocprim17ROCPRIM_400000_NS6detail17trampoline_kernelINS0_14default_configENS1_22reduce_config_selectorIiEEZNS1_11reduce_implILb1ES3_PiS7_iN6hipcub16HIPCUB_304000_NS6detail34convert_binary_result_type_wrapperINS9_3SumENS9_22TransformInputIteratorIbN2at6native12_GLOBAL__N_19NonZeroOpIaEEPKalEEiEEEE10hipError_tPvRmT1_T2_T3_mT4_P12ihipStream_tbEUlT_E0_NS1_11comp_targetILNS1_3genE0ELNS1_11target_archE4294967295ELNS1_3gpuE0ELNS1_3repE0EEENS1_30default_config_static_selectorELNS0_4arch9wavefront6targetE0EEEvSQ_, .Lfunc_end82-_ZN7rocprim17ROCPRIM_400000_NS6detail17trampoline_kernelINS0_14default_configENS1_22reduce_config_selectorIiEEZNS1_11reduce_implILb1ES3_PiS7_iN6hipcub16HIPCUB_304000_NS6detail34convert_binary_result_type_wrapperINS9_3SumENS9_22TransformInputIteratorIbN2at6native12_GLOBAL__N_19NonZeroOpIaEEPKalEEiEEEE10hipError_tPvRmT1_T2_T3_mT4_P12ihipStream_tbEUlT_E0_NS1_11comp_targetILNS1_3genE0ELNS1_11target_archE4294967295ELNS1_3gpuE0ELNS1_3repE0EEENS1_30default_config_static_selectorELNS0_4arch9wavefront6targetE0EEEvSQ_
                                        ; -- End function
	.set _ZN7rocprim17ROCPRIM_400000_NS6detail17trampoline_kernelINS0_14default_configENS1_22reduce_config_selectorIiEEZNS1_11reduce_implILb1ES3_PiS7_iN6hipcub16HIPCUB_304000_NS6detail34convert_binary_result_type_wrapperINS9_3SumENS9_22TransformInputIteratorIbN2at6native12_GLOBAL__N_19NonZeroOpIaEEPKalEEiEEEE10hipError_tPvRmT1_T2_T3_mT4_P12ihipStream_tbEUlT_E0_NS1_11comp_targetILNS1_3genE0ELNS1_11target_archE4294967295ELNS1_3gpuE0ELNS1_3repE0EEENS1_30default_config_static_selectorELNS0_4arch9wavefront6targetE0EEEvSQ_.num_vgpr, 0
	.set _ZN7rocprim17ROCPRIM_400000_NS6detail17trampoline_kernelINS0_14default_configENS1_22reduce_config_selectorIiEEZNS1_11reduce_implILb1ES3_PiS7_iN6hipcub16HIPCUB_304000_NS6detail34convert_binary_result_type_wrapperINS9_3SumENS9_22TransformInputIteratorIbN2at6native12_GLOBAL__N_19NonZeroOpIaEEPKalEEiEEEE10hipError_tPvRmT1_T2_T3_mT4_P12ihipStream_tbEUlT_E0_NS1_11comp_targetILNS1_3genE0ELNS1_11target_archE4294967295ELNS1_3gpuE0ELNS1_3repE0EEENS1_30default_config_static_selectorELNS0_4arch9wavefront6targetE0EEEvSQ_.num_agpr, 0
	.set _ZN7rocprim17ROCPRIM_400000_NS6detail17trampoline_kernelINS0_14default_configENS1_22reduce_config_selectorIiEEZNS1_11reduce_implILb1ES3_PiS7_iN6hipcub16HIPCUB_304000_NS6detail34convert_binary_result_type_wrapperINS9_3SumENS9_22TransformInputIteratorIbN2at6native12_GLOBAL__N_19NonZeroOpIaEEPKalEEiEEEE10hipError_tPvRmT1_T2_T3_mT4_P12ihipStream_tbEUlT_E0_NS1_11comp_targetILNS1_3genE0ELNS1_11target_archE4294967295ELNS1_3gpuE0ELNS1_3repE0EEENS1_30default_config_static_selectorELNS0_4arch9wavefront6targetE0EEEvSQ_.numbered_sgpr, 0
	.set _ZN7rocprim17ROCPRIM_400000_NS6detail17trampoline_kernelINS0_14default_configENS1_22reduce_config_selectorIiEEZNS1_11reduce_implILb1ES3_PiS7_iN6hipcub16HIPCUB_304000_NS6detail34convert_binary_result_type_wrapperINS9_3SumENS9_22TransformInputIteratorIbN2at6native12_GLOBAL__N_19NonZeroOpIaEEPKalEEiEEEE10hipError_tPvRmT1_T2_T3_mT4_P12ihipStream_tbEUlT_E0_NS1_11comp_targetILNS1_3genE0ELNS1_11target_archE4294967295ELNS1_3gpuE0ELNS1_3repE0EEENS1_30default_config_static_selectorELNS0_4arch9wavefront6targetE0EEEvSQ_.num_named_barrier, 0
	.set _ZN7rocprim17ROCPRIM_400000_NS6detail17trampoline_kernelINS0_14default_configENS1_22reduce_config_selectorIiEEZNS1_11reduce_implILb1ES3_PiS7_iN6hipcub16HIPCUB_304000_NS6detail34convert_binary_result_type_wrapperINS9_3SumENS9_22TransformInputIteratorIbN2at6native12_GLOBAL__N_19NonZeroOpIaEEPKalEEiEEEE10hipError_tPvRmT1_T2_T3_mT4_P12ihipStream_tbEUlT_E0_NS1_11comp_targetILNS1_3genE0ELNS1_11target_archE4294967295ELNS1_3gpuE0ELNS1_3repE0EEENS1_30default_config_static_selectorELNS0_4arch9wavefront6targetE0EEEvSQ_.private_seg_size, 0
	.set _ZN7rocprim17ROCPRIM_400000_NS6detail17trampoline_kernelINS0_14default_configENS1_22reduce_config_selectorIiEEZNS1_11reduce_implILb1ES3_PiS7_iN6hipcub16HIPCUB_304000_NS6detail34convert_binary_result_type_wrapperINS9_3SumENS9_22TransformInputIteratorIbN2at6native12_GLOBAL__N_19NonZeroOpIaEEPKalEEiEEEE10hipError_tPvRmT1_T2_T3_mT4_P12ihipStream_tbEUlT_E0_NS1_11comp_targetILNS1_3genE0ELNS1_11target_archE4294967295ELNS1_3gpuE0ELNS1_3repE0EEENS1_30default_config_static_selectorELNS0_4arch9wavefront6targetE0EEEvSQ_.uses_vcc, 0
	.set _ZN7rocprim17ROCPRIM_400000_NS6detail17trampoline_kernelINS0_14default_configENS1_22reduce_config_selectorIiEEZNS1_11reduce_implILb1ES3_PiS7_iN6hipcub16HIPCUB_304000_NS6detail34convert_binary_result_type_wrapperINS9_3SumENS9_22TransformInputIteratorIbN2at6native12_GLOBAL__N_19NonZeroOpIaEEPKalEEiEEEE10hipError_tPvRmT1_T2_T3_mT4_P12ihipStream_tbEUlT_E0_NS1_11comp_targetILNS1_3genE0ELNS1_11target_archE4294967295ELNS1_3gpuE0ELNS1_3repE0EEENS1_30default_config_static_selectorELNS0_4arch9wavefront6targetE0EEEvSQ_.uses_flat_scratch, 0
	.set _ZN7rocprim17ROCPRIM_400000_NS6detail17trampoline_kernelINS0_14default_configENS1_22reduce_config_selectorIiEEZNS1_11reduce_implILb1ES3_PiS7_iN6hipcub16HIPCUB_304000_NS6detail34convert_binary_result_type_wrapperINS9_3SumENS9_22TransformInputIteratorIbN2at6native12_GLOBAL__N_19NonZeroOpIaEEPKalEEiEEEE10hipError_tPvRmT1_T2_T3_mT4_P12ihipStream_tbEUlT_E0_NS1_11comp_targetILNS1_3genE0ELNS1_11target_archE4294967295ELNS1_3gpuE0ELNS1_3repE0EEENS1_30default_config_static_selectorELNS0_4arch9wavefront6targetE0EEEvSQ_.has_dyn_sized_stack, 0
	.set _ZN7rocprim17ROCPRIM_400000_NS6detail17trampoline_kernelINS0_14default_configENS1_22reduce_config_selectorIiEEZNS1_11reduce_implILb1ES3_PiS7_iN6hipcub16HIPCUB_304000_NS6detail34convert_binary_result_type_wrapperINS9_3SumENS9_22TransformInputIteratorIbN2at6native12_GLOBAL__N_19NonZeroOpIaEEPKalEEiEEEE10hipError_tPvRmT1_T2_T3_mT4_P12ihipStream_tbEUlT_E0_NS1_11comp_targetILNS1_3genE0ELNS1_11target_archE4294967295ELNS1_3gpuE0ELNS1_3repE0EEENS1_30default_config_static_selectorELNS0_4arch9wavefront6targetE0EEEvSQ_.has_recursion, 0
	.set _ZN7rocprim17ROCPRIM_400000_NS6detail17trampoline_kernelINS0_14default_configENS1_22reduce_config_selectorIiEEZNS1_11reduce_implILb1ES3_PiS7_iN6hipcub16HIPCUB_304000_NS6detail34convert_binary_result_type_wrapperINS9_3SumENS9_22TransformInputIteratorIbN2at6native12_GLOBAL__N_19NonZeroOpIaEEPKalEEiEEEE10hipError_tPvRmT1_T2_T3_mT4_P12ihipStream_tbEUlT_E0_NS1_11comp_targetILNS1_3genE0ELNS1_11target_archE4294967295ELNS1_3gpuE0ELNS1_3repE0EEENS1_30default_config_static_selectorELNS0_4arch9wavefront6targetE0EEEvSQ_.has_indirect_call, 0
	.section	.AMDGPU.csdata,"",@progbits
; Kernel info:
; codeLenInByte = 0
; TotalNumSgprs: 0
; NumVgprs: 0
; ScratchSize: 0
; MemoryBound: 0
; FloatMode: 240
; IeeeMode: 1
; LDSByteSize: 0 bytes/workgroup (compile time only)
; SGPRBlocks: 0
; VGPRBlocks: 0
; NumSGPRsForWavesPerEU: 1
; NumVGPRsForWavesPerEU: 1
; Occupancy: 16
; WaveLimiterHint : 0
; COMPUTE_PGM_RSRC2:SCRATCH_EN: 0
; COMPUTE_PGM_RSRC2:USER_SGPR: 2
; COMPUTE_PGM_RSRC2:TRAP_HANDLER: 0
; COMPUTE_PGM_RSRC2:TGID_X_EN: 1
; COMPUTE_PGM_RSRC2:TGID_Y_EN: 0
; COMPUTE_PGM_RSRC2:TGID_Z_EN: 0
; COMPUTE_PGM_RSRC2:TIDIG_COMP_CNT: 0
	.section	.text._ZN7rocprim17ROCPRIM_400000_NS6detail17trampoline_kernelINS0_14default_configENS1_22reduce_config_selectorIiEEZNS1_11reduce_implILb1ES3_PiS7_iN6hipcub16HIPCUB_304000_NS6detail34convert_binary_result_type_wrapperINS9_3SumENS9_22TransformInputIteratorIbN2at6native12_GLOBAL__N_19NonZeroOpIaEEPKalEEiEEEE10hipError_tPvRmT1_T2_T3_mT4_P12ihipStream_tbEUlT_E0_NS1_11comp_targetILNS1_3genE5ELNS1_11target_archE942ELNS1_3gpuE9ELNS1_3repE0EEENS1_30default_config_static_selectorELNS0_4arch9wavefront6targetE0EEEvSQ_,"axG",@progbits,_ZN7rocprim17ROCPRIM_400000_NS6detail17trampoline_kernelINS0_14default_configENS1_22reduce_config_selectorIiEEZNS1_11reduce_implILb1ES3_PiS7_iN6hipcub16HIPCUB_304000_NS6detail34convert_binary_result_type_wrapperINS9_3SumENS9_22TransformInputIteratorIbN2at6native12_GLOBAL__N_19NonZeroOpIaEEPKalEEiEEEE10hipError_tPvRmT1_T2_T3_mT4_P12ihipStream_tbEUlT_E0_NS1_11comp_targetILNS1_3genE5ELNS1_11target_archE942ELNS1_3gpuE9ELNS1_3repE0EEENS1_30default_config_static_selectorELNS0_4arch9wavefront6targetE0EEEvSQ_,comdat
	.globl	_ZN7rocprim17ROCPRIM_400000_NS6detail17trampoline_kernelINS0_14default_configENS1_22reduce_config_selectorIiEEZNS1_11reduce_implILb1ES3_PiS7_iN6hipcub16HIPCUB_304000_NS6detail34convert_binary_result_type_wrapperINS9_3SumENS9_22TransformInputIteratorIbN2at6native12_GLOBAL__N_19NonZeroOpIaEEPKalEEiEEEE10hipError_tPvRmT1_T2_T3_mT4_P12ihipStream_tbEUlT_E0_NS1_11comp_targetILNS1_3genE5ELNS1_11target_archE942ELNS1_3gpuE9ELNS1_3repE0EEENS1_30default_config_static_selectorELNS0_4arch9wavefront6targetE0EEEvSQ_ ; -- Begin function _ZN7rocprim17ROCPRIM_400000_NS6detail17trampoline_kernelINS0_14default_configENS1_22reduce_config_selectorIiEEZNS1_11reduce_implILb1ES3_PiS7_iN6hipcub16HIPCUB_304000_NS6detail34convert_binary_result_type_wrapperINS9_3SumENS9_22TransformInputIteratorIbN2at6native12_GLOBAL__N_19NonZeroOpIaEEPKalEEiEEEE10hipError_tPvRmT1_T2_T3_mT4_P12ihipStream_tbEUlT_E0_NS1_11comp_targetILNS1_3genE5ELNS1_11target_archE942ELNS1_3gpuE9ELNS1_3repE0EEENS1_30default_config_static_selectorELNS0_4arch9wavefront6targetE0EEEvSQ_
	.p2align	8
	.type	_ZN7rocprim17ROCPRIM_400000_NS6detail17trampoline_kernelINS0_14default_configENS1_22reduce_config_selectorIiEEZNS1_11reduce_implILb1ES3_PiS7_iN6hipcub16HIPCUB_304000_NS6detail34convert_binary_result_type_wrapperINS9_3SumENS9_22TransformInputIteratorIbN2at6native12_GLOBAL__N_19NonZeroOpIaEEPKalEEiEEEE10hipError_tPvRmT1_T2_T3_mT4_P12ihipStream_tbEUlT_E0_NS1_11comp_targetILNS1_3genE5ELNS1_11target_archE942ELNS1_3gpuE9ELNS1_3repE0EEENS1_30default_config_static_selectorELNS0_4arch9wavefront6targetE0EEEvSQ_,@function
_ZN7rocprim17ROCPRIM_400000_NS6detail17trampoline_kernelINS0_14default_configENS1_22reduce_config_selectorIiEEZNS1_11reduce_implILb1ES3_PiS7_iN6hipcub16HIPCUB_304000_NS6detail34convert_binary_result_type_wrapperINS9_3SumENS9_22TransformInputIteratorIbN2at6native12_GLOBAL__N_19NonZeroOpIaEEPKalEEiEEEE10hipError_tPvRmT1_T2_T3_mT4_P12ihipStream_tbEUlT_E0_NS1_11comp_targetILNS1_3genE5ELNS1_11target_archE942ELNS1_3gpuE9ELNS1_3repE0EEENS1_30default_config_static_selectorELNS0_4arch9wavefront6targetE0EEEvSQ_: ; @_ZN7rocprim17ROCPRIM_400000_NS6detail17trampoline_kernelINS0_14default_configENS1_22reduce_config_selectorIiEEZNS1_11reduce_implILb1ES3_PiS7_iN6hipcub16HIPCUB_304000_NS6detail34convert_binary_result_type_wrapperINS9_3SumENS9_22TransformInputIteratorIbN2at6native12_GLOBAL__N_19NonZeroOpIaEEPKalEEiEEEE10hipError_tPvRmT1_T2_T3_mT4_P12ihipStream_tbEUlT_E0_NS1_11comp_targetILNS1_3genE5ELNS1_11target_archE942ELNS1_3gpuE9ELNS1_3repE0EEENS1_30default_config_static_selectorELNS0_4arch9wavefront6targetE0EEEvSQ_
; %bb.0:
	.section	.rodata,"a",@progbits
	.p2align	6, 0x0
	.amdhsa_kernel _ZN7rocprim17ROCPRIM_400000_NS6detail17trampoline_kernelINS0_14default_configENS1_22reduce_config_selectorIiEEZNS1_11reduce_implILb1ES3_PiS7_iN6hipcub16HIPCUB_304000_NS6detail34convert_binary_result_type_wrapperINS9_3SumENS9_22TransformInputIteratorIbN2at6native12_GLOBAL__N_19NonZeroOpIaEEPKalEEiEEEE10hipError_tPvRmT1_T2_T3_mT4_P12ihipStream_tbEUlT_E0_NS1_11comp_targetILNS1_3genE5ELNS1_11target_archE942ELNS1_3gpuE9ELNS1_3repE0EEENS1_30default_config_static_selectorELNS0_4arch9wavefront6targetE0EEEvSQ_
		.amdhsa_group_segment_fixed_size 0
		.amdhsa_private_segment_fixed_size 0
		.amdhsa_kernarg_size 56
		.amdhsa_user_sgpr_count 2
		.amdhsa_user_sgpr_dispatch_ptr 0
		.amdhsa_user_sgpr_queue_ptr 0
		.amdhsa_user_sgpr_kernarg_segment_ptr 1
		.amdhsa_user_sgpr_dispatch_id 0
		.amdhsa_user_sgpr_private_segment_size 0
		.amdhsa_wavefront_size32 1
		.amdhsa_uses_dynamic_stack 0
		.amdhsa_enable_private_segment 0
		.amdhsa_system_sgpr_workgroup_id_x 1
		.amdhsa_system_sgpr_workgroup_id_y 0
		.amdhsa_system_sgpr_workgroup_id_z 0
		.amdhsa_system_sgpr_workgroup_info 0
		.amdhsa_system_vgpr_workitem_id 0
		.amdhsa_next_free_vgpr 1
		.amdhsa_next_free_sgpr 1
		.amdhsa_reserve_vcc 0
		.amdhsa_float_round_mode_32 0
		.amdhsa_float_round_mode_16_64 0
		.amdhsa_float_denorm_mode_32 3
		.amdhsa_float_denorm_mode_16_64 3
		.amdhsa_fp16_overflow 0
		.amdhsa_workgroup_processor_mode 1
		.amdhsa_memory_ordered 1
		.amdhsa_forward_progress 1
		.amdhsa_inst_pref_size 0
		.amdhsa_round_robin_scheduling 0
		.amdhsa_exception_fp_ieee_invalid_op 0
		.amdhsa_exception_fp_denorm_src 0
		.amdhsa_exception_fp_ieee_div_zero 0
		.amdhsa_exception_fp_ieee_overflow 0
		.amdhsa_exception_fp_ieee_underflow 0
		.amdhsa_exception_fp_ieee_inexact 0
		.amdhsa_exception_int_div_zero 0
	.end_amdhsa_kernel
	.section	.text._ZN7rocprim17ROCPRIM_400000_NS6detail17trampoline_kernelINS0_14default_configENS1_22reduce_config_selectorIiEEZNS1_11reduce_implILb1ES3_PiS7_iN6hipcub16HIPCUB_304000_NS6detail34convert_binary_result_type_wrapperINS9_3SumENS9_22TransformInputIteratorIbN2at6native12_GLOBAL__N_19NonZeroOpIaEEPKalEEiEEEE10hipError_tPvRmT1_T2_T3_mT4_P12ihipStream_tbEUlT_E0_NS1_11comp_targetILNS1_3genE5ELNS1_11target_archE942ELNS1_3gpuE9ELNS1_3repE0EEENS1_30default_config_static_selectorELNS0_4arch9wavefront6targetE0EEEvSQ_,"axG",@progbits,_ZN7rocprim17ROCPRIM_400000_NS6detail17trampoline_kernelINS0_14default_configENS1_22reduce_config_selectorIiEEZNS1_11reduce_implILb1ES3_PiS7_iN6hipcub16HIPCUB_304000_NS6detail34convert_binary_result_type_wrapperINS9_3SumENS9_22TransformInputIteratorIbN2at6native12_GLOBAL__N_19NonZeroOpIaEEPKalEEiEEEE10hipError_tPvRmT1_T2_T3_mT4_P12ihipStream_tbEUlT_E0_NS1_11comp_targetILNS1_3genE5ELNS1_11target_archE942ELNS1_3gpuE9ELNS1_3repE0EEENS1_30default_config_static_selectorELNS0_4arch9wavefront6targetE0EEEvSQ_,comdat
.Lfunc_end83:
	.size	_ZN7rocprim17ROCPRIM_400000_NS6detail17trampoline_kernelINS0_14default_configENS1_22reduce_config_selectorIiEEZNS1_11reduce_implILb1ES3_PiS7_iN6hipcub16HIPCUB_304000_NS6detail34convert_binary_result_type_wrapperINS9_3SumENS9_22TransformInputIteratorIbN2at6native12_GLOBAL__N_19NonZeroOpIaEEPKalEEiEEEE10hipError_tPvRmT1_T2_T3_mT4_P12ihipStream_tbEUlT_E0_NS1_11comp_targetILNS1_3genE5ELNS1_11target_archE942ELNS1_3gpuE9ELNS1_3repE0EEENS1_30default_config_static_selectorELNS0_4arch9wavefront6targetE0EEEvSQ_, .Lfunc_end83-_ZN7rocprim17ROCPRIM_400000_NS6detail17trampoline_kernelINS0_14default_configENS1_22reduce_config_selectorIiEEZNS1_11reduce_implILb1ES3_PiS7_iN6hipcub16HIPCUB_304000_NS6detail34convert_binary_result_type_wrapperINS9_3SumENS9_22TransformInputIteratorIbN2at6native12_GLOBAL__N_19NonZeroOpIaEEPKalEEiEEEE10hipError_tPvRmT1_T2_T3_mT4_P12ihipStream_tbEUlT_E0_NS1_11comp_targetILNS1_3genE5ELNS1_11target_archE942ELNS1_3gpuE9ELNS1_3repE0EEENS1_30default_config_static_selectorELNS0_4arch9wavefront6targetE0EEEvSQ_
                                        ; -- End function
	.set _ZN7rocprim17ROCPRIM_400000_NS6detail17trampoline_kernelINS0_14default_configENS1_22reduce_config_selectorIiEEZNS1_11reduce_implILb1ES3_PiS7_iN6hipcub16HIPCUB_304000_NS6detail34convert_binary_result_type_wrapperINS9_3SumENS9_22TransformInputIteratorIbN2at6native12_GLOBAL__N_19NonZeroOpIaEEPKalEEiEEEE10hipError_tPvRmT1_T2_T3_mT4_P12ihipStream_tbEUlT_E0_NS1_11comp_targetILNS1_3genE5ELNS1_11target_archE942ELNS1_3gpuE9ELNS1_3repE0EEENS1_30default_config_static_selectorELNS0_4arch9wavefront6targetE0EEEvSQ_.num_vgpr, 0
	.set _ZN7rocprim17ROCPRIM_400000_NS6detail17trampoline_kernelINS0_14default_configENS1_22reduce_config_selectorIiEEZNS1_11reduce_implILb1ES3_PiS7_iN6hipcub16HIPCUB_304000_NS6detail34convert_binary_result_type_wrapperINS9_3SumENS9_22TransformInputIteratorIbN2at6native12_GLOBAL__N_19NonZeroOpIaEEPKalEEiEEEE10hipError_tPvRmT1_T2_T3_mT4_P12ihipStream_tbEUlT_E0_NS1_11comp_targetILNS1_3genE5ELNS1_11target_archE942ELNS1_3gpuE9ELNS1_3repE0EEENS1_30default_config_static_selectorELNS0_4arch9wavefront6targetE0EEEvSQ_.num_agpr, 0
	.set _ZN7rocprim17ROCPRIM_400000_NS6detail17trampoline_kernelINS0_14default_configENS1_22reduce_config_selectorIiEEZNS1_11reduce_implILb1ES3_PiS7_iN6hipcub16HIPCUB_304000_NS6detail34convert_binary_result_type_wrapperINS9_3SumENS9_22TransformInputIteratorIbN2at6native12_GLOBAL__N_19NonZeroOpIaEEPKalEEiEEEE10hipError_tPvRmT1_T2_T3_mT4_P12ihipStream_tbEUlT_E0_NS1_11comp_targetILNS1_3genE5ELNS1_11target_archE942ELNS1_3gpuE9ELNS1_3repE0EEENS1_30default_config_static_selectorELNS0_4arch9wavefront6targetE0EEEvSQ_.numbered_sgpr, 0
	.set _ZN7rocprim17ROCPRIM_400000_NS6detail17trampoline_kernelINS0_14default_configENS1_22reduce_config_selectorIiEEZNS1_11reduce_implILb1ES3_PiS7_iN6hipcub16HIPCUB_304000_NS6detail34convert_binary_result_type_wrapperINS9_3SumENS9_22TransformInputIteratorIbN2at6native12_GLOBAL__N_19NonZeroOpIaEEPKalEEiEEEE10hipError_tPvRmT1_T2_T3_mT4_P12ihipStream_tbEUlT_E0_NS1_11comp_targetILNS1_3genE5ELNS1_11target_archE942ELNS1_3gpuE9ELNS1_3repE0EEENS1_30default_config_static_selectorELNS0_4arch9wavefront6targetE0EEEvSQ_.num_named_barrier, 0
	.set _ZN7rocprim17ROCPRIM_400000_NS6detail17trampoline_kernelINS0_14default_configENS1_22reduce_config_selectorIiEEZNS1_11reduce_implILb1ES3_PiS7_iN6hipcub16HIPCUB_304000_NS6detail34convert_binary_result_type_wrapperINS9_3SumENS9_22TransformInputIteratorIbN2at6native12_GLOBAL__N_19NonZeroOpIaEEPKalEEiEEEE10hipError_tPvRmT1_T2_T3_mT4_P12ihipStream_tbEUlT_E0_NS1_11comp_targetILNS1_3genE5ELNS1_11target_archE942ELNS1_3gpuE9ELNS1_3repE0EEENS1_30default_config_static_selectorELNS0_4arch9wavefront6targetE0EEEvSQ_.private_seg_size, 0
	.set _ZN7rocprim17ROCPRIM_400000_NS6detail17trampoline_kernelINS0_14default_configENS1_22reduce_config_selectorIiEEZNS1_11reduce_implILb1ES3_PiS7_iN6hipcub16HIPCUB_304000_NS6detail34convert_binary_result_type_wrapperINS9_3SumENS9_22TransformInputIteratorIbN2at6native12_GLOBAL__N_19NonZeroOpIaEEPKalEEiEEEE10hipError_tPvRmT1_T2_T3_mT4_P12ihipStream_tbEUlT_E0_NS1_11comp_targetILNS1_3genE5ELNS1_11target_archE942ELNS1_3gpuE9ELNS1_3repE0EEENS1_30default_config_static_selectorELNS0_4arch9wavefront6targetE0EEEvSQ_.uses_vcc, 0
	.set _ZN7rocprim17ROCPRIM_400000_NS6detail17trampoline_kernelINS0_14default_configENS1_22reduce_config_selectorIiEEZNS1_11reduce_implILb1ES3_PiS7_iN6hipcub16HIPCUB_304000_NS6detail34convert_binary_result_type_wrapperINS9_3SumENS9_22TransformInputIteratorIbN2at6native12_GLOBAL__N_19NonZeroOpIaEEPKalEEiEEEE10hipError_tPvRmT1_T2_T3_mT4_P12ihipStream_tbEUlT_E0_NS1_11comp_targetILNS1_3genE5ELNS1_11target_archE942ELNS1_3gpuE9ELNS1_3repE0EEENS1_30default_config_static_selectorELNS0_4arch9wavefront6targetE0EEEvSQ_.uses_flat_scratch, 0
	.set _ZN7rocprim17ROCPRIM_400000_NS6detail17trampoline_kernelINS0_14default_configENS1_22reduce_config_selectorIiEEZNS1_11reduce_implILb1ES3_PiS7_iN6hipcub16HIPCUB_304000_NS6detail34convert_binary_result_type_wrapperINS9_3SumENS9_22TransformInputIteratorIbN2at6native12_GLOBAL__N_19NonZeroOpIaEEPKalEEiEEEE10hipError_tPvRmT1_T2_T3_mT4_P12ihipStream_tbEUlT_E0_NS1_11comp_targetILNS1_3genE5ELNS1_11target_archE942ELNS1_3gpuE9ELNS1_3repE0EEENS1_30default_config_static_selectorELNS0_4arch9wavefront6targetE0EEEvSQ_.has_dyn_sized_stack, 0
	.set _ZN7rocprim17ROCPRIM_400000_NS6detail17trampoline_kernelINS0_14default_configENS1_22reduce_config_selectorIiEEZNS1_11reduce_implILb1ES3_PiS7_iN6hipcub16HIPCUB_304000_NS6detail34convert_binary_result_type_wrapperINS9_3SumENS9_22TransformInputIteratorIbN2at6native12_GLOBAL__N_19NonZeroOpIaEEPKalEEiEEEE10hipError_tPvRmT1_T2_T3_mT4_P12ihipStream_tbEUlT_E0_NS1_11comp_targetILNS1_3genE5ELNS1_11target_archE942ELNS1_3gpuE9ELNS1_3repE0EEENS1_30default_config_static_selectorELNS0_4arch9wavefront6targetE0EEEvSQ_.has_recursion, 0
	.set _ZN7rocprim17ROCPRIM_400000_NS6detail17trampoline_kernelINS0_14default_configENS1_22reduce_config_selectorIiEEZNS1_11reduce_implILb1ES3_PiS7_iN6hipcub16HIPCUB_304000_NS6detail34convert_binary_result_type_wrapperINS9_3SumENS9_22TransformInputIteratorIbN2at6native12_GLOBAL__N_19NonZeroOpIaEEPKalEEiEEEE10hipError_tPvRmT1_T2_T3_mT4_P12ihipStream_tbEUlT_E0_NS1_11comp_targetILNS1_3genE5ELNS1_11target_archE942ELNS1_3gpuE9ELNS1_3repE0EEENS1_30default_config_static_selectorELNS0_4arch9wavefront6targetE0EEEvSQ_.has_indirect_call, 0
	.section	.AMDGPU.csdata,"",@progbits
; Kernel info:
; codeLenInByte = 0
; TotalNumSgprs: 0
; NumVgprs: 0
; ScratchSize: 0
; MemoryBound: 0
; FloatMode: 240
; IeeeMode: 1
; LDSByteSize: 0 bytes/workgroup (compile time only)
; SGPRBlocks: 0
; VGPRBlocks: 0
; NumSGPRsForWavesPerEU: 1
; NumVGPRsForWavesPerEU: 1
; Occupancy: 16
; WaveLimiterHint : 0
; COMPUTE_PGM_RSRC2:SCRATCH_EN: 0
; COMPUTE_PGM_RSRC2:USER_SGPR: 2
; COMPUTE_PGM_RSRC2:TRAP_HANDLER: 0
; COMPUTE_PGM_RSRC2:TGID_X_EN: 1
; COMPUTE_PGM_RSRC2:TGID_Y_EN: 0
; COMPUTE_PGM_RSRC2:TGID_Z_EN: 0
; COMPUTE_PGM_RSRC2:TIDIG_COMP_CNT: 0
	.section	.text._ZN7rocprim17ROCPRIM_400000_NS6detail17trampoline_kernelINS0_14default_configENS1_22reduce_config_selectorIiEEZNS1_11reduce_implILb1ES3_PiS7_iN6hipcub16HIPCUB_304000_NS6detail34convert_binary_result_type_wrapperINS9_3SumENS9_22TransformInputIteratorIbN2at6native12_GLOBAL__N_19NonZeroOpIaEEPKalEEiEEEE10hipError_tPvRmT1_T2_T3_mT4_P12ihipStream_tbEUlT_E0_NS1_11comp_targetILNS1_3genE4ELNS1_11target_archE910ELNS1_3gpuE8ELNS1_3repE0EEENS1_30default_config_static_selectorELNS0_4arch9wavefront6targetE0EEEvSQ_,"axG",@progbits,_ZN7rocprim17ROCPRIM_400000_NS6detail17trampoline_kernelINS0_14default_configENS1_22reduce_config_selectorIiEEZNS1_11reduce_implILb1ES3_PiS7_iN6hipcub16HIPCUB_304000_NS6detail34convert_binary_result_type_wrapperINS9_3SumENS9_22TransformInputIteratorIbN2at6native12_GLOBAL__N_19NonZeroOpIaEEPKalEEiEEEE10hipError_tPvRmT1_T2_T3_mT4_P12ihipStream_tbEUlT_E0_NS1_11comp_targetILNS1_3genE4ELNS1_11target_archE910ELNS1_3gpuE8ELNS1_3repE0EEENS1_30default_config_static_selectorELNS0_4arch9wavefront6targetE0EEEvSQ_,comdat
	.globl	_ZN7rocprim17ROCPRIM_400000_NS6detail17trampoline_kernelINS0_14default_configENS1_22reduce_config_selectorIiEEZNS1_11reduce_implILb1ES3_PiS7_iN6hipcub16HIPCUB_304000_NS6detail34convert_binary_result_type_wrapperINS9_3SumENS9_22TransformInputIteratorIbN2at6native12_GLOBAL__N_19NonZeroOpIaEEPKalEEiEEEE10hipError_tPvRmT1_T2_T3_mT4_P12ihipStream_tbEUlT_E0_NS1_11comp_targetILNS1_3genE4ELNS1_11target_archE910ELNS1_3gpuE8ELNS1_3repE0EEENS1_30default_config_static_selectorELNS0_4arch9wavefront6targetE0EEEvSQ_ ; -- Begin function _ZN7rocprim17ROCPRIM_400000_NS6detail17trampoline_kernelINS0_14default_configENS1_22reduce_config_selectorIiEEZNS1_11reduce_implILb1ES3_PiS7_iN6hipcub16HIPCUB_304000_NS6detail34convert_binary_result_type_wrapperINS9_3SumENS9_22TransformInputIteratorIbN2at6native12_GLOBAL__N_19NonZeroOpIaEEPKalEEiEEEE10hipError_tPvRmT1_T2_T3_mT4_P12ihipStream_tbEUlT_E0_NS1_11comp_targetILNS1_3genE4ELNS1_11target_archE910ELNS1_3gpuE8ELNS1_3repE0EEENS1_30default_config_static_selectorELNS0_4arch9wavefront6targetE0EEEvSQ_
	.p2align	8
	.type	_ZN7rocprim17ROCPRIM_400000_NS6detail17trampoline_kernelINS0_14default_configENS1_22reduce_config_selectorIiEEZNS1_11reduce_implILb1ES3_PiS7_iN6hipcub16HIPCUB_304000_NS6detail34convert_binary_result_type_wrapperINS9_3SumENS9_22TransformInputIteratorIbN2at6native12_GLOBAL__N_19NonZeroOpIaEEPKalEEiEEEE10hipError_tPvRmT1_T2_T3_mT4_P12ihipStream_tbEUlT_E0_NS1_11comp_targetILNS1_3genE4ELNS1_11target_archE910ELNS1_3gpuE8ELNS1_3repE0EEENS1_30default_config_static_selectorELNS0_4arch9wavefront6targetE0EEEvSQ_,@function
_ZN7rocprim17ROCPRIM_400000_NS6detail17trampoline_kernelINS0_14default_configENS1_22reduce_config_selectorIiEEZNS1_11reduce_implILb1ES3_PiS7_iN6hipcub16HIPCUB_304000_NS6detail34convert_binary_result_type_wrapperINS9_3SumENS9_22TransformInputIteratorIbN2at6native12_GLOBAL__N_19NonZeroOpIaEEPKalEEiEEEE10hipError_tPvRmT1_T2_T3_mT4_P12ihipStream_tbEUlT_E0_NS1_11comp_targetILNS1_3genE4ELNS1_11target_archE910ELNS1_3gpuE8ELNS1_3repE0EEENS1_30default_config_static_selectorELNS0_4arch9wavefront6targetE0EEEvSQ_: ; @_ZN7rocprim17ROCPRIM_400000_NS6detail17trampoline_kernelINS0_14default_configENS1_22reduce_config_selectorIiEEZNS1_11reduce_implILb1ES3_PiS7_iN6hipcub16HIPCUB_304000_NS6detail34convert_binary_result_type_wrapperINS9_3SumENS9_22TransformInputIteratorIbN2at6native12_GLOBAL__N_19NonZeroOpIaEEPKalEEiEEEE10hipError_tPvRmT1_T2_T3_mT4_P12ihipStream_tbEUlT_E0_NS1_11comp_targetILNS1_3genE4ELNS1_11target_archE910ELNS1_3gpuE8ELNS1_3repE0EEENS1_30default_config_static_selectorELNS0_4arch9wavefront6targetE0EEEvSQ_
; %bb.0:
	.section	.rodata,"a",@progbits
	.p2align	6, 0x0
	.amdhsa_kernel _ZN7rocprim17ROCPRIM_400000_NS6detail17trampoline_kernelINS0_14default_configENS1_22reduce_config_selectorIiEEZNS1_11reduce_implILb1ES3_PiS7_iN6hipcub16HIPCUB_304000_NS6detail34convert_binary_result_type_wrapperINS9_3SumENS9_22TransformInputIteratorIbN2at6native12_GLOBAL__N_19NonZeroOpIaEEPKalEEiEEEE10hipError_tPvRmT1_T2_T3_mT4_P12ihipStream_tbEUlT_E0_NS1_11comp_targetILNS1_3genE4ELNS1_11target_archE910ELNS1_3gpuE8ELNS1_3repE0EEENS1_30default_config_static_selectorELNS0_4arch9wavefront6targetE0EEEvSQ_
		.amdhsa_group_segment_fixed_size 0
		.amdhsa_private_segment_fixed_size 0
		.amdhsa_kernarg_size 56
		.amdhsa_user_sgpr_count 2
		.amdhsa_user_sgpr_dispatch_ptr 0
		.amdhsa_user_sgpr_queue_ptr 0
		.amdhsa_user_sgpr_kernarg_segment_ptr 1
		.amdhsa_user_sgpr_dispatch_id 0
		.amdhsa_user_sgpr_private_segment_size 0
		.amdhsa_wavefront_size32 1
		.amdhsa_uses_dynamic_stack 0
		.amdhsa_enable_private_segment 0
		.amdhsa_system_sgpr_workgroup_id_x 1
		.amdhsa_system_sgpr_workgroup_id_y 0
		.amdhsa_system_sgpr_workgroup_id_z 0
		.amdhsa_system_sgpr_workgroup_info 0
		.amdhsa_system_vgpr_workitem_id 0
		.amdhsa_next_free_vgpr 1
		.amdhsa_next_free_sgpr 1
		.amdhsa_reserve_vcc 0
		.amdhsa_float_round_mode_32 0
		.amdhsa_float_round_mode_16_64 0
		.amdhsa_float_denorm_mode_32 3
		.amdhsa_float_denorm_mode_16_64 3
		.amdhsa_fp16_overflow 0
		.amdhsa_workgroup_processor_mode 1
		.amdhsa_memory_ordered 1
		.amdhsa_forward_progress 1
		.amdhsa_inst_pref_size 0
		.amdhsa_round_robin_scheduling 0
		.amdhsa_exception_fp_ieee_invalid_op 0
		.amdhsa_exception_fp_denorm_src 0
		.amdhsa_exception_fp_ieee_div_zero 0
		.amdhsa_exception_fp_ieee_overflow 0
		.amdhsa_exception_fp_ieee_underflow 0
		.amdhsa_exception_fp_ieee_inexact 0
		.amdhsa_exception_int_div_zero 0
	.end_amdhsa_kernel
	.section	.text._ZN7rocprim17ROCPRIM_400000_NS6detail17trampoline_kernelINS0_14default_configENS1_22reduce_config_selectorIiEEZNS1_11reduce_implILb1ES3_PiS7_iN6hipcub16HIPCUB_304000_NS6detail34convert_binary_result_type_wrapperINS9_3SumENS9_22TransformInputIteratorIbN2at6native12_GLOBAL__N_19NonZeroOpIaEEPKalEEiEEEE10hipError_tPvRmT1_T2_T3_mT4_P12ihipStream_tbEUlT_E0_NS1_11comp_targetILNS1_3genE4ELNS1_11target_archE910ELNS1_3gpuE8ELNS1_3repE0EEENS1_30default_config_static_selectorELNS0_4arch9wavefront6targetE0EEEvSQ_,"axG",@progbits,_ZN7rocprim17ROCPRIM_400000_NS6detail17trampoline_kernelINS0_14default_configENS1_22reduce_config_selectorIiEEZNS1_11reduce_implILb1ES3_PiS7_iN6hipcub16HIPCUB_304000_NS6detail34convert_binary_result_type_wrapperINS9_3SumENS9_22TransformInputIteratorIbN2at6native12_GLOBAL__N_19NonZeroOpIaEEPKalEEiEEEE10hipError_tPvRmT1_T2_T3_mT4_P12ihipStream_tbEUlT_E0_NS1_11comp_targetILNS1_3genE4ELNS1_11target_archE910ELNS1_3gpuE8ELNS1_3repE0EEENS1_30default_config_static_selectorELNS0_4arch9wavefront6targetE0EEEvSQ_,comdat
.Lfunc_end84:
	.size	_ZN7rocprim17ROCPRIM_400000_NS6detail17trampoline_kernelINS0_14default_configENS1_22reduce_config_selectorIiEEZNS1_11reduce_implILb1ES3_PiS7_iN6hipcub16HIPCUB_304000_NS6detail34convert_binary_result_type_wrapperINS9_3SumENS9_22TransformInputIteratorIbN2at6native12_GLOBAL__N_19NonZeroOpIaEEPKalEEiEEEE10hipError_tPvRmT1_T2_T3_mT4_P12ihipStream_tbEUlT_E0_NS1_11comp_targetILNS1_3genE4ELNS1_11target_archE910ELNS1_3gpuE8ELNS1_3repE0EEENS1_30default_config_static_selectorELNS0_4arch9wavefront6targetE0EEEvSQ_, .Lfunc_end84-_ZN7rocprim17ROCPRIM_400000_NS6detail17trampoline_kernelINS0_14default_configENS1_22reduce_config_selectorIiEEZNS1_11reduce_implILb1ES3_PiS7_iN6hipcub16HIPCUB_304000_NS6detail34convert_binary_result_type_wrapperINS9_3SumENS9_22TransformInputIteratorIbN2at6native12_GLOBAL__N_19NonZeroOpIaEEPKalEEiEEEE10hipError_tPvRmT1_T2_T3_mT4_P12ihipStream_tbEUlT_E0_NS1_11comp_targetILNS1_3genE4ELNS1_11target_archE910ELNS1_3gpuE8ELNS1_3repE0EEENS1_30default_config_static_selectorELNS0_4arch9wavefront6targetE0EEEvSQ_
                                        ; -- End function
	.set _ZN7rocprim17ROCPRIM_400000_NS6detail17trampoline_kernelINS0_14default_configENS1_22reduce_config_selectorIiEEZNS1_11reduce_implILb1ES3_PiS7_iN6hipcub16HIPCUB_304000_NS6detail34convert_binary_result_type_wrapperINS9_3SumENS9_22TransformInputIteratorIbN2at6native12_GLOBAL__N_19NonZeroOpIaEEPKalEEiEEEE10hipError_tPvRmT1_T2_T3_mT4_P12ihipStream_tbEUlT_E0_NS1_11comp_targetILNS1_3genE4ELNS1_11target_archE910ELNS1_3gpuE8ELNS1_3repE0EEENS1_30default_config_static_selectorELNS0_4arch9wavefront6targetE0EEEvSQ_.num_vgpr, 0
	.set _ZN7rocprim17ROCPRIM_400000_NS6detail17trampoline_kernelINS0_14default_configENS1_22reduce_config_selectorIiEEZNS1_11reduce_implILb1ES3_PiS7_iN6hipcub16HIPCUB_304000_NS6detail34convert_binary_result_type_wrapperINS9_3SumENS9_22TransformInputIteratorIbN2at6native12_GLOBAL__N_19NonZeroOpIaEEPKalEEiEEEE10hipError_tPvRmT1_T2_T3_mT4_P12ihipStream_tbEUlT_E0_NS1_11comp_targetILNS1_3genE4ELNS1_11target_archE910ELNS1_3gpuE8ELNS1_3repE0EEENS1_30default_config_static_selectorELNS0_4arch9wavefront6targetE0EEEvSQ_.num_agpr, 0
	.set _ZN7rocprim17ROCPRIM_400000_NS6detail17trampoline_kernelINS0_14default_configENS1_22reduce_config_selectorIiEEZNS1_11reduce_implILb1ES3_PiS7_iN6hipcub16HIPCUB_304000_NS6detail34convert_binary_result_type_wrapperINS9_3SumENS9_22TransformInputIteratorIbN2at6native12_GLOBAL__N_19NonZeroOpIaEEPKalEEiEEEE10hipError_tPvRmT1_T2_T3_mT4_P12ihipStream_tbEUlT_E0_NS1_11comp_targetILNS1_3genE4ELNS1_11target_archE910ELNS1_3gpuE8ELNS1_3repE0EEENS1_30default_config_static_selectorELNS0_4arch9wavefront6targetE0EEEvSQ_.numbered_sgpr, 0
	.set _ZN7rocprim17ROCPRIM_400000_NS6detail17trampoline_kernelINS0_14default_configENS1_22reduce_config_selectorIiEEZNS1_11reduce_implILb1ES3_PiS7_iN6hipcub16HIPCUB_304000_NS6detail34convert_binary_result_type_wrapperINS9_3SumENS9_22TransformInputIteratorIbN2at6native12_GLOBAL__N_19NonZeroOpIaEEPKalEEiEEEE10hipError_tPvRmT1_T2_T3_mT4_P12ihipStream_tbEUlT_E0_NS1_11comp_targetILNS1_3genE4ELNS1_11target_archE910ELNS1_3gpuE8ELNS1_3repE0EEENS1_30default_config_static_selectorELNS0_4arch9wavefront6targetE0EEEvSQ_.num_named_barrier, 0
	.set _ZN7rocprim17ROCPRIM_400000_NS6detail17trampoline_kernelINS0_14default_configENS1_22reduce_config_selectorIiEEZNS1_11reduce_implILb1ES3_PiS7_iN6hipcub16HIPCUB_304000_NS6detail34convert_binary_result_type_wrapperINS9_3SumENS9_22TransformInputIteratorIbN2at6native12_GLOBAL__N_19NonZeroOpIaEEPKalEEiEEEE10hipError_tPvRmT1_T2_T3_mT4_P12ihipStream_tbEUlT_E0_NS1_11comp_targetILNS1_3genE4ELNS1_11target_archE910ELNS1_3gpuE8ELNS1_3repE0EEENS1_30default_config_static_selectorELNS0_4arch9wavefront6targetE0EEEvSQ_.private_seg_size, 0
	.set _ZN7rocprim17ROCPRIM_400000_NS6detail17trampoline_kernelINS0_14default_configENS1_22reduce_config_selectorIiEEZNS1_11reduce_implILb1ES3_PiS7_iN6hipcub16HIPCUB_304000_NS6detail34convert_binary_result_type_wrapperINS9_3SumENS9_22TransformInputIteratorIbN2at6native12_GLOBAL__N_19NonZeroOpIaEEPKalEEiEEEE10hipError_tPvRmT1_T2_T3_mT4_P12ihipStream_tbEUlT_E0_NS1_11comp_targetILNS1_3genE4ELNS1_11target_archE910ELNS1_3gpuE8ELNS1_3repE0EEENS1_30default_config_static_selectorELNS0_4arch9wavefront6targetE0EEEvSQ_.uses_vcc, 0
	.set _ZN7rocprim17ROCPRIM_400000_NS6detail17trampoline_kernelINS0_14default_configENS1_22reduce_config_selectorIiEEZNS1_11reduce_implILb1ES3_PiS7_iN6hipcub16HIPCUB_304000_NS6detail34convert_binary_result_type_wrapperINS9_3SumENS9_22TransformInputIteratorIbN2at6native12_GLOBAL__N_19NonZeroOpIaEEPKalEEiEEEE10hipError_tPvRmT1_T2_T3_mT4_P12ihipStream_tbEUlT_E0_NS1_11comp_targetILNS1_3genE4ELNS1_11target_archE910ELNS1_3gpuE8ELNS1_3repE0EEENS1_30default_config_static_selectorELNS0_4arch9wavefront6targetE0EEEvSQ_.uses_flat_scratch, 0
	.set _ZN7rocprim17ROCPRIM_400000_NS6detail17trampoline_kernelINS0_14default_configENS1_22reduce_config_selectorIiEEZNS1_11reduce_implILb1ES3_PiS7_iN6hipcub16HIPCUB_304000_NS6detail34convert_binary_result_type_wrapperINS9_3SumENS9_22TransformInputIteratorIbN2at6native12_GLOBAL__N_19NonZeroOpIaEEPKalEEiEEEE10hipError_tPvRmT1_T2_T3_mT4_P12ihipStream_tbEUlT_E0_NS1_11comp_targetILNS1_3genE4ELNS1_11target_archE910ELNS1_3gpuE8ELNS1_3repE0EEENS1_30default_config_static_selectorELNS0_4arch9wavefront6targetE0EEEvSQ_.has_dyn_sized_stack, 0
	.set _ZN7rocprim17ROCPRIM_400000_NS6detail17trampoline_kernelINS0_14default_configENS1_22reduce_config_selectorIiEEZNS1_11reduce_implILb1ES3_PiS7_iN6hipcub16HIPCUB_304000_NS6detail34convert_binary_result_type_wrapperINS9_3SumENS9_22TransformInputIteratorIbN2at6native12_GLOBAL__N_19NonZeroOpIaEEPKalEEiEEEE10hipError_tPvRmT1_T2_T3_mT4_P12ihipStream_tbEUlT_E0_NS1_11comp_targetILNS1_3genE4ELNS1_11target_archE910ELNS1_3gpuE8ELNS1_3repE0EEENS1_30default_config_static_selectorELNS0_4arch9wavefront6targetE0EEEvSQ_.has_recursion, 0
	.set _ZN7rocprim17ROCPRIM_400000_NS6detail17trampoline_kernelINS0_14default_configENS1_22reduce_config_selectorIiEEZNS1_11reduce_implILb1ES3_PiS7_iN6hipcub16HIPCUB_304000_NS6detail34convert_binary_result_type_wrapperINS9_3SumENS9_22TransformInputIteratorIbN2at6native12_GLOBAL__N_19NonZeroOpIaEEPKalEEiEEEE10hipError_tPvRmT1_T2_T3_mT4_P12ihipStream_tbEUlT_E0_NS1_11comp_targetILNS1_3genE4ELNS1_11target_archE910ELNS1_3gpuE8ELNS1_3repE0EEENS1_30default_config_static_selectorELNS0_4arch9wavefront6targetE0EEEvSQ_.has_indirect_call, 0
	.section	.AMDGPU.csdata,"",@progbits
; Kernel info:
; codeLenInByte = 0
; TotalNumSgprs: 0
; NumVgprs: 0
; ScratchSize: 0
; MemoryBound: 0
; FloatMode: 240
; IeeeMode: 1
; LDSByteSize: 0 bytes/workgroup (compile time only)
; SGPRBlocks: 0
; VGPRBlocks: 0
; NumSGPRsForWavesPerEU: 1
; NumVGPRsForWavesPerEU: 1
; Occupancy: 16
; WaveLimiterHint : 0
; COMPUTE_PGM_RSRC2:SCRATCH_EN: 0
; COMPUTE_PGM_RSRC2:USER_SGPR: 2
; COMPUTE_PGM_RSRC2:TRAP_HANDLER: 0
; COMPUTE_PGM_RSRC2:TGID_X_EN: 1
; COMPUTE_PGM_RSRC2:TGID_Y_EN: 0
; COMPUTE_PGM_RSRC2:TGID_Z_EN: 0
; COMPUTE_PGM_RSRC2:TIDIG_COMP_CNT: 0
	.section	.text._ZN7rocprim17ROCPRIM_400000_NS6detail17trampoline_kernelINS0_14default_configENS1_22reduce_config_selectorIiEEZNS1_11reduce_implILb1ES3_PiS7_iN6hipcub16HIPCUB_304000_NS6detail34convert_binary_result_type_wrapperINS9_3SumENS9_22TransformInputIteratorIbN2at6native12_GLOBAL__N_19NonZeroOpIaEEPKalEEiEEEE10hipError_tPvRmT1_T2_T3_mT4_P12ihipStream_tbEUlT_E0_NS1_11comp_targetILNS1_3genE3ELNS1_11target_archE908ELNS1_3gpuE7ELNS1_3repE0EEENS1_30default_config_static_selectorELNS0_4arch9wavefront6targetE0EEEvSQ_,"axG",@progbits,_ZN7rocprim17ROCPRIM_400000_NS6detail17trampoline_kernelINS0_14default_configENS1_22reduce_config_selectorIiEEZNS1_11reduce_implILb1ES3_PiS7_iN6hipcub16HIPCUB_304000_NS6detail34convert_binary_result_type_wrapperINS9_3SumENS9_22TransformInputIteratorIbN2at6native12_GLOBAL__N_19NonZeroOpIaEEPKalEEiEEEE10hipError_tPvRmT1_T2_T3_mT4_P12ihipStream_tbEUlT_E0_NS1_11comp_targetILNS1_3genE3ELNS1_11target_archE908ELNS1_3gpuE7ELNS1_3repE0EEENS1_30default_config_static_selectorELNS0_4arch9wavefront6targetE0EEEvSQ_,comdat
	.globl	_ZN7rocprim17ROCPRIM_400000_NS6detail17trampoline_kernelINS0_14default_configENS1_22reduce_config_selectorIiEEZNS1_11reduce_implILb1ES3_PiS7_iN6hipcub16HIPCUB_304000_NS6detail34convert_binary_result_type_wrapperINS9_3SumENS9_22TransformInputIteratorIbN2at6native12_GLOBAL__N_19NonZeroOpIaEEPKalEEiEEEE10hipError_tPvRmT1_T2_T3_mT4_P12ihipStream_tbEUlT_E0_NS1_11comp_targetILNS1_3genE3ELNS1_11target_archE908ELNS1_3gpuE7ELNS1_3repE0EEENS1_30default_config_static_selectorELNS0_4arch9wavefront6targetE0EEEvSQ_ ; -- Begin function _ZN7rocprim17ROCPRIM_400000_NS6detail17trampoline_kernelINS0_14default_configENS1_22reduce_config_selectorIiEEZNS1_11reduce_implILb1ES3_PiS7_iN6hipcub16HIPCUB_304000_NS6detail34convert_binary_result_type_wrapperINS9_3SumENS9_22TransformInputIteratorIbN2at6native12_GLOBAL__N_19NonZeroOpIaEEPKalEEiEEEE10hipError_tPvRmT1_T2_T3_mT4_P12ihipStream_tbEUlT_E0_NS1_11comp_targetILNS1_3genE3ELNS1_11target_archE908ELNS1_3gpuE7ELNS1_3repE0EEENS1_30default_config_static_selectorELNS0_4arch9wavefront6targetE0EEEvSQ_
	.p2align	8
	.type	_ZN7rocprim17ROCPRIM_400000_NS6detail17trampoline_kernelINS0_14default_configENS1_22reduce_config_selectorIiEEZNS1_11reduce_implILb1ES3_PiS7_iN6hipcub16HIPCUB_304000_NS6detail34convert_binary_result_type_wrapperINS9_3SumENS9_22TransformInputIteratorIbN2at6native12_GLOBAL__N_19NonZeroOpIaEEPKalEEiEEEE10hipError_tPvRmT1_T2_T3_mT4_P12ihipStream_tbEUlT_E0_NS1_11comp_targetILNS1_3genE3ELNS1_11target_archE908ELNS1_3gpuE7ELNS1_3repE0EEENS1_30default_config_static_selectorELNS0_4arch9wavefront6targetE0EEEvSQ_,@function
_ZN7rocprim17ROCPRIM_400000_NS6detail17trampoline_kernelINS0_14default_configENS1_22reduce_config_selectorIiEEZNS1_11reduce_implILb1ES3_PiS7_iN6hipcub16HIPCUB_304000_NS6detail34convert_binary_result_type_wrapperINS9_3SumENS9_22TransformInputIteratorIbN2at6native12_GLOBAL__N_19NonZeroOpIaEEPKalEEiEEEE10hipError_tPvRmT1_T2_T3_mT4_P12ihipStream_tbEUlT_E0_NS1_11comp_targetILNS1_3genE3ELNS1_11target_archE908ELNS1_3gpuE7ELNS1_3repE0EEENS1_30default_config_static_selectorELNS0_4arch9wavefront6targetE0EEEvSQ_: ; @_ZN7rocprim17ROCPRIM_400000_NS6detail17trampoline_kernelINS0_14default_configENS1_22reduce_config_selectorIiEEZNS1_11reduce_implILb1ES3_PiS7_iN6hipcub16HIPCUB_304000_NS6detail34convert_binary_result_type_wrapperINS9_3SumENS9_22TransformInputIteratorIbN2at6native12_GLOBAL__N_19NonZeroOpIaEEPKalEEiEEEE10hipError_tPvRmT1_T2_T3_mT4_P12ihipStream_tbEUlT_E0_NS1_11comp_targetILNS1_3genE3ELNS1_11target_archE908ELNS1_3gpuE7ELNS1_3repE0EEENS1_30default_config_static_selectorELNS0_4arch9wavefront6targetE0EEEvSQ_
; %bb.0:
	.section	.rodata,"a",@progbits
	.p2align	6, 0x0
	.amdhsa_kernel _ZN7rocprim17ROCPRIM_400000_NS6detail17trampoline_kernelINS0_14default_configENS1_22reduce_config_selectorIiEEZNS1_11reduce_implILb1ES3_PiS7_iN6hipcub16HIPCUB_304000_NS6detail34convert_binary_result_type_wrapperINS9_3SumENS9_22TransformInputIteratorIbN2at6native12_GLOBAL__N_19NonZeroOpIaEEPKalEEiEEEE10hipError_tPvRmT1_T2_T3_mT4_P12ihipStream_tbEUlT_E0_NS1_11comp_targetILNS1_3genE3ELNS1_11target_archE908ELNS1_3gpuE7ELNS1_3repE0EEENS1_30default_config_static_selectorELNS0_4arch9wavefront6targetE0EEEvSQ_
		.amdhsa_group_segment_fixed_size 0
		.amdhsa_private_segment_fixed_size 0
		.amdhsa_kernarg_size 56
		.amdhsa_user_sgpr_count 2
		.amdhsa_user_sgpr_dispatch_ptr 0
		.amdhsa_user_sgpr_queue_ptr 0
		.amdhsa_user_sgpr_kernarg_segment_ptr 1
		.amdhsa_user_sgpr_dispatch_id 0
		.amdhsa_user_sgpr_private_segment_size 0
		.amdhsa_wavefront_size32 1
		.amdhsa_uses_dynamic_stack 0
		.amdhsa_enable_private_segment 0
		.amdhsa_system_sgpr_workgroup_id_x 1
		.amdhsa_system_sgpr_workgroup_id_y 0
		.amdhsa_system_sgpr_workgroup_id_z 0
		.amdhsa_system_sgpr_workgroup_info 0
		.amdhsa_system_vgpr_workitem_id 0
		.amdhsa_next_free_vgpr 1
		.amdhsa_next_free_sgpr 1
		.amdhsa_reserve_vcc 0
		.amdhsa_float_round_mode_32 0
		.amdhsa_float_round_mode_16_64 0
		.amdhsa_float_denorm_mode_32 3
		.amdhsa_float_denorm_mode_16_64 3
		.amdhsa_fp16_overflow 0
		.amdhsa_workgroup_processor_mode 1
		.amdhsa_memory_ordered 1
		.amdhsa_forward_progress 1
		.amdhsa_inst_pref_size 0
		.amdhsa_round_robin_scheduling 0
		.amdhsa_exception_fp_ieee_invalid_op 0
		.amdhsa_exception_fp_denorm_src 0
		.amdhsa_exception_fp_ieee_div_zero 0
		.amdhsa_exception_fp_ieee_overflow 0
		.amdhsa_exception_fp_ieee_underflow 0
		.amdhsa_exception_fp_ieee_inexact 0
		.amdhsa_exception_int_div_zero 0
	.end_amdhsa_kernel
	.section	.text._ZN7rocprim17ROCPRIM_400000_NS6detail17trampoline_kernelINS0_14default_configENS1_22reduce_config_selectorIiEEZNS1_11reduce_implILb1ES3_PiS7_iN6hipcub16HIPCUB_304000_NS6detail34convert_binary_result_type_wrapperINS9_3SumENS9_22TransformInputIteratorIbN2at6native12_GLOBAL__N_19NonZeroOpIaEEPKalEEiEEEE10hipError_tPvRmT1_T2_T3_mT4_P12ihipStream_tbEUlT_E0_NS1_11comp_targetILNS1_3genE3ELNS1_11target_archE908ELNS1_3gpuE7ELNS1_3repE0EEENS1_30default_config_static_selectorELNS0_4arch9wavefront6targetE0EEEvSQ_,"axG",@progbits,_ZN7rocprim17ROCPRIM_400000_NS6detail17trampoline_kernelINS0_14default_configENS1_22reduce_config_selectorIiEEZNS1_11reduce_implILb1ES3_PiS7_iN6hipcub16HIPCUB_304000_NS6detail34convert_binary_result_type_wrapperINS9_3SumENS9_22TransformInputIteratorIbN2at6native12_GLOBAL__N_19NonZeroOpIaEEPKalEEiEEEE10hipError_tPvRmT1_T2_T3_mT4_P12ihipStream_tbEUlT_E0_NS1_11comp_targetILNS1_3genE3ELNS1_11target_archE908ELNS1_3gpuE7ELNS1_3repE0EEENS1_30default_config_static_selectorELNS0_4arch9wavefront6targetE0EEEvSQ_,comdat
.Lfunc_end85:
	.size	_ZN7rocprim17ROCPRIM_400000_NS6detail17trampoline_kernelINS0_14default_configENS1_22reduce_config_selectorIiEEZNS1_11reduce_implILb1ES3_PiS7_iN6hipcub16HIPCUB_304000_NS6detail34convert_binary_result_type_wrapperINS9_3SumENS9_22TransformInputIteratorIbN2at6native12_GLOBAL__N_19NonZeroOpIaEEPKalEEiEEEE10hipError_tPvRmT1_T2_T3_mT4_P12ihipStream_tbEUlT_E0_NS1_11comp_targetILNS1_3genE3ELNS1_11target_archE908ELNS1_3gpuE7ELNS1_3repE0EEENS1_30default_config_static_selectorELNS0_4arch9wavefront6targetE0EEEvSQ_, .Lfunc_end85-_ZN7rocprim17ROCPRIM_400000_NS6detail17trampoline_kernelINS0_14default_configENS1_22reduce_config_selectorIiEEZNS1_11reduce_implILb1ES3_PiS7_iN6hipcub16HIPCUB_304000_NS6detail34convert_binary_result_type_wrapperINS9_3SumENS9_22TransformInputIteratorIbN2at6native12_GLOBAL__N_19NonZeroOpIaEEPKalEEiEEEE10hipError_tPvRmT1_T2_T3_mT4_P12ihipStream_tbEUlT_E0_NS1_11comp_targetILNS1_3genE3ELNS1_11target_archE908ELNS1_3gpuE7ELNS1_3repE0EEENS1_30default_config_static_selectorELNS0_4arch9wavefront6targetE0EEEvSQ_
                                        ; -- End function
	.set _ZN7rocprim17ROCPRIM_400000_NS6detail17trampoline_kernelINS0_14default_configENS1_22reduce_config_selectorIiEEZNS1_11reduce_implILb1ES3_PiS7_iN6hipcub16HIPCUB_304000_NS6detail34convert_binary_result_type_wrapperINS9_3SumENS9_22TransformInputIteratorIbN2at6native12_GLOBAL__N_19NonZeroOpIaEEPKalEEiEEEE10hipError_tPvRmT1_T2_T3_mT4_P12ihipStream_tbEUlT_E0_NS1_11comp_targetILNS1_3genE3ELNS1_11target_archE908ELNS1_3gpuE7ELNS1_3repE0EEENS1_30default_config_static_selectorELNS0_4arch9wavefront6targetE0EEEvSQ_.num_vgpr, 0
	.set _ZN7rocprim17ROCPRIM_400000_NS6detail17trampoline_kernelINS0_14default_configENS1_22reduce_config_selectorIiEEZNS1_11reduce_implILb1ES3_PiS7_iN6hipcub16HIPCUB_304000_NS6detail34convert_binary_result_type_wrapperINS9_3SumENS9_22TransformInputIteratorIbN2at6native12_GLOBAL__N_19NonZeroOpIaEEPKalEEiEEEE10hipError_tPvRmT1_T2_T3_mT4_P12ihipStream_tbEUlT_E0_NS1_11comp_targetILNS1_3genE3ELNS1_11target_archE908ELNS1_3gpuE7ELNS1_3repE0EEENS1_30default_config_static_selectorELNS0_4arch9wavefront6targetE0EEEvSQ_.num_agpr, 0
	.set _ZN7rocprim17ROCPRIM_400000_NS6detail17trampoline_kernelINS0_14default_configENS1_22reduce_config_selectorIiEEZNS1_11reduce_implILb1ES3_PiS7_iN6hipcub16HIPCUB_304000_NS6detail34convert_binary_result_type_wrapperINS9_3SumENS9_22TransformInputIteratorIbN2at6native12_GLOBAL__N_19NonZeroOpIaEEPKalEEiEEEE10hipError_tPvRmT1_T2_T3_mT4_P12ihipStream_tbEUlT_E0_NS1_11comp_targetILNS1_3genE3ELNS1_11target_archE908ELNS1_3gpuE7ELNS1_3repE0EEENS1_30default_config_static_selectorELNS0_4arch9wavefront6targetE0EEEvSQ_.numbered_sgpr, 0
	.set _ZN7rocprim17ROCPRIM_400000_NS6detail17trampoline_kernelINS0_14default_configENS1_22reduce_config_selectorIiEEZNS1_11reduce_implILb1ES3_PiS7_iN6hipcub16HIPCUB_304000_NS6detail34convert_binary_result_type_wrapperINS9_3SumENS9_22TransformInputIteratorIbN2at6native12_GLOBAL__N_19NonZeroOpIaEEPKalEEiEEEE10hipError_tPvRmT1_T2_T3_mT4_P12ihipStream_tbEUlT_E0_NS1_11comp_targetILNS1_3genE3ELNS1_11target_archE908ELNS1_3gpuE7ELNS1_3repE0EEENS1_30default_config_static_selectorELNS0_4arch9wavefront6targetE0EEEvSQ_.num_named_barrier, 0
	.set _ZN7rocprim17ROCPRIM_400000_NS6detail17trampoline_kernelINS0_14default_configENS1_22reduce_config_selectorIiEEZNS1_11reduce_implILb1ES3_PiS7_iN6hipcub16HIPCUB_304000_NS6detail34convert_binary_result_type_wrapperINS9_3SumENS9_22TransformInputIteratorIbN2at6native12_GLOBAL__N_19NonZeroOpIaEEPKalEEiEEEE10hipError_tPvRmT1_T2_T3_mT4_P12ihipStream_tbEUlT_E0_NS1_11comp_targetILNS1_3genE3ELNS1_11target_archE908ELNS1_3gpuE7ELNS1_3repE0EEENS1_30default_config_static_selectorELNS0_4arch9wavefront6targetE0EEEvSQ_.private_seg_size, 0
	.set _ZN7rocprim17ROCPRIM_400000_NS6detail17trampoline_kernelINS0_14default_configENS1_22reduce_config_selectorIiEEZNS1_11reduce_implILb1ES3_PiS7_iN6hipcub16HIPCUB_304000_NS6detail34convert_binary_result_type_wrapperINS9_3SumENS9_22TransformInputIteratorIbN2at6native12_GLOBAL__N_19NonZeroOpIaEEPKalEEiEEEE10hipError_tPvRmT1_T2_T3_mT4_P12ihipStream_tbEUlT_E0_NS1_11comp_targetILNS1_3genE3ELNS1_11target_archE908ELNS1_3gpuE7ELNS1_3repE0EEENS1_30default_config_static_selectorELNS0_4arch9wavefront6targetE0EEEvSQ_.uses_vcc, 0
	.set _ZN7rocprim17ROCPRIM_400000_NS6detail17trampoline_kernelINS0_14default_configENS1_22reduce_config_selectorIiEEZNS1_11reduce_implILb1ES3_PiS7_iN6hipcub16HIPCUB_304000_NS6detail34convert_binary_result_type_wrapperINS9_3SumENS9_22TransformInputIteratorIbN2at6native12_GLOBAL__N_19NonZeroOpIaEEPKalEEiEEEE10hipError_tPvRmT1_T2_T3_mT4_P12ihipStream_tbEUlT_E0_NS1_11comp_targetILNS1_3genE3ELNS1_11target_archE908ELNS1_3gpuE7ELNS1_3repE0EEENS1_30default_config_static_selectorELNS0_4arch9wavefront6targetE0EEEvSQ_.uses_flat_scratch, 0
	.set _ZN7rocprim17ROCPRIM_400000_NS6detail17trampoline_kernelINS0_14default_configENS1_22reduce_config_selectorIiEEZNS1_11reduce_implILb1ES3_PiS7_iN6hipcub16HIPCUB_304000_NS6detail34convert_binary_result_type_wrapperINS9_3SumENS9_22TransformInputIteratorIbN2at6native12_GLOBAL__N_19NonZeroOpIaEEPKalEEiEEEE10hipError_tPvRmT1_T2_T3_mT4_P12ihipStream_tbEUlT_E0_NS1_11comp_targetILNS1_3genE3ELNS1_11target_archE908ELNS1_3gpuE7ELNS1_3repE0EEENS1_30default_config_static_selectorELNS0_4arch9wavefront6targetE0EEEvSQ_.has_dyn_sized_stack, 0
	.set _ZN7rocprim17ROCPRIM_400000_NS6detail17trampoline_kernelINS0_14default_configENS1_22reduce_config_selectorIiEEZNS1_11reduce_implILb1ES3_PiS7_iN6hipcub16HIPCUB_304000_NS6detail34convert_binary_result_type_wrapperINS9_3SumENS9_22TransformInputIteratorIbN2at6native12_GLOBAL__N_19NonZeroOpIaEEPKalEEiEEEE10hipError_tPvRmT1_T2_T3_mT4_P12ihipStream_tbEUlT_E0_NS1_11comp_targetILNS1_3genE3ELNS1_11target_archE908ELNS1_3gpuE7ELNS1_3repE0EEENS1_30default_config_static_selectorELNS0_4arch9wavefront6targetE0EEEvSQ_.has_recursion, 0
	.set _ZN7rocprim17ROCPRIM_400000_NS6detail17trampoline_kernelINS0_14default_configENS1_22reduce_config_selectorIiEEZNS1_11reduce_implILb1ES3_PiS7_iN6hipcub16HIPCUB_304000_NS6detail34convert_binary_result_type_wrapperINS9_3SumENS9_22TransformInputIteratorIbN2at6native12_GLOBAL__N_19NonZeroOpIaEEPKalEEiEEEE10hipError_tPvRmT1_T2_T3_mT4_P12ihipStream_tbEUlT_E0_NS1_11comp_targetILNS1_3genE3ELNS1_11target_archE908ELNS1_3gpuE7ELNS1_3repE0EEENS1_30default_config_static_selectorELNS0_4arch9wavefront6targetE0EEEvSQ_.has_indirect_call, 0
	.section	.AMDGPU.csdata,"",@progbits
; Kernel info:
; codeLenInByte = 0
; TotalNumSgprs: 0
; NumVgprs: 0
; ScratchSize: 0
; MemoryBound: 0
; FloatMode: 240
; IeeeMode: 1
; LDSByteSize: 0 bytes/workgroup (compile time only)
; SGPRBlocks: 0
; VGPRBlocks: 0
; NumSGPRsForWavesPerEU: 1
; NumVGPRsForWavesPerEU: 1
; Occupancy: 16
; WaveLimiterHint : 0
; COMPUTE_PGM_RSRC2:SCRATCH_EN: 0
; COMPUTE_PGM_RSRC2:USER_SGPR: 2
; COMPUTE_PGM_RSRC2:TRAP_HANDLER: 0
; COMPUTE_PGM_RSRC2:TGID_X_EN: 1
; COMPUTE_PGM_RSRC2:TGID_Y_EN: 0
; COMPUTE_PGM_RSRC2:TGID_Z_EN: 0
; COMPUTE_PGM_RSRC2:TIDIG_COMP_CNT: 0
	.section	.text._ZN7rocprim17ROCPRIM_400000_NS6detail17trampoline_kernelINS0_14default_configENS1_22reduce_config_selectorIiEEZNS1_11reduce_implILb1ES3_PiS7_iN6hipcub16HIPCUB_304000_NS6detail34convert_binary_result_type_wrapperINS9_3SumENS9_22TransformInputIteratorIbN2at6native12_GLOBAL__N_19NonZeroOpIaEEPKalEEiEEEE10hipError_tPvRmT1_T2_T3_mT4_P12ihipStream_tbEUlT_E0_NS1_11comp_targetILNS1_3genE2ELNS1_11target_archE906ELNS1_3gpuE6ELNS1_3repE0EEENS1_30default_config_static_selectorELNS0_4arch9wavefront6targetE0EEEvSQ_,"axG",@progbits,_ZN7rocprim17ROCPRIM_400000_NS6detail17trampoline_kernelINS0_14default_configENS1_22reduce_config_selectorIiEEZNS1_11reduce_implILb1ES3_PiS7_iN6hipcub16HIPCUB_304000_NS6detail34convert_binary_result_type_wrapperINS9_3SumENS9_22TransformInputIteratorIbN2at6native12_GLOBAL__N_19NonZeroOpIaEEPKalEEiEEEE10hipError_tPvRmT1_T2_T3_mT4_P12ihipStream_tbEUlT_E0_NS1_11comp_targetILNS1_3genE2ELNS1_11target_archE906ELNS1_3gpuE6ELNS1_3repE0EEENS1_30default_config_static_selectorELNS0_4arch9wavefront6targetE0EEEvSQ_,comdat
	.globl	_ZN7rocprim17ROCPRIM_400000_NS6detail17trampoline_kernelINS0_14default_configENS1_22reduce_config_selectorIiEEZNS1_11reduce_implILb1ES3_PiS7_iN6hipcub16HIPCUB_304000_NS6detail34convert_binary_result_type_wrapperINS9_3SumENS9_22TransformInputIteratorIbN2at6native12_GLOBAL__N_19NonZeroOpIaEEPKalEEiEEEE10hipError_tPvRmT1_T2_T3_mT4_P12ihipStream_tbEUlT_E0_NS1_11comp_targetILNS1_3genE2ELNS1_11target_archE906ELNS1_3gpuE6ELNS1_3repE0EEENS1_30default_config_static_selectorELNS0_4arch9wavefront6targetE0EEEvSQ_ ; -- Begin function _ZN7rocprim17ROCPRIM_400000_NS6detail17trampoline_kernelINS0_14default_configENS1_22reduce_config_selectorIiEEZNS1_11reduce_implILb1ES3_PiS7_iN6hipcub16HIPCUB_304000_NS6detail34convert_binary_result_type_wrapperINS9_3SumENS9_22TransformInputIteratorIbN2at6native12_GLOBAL__N_19NonZeroOpIaEEPKalEEiEEEE10hipError_tPvRmT1_T2_T3_mT4_P12ihipStream_tbEUlT_E0_NS1_11comp_targetILNS1_3genE2ELNS1_11target_archE906ELNS1_3gpuE6ELNS1_3repE0EEENS1_30default_config_static_selectorELNS0_4arch9wavefront6targetE0EEEvSQ_
	.p2align	8
	.type	_ZN7rocprim17ROCPRIM_400000_NS6detail17trampoline_kernelINS0_14default_configENS1_22reduce_config_selectorIiEEZNS1_11reduce_implILb1ES3_PiS7_iN6hipcub16HIPCUB_304000_NS6detail34convert_binary_result_type_wrapperINS9_3SumENS9_22TransformInputIteratorIbN2at6native12_GLOBAL__N_19NonZeroOpIaEEPKalEEiEEEE10hipError_tPvRmT1_T2_T3_mT4_P12ihipStream_tbEUlT_E0_NS1_11comp_targetILNS1_3genE2ELNS1_11target_archE906ELNS1_3gpuE6ELNS1_3repE0EEENS1_30default_config_static_selectorELNS0_4arch9wavefront6targetE0EEEvSQ_,@function
_ZN7rocprim17ROCPRIM_400000_NS6detail17trampoline_kernelINS0_14default_configENS1_22reduce_config_selectorIiEEZNS1_11reduce_implILb1ES3_PiS7_iN6hipcub16HIPCUB_304000_NS6detail34convert_binary_result_type_wrapperINS9_3SumENS9_22TransformInputIteratorIbN2at6native12_GLOBAL__N_19NonZeroOpIaEEPKalEEiEEEE10hipError_tPvRmT1_T2_T3_mT4_P12ihipStream_tbEUlT_E0_NS1_11comp_targetILNS1_3genE2ELNS1_11target_archE906ELNS1_3gpuE6ELNS1_3repE0EEENS1_30default_config_static_selectorELNS0_4arch9wavefront6targetE0EEEvSQ_: ; @_ZN7rocprim17ROCPRIM_400000_NS6detail17trampoline_kernelINS0_14default_configENS1_22reduce_config_selectorIiEEZNS1_11reduce_implILb1ES3_PiS7_iN6hipcub16HIPCUB_304000_NS6detail34convert_binary_result_type_wrapperINS9_3SumENS9_22TransformInputIteratorIbN2at6native12_GLOBAL__N_19NonZeroOpIaEEPKalEEiEEEE10hipError_tPvRmT1_T2_T3_mT4_P12ihipStream_tbEUlT_E0_NS1_11comp_targetILNS1_3genE2ELNS1_11target_archE906ELNS1_3gpuE6ELNS1_3repE0EEENS1_30default_config_static_selectorELNS0_4arch9wavefront6targetE0EEEvSQ_
; %bb.0:
	.section	.rodata,"a",@progbits
	.p2align	6, 0x0
	.amdhsa_kernel _ZN7rocprim17ROCPRIM_400000_NS6detail17trampoline_kernelINS0_14default_configENS1_22reduce_config_selectorIiEEZNS1_11reduce_implILb1ES3_PiS7_iN6hipcub16HIPCUB_304000_NS6detail34convert_binary_result_type_wrapperINS9_3SumENS9_22TransformInputIteratorIbN2at6native12_GLOBAL__N_19NonZeroOpIaEEPKalEEiEEEE10hipError_tPvRmT1_T2_T3_mT4_P12ihipStream_tbEUlT_E0_NS1_11comp_targetILNS1_3genE2ELNS1_11target_archE906ELNS1_3gpuE6ELNS1_3repE0EEENS1_30default_config_static_selectorELNS0_4arch9wavefront6targetE0EEEvSQ_
		.amdhsa_group_segment_fixed_size 0
		.amdhsa_private_segment_fixed_size 0
		.amdhsa_kernarg_size 56
		.amdhsa_user_sgpr_count 2
		.amdhsa_user_sgpr_dispatch_ptr 0
		.amdhsa_user_sgpr_queue_ptr 0
		.amdhsa_user_sgpr_kernarg_segment_ptr 1
		.amdhsa_user_sgpr_dispatch_id 0
		.amdhsa_user_sgpr_private_segment_size 0
		.amdhsa_wavefront_size32 1
		.amdhsa_uses_dynamic_stack 0
		.amdhsa_enable_private_segment 0
		.amdhsa_system_sgpr_workgroup_id_x 1
		.amdhsa_system_sgpr_workgroup_id_y 0
		.amdhsa_system_sgpr_workgroup_id_z 0
		.amdhsa_system_sgpr_workgroup_info 0
		.amdhsa_system_vgpr_workitem_id 0
		.amdhsa_next_free_vgpr 1
		.amdhsa_next_free_sgpr 1
		.amdhsa_reserve_vcc 0
		.amdhsa_float_round_mode_32 0
		.amdhsa_float_round_mode_16_64 0
		.amdhsa_float_denorm_mode_32 3
		.amdhsa_float_denorm_mode_16_64 3
		.amdhsa_fp16_overflow 0
		.amdhsa_workgroup_processor_mode 1
		.amdhsa_memory_ordered 1
		.amdhsa_forward_progress 1
		.amdhsa_inst_pref_size 0
		.amdhsa_round_robin_scheduling 0
		.amdhsa_exception_fp_ieee_invalid_op 0
		.amdhsa_exception_fp_denorm_src 0
		.amdhsa_exception_fp_ieee_div_zero 0
		.amdhsa_exception_fp_ieee_overflow 0
		.amdhsa_exception_fp_ieee_underflow 0
		.amdhsa_exception_fp_ieee_inexact 0
		.amdhsa_exception_int_div_zero 0
	.end_amdhsa_kernel
	.section	.text._ZN7rocprim17ROCPRIM_400000_NS6detail17trampoline_kernelINS0_14default_configENS1_22reduce_config_selectorIiEEZNS1_11reduce_implILb1ES3_PiS7_iN6hipcub16HIPCUB_304000_NS6detail34convert_binary_result_type_wrapperINS9_3SumENS9_22TransformInputIteratorIbN2at6native12_GLOBAL__N_19NonZeroOpIaEEPKalEEiEEEE10hipError_tPvRmT1_T2_T3_mT4_P12ihipStream_tbEUlT_E0_NS1_11comp_targetILNS1_3genE2ELNS1_11target_archE906ELNS1_3gpuE6ELNS1_3repE0EEENS1_30default_config_static_selectorELNS0_4arch9wavefront6targetE0EEEvSQ_,"axG",@progbits,_ZN7rocprim17ROCPRIM_400000_NS6detail17trampoline_kernelINS0_14default_configENS1_22reduce_config_selectorIiEEZNS1_11reduce_implILb1ES3_PiS7_iN6hipcub16HIPCUB_304000_NS6detail34convert_binary_result_type_wrapperINS9_3SumENS9_22TransformInputIteratorIbN2at6native12_GLOBAL__N_19NonZeroOpIaEEPKalEEiEEEE10hipError_tPvRmT1_T2_T3_mT4_P12ihipStream_tbEUlT_E0_NS1_11comp_targetILNS1_3genE2ELNS1_11target_archE906ELNS1_3gpuE6ELNS1_3repE0EEENS1_30default_config_static_selectorELNS0_4arch9wavefront6targetE0EEEvSQ_,comdat
.Lfunc_end86:
	.size	_ZN7rocprim17ROCPRIM_400000_NS6detail17trampoline_kernelINS0_14default_configENS1_22reduce_config_selectorIiEEZNS1_11reduce_implILb1ES3_PiS7_iN6hipcub16HIPCUB_304000_NS6detail34convert_binary_result_type_wrapperINS9_3SumENS9_22TransformInputIteratorIbN2at6native12_GLOBAL__N_19NonZeroOpIaEEPKalEEiEEEE10hipError_tPvRmT1_T2_T3_mT4_P12ihipStream_tbEUlT_E0_NS1_11comp_targetILNS1_3genE2ELNS1_11target_archE906ELNS1_3gpuE6ELNS1_3repE0EEENS1_30default_config_static_selectorELNS0_4arch9wavefront6targetE0EEEvSQ_, .Lfunc_end86-_ZN7rocprim17ROCPRIM_400000_NS6detail17trampoline_kernelINS0_14default_configENS1_22reduce_config_selectorIiEEZNS1_11reduce_implILb1ES3_PiS7_iN6hipcub16HIPCUB_304000_NS6detail34convert_binary_result_type_wrapperINS9_3SumENS9_22TransformInputIteratorIbN2at6native12_GLOBAL__N_19NonZeroOpIaEEPKalEEiEEEE10hipError_tPvRmT1_T2_T3_mT4_P12ihipStream_tbEUlT_E0_NS1_11comp_targetILNS1_3genE2ELNS1_11target_archE906ELNS1_3gpuE6ELNS1_3repE0EEENS1_30default_config_static_selectorELNS0_4arch9wavefront6targetE0EEEvSQ_
                                        ; -- End function
	.set _ZN7rocprim17ROCPRIM_400000_NS6detail17trampoline_kernelINS0_14default_configENS1_22reduce_config_selectorIiEEZNS1_11reduce_implILb1ES3_PiS7_iN6hipcub16HIPCUB_304000_NS6detail34convert_binary_result_type_wrapperINS9_3SumENS9_22TransformInputIteratorIbN2at6native12_GLOBAL__N_19NonZeroOpIaEEPKalEEiEEEE10hipError_tPvRmT1_T2_T3_mT4_P12ihipStream_tbEUlT_E0_NS1_11comp_targetILNS1_3genE2ELNS1_11target_archE906ELNS1_3gpuE6ELNS1_3repE0EEENS1_30default_config_static_selectorELNS0_4arch9wavefront6targetE0EEEvSQ_.num_vgpr, 0
	.set _ZN7rocprim17ROCPRIM_400000_NS6detail17trampoline_kernelINS0_14default_configENS1_22reduce_config_selectorIiEEZNS1_11reduce_implILb1ES3_PiS7_iN6hipcub16HIPCUB_304000_NS6detail34convert_binary_result_type_wrapperINS9_3SumENS9_22TransformInputIteratorIbN2at6native12_GLOBAL__N_19NonZeroOpIaEEPKalEEiEEEE10hipError_tPvRmT1_T2_T3_mT4_P12ihipStream_tbEUlT_E0_NS1_11comp_targetILNS1_3genE2ELNS1_11target_archE906ELNS1_3gpuE6ELNS1_3repE0EEENS1_30default_config_static_selectorELNS0_4arch9wavefront6targetE0EEEvSQ_.num_agpr, 0
	.set _ZN7rocprim17ROCPRIM_400000_NS6detail17trampoline_kernelINS0_14default_configENS1_22reduce_config_selectorIiEEZNS1_11reduce_implILb1ES3_PiS7_iN6hipcub16HIPCUB_304000_NS6detail34convert_binary_result_type_wrapperINS9_3SumENS9_22TransformInputIteratorIbN2at6native12_GLOBAL__N_19NonZeroOpIaEEPKalEEiEEEE10hipError_tPvRmT1_T2_T3_mT4_P12ihipStream_tbEUlT_E0_NS1_11comp_targetILNS1_3genE2ELNS1_11target_archE906ELNS1_3gpuE6ELNS1_3repE0EEENS1_30default_config_static_selectorELNS0_4arch9wavefront6targetE0EEEvSQ_.numbered_sgpr, 0
	.set _ZN7rocprim17ROCPRIM_400000_NS6detail17trampoline_kernelINS0_14default_configENS1_22reduce_config_selectorIiEEZNS1_11reduce_implILb1ES3_PiS7_iN6hipcub16HIPCUB_304000_NS6detail34convert_binary_result_type_wrapperINS9_3SumENS9_22TransformInputIteratorIbN2at6native12_GLOBAL__N_19NonZeroOpIaEEPKalEEiEEEE10hipError_tPvRmT1_T2_T3_mT4_P12ihipStream_tbEUlT_E0_NS1_11comp_targetILNS1_3genE2ELNS1_11target_archE906ELNS1_3gpuE6ELNS1_3repE0EEENS1_30default_config_static_selectorELNS0_4arch9wavefront6targetE0EEEvSQ_.num_named_barrier, 0
	.set _ZN7rocprim17ROCPRIM_400000_NS6detail17trampoline_kernelINS0_14default_configENS1_22reduce_config_selectorIiEEZNS1_11reduce_implILb1ES3_PiS7_iN6hipcub16HIPCUB_304000_NS6detail34convert_binary_result_type_wrapperINS9_3SumENS9_22TransformInputIteratorIbN2at6native12_GLOBAL__N_19NonZeroOpIaEEPKalEEiEEEE10hipError_tPvRmT1_T2_T3_mT4_P12ihipStream_tbEUlT_E0_NS1_11comp_targetILNS1_3genE2ELNS1_11target_archE906ELNS1_3gpuE6ELNS1_3repE0EEENS1_30default_config_static_selectorELNS0_4arch9wavefront6targetE0EEEvSQ_.private_seg_size, 0
	.set _ZN7rocprim17ROCPRIM_400000_NS6detail17trampoline_kernelINS0_14default_configENS1_22reduce_config_selectorIiEEZNS1_11reduce_implILb1ES3_PiS7_iN6hipcub16HIPCUB_304000_NS6detail34convert_binary_result_type_wrapperINS9_3SumENS9_22TransformInputIteratorIbN2at6native12_GLOBAL__N_19NonZeroOpIaEEPKalEEiEEEE10hipError_tPvRmT1_T2_T3_mT4_P12ihipStream_tbEUlT_E0_NS1_11comp_targetILNS1_3genE2ELNS1_11target_archE906ELNS1_3gpuE6ELNS1_3repE0EEENS1_30default_config_static_selectorELNS0_4arch9wavefront6targetE0EEEvSQ_.uses_vcc, 0
	.set _ZN7rocprim17ROCPRIM_400000_NS6detail17trampoline_kernelINS0_14default_configENS1_22reduce_config_selectorIiEEZNS1_11reduce_implILb1ES3_PiS7_iN6hipcub16HIPCUB_304000_NS6detail34convert_binary_result_type_wrapperINS9_3SumENS9_22TransformInputIteratorIbN2at6native12_GLOBAL__N_19NonZeroOpIaEEPKalEEiEEEE10hipError_tPvRmT1_T2_T3_mT4_P12ihipStream_tbEUlT_E0_NS1_11comp_targetILNS1_3genE2ELNS1_11target_archE906ELNS1_3gpuE6ELNS1_3repE0EEENS1_30default_config_static_selectorELNS0_4arch9wavefront6targetE0EEEvSQ_.uses_flat_scratch, 0
	.set _ZN7rocprim17ROCPRIM_400000_NS6detail17trampoline_kernelINS0_14default_configENS1_22reduce_config_selectorIiEEZNS1_11reduce_implILb1ES3_PiS7_iN6hipcub16HIPCUB_304000_NS6detail34convert_binary_result_type_wrapperINS9_3SumENS9_22TransformInputIteratorIbN2at6native12_GLOBAL__N_19NonZeroOpIaEEPKalEEiEEEE10hipError_tPvRmT1_T2_T3_mT4_P12ihipStream_tbEUlT_E0_NS1_11comp_targetILNS1_3genE2ELNS1_11target_archE906ELNS1_3gpuE6ELNS1_3repE0EEENS1_30default_config_static_selectorELNS0_4arch9wavefront6targetE0EEEvSQ_.has_dyn_sized_stack, 0
	.set _ZN7rocprim17ROCPRIM_400000_NS6detail17trampoline_kernelINS0_14default_configENS1_22reduce_config_selectorIiEEZNS1_11reduce_implILb1ES3_PiS7_iN6hipcub16HIPCUB_304000_NS6detail34convert_binary_result_type_wrapperINS9_3SumENS9_22TransformInputIteratorIbN2at6native12_GLOBAL__N_19NonZeroOpIaEEPKalEEiEEEE10hipError_tPvRmT1_T2_T3_mT4_P12ihipStream_tbEUlT_E0_NS1_11comp_targetILNS1_3genE2ELNS1_11target_archE906ELNS1_3gpuE6ELNS1_3repE0EEENS1_30default_config_static_selectorELNS0_4arch9wavefront6targetE0EEEvSQ_.has_recursion, 0
	.set _ZN7rocprim17ROCPRIM_400000_NS6detail17trampoline_kernelINS0_14default_configENS1_22reduce_config_selectorIiEEZNS1_11reduce_implILb1ES3_PiS7_iN6hipcub16HIPCUB_304000_NS6detail34convert_binary_result_type_wrapperINS9_3SumENS9_22TransformInputIteratorIbN2at6native12_GLOBAL__N_19NonZeroOpIaEEPKalEEiEEEE10hipError_tPvRmT1_T2_T3_mT4_P12ihipStream_tbEUlT_E0_NS1_11comp_targetILNS1_3genE2ELNS1_11target_archE906ELNS1_3gpuE6ELNS1_3repE0EEENS1_30default_config_static_selectorELNS0_4arch9wavefront6targetE0EEEvSQ_.has_indirect_call, 0
	.section	.AMDGPU.csdata,"",@progbits
; Kernel info:
; codeLenInByte = 0
; TotalNumSgprs: 0
; NumVgprs: 0
; ScratchSize: 0
; MemoryBound: 0
; FloatMode: 240
; IeeeMode: 1
; LDSByteSize: 0 bytes/workgroup (compile time only)
; SGPRBlocks: 0
; VGPRBlocks: 0
; NumSGPRsForWavesPerEU: 1
; NumVGPRsForWavesPerEU: 1
; Occupancy: 16
; WaveLimiterHint : 0
; COMPUTE_PGM_RSRC2:SCRATCH_EN: 0
; COMPUTE_PGM_RSRC2:USER_SGPR: 2
; COMPUTE_PGM_RSRC2:TRAP_HANDLER: 0
; COMPUTE_PGM_RSRC2:TGID_X_EN: 1
; COMPUTE_PGM_RSRC2:TGID_Y_EN: 0
; COMPUTE_PGM_RSRC2:TGID_Z_EN: 0
; COMPUTE_PGM_RSRC2:TIDIG_COMP_CNT: 0
	.section	.text._ZN7rocprim17ROCPRIM_400000_NS6detail17trampoline_kernelINS0_14default_configENS1_22reduce_config_selectorIiEEZNS1_11reduce_implILb1ES3_PiS7_iN6hipcub16HIPCUB_304000_NS6detail34convert_binary_result_type_wrapperINS9_3SumENS9_22TransformInputIteratorIbN2at6native12_GLOBAL__N_19NonZeroOpIaEEPKalEEiEEEE10hipError_tPvRmT1_T2_T3_mT4_P12ihipStream_tbEUlT_E0_NS1_11comp_targetILNS1_3genE10ELNS1_11target_archE1201ELNS1_3gpuE5ELNS1_3repE0EEENS1_30default_config_static_selectorELNS0_4arch9wavefront6targetE0EEEvSQ_,"axG",@progbits,_ZN7rocprim17ROCPRIM_400000_NS6detail17trampoline_kernelINS0_14default_configENS1_22reduce_config_selectorIiEEZNS1_11reduce_implILb1ES3_PiS7_iN6hipcub16HIPCUB_304000_NS6detail34convert_binary_result_type_wrapperINS9_3SumENS9_22TransformInputIteratorIbN2at6native12_GLOBAL__N_19NonZeroOpIaEEPKalEEiEEEE10hipError_tPvRmT1_T2_T3_mT4_P12ihipStream_tbEUlT_E0_NS1_11comp_targetILNS1_3genE10ELNS1_11target_archE1201ELNS1_3gpuE5ELNS1_3repE0EEENS1_30default_config_static_selectorELNS0_4arch9wavefront6targetE0EEEvSQ_,comdat
	.globl	_ZN7rocprim17ROCPRIM_400000_NS6detail17trampoline_kernelINS0_14default_configENS1_22reduce_config_selectorIiEEZNS1_11reduce_implILb1ES3_PiS7_iN6hipcub16HIPCUB_304000_NS6detail34convert_binary_result_type_wrapperINS9_3SumENS9_22TransformInputIteratorIbN2at6native12_GLOBAL__N_19NonZeroOpIaEEPKalEEiEEEE10hipError_tPvRmT1_T2_T3_mT4_P12ihipStream_tbEUlT_E0_NS1_11comp_targetILNS1_3genE10ELNS1_11target_archE1201ELNS1_3gpuE5ELNS1_3repE0EEENS1_30default_config_static_selectorELNS0_4arch9wavefront6targetE0EEEvSQ_ ; -- Begin function _ZN7rocprim17ROCPRIM_400000_NS6detail17trampoline_kernelINS0_14default_configENS1_22reduce_config_selectorIiEEZNS1_11reduce_implILb1ES3_PiS7_iN6hipcub16HIPCUB_304000_NS6detail34convert_binary_result_type_wrapperINS9_3SumENS9_22TransformInputIteratorIbN2at6native12_GLOBAL__N_19NonZeroOpIaEEPKalEEiEEEE10hipError_tPvRmT1_T2_T3_mT4_P12ihipStream_tbEUlT_E0_NS1_11comp_targetILNS1_3genE10ELNS1_11target_archE1201ELNS1_3gpuE5ELNS1_3repE0EEENS1_30default_config_static_selectorELNS0_4arch9wavefront6targetE0EEEvSQ_
	.p2align	8
	.type	_ZN7rocprim17ROCPRIM_400000_NS6detail17trampoline_kernelINS0_14default_configENS1_22reduce_config_selectorIiEEZNS1_11reduce_implILb1ES3_PiS7_iN6hipcub16HIPCUB_304000_NS6detail34convert_binary_result_type_wrapperINS9_3SumENS9_22TransformInputIteratorIbN2at6native12_GLOBAL__N_19NonZeroOpIaEEPKalEEiEEEE10hipError_tPvRmT1_T2_T3_mT4_P12ihipStream_tbEUlT_E0_NS1_11comp_targetILNS1_3genE10ELNS1_11target_archE1201ELNS1_3gpuE5ELNS1_3repE0EEENS1_30default_config_static_selectorELNS0_4arch9wavefront6targetE0EEEvSQ_,@function
_ZN7rocprim17ROCPRIM_400000_NS6detail17trampoline_kernelINS0_14default_configENS1_22reduce_config_selectorIiEEZNS1_11reduce_implILb1ES3_PiS7_iN6hipcub16HIPCUB_304000_NS6detail34convert_binary_result_type_wrapperINS9_3SumENS9_22TransformInputIteratorIbN2at6native12_GLOBAL__N_19NonZeroOpIaEEPKalEEiEEEE10hipError_tPvRmT1_T2_T3_mT4_P12ihipStream_tbEUlT_E0_NS1_11comp_targetILNS1_3genE10ELNS1_11target_archE1201ELNS1_3gpuE5ELNS1_3repE0EEENS1_30default_config_static_selectorELNS0_4arch9wavefront6targetE0EEEvSQ_: ; @_ZN7rocprim17ROCPRIM_400000_NS6detail17trampoline_kernelINS0_14default_configENS1_22reduce_config_selectorIiEEZNS1_11reduce_implILb1ES3_PiS7_iN6hipcub16HIPCUB_304000_NS6detail34convert_binary_result_type_wrapperINS9_3SumENS9_22TransformInputIteratorIbN2at6native12_GLOBAL__N_19NonZeroOpIaEEPKalEEiEEEE10hipError_tPvRmT1_T2_T3_mT4_P12ihipStream_tbEUlT_E0_NS1_11comp_targetILNS1_3genE10ELNS1_11target_archE1201ELNS1_3gpuE5ELNS1_3repE0EEENS1_30default_config_static_selectorELNS0_4arch9wavefront6targetE0EEEvSQ_
; %bb.0:
	s_clause 0x1
	s_load_b256 s[12:19], s[0:1], 0x0
	s_load_b128 s[20:23], s[0:1], 0x20
	s_lshl_b32 s2, ttmp9, 12
	s_mov_b32 s3, 0
	v_mbcnt_lo_u32_b32 v18, -1, 0
	v_lshlrev_b32_e32 v19, 2, v0
	s_mov_b32 s24, ttmp9
	s_mov_b32 s25, s3
	s_lshl_b64 s[8:9], s[2:3], 2
	s_wait_kmcnt 0x0
	s_lshl_b64 s[4:5], s[14:15], 2
	s_lshr_b64 s[6:7], s[16:17], 12
	s_add_nc_u64 s[4:5], s[12:13], s[4:5]
	s_cmp_lg_u64 s[6:7], s[24:25]
	s_add_nc_u64 s[26:27], s[4:5], s[8:9]
	s_cbranch_scc0 .LBB87_6
; %bb.1:
	s_clause 0xf
	global_load_b32 v1, v19, s[26:27]
	global_load_b32 v2, v19, s[26:27] offset:1024
	global_load_b32 v3, v19, s[26:27] offset:2048
	global_load_b32 v4, v19, s[26:27] offset:3072
	global_load_b32 v5, v19, s[26:27] offset:4096
	global_load_b32 v6, v19, s[26:27] offset:5120
	global_load_b32 v7, v19, s[26:27] offset:6144
	global_load_b32 v8, v19, s[26:27] offset:7168
	global_load_b32 v9, v19, s[26:27] offset:8192
	global_load_b32 v10, v19, s[26:27] offset:9216
	global_load_b32 v11, v19, s[26:27] offset:10240
	global_load_b32 v12, v19, s[26:27] offset:11264
	global_load_b32 v13, v19, s[26:27] offset:12288
	global_load_b32 v14, v19, s[26:27] offset:13312
	global_load_b32 v15, v19, s[26:27] offset:14336
	global_load_b32 v16, v19, s[26:27] offset:15360
	s_mov_b32 s3, exec_lo
	s_wait_loadcnt 0xe
	v_add_nc_u32_e32 v1, v2, v1
	s_wait_loadcnt 0xc
	s_delay_alu instid0(VALU_DEP_1) | instskip(SKIP_1) | instid1(VALU_DEP_1)
	v_add3_u32 v1, v1, v3, v4
	s_wait_loadcnt 0xa
	v_add3_u32 v1, v1, v5, v6
	s_wait_loadcnt 0x8
	s_delay_alu instid0(VALU_DEP_1) | instskip(SKIP_1) | instid1(VALU_DEP_1)
	v_add3_u32 v1, v1, v7, v8
	s_wait_loadcnt 0x6
	v_add3_u32 v1, v1, v9, v10
	;; [unrolled: 5-line block ×3, first 2 shown]
	s_wait_loadcnt 0x0
	s_delay_alu instid0(VALU_DEP_1) | instskip(NEXT) | instid1(VALU_DEP_1)
	v_add3_u32 v1, v1, v15, v16
	v_mov_b32_dpp v2, v1 quad_perm:[1,0,3,2] row_mask:0xf bank_mask:0xf
	s_delay_alu instid0(VALU_DEP_1) | instskip(NEXT) | instid1(VALU_DEP_1)
	v_add_nc_u32_e32 v1, v2, v1
	v_mov_b32_dpp v2, v1 quad_perm:[2,3,0,1] row_mask:0xf bank_mask:0xf
	s_delay_alu instid0(VALU_DEP_1) | instskip(NEXT) | instid1(VALU_DEP_1)
	v_add_nc_u32_e32 v1, v1, v2
	v_mov_b32_dpp v2, v1 row_ror:4 row_mask:0xf bank_mask:0xf
	s_delay_alu instid0(VALU_DEP_1) | instskip(NEXT) | instid1(VALU_DEP_1)
	v_add_nc_u32_e32 v1, v1, v2
	v_mov_b32_dpp v2, v1 row_ror:8 row_mask:0xf bank_mask:0xf
	s_delay_alu instid0(VALU_DEP_1)
	v_add_nc_u32_e32 v1, v1, v2
	ds_swizzle_b32 v2, v1 offset:swizzle(BROADCAST,32,15)
	s_wait_dscnt 0x0
	v_dual_mov_b32 v2, 0 :: v_dual_add_nc_u32 v1, v1, v2
	ds_bpermute_b32 v1, v2, v1 offset:124
	v_cmpx_eq_u32_e32 0, v18
	s_cbranch_execz .LBB87_3
; %bb.2:
	v_lshrrev_b32_e32 v2, 3, v0
	s_delay_alu instid0(VALU_DEP_1)
	v_and_b32_e32 v2, 28, v2
	s_wait_dscnt 0x0
	ds_store_b32 v2, v1
.LBB87_3:
	s_or_b32 exec_lo, exec_lo, s3
	s_delay_alu instid0(SALU_CYCLE_1)
	s_mov_b32 s3, exec_lo
	s_wait_dscnt 0x0
	s_barrier_signal -1
	s_barrier_wait -1
	global_inv scope:SCOPE_SE
	v_cmpx_gt_u32_e32 32, v0
	s_cbranch_execz .LBB87_5
; %bb.4:
	v_and_b32_e32 v1, 7, v18
	s_delay_alu instid0(VALU_DEP_1) | instskip(SKIP_4) | instid1(VALU_DEP_2)
	v_lshlrev_b32_e32 v2, 2, v1
	v_cmp_ne_u32_e32 vcc_lo, 7, v1
	ds_load_b32 v2, v2
	v_add_co_ci_u32_e64 v3, null, 0, v18, vcc_lo
	v_cmp_gt_u32_e32 vcc_lo, 6, v1
	v_lshlrev_b32_e32 v3, 2, v3
	s_wait_alu 0xfffd
	v_cndmask_b32_e64 v1, 0, 2, vcc_lo
	s_delay_alu instid0(VALU_DEP_1)
	v_add_lshl_u32 v1, v1, v18, 2
	s_wait_dscnt 0x0
	ds_bpermute_b32 v3, v3, v2
	s_wait_dscnt 0x0
	v_add_nc_u32_e32 v2, v3, v2
	v_lshlrev_b32_e32 v3, 2, v18
	ds_bpermute_b32 v1, v1, v2
	s_wait_dscnt 0x0
	v_add_nc_u32_e32 v1, v1, v2
	v_or_b32_e32 v2, 16, v3
	ds_bpermute_b32 v2, v2, v1
	s_wait_dscnt 0x0
	v_add_nc_u32_e32 v1, v2, v1
.LBB87_5:
	s_or_b32 exec_lo, exec_lo, s3
	s_branch .LBB87_44
.LBB87_6:
                                        ; implicit-def: $vgpr1
	s_cbranch_execz .LBB87_44
; %bb.7:
	v_mov_b32_e32 v1, 0
	s_sub_co_i32 s28, s16, s2
	s_mov_b32 s2, exec_lo
	s_delay_alu instid0(VALU_DEP_1)
	v_dual_mov_b32 v2, v1 :: v_dual_mov_b32 v3, v1
	v_dual_mov_b32 v4, v1 :: v_dual_mov_b32 v5, v1
	;; [unrolled: 1-line block ×7, first 2 shown]
	v_mov_b32_e32 v16, v1
	v_cmpx_gt_u32_e64 s28, v0
	s_cbranch_execz .LBB87_9
; %bb.8:
	global_load_b32 v2, v19, s[26:27]
	v_mov_b32_e32 v17, v1
	v_dual_mov_b32 v3, v1 :: v_dual_mov_b32 v4, v1
	v_dual_mov_b32 v5, v1 :: v_dual_mov_b32 v6, v1
	;; [unrolled: 1-line block ×7, first 2 shown]
	s_wait_loadcnt 0x0
	v_mov_b32_e32 v1, v2
	v_mov_b32_e32 v2, v3
	;; [unrolled: 1-line block ×16, first 2 shown]
.LBB87_9:
	s_or_b32 exec_lo, exec_lo, s2
	v_or_b32_e32 v17, 0x100, v0
	s_delay_alu instid0(VALU_DEP_1)
	v_cmp_gt_u32_e32 vcc_lo, s28, v17
	s_and_saveexec_b32 s2, vcc_lo
	s_cbranch_execz .LBB87_11
; %bb.10:
	global_load_b32 v2, v19, s[26:27] offset:1024
.LBB87_11:
	s_or_b32 exec_lo, exec_lo, s2
	v_or_b32_e32 v17, 0x200, v0
	s_delay_alu instid0(VALU_DEP_1)
	v_cmp_gt_u32_e64 s2, s28, v17
	s_and_saveexec_b32 s3, s2
	s_cbranch_execz .LBB87_13
; %bb.12:
	global_load_b32 v3, v19, s[26:27] offset:2048
.LBB87_13:
	s_or_b32 exec_lo, exec_lo, s3
	v_or_b32_e32 v17, 0x300, v0
	s_delay_alu instid0(VALU_DEP_1)
	v_cmp_gt_u32_e64 s3, s28, v17
	s_and_saveexec_b32 s4, s3
	;; [unrolled: 9-line block ×14, first 2 shown]
	s_cbranch_execz .LBB87_39
; %bb.38:
	global_load_b32 v16, v19, s[26:27] offset:15360
.LBB87_39:
	s_wait_alu 0xfffe
	s_or_b32 exec_lo, exec_lo, s29
	s_wait_loadcnt 0x0
	v_cndmask_b32_e32 v2, 0, v2, vcc_lo
	v_cndmask_b32_e64 v3, 0, v3, s2
	v_cndmask_b32_e64 v4, 0, v4, s3
	v_cmp_ne_u32_e32 vcc_lo, 31, v18
	s_min_u32 s2, s28, 0x100
	v_add_nc_u32_e32 v1, v2, v1
	v_cndmask_b32_e64 v2, 0, v5, s4
	v_cndmask_b32_e64 v5, 0, v6, s5
	;; [unrolled: 1-line block ×3, first 2 shown]
	s_mov_b32 s3, exec_lo
	v_add3_u32 v1, v1, v3, v4
	v_cndmask_b32_e64 v3, 0, v7, s6
	v_cndmask_b32_e64 v4, 0, v8, s7
	s_delay_alu instid0(VALU_DEP_3) | instskip(SKIP_2) | instid1(VALU_DEP_3)
	v_add3_u32 v1, v1, v2, v5
	v_cndmask_b32_e64 v2, 0, v9, s8
	v_cndmask_b32_e64 v5, 0, v10, s9
	v_add3_u32 v1, v1, v3, v4
	v_cndmask_b32_e64 v3, 0, v11, s10
	v_cndmask_b32_e64 v4, 0, v12, s11
	s_delay_alu instid0(VALU_DEP_3) | instskip(SKIP_2) | instid1(VALU_DEP_3)
	v_add3_u32 v1, v1, v2, v5
	v_cndmask_b32_e64 v2, 0, v13, s12
	v_cndmask_b32_e64 v5, 0, v14, s13
	v_add3_u32 v1, v1, v3, v4
	v_cndmask_b32_e64 v3, 0, v16, s15
	s_wait_alu 0xfffd
	v_add_co_ci_u32_e64 v4, null, 0, v18, vcc_lo
	v_cmp_gt_u32_e32 vcc_lo, 30, v18
	v_add3_u32 v1, v1, v2, v5
	s_delay_alu instid0(VALU_DEP_3)
	v_lshlrev_b32_e32 v2, 2, v4
	v_add_nc_u32_e32 v4, 1, v18
	s_wait_alu 0xfffd
	v_cndmask_b32_e64 v5, 0, 2, vcc_lo
	v_add3_u32 v1, v1, v6, v3
	v_and_b32_e32 v3, 0xe0, v0
	ds_bpermute_b32 v2, v2, v1
	s_wait_alu 0xfffe
	v_sub_nc_u32_e64 v3, s2, v3 clamp
	s_delay_alu instid0(VALU_DEP_1)
	v_cmp_lt_u32_e32 vcc_lo, v4, v3
	v_add_lshl_u32 v4, v5, v18, 2
	s_wait_dscnt 0x0
	s_wait_alu 0xfffd
	v_cndmask_b32_e32 v2, 0, v2, vcc_lo
	v_cmp_gt_u32_e32 vcc_lo, 28, v18
	s_delay_alu instid0(VALU_DEP_2) | instskip(SKIP_4) | instid1(VALU_DEP_1)
	v_add_nc_u32_e32 v1, v1, v2
	s_wait_alu 0xfffd
	v_cndmask_b32_e64 v5, 0, 4, vcc_lo
	ds_bpermute_b32 v2, v4, v1
	v_add_nc_u32_e32 v4, 2, v18
	v_cmp_lt_u32_e32 vcc_lo, v4, v3
	v_add_lshl_u32 v4, v5, v18, 2
	s_wait_dscnt 0x0
	s_wait_alu 0xfffd
	v_cndmask_b32_e32 v2, 0, v2, vcc_lo
	v_cmp_gt_u32_e32 vcc_lo, 24, v18
	s_delay_alu instid0(VALU_DEP_2) | instskip(SKIP_4) | instid1(VALU_DEP_1)
	v_add_nc_u32_e32 v1, v1, v2
	s_wait_alu 0xfffd
	v_cndmask_b32_e64 v5, 0, 8, vcc_lo
	ds_bpermute_b32 v2, v4, v1
	v_add_nc_u32_e32 v4, 4, v18
	v_cmp_lt_u32_e32 vcc_lo, v4, v3
	v_add_lshl_u32 v4, v5, v18, 2
	v_add_nc_u32_e32 v5, 8, v18
	s_wait_dscnt 0x0
	s_wait_alu 0xfffd
	v_cndmask_b32_e32 v2, 0, v2, vcc_lo
	s_delay_alu instid0(VALU_DEP_2) | instskip(NEXT) | instid1(VALU_DEP_2)
	v_cmp_lt_u32_e32 vcc_lo, v5, v3
	v_add_nc_u32_e32 v1, v1, v2
	v_lshlrev_b32_e32 v2, 2, v18
	ds_bpermute_b32 v4, v4, v1
	v_or_b32_e32 v5, 64, v2
	s_wait_dscnt 0x0
	s_wait_alu 0xfffd
	v_cndmask_b32_e32 v4, 0, v4, vcc_lo
	s_delay_alu instid0(VALU_DEP_1) | instskip(SKIP_2) | instid1(VALU_DEP_1)
	v_add_nc_u32_e32 v1, v1, v4
	ds_bpermute_b32 v4, v5, v1
	v_add_nc_u32_e32 v5, 16, v18
	v_cmp_lt_u32_e32 vcc_lo, v5, v3
	s_wait_dscnt 0x0
	s_wait_alu 0xfffd
	v_cndmask_b32_e32 v3, 0, v4, vcc_lo
	s_delay_alu instid0(VALU_DEP_1)
	v_add_nc_u32_e32 v1, v1, v3
	v_cmpx_eq_u32_e32 0, v18
; %bb.40:
	v_lshrrev_b32_e32 v3, 3, v0
	s_delay_alu instid0(VALU_DEP_1)
	v_and_b32_e32 v3, 28, v3
	ds_store_b32 v3, v1 offset:32
; %bb.41:
	s_or_b32 exec_lo, exec_lo, s3
	s_delay_alu instid0(SALU_CYCLE_1)
	s_mov_b32 s3, exec_lo
	s_wait_dscnt 0x0
	s_barrier_signal -1
	s_barrier_wait -1
	global_inv scope:SCOPE_SE
	v_cmpx_gt_u32_e32 8, v0
	s_cbranch_execz .LBB87_43
; %bb.42:
	ds_load_b32 v1, v2 offset:32
	v_and_b32_e32 v3, 7, v18
	s_add_co_i32 s2, s2, 31
	v_or_b32_e32 v2, 16, v2
	s_wait_alu 0xfffe
	s_lshr_b32 s2, s2, 5
	v_cmp_ne_u32_e32 vcc_lo, 7, v3
	v_add_nc_u32_e32 v5, 1, v3
	s_wait_alu 0xfffd
	v_add_co_ci_u32_e64 v4, null, 0, v18, vcc_lo
	v_cmp_gt_u32_e32 vcc_lo, 6, v3
	s_delay_alu instid0(VALU_DEP_2)
	v_lshlrev_b32_e32 v4, 2, v4
	s_wait_alu 0xfffd
	v_cndmask_b32_e64 v6, 0, 2, vcc_lo
	s_wait_alu 0xfffe
	v_cmp_gt_u32_e32 vcc_lo, s2, v5
	s_wait_dscnt 0x0
	ds_bpermute_b32 v4, v4, v1
	v_add_lshl_u32 v5, v6, v18, 2
	s_wait_dscnt 0x0
	s_wait_alu 0xfffd
	v_cndmask_b32_e32 v4, 0, v4, vcc_lo
	s_delay_alu instid0(VALU_DEP_1) | instskip(SKIP_3) | instid1(VALU_DEP_2)
	v_add_nc_u32_e32 v1, v4, v1
	ds_bpermute_b32 v4, v5, v1
	v_add_nc_u32_e32 v5, 2, v3
	v_add_nc_u32_e32 v3, 4, v3
	v_cmp_gt_u32_e32 vcc_lo, s2, v5
	s_wait_dscnt 0x0
	s_wait_alu 0xfffd
	v_cndmask_b32_e32 v4, 0, v4, vcc_lo
	v_cmp_gt_u32_e32 vcc_lo, s2, v3
	s_delay_alu instid0(VALU_DEP_2) | instskip(SKIP_4) | instid1(VALU_DEP_1)
	v_add_nc_u32_e32 v1, v1, v4
	ds_bpermute_b32 v2, v2, v1
	s_wait_dscnt 0x0
	s_wait_alu 0xfffd
	v_cndmask_b32_e32 v2, 0, v2, vcc_lo
	v_add_nc_u32_e32 v1, v1, v2
.LBB87_43:
	s_wait_alu 0xfffe
	s_or_b32 exec_lo, exec_lo, s3
.LBB87_44:
	s_load_b32 s0, s[0:1], 0x30
	s_mov_b32 s1, exec_lo
	v_cmpx_eq_u32_e32 0, v0
	s_cbranch_execz .LBB87_46
; %bb.45:
	s_mul_u64 s[2:3], s[22:23], s[20:21]
	s_wait_alu 0xfffe
	s_lshl_b64 s[2:3], s[2:3], 2
	s_cmp_eq_u64 s[16:17], 0
	s_wait_alu 0xfffe
	s_add_nc_u64 s[2:3], s[18:19], s[2:3]
	s_cselect_b32 s1, -1, 0
	s_wait_kmcnt 0x0
	v_cndmask_b32_e64 v0, v1, s0, s1
	v_mov_b32_e32 v1, 0
	s_lshl_b64 s[0:1], s[24:25], 2
	s_wait_alu 0xfffe
	s_add_nc_u64 s[0:1], s[2:3], s[0:1]
	global_store_b32 v1, v0, s[0:1]
.LBB87_46:
	s_endpgm
	.section	.rodata,"a",@progbits
	.p2align	6, 0x0
	.amdhsa_kernel _ZN7rocprim17ROCPRIM_400000_NS6detail17trampoline_kernelINS0_14default_configENS1_22reduce_config_selectorIiEEZNS1_11reduce_implILb1ES3_PiS7_iN6hipcub16HIPCUB_304000_NS6detail34convert_binary_result_type_wrapperINS9_3SumENS9_22TransformInputIteratorIbN2at6native12_GLOBAL__N_19NonZeroOpIaEEPKalEEiEEEE10hipError_tPvRmT1_T2_T3_mT4_P12ihipStream_tbEUlT_E0_NS1_11comp_targetILNS1_3genE10ELNS1_11target_archE1201ELNS1_3gpuE5ELNS1_3repE0EEENS1_30default_config_static_selectorELNS0_4arch9wavefront6targetE0EEEvSQ_
		.amdhsa_group_segment_fixed_size 64
		.amdhsa_private_segment_fixed_size 0
		.amdhsa_kernarg_size 56
		.amdhsa_user_sgpr_count 2
		.amdhsa_user_sgpr_dispatch_ptr 0
		.amdhsa_user_sgpr_queue_ptr 0
		.amdhsa_user_sgpr_kernarg_segment_ptr 1
		.amdhsa_user_sgpr_dispatch_id 0
		.amdhsa_user_sgpr_private_segment_size 0
		.amdhsa_wavefront_size32 1
		.amdhsa_uses_dynamic_stack 0
		.amdhsa_enable_private_segment 0
		.amdhsa_system_sgpr_workgroup_id_x 1
		.amdhsa_system_sgpr_workgroup_id_y 0
		.amdhsa_system_sgpr_workgroup_id_z 0
		.amdhsa_system_sgpr_workgroup_info 0
		.amdhsa_system_vgpr_workitem_id 0
		.amdhsa_next_free_vgpr 20
		.amdhsa_next_free_sgpr 30
		.amdhsa_reserve_vcc 1
		.amdhsa_float_round_mode_32 0
		.amdhsa_float_round_mode_16_64 0
		.amdhsa_float_denorm_mode_32 3
		.amdhsa_float_denorm_mode_16_64 3
		.amdhsa_fp16_overflow 0
		.amdhsa_workgroup_processor_mode 1
		.amdhsa_memory_ordered 1
		.amdhsa_forward_progress 1
		.amdhsa_inst_pref_size 20
		.amdhsa_round_robin_scheduling 0
		.amdhsa_exception_fp_ieee_invalid_op 0
		.amdhsa_exception_fp_denorm_src 0
		.amdhsa_exception_fp_ieee_div_zero 0
		.amdhsa_exception_fp_ieee_overflow 0
		.amdhsa_exception_fp_ieee_underflow 0
		.amdhsa_exception_fp_ieee_inexact 0
		.amdhsa_exception_int_div_zero 0
	.end_amdhsa_kernel
	.section	.text._ZN7rocprim17ROCPRIM_400000_NS6detail17trampoline_kernelINS0_14default_configENS1_22reduce_config_selectorIiEEZNS1_11reduce_implILb1ES3_PiS7_iN6hipcub16HIPCUB_304000_NS6detail34convert_binary_result_type_wrapperINS9_3SumENS9_22TransformInputIteratorIbN2at6native12_GLOBAL__N_19NonZeroOpIaEEPKalEEiEEEE10hipError_tPvRmT1_T2_T3_mT4_P12ihipStream_tbEUlT_E0_NS1_11comp_targetILNS1_3genE10ELNS1_11target_archE1201ELNS1_3gpuE5ELNS1_3repE0EEENS1_30default_config_static_selectorELNS0_4arch9wavefront6targetE0EEEvSQ_,"axG",@progbits,_ZN7rocprim17ROCPRIM_400000_NS6detail17trampoline_kernelINS0_14default_configENS1_22reduce_config_selectorIiEEZNS1_11reduce_implILb1ES3_PiS7_iN6hipcub16HIPCUB_304000_NS6detail34convert_binary_result_type_wrapperINS9_3SumENS9_22TransformInputIteratorIbN2at6native12_GLOBAL__N_19NonZeroOpIaEEPKalEEiEEEE10hipError_tPvRmT1_T2_T3_mT4_P12ihipStream_tbEUlT_E0_NS1_11comp_targetILNS1_3genE10ELNS1_11target_archE1201ELNS1_3gpuE5ELNS1_3repE0EEENS1_30default_config_static_selectorELNS0_4arch9wavefront6targetE0EEEvSQ_,comdat
.Lfunc_end87:
	.size	_ZN7rocprim17ROCPRIM_400000_NS6detail17trampoline_kernelINS0_14default_configENS1_22reduce_config_selectorIiEEZNS1_11reduce_implILb1ES3_PiS7_iN6hipcub16HIPCUB_304000_NS6detail34convert_binary_result_type_wrapperINS9_3SumENS9_22TransformInputIteratorIbN2at6native12_GLOBAL__N_19NonZeroOpIaEEPKalEEiEEEE10hipError_tPvRmT1_T2_T3_mT4_P12ihipStream_tbEUlT_E0_NS1_11comp_targetILNS1_3genE10ELNS1_11target_archE1201ELNS1_3gpuE5ELNS1_3repE0EEENS1_30default_config_static_selectorELNS0_4arch9wavefront6targetE0EEEvSQ_, .Lfunc_end87-_ZN7rocprim17ROCPRIM_400000_NS6detail17trampoline_kernelINS0_14default_configENS1_22reduce_config_selectorIiEEZNS1_11reduce_implILb1ES3_PiS7_iN6hipcub16HIPCUB_304000_NS6detail34convert_binary_result_type_wrapperINS9_3SumENS9_22TransformInputIteratorIbN2at6native12_GLOBAL__N_19NonZeroOpIaEEPKalEEiEEEE10hipError_tPvRmT1_T2_T3_mT4_P12ihipStream_tbEUlT_E0_NS1_11comp_targetILNS1_3genE10ELNS1_11target_archE1201ELNS1_3gpuE5ELNS1_3repE0EEENS1_30default_config_static_selectorELNS0_4arch9wavefront6targetE0EEEvSQ_
                                        ; -- End function
	.set _ZN7rocprim17ROCPRIM_400000_NS6detail17trampoline_kernelINS0_14default_configENS1_22reduce_config_selectorIiEEZNS1_11reduce_implILb1ES3_PiS7_iN6hipcub16HIPCUB_304000_NS6detail34convert_binary_result_type_wrapperINS9_3SumENS9_22TransformInputIteratorIbN2at6native12_GLOBAL__N_19NonZeroOpIaEEPKalEEiEEEE10hipError_tPvRmT1_T2_T3_mT4_P12ihipStream_tbEUlT_E0_NS1_11comp_targetILNS1_3genE10ELNS1_11target_archE1201ELNS1_3gpuE5ELNS1_3repE0EEENS1_30default_config_static_selectorELNS0_4arch9wavefront6targetE0EEEvSQ_.num_vgpr, 20
	.set _ZN7rocprim17ROCPRIM_400000_NS6detail17trampoline_kernelINS0_14default_configENS1_22reduce_config_selectorIiEEZNS1_11reduce_implILb1ES3_PiS7_iN6hipcub16HIPCUB_304000_NS6detail34convert_binary_result_type_wrapperINS9_3SumENS9_22TransformInputIteratorIbN2at6native12_GLOBAL__N_19NonZeroOpIaEEPKalEEiEEEE10hipError_tPvRmT1_T2_T3_mT4_P12ihipStream_tbEUlT_E0_NS1_11comp_targetILNS1_3genE10ELNS1_11target_archE1201ELNS1_3gpuE5ELNS1_3repE0EEENS1_30default_config_static_selectorELNS0_4arch9wavefront6targetE0EEEvSQ_.num_agpr, 0
	.set _ZN7rocprim17ROCPRIM_400000_NS6detail17trampoline_kernelINS0_14default_configENS1_22reduce_config_selectorIiEEZNS1_11reduce_implILb1ES3_PiS7_iN6hipcub16HIPCUB_304000_NS6detail34convert_binary_result_type_wrapperINS9_3SumENS9_22TransformInputIteratorIbN2at6native12_GLOBAL__N_19NonZeroOpIaEEPKalEEiEEEE10hipError_tPvRmT1_T2_T3_mT4_P12ihipStream_tbEUlT_E0_NS1_11comp_targetILNS1_3genE10ELNS1_11target_archE1201ELNS1_3gpuE5ELNS1_3repE0EEENS1_30default_config_static_selectorELNS0_4arch9wavefront6targetE0EEEvSQ_.numbered_sgpr, 30
	.set _ZN7rocprim17ROCPRIM_400000_NS6detail17trampoline_kernelINS0_14default_configENS1_22reduce_config_selectorIiEEZNS1_11reduce_implILb1ES3_PiS7_iN6hipcub16HIPCUB_304000_NS6detail34convert_binary_result_type_wrapperINS9_3SumENS9_22TransformInputIteratorIbN2at6native12_GLOBAL__N_19NonZeroOpIaEEPKalEEiEEEE10hipError_tPvRmT1_T2_T3_mT4_P12ihipStream_tbEUlT_E0_NS1_11comp_targetILNS1_3genE10ELNS1_11target_archE1201ELNS1_3gpuE5ELNS1_3repE0EEENS1_30default_config_static_selectorELNS0_4arch9wavefront6targetE0EEEvSQ_.num_named_barrier, 0
	.set _ZN7rocprim17ROCPRIM_400000_NS6detail17trampoline_kernelINS0_14default_configENS1_22reduce_config_selectorIiEEZNS1_11reduce_implILb1ES3_PiS7_iN6hipcub16HIPCUB_304000_NS6detail34convert_binary_result_type_wrapperINS9_3SumENS9_22TransformInputIteratorIbN2at6native12_GLOBAL__N_19NonZeroOpIaEEPKalEEiEEEE10hipError_tPvRmT1_T2_T3_mT4_P12ihipStream_tbEUlT_E0_NS1_11comp_targetILNS1_3genE10ELNS1_11target_archE1201ELNS1_3gpuE5ELNS1_3repE0EEENS1_30default_config_static_selectorELNS0_4arch9wavefront6targetE0EEEvSQ_.private_seg_size, 0
	.set _ZN7rocprim17ROCPRIM_400000_NS6detail17trampoline_kernelINS0_14default_configENS1_22reduce_config_selectorIiEEZNS1_11reduce_implILb1ES3_PiS7_iN6hipcub16HIPCUB_304000_NS6detail34convert_binary_result_type_wrapperINS9_3SumENS9_22TransformInputIteratorIbN2at6native12_GLOBAL__N_19NonZeroOpIaEEPKalEEiEEEE10hipError_tPvRmT1_T2_T3_mT4_P12ihipStream_tbEUlT_E0_NS1_11comp_targetILNS1_3genE10ELNS1_11target_archE1201ELNS1_3gpuE5ELNS1_3repE0EEENS1_30default_config_static_selectorELNS0_4arch9wavefront6targetE0EEEvSQ_.uses_vcc, 1
	.set _ZN7rocprim17ROCPRIM_400000_NS6detail17trampoline_kernelINS0_14default_configENS1_22reduce_config_selectorIiEEZNS1_11reduce_implILb1ES3_PiS7_iN6hipcub16HIPCUB_304000_NS6detail34convert_binary_result_type_wrapperINS9_3SumENS9_22TransformInputIteratorIbN2at6native12_GLOBAL__N_19NonZeroOpIaEEPKalEEiEEEE10hipError_tPvRmT1_T2_T3_mT4_P12ihipStream_tbEUlT_E0_NS1_11comp_targetILNS1_3genE10ELNS1_11target_archE1201ELNS1_3gpuE5ELNS1_3repE0EEENS1_30default_config_static_selectorELNS0_4arch9wavefront6targetE0EEEvSQ_.uses_flat_scratch, 0
	.set _ZN7rocprim17ROCPRIM_400000_NS6detail17trampoline_kernelINS0_14default_configENS1_22reduce_config_selectorIiEEZNS1_11reduce_implILb1ES3_PiS7_iN6hipcub16HIPCUB_304000_NS6detail34convert_binary_result_type_wrapperINS9_3SumENS9_22TransformInputIteratorIbN2at6native12_GLOBAL__N_19NonZeroOpIaEEPKalEEiEEEE10hipError_tPvRmT1_T2_T3_mT4_P12ihipStream_tbEUlT_E0_NS1_11comp_targetILNS1_3genE10ELNS1_11target_archE1201ELNS1_3gpuE5ELNS1_3repE0EEENS1_30default_config_static_selectorELNS0_4arch9wavefront6targetE0EEEvSQ_.has_dyn_sized_stack, 0
	.set _ZN7rocprim17ROCPRIM_400000_NS6detail17trampoline_kernelINS0_14default_configENS1_22reduce_config_selectorIiEEZNS1_11reduce_implILb1ES3_PiS7_iN6hipcub16HIPCUB_304000_NS6detail34convert_binary_result_type_wrapperINS9_3SumENS9_22TransformInputIteratorIbN2at6native12_GLOBAL__N_19NonZeroOpIaEEPKalEEiEEEE10hipError_tPvRmT1_T2_T3_mT4_P12ihipStream_tbEUlT_E0_NS1_11comp_targetILNS1_3genE10ELNS1_11target_archE1201ELNS1_3gpuE5ELNS1_3repE0EEENS1_30default_config_static_selectorELNS0_4arch9wavefront6targetE0EEEvSQ_.has_recursion, 0
	.set _ZN7rocprim17ROCPRIM_400000_NS6detail17trampoline_kernelINS0_14default_configENS1_22reduce_config_selectorIiEEZNS1_11reduce_implILb1ES3_PiS7_iN6hipcub16HIPCUB_304000_NS6detail34convert_binary_result_type_wrapperINS9_3SumENS9_22TransformInputIteratorIbN2at6native12_GLOBAL__N_19NonZeroOpIaEEPKalEEiEEEE10hipError_tPvRmT1_T2_T3_mT4_P12ihipStream_tbEUlT_E0_NS1_11comp_targetILNS1_3genE10ELNS1_11target_archE1201ELNS1_3gpuE5ELNS1_3repE0EEENS1_30default_config_static_selectorELNS0_4arch9wavefront6targetE0EEEvSQ_.has_indirect_call, 0
	.section	.AMDGPU.csdata,"",@progbits
; Kernel info:
; codeLenInByte = 2448
; TotalNumSgprs: 32
; NumVgprs: 20
; ScratchSize: 0
; MemoryBound: 0
; FloatMode: 240
; IeeeMode: 1
; LDSByteSize: 64 bytes/workgroup (compile time only)
; SGPRBlocks: 0
; VGPRBlocks: 2
; NumSGPRsForWavesPerEU: 32
; NumVGPRsForWavesPerEU: 20
; Occupancy: 16
; WaveLimiterHint : 1
; COMPUTE_PGM_RSRC2:SCRATCH_EN: 0
; COMPUTE_PGM_RSRC2:USER_SGPR: 2
; COMPUTE_PGM_RSRC2:TRAP_HANDLER: 0
; COMPUTE_PGM_RSRC2:TGID_X_EN: 1
; COMPUTE_PGM_RSRC2:TGID_Y_EN: 0
; COMPUTE_PGM_RSRC2:TGID_Z_EN: 0
; COMPUTE_PGM_RSRC2:TIDIG_COMP_CNT: 0
	.section	.text._ZN7rocprim17ROCPRIM_400000_NS6detail17trampoline_kernelINS0_14default_configENS1_22reduce_config_selectorIiEEZNS1_11reduce_implILb1ES3_PiS7_iN6hipcub16HIPCUB_304000_NS6detail34convert_binary_result_type_wrapperINS9_3SumENS9_22TransformInputIteratorIbN2at6native12_GLOBAL__N_19NonZeroOpIaEEPKalEEiEEEE10hipError_tPvRmT1_T2_T3_mT4_P12ihipStream_tbEUlT_E0_NS1_11comp_targetILNS1_3genE10ELNS1_11target_archE1200ELNS1_3gpuE4ELNS1_3repE0EEENS1_30default_config_static_selectorELNS0_4arch9wavefront6targetE0EEEvSQ_,"axG",@progbits,_ZN7rocprim17ROCPRIM_400000_NS6detail17trampoline_kernelINS0_14default_configENS1_22reduce_config_selectorIiEEZNS1_11reduce_implILb1ES3_PiS7_iN6hipcub16HIPCUB_304000_NS6detail34convert_binary_result_type_wrapperINS9_3SumENS9_22TransformInputIteratorIbN2at6native12_GLOBAL__N_19NonZeroOpIaEEPKalEEiEEEE10hipError_tPvRmT1_T2_T3_mT4_P12ihipStream_tbEUlT_E0_NS1_11comp_targetILNS1_3genE10ELNS1_11target_archE1200ELNS1_3gpuE4ELNS1_3repE0EEENS1_30default_config_static_selectorELNS0_4arch9wavefront6targetE0EEEvSQ_,comdat
	.globl	_ZN7rocprim17ROCPRIM_400000_NS6detail17trampoline_kernelINS0_14default_configENS1_22reduce_config_selectorIiEEZNS1_11reduce_implILb1ES3_PiS7_iN6hipcub16HIPCUB_304000_NS6detail34convert_binary_result_type_wrapperINS9_3SumENS9_22TransformInputIteratorIbN2at6native12_GLOBAL__N_19NonZeroOpIaEEPKalEEiEEEE10hipError_tPvRmT1_T2_T3_mT4_P12ihipStream_tbEUlT_E0_NS1_11comp_targetILNS1_3genE10ELNS1_11target_archE1200ELNS1_3gpuE4ELNS1_3repE0EEENS1_30default_config_static_selectorELNS0_4arch9wavefront6targetE0EEEvSQ_ ; -- Begin function _ZN7rocprim17ROCPRIM_400000_NS6detail17trampoline_kernelINS0_14default_configENS1_22reduce_config_selectorIiEEZNS1_11reduce_implILb1ES3_PiS7_iN6hipcub16HIPCUB_304000_NS6detail34convert_binary_result_type_wrapperINS9_3SumENS9_22TransformInputIteratorIbN2at6native12_GLOBAL__N_19NonZeroOpIaEEPKalEEiEEEE10hipError_tPvRmT1_T2_T3_mT4_P12ihipStream_tbEUlT_E0_NS1_11comp_targetILNS1_3genE10ELNS1_11target_archE1200ELNS1_3gpuE4ELNS1_3repE0EEENS1_30default_config_static_selectorELNS0_4arch9wavefront6targetE0EEEvSQ_
	.p2align	8
	.type	_ZN7rocprim17ROCPRIM_400000_NS6detail17trampoline_kernelINS0_14default_configENS1_22reduce_config_selectorIiEEZNS1_11reduce_implILb1ES3_PiS7_iN6hipcub16HIPCUB_304000_NS6detail34convert_binary_result_type_wrapperINS9_3SumENS9_22TransformInputIteratorIbN2at6native12_GLOBAL__N_19NonZeroOpIaEEPKalEEiEEEE10hipError_tPvRmT1_T2_T3_mT4_P12ihipStream_tbEUlT_E0_NS1_11comp_targetILNS1_3genE10ELNS1_11target_archE1200ELNS1_3gpuE4ELNS1_3repE0EEENS1_30default_config_static_selectorELNS0_4arch9wavefront6targetE0EEEvSQ_,@function
_ZN7rocprim17ROCPRIM_400000_NS6detail17trampoline_kernelINS0_14default_configENS1_22reduce_config_selectorIiEEZNS1_11reduce_implILb1ES3_PiS7_iN6hipcub16HIPCUB_304000_NS6detail34convert_binary_result_type_wrapperINS9_3SumENS9_22TransformInputIteratorIbN2at6native12_GLOBAL__N_19NonZeroOpIaEEPKalEEiEEEE10hipError_tPvRmT1_T2_T3_mT4_P12ihipStream_tbEUlT_E0_NS1_11comp_targetILNS1_3genE10ELNS1_11target_archE1200ELNS1_3gpuE4ELNS1_3repE0EEENS1_30default_config_static_selectorELNS0_4arch9wavefront6targetE0EEEvSQ_: ; @_ZN7rocprim17ROCPRIM_400000_NS6detail17trampoline_kernelINS0_14default_configENS1_22reduce_config_selectorIiEEZNS1_11reduce_implILb1ES3_PiS7_iN6hipcub16HIPCUB_304000_NS6detail34convert_binary_result_type_wrapperINS9_3SumENS9_22TransformInputIteratorIbN2at6native12_GLOBAL__N_19NonZeroOpIaEEPKalEEiEEEE10hipError_tPvRmT1_T2_T3_mT4_P12ihipStream_tbEUlT_E0_NS1_11comp_targetILNS1_3genE10ELNS1_11target_archE1200ELNS1_3gpuE4ELNS1_3repE0EEENS1_30default_config_static_selectorELNS0_4arch9wavefront6targetE0EEEvSQ_
; %bb.0:
	.section	.rodata,"a",@progbits
	.p2align	6, 0x0
	.amdhsa_kernel _ZN7rocprim17ROCPRIM_400000_NS6detail17trampoline_kernelINS0_14default_configENS1_22reduce_config_selectorIiEEZNS1_11reduce_implILb1ES3_PiS7_iN6hipcub16HIPCUB_304000_NS6detail34convert_binary_result_type_wrapperINS9_3SumENS9_22TransformInputIteratorIbN2at6native12_GLOBAL__N_19NonZeroOpIaEEPKalEEiEEEE10hipError_tPvRmT1_T2_T3_mT4_P12ihipStream_tbEUlT_E0_NS1_11comp_targetILNS1_3genE10ELNS1_11target_archE1200ELNS1_3gpuE4ELNS1_3repE0EEENS1_30default_config_static_selectorELNS0_4arch9wavefront6targetE0EEEvSQ_
		.amdhsa_group_segment_fixed_size 0
		.amdhsa_private_segment_fixed_size 0
		.amdhsa_kernarg_size 56
		.amdhsa_user_sgpr_count 2
		.amdhsa_user_sgpr_dispatch_ptr 0
		.amdhsa_user_sgpr_queue_ptr 0
		.amdhsa_user_sgpr_kernarg_segment_ptr 1
		.amdhsa_user_sgpr_dispatch_id 0
		.amdhsa_user_sgpr_private_segment_size 0
		.amdhsa_wavefront_size32 1
		.amdhsa_uses_dynamic_stack 0
		.amdhsa_enable_private_segment 0
		.amdhsa_system_sgpr_workgroup_id_x 1
		.amdhsa_system_sgpr_workgroup_id_y 0
		.amdhsa_system_sgpr_workgroup_id_z 0
		.amdhsa_system_sgpr_workgroup_info 0
		.amdhsa_system_vgpr_workitem_id 0
		.amdhsa_next_free_vgpr 1
		.amdhsa_next_free_sgpr 1
		.amdhsa_reserve_vcc 0
		.amdhsa_float_round_mode_32 0
		.amdhsa_float_round_mode_16_64 0
		.amdhsa_float_denorm_mode_32 3
		.amdhsa_float_denorm_mode_16_64 3
		.amdhsa_fp16_overflow 0
		.amdhsa_workgroup_processor_mode 1
		.amdhsa_memory_ordered 1
		.amdhsa_forward_progress 1
		.amdhsa_inst_pref_size 0
		.amdhsa_round_robin_scheduling 0
		.amdhsa_exception_fp_ieee_invalid_op 0
		.amdhsa_exception_fp_denorm_src 0
		.amdhsa_exception_fp_ieee_div_zero 0
		.amdhsa_exception_fp_ieee_overflow 0
		.amdhsa_exception_fp_ieee_underflow 0
		.amdhsa_exception_fp_ieee_inexact 0
		.amdhsa_exception_int_div_zero 0
	.end_amdhsa_kernel
	.section	.text._ZN7rocprim17ROCPRIM_400000_NS6detail17trampoline_kernelINS0_14default_configENS1_22reduce_config_selectorIiEEZNS1_11reduce_implILb1ES3_PiS7_iN6hipcub16HIPCUB_304000_NS6detail34convert_binary_result_type_wrapperINS9_3SumENS9_22TransformInputIteratorIbN2at6native12_GLOBAL__N_19NonZeroOpIaEEPKalEEiEEEE10hipError_tPvRmT1_T2_T3_mT4_P12ihipStream_tbEUlT_E0_NS1_11comp_targetILNS1_3genE10ELNS1_11target_archE1200ELNS1_3gpuE4ELNS1_3repE0EEENS1_30default_config_static_selectorELNS0_4arch9wavefront6targetE0EEEvSQ_,"axG",@progbits,_ZN7rocprim17ROCPRIM_400000_NS6detail17trampoline_kernelINS0_14default_configENS1_22reduce_config_selectorIiEEZNS1_11reduce_implILb1ES3_PiS7_iN6hipcub16HIPCUB_304000_NS6detail34convert_binary_result_type_wrapperINS9_3SumENS9_22TransformInputIteratorIbN2at6native12_GLOBAL__N_19NonZeroOpIaEEPKalEEiEEEE10hipError_tPvRmT1_T2_T3_mT4_P12ihipStream_tbEUlT_E0_NS1_11comp_targetILNS1_3genE10ELNS1_11target_archE1200ELNS1_3gpuE4ELNS1_3repE0EEENS1_30default_config_static_selectorELNS0_4arch9wavefront6targetE0EEEvSQ_,comdat
.Lfunc_end88:
	.size	_ZN7rocprim17ROCPRIM_400000_NS6detail17trampoline_kernelINS0_14default_configENS1_22reduce_config_selectorIiEEZNS1_11reduce_implILb1ES3_PiS7_iN6hipcub16HIPCUB_304000_NS6detail34convert_binary_result_type_wrapperINS9_3SumENS9_22TransformInputIteratorIbN2at6native12_GLOBAL__N_19NonZeroOpIaEEPKalEEiEEEE10hipError_tPvRmT1_T2_T3_mT4_P12ihipStream_tbEUlT_E0_NS1_11comp_targetILNS1_3genE10ELNS1_11target_archE1200ELNS1_3gpuE4ELNS1_3repE0EEENS1_30default_config_static_selectorELNS0_4arch9wavefront6targetE0EEEvSQ_, .Lfunc_end88-_ZN7rocprim17ROCPRIM_400000_NS6detail17trampoline_kernelINS0_14default_configENS1_22reduce_config_selectorIiEEZNS1_11reduce_implILb1ES3_PiS7_iN6hipcub16HIPCUB_304000_NS6detail34convert_binary_result_type_wrapperINS9_3SumENS9_22TransformInputIteratorIbN2at6native12_GLOBAL__N_19NonZeroOpIaEEPKalEEiEEEE10hipError_tPvRmT1_T2_T3_mT4_P12ihipStream_tbEUlT_E0_NS1_11comp_targetILNS1_3genE10ELNS1_11target_archE1200ELNS1_3gpuE4ELNS1_3repE0EEENS1_30default_config_static_selectorELNS0_4arch9wavefront6targetE0EEEvSQ_
                                        ; -- End function
	.set _ZN7rocprim17ROCPRIM_400000_NS6detail17trampoline_kernelINS0_14default_configENS1_22reduce_config_selectorIiEEZNS1_11reduce_implILb1ES3_PiS7_iN6hipcub16HIPCUB_304000_NS6detail34convert_binary_result_type_wrapperINS9_3SumENS9_22TransformInputIteratorIbN2at6native12_GLOBAL__N_19NonZeroOpIaEEPKalEEiEEEE10hipError_tPvRmT1_T2_T3_mT4_P12ihipStream_tbEUlT_E0_NS1_11comp_targetILNS1_3genE10ELNS1_11target_archE1200ELNS1_3gpuE4ELNS1_3repE0EEENS1_30default_config_static_selectorELNS0_4arch9wavefront6targetE0EEEvSQ_.num_vgpr, 0
	.set _ZN7rocprim17ROCPRIM_400000_NS6detail17trampoline_kernelINS0_14default_configENS1_22reduce_config_selectorIiEEZNS1_11reduce_implILb1ES3_PiS7_iN6hipcub16HIPCUB_304000_NS6detail34convert_binary_result_type_wrapperINS9_3SumENS9_22TransformInputIteratorIbN2at6native12_GLOBAL__N_19NonZeroOpIaEEPKalEEiEEEE10hipError_tPvRmT1_T2_T3_mT4_P12ihipStream_tbEUlT_E0_NS1_11comp_targetILNS1_3genE10ELNS1_11target_archE1200ELNS1_3gpuE4ELNS1_3repE0EEENS1_30default_config_static_selectorELNS0_4arch9wavefront6targetE0EEEvSQ_.num_agpr, 0
	.set _ZN7rocprim17ROCPRIM_400000_NS6detail17trampoline_kernelINS0_14default_configENS1_22reduce_config_selectorIiEEZNS1_11reduce_implILb1ES3_PiS7_iN6hipcub16HIPCUB_304000_NS6detail34convert_binary_result_type_wrapperINS9_3SumENS9_22TransformInputIteratorIbN2at6native12_GLOBAL__N_19NonZeroOpIaEEPKalEEiEEEE10hipError_tPvRmT1_T2_T3_mT4_P12ihipStream_tbEUlT_E0_NS1_11comp_targetILNS1_3genE10ELNS1_11target_archE1200ELNS1_3gpuE4ELNS1_3repE0EEENS1_30default_config_static_selectorELNS0_4arch9wavefront6targetE0EEEvSQ_.numbered_sgpr, 0
	.set _ZN7rocprim17ROCPRIM_400000_NS6detail17trampoline_kernelINS0_14default_configENS1_22reduce_config_selectorIiEEZNS1_11reduce_implILb1ES3_PiS7_iN6hipcub16HIPCUB_304000_NS6detail34convert_binary_result_type_wrapperINS9_3SumENS9_22TransformInputIteratorIbN2at6native12_GLOBAL__N_19NonZeroOpIaEEPKalEEiEEEE10hipError_tPvRmT1_T2_T3_mT4_P12ihipStream_tbEUlT_E0_NS1_11comp_targetILNS1_3genE10ELNS1_11target_archE1200ELNS1_3gpuE4ELNS1_3repE0EEENS1_30default_config_static_selectorELNS0_4arch9wavefront6targetE0EEEvSQ_.num_named_barrier, 0
	.set _ZN7rocprim17ROCPRIM_400000_NS6detail17trampoline_kernelINS0_14default_configENS1_22reduce_config_selectorIiEEZNS1_11reduce_implILb1ES3_PiS7_iN6hipcub16HIPCUB_304000_NS6detail34convert_binary_result_type_wrapperINS9_3SumENS9_22TransformInputIteratorIbN2at6native12_GLOBAL__N_19NonZeroOpIaEEPKalEEiEEEE10hipError_tPvRmT1_T2_T3_mT4_P12ihipStream_tbEUlT_E0_NS1_11comp_targetILNS1_3genE10ELNS1_11target_archE1200ELNS1_3gpuE4ELNS1_3repE0EEENS1_30default_config_static_selectorELNS0_4arch9wavefront6targetE0EEEvSQ_.private_seg_size, 0
	.set _ZN7rocprim17ROCPRIM_400000_NS6detail17trampoline_kernelINS0_14default_configENS1_22reduce_config_selectorIiEEZNS1_11reduce_implILb1ES3_PiS7_iN6hipcub16HIPCUB_304000_NS6detail34convert_binary_result_type_wrapperINS9_3SumENS9_22TransformInputIteratorIbN2at6native12_GLOBAL__N_19NonZeroOpIaEEPKalEEiEEEE10hipError_tPvRmT1_T2_T3_mT4_P12ihipStream_tbEUlT_E0_NS1_11comp_targetILNS1_3genE10ELNS1_11target_archE1200ELNS1_3gpuE4ELNS1_3repE0EEENS1_30default_config_static_selectorELNS0_4arch9wavefront6targetE0EEEvSQ_.uses_vcc, 0
	.set _ZN7rocprim17ROCPRIM_400000_NS6detail17trampoline_kernelINS0_14default_configENS1_22reduce_config_selectorIiEEZNS1_11reduce_implILb1ES3_PiS7_iN6hipcub16HIPCUB_304000_NS6detail34convert_binary_result_type_wrapperINS9_3SumENS9_22TransformInputIteratorIbN2at6native12_GLOBAL__N_19NonZeroOpIaEEPKalEEiEEEE10hipError_tPvRmT1_T2_T3_mT4_P12ihipStream_tbEUlT_E0_NS1_11comp_targetILNS1_3genE10ELNS1_11target_archE1200ELNS1_3gpuE4ELNS1_3repE0EEENS1_30default_config_static_selectorELNS0_4arch9wavefront6targetE0EEEvSQ_.uses_flat_scratch, 0
	.set _ZN7rocprim17ROCPRIM_400000_NS6detail17trampoline_kernelINS0_14default_configENS1_22reduce_config_selectorIiEEZNS1_11reduce_implILb1ES3_PiS7_iN6hipcub16HIPCUB_304000_NS6detail34convert_binary_result_type_wrapperINS9_3SumENS9_22TransformInputIteratorIbN2at6native12_GLOBAL__N_19NonZeroOpIaEEPKalEEiEEEE10hipError_tPvRmT1_T2_T3_mT4_P12ihipStream_tbEUlT_E0_NS1_11comp_targetILNS1_3genE10ELNS1_11target_archE1200ELNS1_3gpuE4ELNS1_3repE0EEENS1_30default_config_static_selectorELNS0_4arch9wavefront6targetE0EEEvSQ_.has_dyn_sized_stack, 0
	.set _ZN7rocprim17ROCPRIM_400000_NS6detail17trampoline_kernelINS0_14default_configENS1_22reduce_config_selectorIiEEZNS1_11reduce_implILb1ES3_PiS7_iN6hipcub16HIPCUB_304000_NS6detail34convert_binary_result_type_wrapperINS9_3SumENS9_22TransformInputIteratorIbN2at6native12_GLOBAL__N_19NonZeroOpIaEEPKalEEiEEEE10hipError_tPvRmT1_T2_T3_mT4_P12ihipStream_tbEUlT_E0_NS1_11comp_targetILNS1_3genE10ELNS1_11target_archE1200ELNS1_3gpuE4ELNS1_3repE0EEENS1_30default_config_static_selectorELNS0_4arch9wavefront6targetE0EEEvSQ_.has_recursion, 0
	.set _ZN7rocprim17ROCPRIM_400000_NS6detail17trampoline_kernelINS0_14default_configENS1_22reduce_config_selectorIiEEZNS1_11reduce_implILb1ES3_PiS7_iN6hipcub16HIPCUB_304000_NS6detail34convert_binary_result_type_wrapperINS9_3SumENS9_22TransformInputIteratorIbN2at6native12_GLOBAL__N_19NonZeroOpIaEEPKalEEiEEEE10hipError_tPvRmT1_T2_T3_mT4_P12ihipStream_tbEUlT_E0_NS1_11comp_targetILNS1_3genE10ELNS1_11target_archE1200ELNS1_3gpuE4ELNS1_3repE0EEENS1_30default_config_static_selectorELNS0_4arch9wavefront6targetE0EEEvSQ_.has_indirect_call, 0
	.section	.AMDGPU.csdata,"",@progbits
; Kernel info:
; codeLenInByte = 0
; TotalNumSgprs: 0
; NumVgprs: 0
; ScratchSize: 0
; MemoryBound: 0
; FloatMode: 240
; IeeeMode: 1
; LDSByteSize: 0 bytes/workgroup (compile time only)
; SGPRBlocks: 0
; VGPRBlocks: 0
; NumSGPRsForWavesPerEU: 1
; NumVGPRsForWavesPerEU: 1
; Occupancy: 16
; WaveLimiterHint : 0
; COMPUTE_PGM_RSRC2:SCRATCH_EN: 0
; COMPUTE_PGM_RSRC2:USER_SGPR: 2
; COMPUTE_PGM_RSRC2:TRAP_HANDLER: 0
; COMPUTE_PGM_RSRC2:TGID_X_EN: 1
; COMPUTE_PGM_RSRC2:TGID_Y_EN: 0
; COMPUTE_PGM_RSRC2:TGID_Z_EN: 0
; COMPUTE_PGM_RSRC2:TIDIG_COMP_CNT: 0
	.section	.text._ZN7rocprim17ROCPRIM_400000_NS6detail17trampoline_kernelINS0_14default_configENS1_22reduce_config_selectorIiEEZNS1_11reduce_implILb1ES3_PiS7_iN6hipcub16HIPCUB_304000_NS6detail34convert_binary_result_type_wrapperINS9_3SumENS9_22TransformInputIteratorIbN2at6native12_GLOBAL__N_19NonZeroOpIaEEPKalEEiEEEE10hipError_tPvRmT1_T2_T3_mT4_P12ihipStream_tbEUlT_E0_NS1_11comp_targetILNS1_3genE9ELNS1_11target_archE1100ELNS1_3gpuE3ELNS1_3repE0EEENS1_30default_config_static_selectorELNS0_4arch9wavefront6targetE0EEEvSQ_,"axG",@progbits,_ZN7rocprim17ROCPRIM_400000_NS6detail17trampoline_kernelINS0_14default_configENS1_22reduce_config_selectorIiEEZNS1_11reduce_implILb1ES3_PiS7_iN6hipcub16HIPCUB_304000_NS6detail34convert_binary_result_type_wrapperINS9_3SumENS9_22TransformInputIteratorIbN2at6native12_GLOBAL__N_19NonZeroOpIaEEPKalEEiEEEE10hipError_tPvRmT1_T2_T3_mT4_P12ihipStream_tbEUlT_E0_NS1_11comp_targetILNS1_3genE9ELNS1_11target_archE1100ELNS1_3gpuE3ELNS1_3repE0EEENS1_30default_config_static_selectorELNS0_4arch9wavefront6targetE0EEEvSQ_,comdat
	.globl	_ZN7rocprim17ROCPRIM_400000_NS6detail17trampoline_kernelINS0_14default_configENS1_22reduce_config_selectorIiEEZNS1_11reduce_implILb1ES3_PiS7_iN6hipcub16HIPCUB_304000_NS6detail34convert_binary_result_type_wrapperINS9_3SumENS9_22TransformInputIteratorIbN2at6native12_GLOBAL__N_19NonZeroOpIaEEPKalEEiEEEE10hipError_tPvRmT1_T2_T3_mT4_P12ihipStream_tbEUlT_E0_NS1_11comp_targetILNS1_3genE9ELNS1_11target_archE1100ELNS1_3gpuE3ELNS1_3repE0EEENS1_30default_config_static_selectorELNS0_4arch9wavefront6targetE0EEEvSQ_ ; -- Begin function _ZN7rocprim17ROCPRIM_400000_NS6detail17trampoline_kernelINS0_14default_configENS1_22reduce_config_selectorIiEEZNS1_11reduce_implILb1ES3_PiS7_iN6hipcub16HIPCUB_304000_NS6detail34convert_binary_result_type_wrapperINS9_3SumENS9_22TransformInputIteratorIbN2at6native12_GLOBAL__N_19NonZeroOpIaEEPKalEEiEEEE10hipError_tPvRmT1_T2_T3_mT4_P12ihipStream_tbEUlT_E0_NS1_11comp_targetILNS1_3genE9ELNS1_11target_archE1100ELNS1_3gpuE3ELNS1_3repE0EEENS1_30default_config_static_selectorELNS0_4arch9wavefront6targetE0EEEvSQ_
	.p2align	8
	.type	_ZN7rocprim17ROCPRIM_400000_NS6detail17trampoline_kernelINS0_14default_configENS1_22reduce_config_selectorIiEEZNS1_11reduce_implILb1ES3_PiS7_iN6hipcub16HIPCUB_304000_NS6detail34convert_binary_result_type_wrapperINS9_3SumENS9_22TransformInputIteratorIbN2at6native12_GLOBAL__N_19NonZeroOpIaEEPKalEEiEEEE10hipError_tPvRmT1_T2_T3_mT4_P12ihipStream_tbEUlT_E0_NS1_11comp_targetILNS1_3genE9ELNS1_11target_archE1100ELNS1_3gpuE3ELNS1_3repE0EEENS1_30default_config_static_selectorELNS0_4arch9wavefront6targetE0EEEvSQ_,@function
_ZN7rocprim17ROCPRIM_400000_NS6detail17trampoline_kernelINS0_14default_configENS1_22reduce_config_selectorIiEEZNS1_11reduce_implILb1ES3_PiS7_iN6hipcub16HIPCUB_304000_NS6detail34convert_binary_result_type_wrapperINS9_3SumENS9_22TransformInputIteratorIbN2at6native12_GLOBAL__N_19NonZeroOpIaEEPKalEEiEEEE10hipError_tPvRmT1_T2_T3_mT4_P12ihipStream_tbEUlT_E0_NS1_11comp_targetILNS1_3genE9ELNS1_11target_archE1100ELNS1_3gpuE3ELNS1_3repE0EEENS1_30default_config_static_selectorELNS0_4arch9wavefront6targetE0EEEvSQ_: ; @_ZN7rocprim17ROCPRIM_400000_NS6detail17trampoline_kernelINS0_14default_configENS1_22reduce_config_selectorIiEEZNS1_11reduce_implILb1ES3_PiS7_iN6hipcub16HIPCUB_304000_NS6detail34convert_binary_result_type_wrapperINS9_3SumENS9_22TransformInputIteratorIbN2at6native12_GLOBAL__N_19NonZeroOpIaEEPKalEEiEEEE10hipError_tPvRmT1_T2_T3_mT4_P12ihipStream_tbEUlT_E0_NS1_11comp_targetILNS1_3genE9ELNS1_11target_archE1100ELNS1_3gpuE3ELNS1_3repE0EEENS1_30default_config_static_selectorELNS0_4arch9wavefront6targetE0EEEvSQ_
; %bb.0:
	.section	.rodata,"a",@progbits
	.p2align	6, 0x0
	.amdhsa_kernel _ZN7rocprim17ROCPRIM_400000_NS6detail17trampoline_kernelINS0_14default_configENS1_22reduce_config_selectorIiEEZNS1_11reduce_implILb1ES3_PiS7_iN6hipcub16HIPCUB_304000_NS6detail34convert_binary_result_type_wrapperINS9_3SumENS9_22TransformInputIteratorIbN2at6native12_GLOBAL__N_19NonZeroOpIaEEPKalEEiEEEE10hipError_tPvRmT1_T2_T3_mT4_P12ihipStream_tbEUlT_E0_NS1_11comp_targetILNS1_3genE9ELNS1_11target_archE1100ELNS1_3gpuE3ELNS1_3repE0EEENS1_30default_config_static_selectorELNS0_4arch9wavefront6targetE0EEEvSQ_
		.amdhsa_group_segment_fixed_size 0
		.amdhsa_private_segment_fixed_size 0
		.amdhsa_kernarg_size 56
		.amdhsa_user_sgpr_count 2
		.amdhsa_user_sgpr_dispatch_ptr 0
		.amdhsa_user_sgpr_queue_ptr 0
		.amdhsa_user_sgpr_kernarg_segment_ptr 1
		.amdhsa_user_sgpr_dispatch_id 0
		.amdhsa_user_sgpr_private_segment_size 0
		.amdhsa_wavefront_size32 1
		.amdhsa_uses_dynamic_stack 0
		.amdhsa_enable_private_segment 0
		.amdhsa_system_sgpr_workgroup_id_x 1
		.amdhsa_system_sgpr_workgroup_id_y 0
		.amdhsa_system_sgpr_workgroup_id_z 0
		.amdhsa_system_sgpr_workgroup_info 0
		.amdhsa_system_vgpr_workitem_id 0
		.amdhsa_next_free_vgpr 1
		.amdhsa_next_free_sgpr 1
		.amdhsa_reserve_vcc 0
		.amdhsa_float_round_mode_32 0
		.amdhsa_float_round_mode_16_64 0
		.amdhsa_float_denorm_mode_32 3
		.amdhsa_float_denorm_mode_16_64 3
		.amdhsa_fp16_overflow 0
		.amdhsa_workgroup_processor_mode 1
		.amdhsa_memory_ordered 1
		.amdhsa_forward_progress 1
		.amdhsa_inst_pref_size 0
		.amdhsa_round_robin_scheduling 0
		.amdhsa_exception_fp_ieee_invalid_op 0
		.amdhsa_exception_fp_denorm_src 0
		.amdhsa_exception_fp_ieee_div_zero 0
		.amdhsa_exception_fp_ieee_overflow 0
		.amdhsa_exception_fp_ieee_underflow 0
		.amdhsa_exception_fp_ieee_inexact 0
		.amdhsa_exception_int_div_zero 0
	.end_amdhsa_kernel
	.section	.text._ZN7rocprim17ROCPRIM_400000_NS6detail17trampoline_kernelINS0_14default_configENS1_22reduce_config_selectorIiEEZNS1_11reduce_implILb1ES3_PiS7_iN6hipcub16HIPCUB_304000_NS6detail34convert_binary_result_type_wrapperINS9_3SumENS9_22TransformInputIteratorIbN2at6native12_GLOBAL__N_19NonZeroOpIaEEPKalEEiEEEE10hipError_tPvRmT1_T2_T3_mT4_P12ihipStream_tbEUlT_E0_NS1_11comp_targetILNS1_3genE9ELNS1_11target_archE1100ELNS1_3gpuE3ELNS1_3repE0EEENS1_30default_config_static_selectorELNS0_4arch9wavefront6targetE0EEEvSQ_,"axG",@progbits,_ZN7rocprim17ROCPRIM_400000_NS6detail17trampoline_kernelINS0_14default_configENS1_22reduce_config_selectorIiEEZNS1_11reduce_implILb1ES3_PiS7_iN6hipcub16HIPCUB_304000_NS6detail34convert_binary_result_type_wrapperINS9_3SumENS9_22TransformInputIteratorIbN2at6native12_GLOBAL__N_19NonZeroOpIaEEPKalEEiEEEE10hipError_tPvRmT1_T2_T3_mT4_P12ihipStream_tbEUlT_E0_NS1_11comp_targetILNS1_3genE9ELNS1_11target_archE1100ELNS1_3gpuE3ELNS1_3repE0EEENS1_30default_config_static_selectorELNS0_4arch9wavefront6targetE0EEEvSQ_,comdat
.Lfunc_end89:
	.size	_ZN7rocprim17ROCPRIM_400000_NS6detail17trampoline_kernelINS0_14default_configENS1_22reduce_config_selectorIiEEZNS1_11reduce_implILb1ES3_PiS7_iN6hipcub16HIPCUB_304000_NS6detail34convert_binary_result_type_wrapperINS9_3SumENS9_22TransformInputIteratorIbN2at6native12_GLOBAL__N_19NonZeroOpIaEEPKalEEiEEEE10hipError_tPvRmT1_T2_T3_mT4_P12ihipStream_tbEUlT_E0_NS1_11comp_targetILNS1_3genE9ELNS1_11target_archE1100ELNS1_3gpuE3ELNS1_3repE0EEENS1_30default_config_static_selectorELNS0_4arch9wavefront6targetE0EEEvSQ_, .Lfunc_end89-_ZN7rocprim17ROCPRIM_400000_NS6detail17trampoline_kernelINS0_14default_configENS1_22reduce_config_selectorIiEEZNS1_11reduce_implILb1ES3_PiS7_iN6hipcub16HIPCUB_304000_NS6detail34convert_binary_result_type_wrapperINS9_3SumENS9_22TransformInputIteratorIbN2at6native12_GLOBAL__N_19NonZeroOpIaEEPKalEEiEEEE10hipError_tPvRmT1_T2_T3_mT4_P12ihipStream_tbEUlT_E0_NS1_11comp_targetILNS1_3genE9ELNS1_11target_archE1100ELNS1_3gpuE3ELNS1_3repE0EEENS1_30default_config_static_selectorELNS0_4arch9wavefront6targetE0EEEvSQ_
                                        ; -- End function
	.set _ZN7rocprim17ROCPRIM_400000_NS6detail17trampoline_kernelINS0_14default_configENS1_22reduce_config_selectorIiEEZNS1_11reduce_implILb1ES3_PiS7_iN6hipcub16HIPCUB_304000_NS6detail34convert_binary_result_type_wrapperINS9_3SumENS9_22TransformInputIteratorIbN2at6native12_GLOBAL__N_19NonZeroOpIaEEPKalEEiEEEE10hipError_tPvRmT1_T2_T3_mT4_P12ihipStream_tbEUlT_E0_NS1_11comp_targetILNS1_3genE9ELNS1_11target_archE1100ELNS1_3gpuE3ELNS1_3repE0EEENS1_30default_config_static_selectorELNS0_4arch9wavefront6targetE0EEEvSQ_.num_vgpr, 0
	.set _ZN7rocprim17ROCPRIM_400000_NS6detail17trampoline_kernelINS0_14default_configENS1_22reduce_config_selectorIiEEZNS1_11reduce_implILb1ES3_PiS7_iN6hipcub16HIPCUB_304000_NS6detail34convert_binary_result_type_wrapperINS9_3SumENS9_22TransformInputIteratorIbN2at6native12_GLOBAL__N_19NonZeroOpIaEEPKalEEiEEEE10hipError_tPvRmT1_T2_T3_mT4_P12ihipStream_tbEUlT_E0_NS1_11comp_targetILNS1_3genE9ELNS1_11target_archE1100ELNS1_3gpuE3ELNS1_3repE0EEENS1_30default_config_static_selectorELNS0_4arch9wavefront6targetE0EEEvSQ_.num_agpr, 0
	.set _ZN7rocprim17ROCPRIM_400000_NS6detail17trampoline_kernelINS0_14default_configENS1_22reduce_config_selectorIiEEZNS1_11reduce_implILb1ES3_PiS7_iN6hipcub16HIPCUB_304000_NS6detail34convert_binary_result_type_wrapperINS9_3SumENS9_22TransformInputIteratorIbN2at6native12_GLOBAL__N_19NonZeroOpIaEEPKalEEiEEEE10hipError_tPvRmT1_T2_T3_mT4_P12ihipStream_tbEUlT_E0_NS1_11comp_targetILNS1_3genE9ELNS1_11target_archE1100ELNS1_3gpuE3ELNS1_3repE0EEENS1_30default_config_static_selectorELNS0_4arch9wavefront6targetE0EEEvSQ_.numbered_sgpr, 0
	.set _ZN7rocprim17ROCPRIM_400000_NS6detail17trampoline_kernelINS0_14default_configENS1_22reduce_config_selectorIiEEZNS1_11reduce_implILb1ES3_PiS7_iN6hipcub16HIPCUB_304000_NS6detail34convert_binary_result_type_wrapperINS9_3SumENS9_22TransformInputIteratorIbN2at6native12_GLOBAL__N_19NonZeroOpIaEEPKalEEiEEEE10hipError_tPvRmT1_T2_T3_mT4_P12ihipStream_tbEUlT_E0_NS1_11comp_targetILNS1_3genE9ELNS1_11target_archE1100ELNS1_3gpuE3ELNS1_3repE0EEENS1_30default_config_static_selectorELNS0_4arch9wavefront6targetE0EEEvSQ_.num_named_barrier, 0
	.set _ZN7rocprim17ROCPRIM_400000_NS6detail17trampoline_kernelINS0_14default_configENS1_22reduce_config_selectorIiEEZNS1_11reduce_implILb1ES3_PiS7_iN6hipcub16HIPCUB_304000_NS6detail34convert_binary_result_type_wrapperINS9_3SumENS9_22TransformInputIteratorIbN2at6native12_GLOBAL__N_19NonZeroOpIaEEPKalEEiEEEE10hipError_tPvRmT1_T2_T3_mT4_P12ihipStream_tbEUlT_E0_NS1_11comp_targetILNS1_3genE9ELNS1_11target_archE1100ELNS1_3gpuE3ELNS1_3repE0EEENS1_30default_config_static_selectorELNS0_4arch9wavefront6targetE0EEEvSQ_.private_seg_size, 0
	.set _ZN7rocprim17ROCPRIM_400000_NS6detail17trampoline_kernelINS0_14default_configENS1_22reduce_config_selectorIiEEZNS1_11reduce_implILb1ES3_PiS7_iN6hipcub16HIPCUB_304000_NS6detail34convert_binary_result_type_wrapperINS9_3SumENS9_22TransformInputIteratorIbN2at6native12_GLOBAL__N_19NonZeroOpIaEEPKalEEiEEEE10hipError_tPvRmT1_T2_T3_mT4_P12ihipStream_tbEUlT_E0_NS1_11comp_targetILNS1_3genE9ELNS1_11target_archE1100ELNS1_3gpuE3ELNS1_3repE0EEENS1_30default_config_static_selectorELNS0_4arch9wavefront6targetE0EEEvSQ_.uses_vcc, 0
	.set _ZN7rocprim17ROCPRIM_400000_NS6detail17trampoline_kernelINS0_14default_configENS1_22reduce_config_selectorIiEEZNS1_11reduce_implILb1ES3_PiS7_iN6hipcub16HIPCUB_304000_NS6detail34convert_binary_result_type_wrapperINS9_3SumENS9_22TransformInputIteratorIbN2at6native12_GLOBAL__N_19NonZeroOpIaEEPKalEEiEEEE10hipError_tPvRmT1_T2_T3_mT4_P12ihipStream_tbEUlT_E0_NS1_11comp_targetILNS1_3genE9ELNS1_11target_archE1100ELNS1_3gpuE3ELNS1_3repE0EEENS1_30default_config_static_selectorELNS0_4arch9wavefront6targetE0EEEvSQ_.uses_flat_scratch, 0
	.set _ZN7rocprim17ROCPRIM_400000_NS6detail17trampoline_kernelINS0_14default_configENS1_22reduce_config_selectorIiEEZNS1_11reduce_implILb1ES3_PiS7_iN6hipcub16HIPCUB_304000_NS6detail34convert_binary_result_type_wrapperINS9_3SumENS9_22TransformInputIteratorIbN2at6native12_GLOBAL__N_19NonZeroOpIaEEPKalEEiEEEE10hipError_tPvRmT1_T2_T3_mT4_P12ihipStream_tbEUlT_E0_NS1_11comp_targetILNS1_3genE9ELNS1_11target_archE1100ELNS1_3gpuE3ELNS1_3repE0EEENS1_30default_config_static_selectorELNS0_4arch9wavefront6targetE0EEEvSQ_.has_dyn_sized_stack, 0
	.set _ZN7rocprim17ROCPRIM_400000_NS6detail17trampoline_kernelINS0_14default_configENS1_22reduce_config_selectorIiEEZNS1_11reduce_implILb1ES3_PiS7_iN6hipcub16HIPCUB_304000_NS6detail34convert_binary_result_type_wrapperINS9_3SumENS9_22TransformInputIteratorIbN2at6native12_GLOBAL__N_19NonZeroOpIaEEPKalEEiEEEE10hipError_tPvRmT1_T2_T3_mT4_P12ihipStream_tbEUlT_E0_NS1_11comp_targetILNS1_3genE9ELNS1_11target_archE1100ELNS1_3gpuE3ELNS1_3repE0EEENS1_30default_config_static_selectorELNS0_4arch9wavefront6targetE0EEEvSQ_.has_recursion, 0
	.set _ZN7rocprim17ROCPRIM_400000_NS6detail17trampoline_kernelINS0_14default_configENS1_22reduce_config_selectorIiEEZNS1_11reduce_implILb1ES3_PiS7_iN6hipcub16HIPCUB_304000_NS6detail34convert_binary_result_type_wrapperINS9_3SumENS9_22TransformInputIteratorIbN2at6native12_GLOBAL__N_19NonZeroOpIaEEPKalEEiEEEE10hipError_tPvRmT1_T2_T3_mT4_P12ihipStream_tbEUlT_E0_NS1_11comp_targetILNS1_3genE9ELNS1_11target_archE1100ELNS1_3gpuE3ELNS1_3repE0EEENS1_30default_config_static_selectorELNS0_4arch9wavefront6targetE0EEEvSQ_.has_indirect_call, 0
	.section	.AMDGPU.csdata,"",@progbits
; Kernel info:
; codeLenInByte = 0
; TotalNumSgprs: 0
; NumVgprs: 0
; ScratchSize: 0
; MemoryBound: 0
; FloatMode: 240
; IeeeMode: 1
; LDSByteSize: 0 bytes/workgroup (compile time only)
; SGPRBlocks: 0
; VGPRBlocks: 0
; NumSGPRsForWavesPerEU: 1
; NumVGPRsForWavesPerEU: 1
; Occupancy: 16
; WaveLimiterHint : 0
; COMPUTE_PGM_RSRC2:SCRATCH_EN: 0
; COMPUTE_PGM_RSRC2:USER_SGPR: 2
; COMPUTE_PGM_RSRC2:TRAP_HANDLER: 0
; COMPUTE_PGM_RSRC2:TGID_X_EN: 1
; COMPUTE_PGM_RSRC2:TGID_Y_EN: 0
; COMPUTE_PGM_RSRC2:TGID_Z_EN: 0
; COMPUTE_PGM_RSRC2:TIDIG_COMP_CNT: 0
	.section	.text._ZN7rocprim17ROCPRIM_400000_NS6detail17trampoline_kernelINS0_14default_configENS1_22reduce_config_selectorIiEEZNS1_11reduce_implILb1ES3_PiS7_iN6hipcub16HIPCUB_304000_NS6detail34convert_binary_result_type_wrapperINS9_3SumENS9_22TransformInputIteratorIbN2at6native12_GLOBAL__N_19NonZeroOpIaEEPKalEEiEEEE10hipError_tPvRmT1_T2_T3_mT4_P12ihipStream_tbEUlT_E0_NS1_11comp_targetILNS1_3genE8ELNS1_11target_archE1030ELNS1_3gpuE2ELNS1_3repE0EEENS1_30default_config_static_selectorELNS0_4arch9wavefront6targetE0EEEvSQ_,"axG",@progbits,_ZN7rocprim17ROCPRIM_400000_NS6detail17trampoline_kernelINS0_14default_configENS1_22reduce_config_selectorIiEEZNS1_11reduce_implILb1ES3_PiS7_iN6hipcub16HIPCUB_304000_NS6detail34convert_binary_result_type_wrapperINS9_3SumENS9_22TransformInputIteratorIbN2at6native12_GLOBAL__N_19NonZeroOpIaEEPKalEEiEEEE10hipError_tPvRmT1_T2_T3_mT4_P12ihipStream_tbEUlT_E0_NS1_11comp_targetILNS1_3genE8ELNS1_11target_archE1030ELNS1_3gpuE2ELNS1_3repE0EEENS1_30default_config_static_selectorELNS0_4arch9wavefront6targetE0EEEvSQ_,comdat
	.globl	_ZN7rocprim17ROCPRIM_400000_NS6detail17trampoline_kernelINS0_14default_configENS1_22reduce_config_selectorIiEEZNS1_11reduce_implILb1ES3_PiS7_iN6hipcub16HIPCUB_304000_NS6detail34convert_binary_result_type_wrapperINS9_3SumENS9_22TransformInputIteratorIbN2at6native12_GLOBAL__N_19NonZeroOpIaEEPKalEEiEEEE10hipError_tPvRmT1_T2_T3_mT4_P12ihipStream_tbEUlT_E0_NS1_11comp_targetILNS1_3genE8ELNS1_11target_archE1030ELNS1_3gpuE2ELNS1_3repE0EEENS1_30default_config_static_selectorELNS0_4arch9wavefront6targetE0EEEvSQ_ ; -- Begin function _ZN7rocprim17ROCPRIM_400000_NS6detail17trampoline_kernelINS0_14default_configENS1_22reduce_config_selectorIiEEZNS1_11reduce_implILb1ES3_PiS7_iN6hipcub16HIPCUB_304000_NS6detail34convert_binary_result_type_wrapperINS9_3SumENS9_22TransformInputIteratorIbN2at6native12_GLOBAL__N_19NonZeroOpIaEEPKalEEiEEEE10hipError_tPvRmT1_T2_T3_mT4_P12ihipStream_tbEUlT_E0_NS1_11comp_targetILNS1_3genE8ELNS1_11target_archE1030ELNS1_3gpuE2ELNS1_3repE0EEENS1_30default_config_static_selectorELNS0_4arch9wavefront6targetE0EEEvSQ_
	.p2align	8
	.type	_ZN7rocprim17ROCPRIM_400000_NS6detail17trampoline_kernelINS0_14default_configENS1_22reduce_config_selectorIiEEZNS1_11reduce_implILb1ES3_PiS7_iN6hipcub16HIPCUB_304000_NS6detail34convert_binary_result_type_wrapperINS9_3SumENS9_22TransformInputIteratorIbN2at6native12_GLOBAL__N_19NonZeroOpIaEEPKalEEiEEEE10hipError_tPvRmT1_T2_T3_mT4_P12ihipStream_tbEUlT_E0_NS1_11comp_targetILNS1_3genE8ELNS1_11target_archE1030ELNS1_3gpuE2ELNS1_3repE0EEENS1_30default_config_static_selectorELNS0_4arch9wavefront6targetE0EEEvSQ_,@function
_ZN7rocprim17ROCPRIM_400000_NS6detail17trampoline_kernelINS0_14default_configENS1_22reduce_config_selectorIiEEZNS1_11reduce_implILb1ES3_PiS7_iN6hipcub16HIPCUB_304000_NS6detail34convert_binary_result_type_wrapperINS9_3SumENS9_22TransformInputIteratorIbN2at6native12_GLOBAL__N_19NonZeroOpIaEEPKalEEiEEEE10hipError_tPvRmT1_T2_T3_mT4_P12ihipStream_tbEUlT_E0_NS1_11comp_targetILNS1_3genE8ELNS1_11target_archE1030ELNS1_3gpuE2ELNS1_3repE0EEENS1_30default_config_static_selectorELNS0_4arch9wavefront6targetE0EEEvSQ_: ; @_ZN7rocprim17ROCPRIM_400000_NS6detail17trampoline_kernelINS0_14default_configENS1_22reduce_config_selectorIiEEZNS1_11reduce_implILb1ES3_PiS7_iN6hipcub16HIPCUB_304000_NS6detail34convert_binary_result_type_wrapperINS9_3SumENS9_22TransformInputIteratorIbN2at6native12_GLOBAL__N_19NonZeroOpIaEEPKalEEiEEEE10hipError_tPvRmT1_T2_T3_mT4_P12ihipStream_tbEUlT_E0_NS1_11comp_targetILNS1_3genE8ELNS1_11target_archE1030ELNS1_3gpuE2ELNS1_3repE0EEENS1_30default_config_static_selectorELNS0_4arch9wavefront6targetE0EEEvSQ_
; %bb.0:
	.section	.rodata,"a",@progbits
	.p2align	6, 0x0
	.amdhsa_kernel _ZN7rocprim17ROCPRIM_400000_NS6detail17trampoline_kernelINS0_14default_configENS1_22reduce_config_selectorIiEEZNS1_11reduce_implILb1ES3_PiS7_iN6hipcub16HIPCUB_304000_NS6detail34convert_binary_result_type_wrapperINS9_3SumENS9_22TransformInputIteratorIbN2at6native12_GLOBAL__N_19NonZeroOpIaEEPKalEEiEEEE10hipError_tPvRmT1_T2_T3_mT4_P12ihipStream_tbEUlT_E0_NS1_11comp_targetILNS1_3genE8ELNS1_11target_archE1030ELNS1_3gpuE2ELNS1_3repE0EEENS1_30default_config_static_selectorELNS0_4arch9wavefront6targetE0EEEvSQ_
		.amdhsa_group_segment_fixed_size 0
		.amdhsa_private_segment_fixed_size 0
		.amdhsa_kernarg_size 56
		.amdhsa_user_sgpr_count 2
		.amdhsa_user_sgpr_dispatch_ptr 0
		.amdhsa_user_sgpr_queue_ptr 0
		.amdhsa_user_sgpr_kernarg_segment_ptr 1
		.amdhsa_user_sgpr_dispatch_id 0
		.amdhsa_user_sgpr_private_segment_size 0
		.amdhsa_wavefront_size32 1
		.amdhsa_uses_dynamic_stack 0
		.amdhsa_enable_private_segment 0
		.amdhsa_system_sgpr_workgroup_id_x 1
		.amdhsa_system_sgpr_workgroup_id_y 0
		.amdhsa_system_sgpr_workgroup_id_z 0
		.amdhsa_system_sgpr_workgroup_info 0
		.amdhsa_system_vgpr_workitem_id 0
		.amdhsa_next_free_vgpr 1
		.amdhsa_next_free_sgpr 1
		.amdhsa_reserve_vcc 0
		.amdhsa_float_round_mode_32 0
		.amdhsa_float_round_mode_16_64 0
		.amdhsa_float_denorm_mode_32 3
		.amdhsa_float_denorm_mode_16_64 3
		.amdhsa_fp16_overflow 0
		.amdhsa_workgroup_processor_mode 1
		.amdhsa_memory_ordered 1
		.amdhsa_forward_progress 1
		.amdhsa_inst_pref_size 0
		.amdhsa_round_robin_scheduling 0
		.amdhsa_exception_fp_ieee_invalid_op 0
		.amdhsa_exception_fp_denorm_src 0
		.amdhsa_exception_fp_ieee_div_zero 0
		.amdhsa_exception_fp_ieee_overflow 0
		.amdhsa_exception_fp_ieee_underflow 0
		.amdhsa_exception_fp_ieee_inexact 0
		.amdhsa_exception_int_div_zero 0
	.end_amdhsa_kernel
	.section	.text._ZN7rocprim17ROCPRIM_400000_NS6detail17trampoline_kernelINS0_14default_configENS1_22reduce_config_selectorIiEEZNS1_11reduce_implILb1ES3_PiS7_iN6hipcub16HIPCUB_304000_NS6detail34convert_binary_result_type_wrapperINS9_3SumENS9_22TransformInputIteratorIbN2at6native12_GLOBAL__N_19NonZeroOpIaEEPKalEEiEEEE10hipError_tPvRmT1_T2_T3_mT4_P12ihipStream_tbEUlT_E0_NS1_11comp_targetILNS1_3genE8ELNS1_11target_archE1030ELNS1_3gpuE2ELNS1_3repE0EEENS1_30default_config_static_selectorELNS0_4arch9wavefront6targetE0EEEvSQ_,"axG",@progbits,_ZN7rocprim17ROCPRIM_400000_NS6detail17trampoline_kernelINS0_14default_configENS1_22reduce_config_selectorIiEEZNS1_11reduce_implILb1ES3_PiS7_iN6hipcub16HIPCUB_304000_NS6detail34convert_binary_result_type_wrapperINS9_3SumENS9_22TransformInputIteratorIbN2at6native12_GLOBAL__N_19NonZeroOpIaEEPKalEEiEEEE10hipError_tPvRmT1_T2_T3_mT4_P12ihipStream_tbEUlT_E0_NS1_11comp_targetILNS1_3genE8ELNS1_11target_archE1030ELNS1_3gpuE2ELNS1_3repE0EEENS1_30default_config_static_selectorELNS0_4arch9wavefront6targetE0EEEvSQ_,comdat
.Lfunc_end90:
	.size	_ZN7rocprim17ROCPRIM_400000_NS6detail17trampoline_kernelINS0_14default_configENS1_22reduce_config_selectorIiEEZNS1_11reduce_implILb1ES3_PiS7_iN6hipcub16HIPCUB_304000_NS6detail34convert_binary_result_type_wrapperINS9_3SumENS9_22TransformInputIteratorIbN2at6native12_GLOBAL__N_19NonZeroOpIaEEPKalEEiEEEE10hipError_tPvRmT1_T2_T3_mT4_P12ihipStream_tbEUlT_E0_NS1_11comp_targetILNS1_3genE8ELNS1_11target_archE1030ELNS1_3gpuE2ELNS1_3repE0EEENS1_30default_config_static_selectorELNS0_4arch9wavefront6targetE0EEEvSQ_, .Lfunc_end90-_ZN7rocprim17ROCPRIM_400000_NS6detail17trampoline_kernelINS0_14default_configENS1_22reduce_config_selectorIiEEZNS1_11reduce_implILb1ES3_PiS7_iN6hipcub16HIPCUB_304000_NS6detail34convert_binary_result_type_wrapperINS9_3SumENS9_22TransformInputIteratorIbN2at6native12_GLOBAL__N_19NonZeroOpIaEEPKalEEiEEEE10hipError_tPvRmT1_T2_T3_mT4_P12ihipStream_tbEUlT_E0_NS1_11comp_targetILNS1_3genE8ELNS1_11target_archE1030ELNS1_3gpuE2ELNS1_3repE0EEENS1_30default_config_static_selectorELNS0_4arch9wavefront6targetE0EEEvSQ_
                                        ; -- End function
	.set _ZN7rocprim17ROCPRIM_400000_NS6detail17trampoline_kernelINS0_14default_configENS1_22reduce_config_selectorIiEEZNS1_11reduce_implILb1ES3_PiS7_iN6hipcub16HIPCUB_304000_NS6detail34convert_binary_result_type_wrapperINS9_3SumENS9_22TransformInputIteratorIbN2at6native12_GLOBAL__N_19NonZeroOpIaEEPKalEEiEEEE10hipError_tPvRmT1_T2_T3_mT4_P12ihipStream_tbEUlT_E0_NS1_11comp_targetILNS1_3genE8ELNS1_11target_archE1030ELNS1_3gpuE2ELNS1_3repE0EEENS1_30default_config_static_selectorELNS0_4arch9wavefront6targetE0EEEvSQ_.num_vgpr, 0
	.set _ZN7rocprim17ROCPRIM_400000_NS6detail17trampoline_kernelINS0_14default_configENS1_22reduce_config_selectorIiEEZNS1_11reduce_implILb1ES3_PiS7_iN6hipcub16HIPCUB_304000_NS6detail34convert_binary_result_type_wrapperINS9_3SumENS9_22TransformInputIteratorIbN2at6native12_GLOBAL__N_19NonZeroOpIaEEPKalEEiEEEE10hipError_tPvRmT1_T2_T3_mT4_P12ihipStream_tbEUlT_E0_NS1_11comp_targetILNS1_3genE8ELNS1_11target_archE1030ELNS1_3gpuE2ELNS1_3repE0EEENS1_30default_config_static_selectorELNS0_4arch9wavefront6targetE0EEEvSQ_.num_agpr, 0
	.set _ZN7rocprim17ROCPRIM_400000_NS6detail17trampoline_kernelINS0_14default_configENS1_22reduce_config_selectorIiEEZNS1_11reduce_implILb1ES3_PiS7_iN6hipcub16HIPCUB_304000_NS6detail34convert_binary_result_type_wrapperINS9_3SumENS9_22TransformInputIteratorIbN2at6native12_GLOBAL__N_19NonZeroOpIaEEPKalEEiEEEE10hipError_tPvRmT1_T2_T3_mT4_P12ihipStream_tbEUlT_E0_NS1_11comp_targetILNS1_3genE8ELNS1_11target_archE1030ELNS1_3gpuE2ELNS1_3repE0EEENS1_30default_config_static_selectorELNS0_4arch9wavefront6targetE0EEEvSQ_.numbered_sgpr, 0
	.set _ZN7rocprim17ROCPRIM_400000_NS6detail17trampoline_kernelINS0_14default_configENS1_22reduce_config_selectorIiEEZNS1_11reduce_implILb1ES3_PiS7_iN6hipcub16HIPCUB_304000_NS6detail34convert_binary_result_type_wrapperINS9_3SumENS9_22TransformInputIteratorIbN2at6native12_GLOBAL__N_19NonZeroOpIaEEPKalEEiEEEE10hipError_tPvRmT1_T2_T3_mT4_P12ihipStream_tbEUlT_E0_NS1_11comp_targetILNS1_3genE8ELNS1_11target_archE1030ELNS1_3gpuE2ELNS1_3repE0EEENS1_30default_config_static_selectorELNS0_4arch9wavefront6targetE0EEEvSQ_.num_named_barrier, 0
	.set _ZN7rocprim17ROCPRIM_400000_NS6detail17trampoline_kernelINS0_14default_configENS1_22reduce_config_selectorIiEEZNS1_11reduce_implILb1ES3_PiS7_iN6hipcub16HIPCUB_304000_NS6detail34convert_binary_result_type_wrapperINS9_3SumENS9_22TransformInputIteratorIbN2at6native12_GLOBAL__N_19NonZeroOpIaEEPKalEEiEEEE10hipError_tPvRmT1_T2_T3_mT4_P12ihipStream_tbEUlT_E0_NS1_11comp_targetILNS1_3genE8ELNS1_11target_archE1030ELNS1_3gpuE2ELNS1_3repE0EEENS1_30default_config_static_selectorELNS0_4arch9wavefront6targetE0EEEvSQ_.private_seg_size, 0
	.set _ZN7rocprim17ROCPRIM_400000_NS6detail17trampoline_kernelINS0_14default_configENS1_22reduce_config_selectorIiEEZNS1_11reduce_implILb1ES3_PiS7_iN6hipcub16HIPCUB_304000_NS6detail34convert_binary_result_type_wrapperINS9_3SumENS9_22TransformInputIteratorIbN2at6native12_GLOBAL__N_19NonZeroOpIaEEPKalEEiEEEE10hipError_tPvRmT1_T2_T3_mT4_P12ihipStream_tbEUlT_E0_NS1_11comp_targetILNS1_3genE8ELNS1_11target_archE1030ELNS1_3gpuE2ELNS1_3repE0EEENS1_30default_config_static_selectorELNS0_4arch9wavefront6targetE0EEEvSQ_.uses_vcc, 0
	.set _ZN7rocprim17ROCPRIM_400000_NS6detail17trampoline_kernelINS0_14default_configENS1_22reduce_config_selectorIiEEZNS1_11reduce_implILb1ES3_PiS7_iN6hipcub16HIPCUB_304000_NS6detail34convert_binary_result_type_wrapperINS9_3SumENS9_22TransformInputIteratorIbN2at6native12_GLOBAL__N_19NonZeroOpIaEEPKalEEiEEEE10hipError_tPvRmT1_T2_T3_mT4_P12ihipStream_tbEUlT_E0_NS1_11comp_targetILNS1_3genE8ELNS1_11target_archE1030ELNS1_3gpuE2ELNS1_3repE0EEENS1_30default_config_static_selectorELNS0_4arch9wavefront6targetE0EEEvSQ_.uses_flat_scratch, 0
	.set _ZN7rocprim17ROCPRIM_400000_NS6detail17trampoline_kernelINS0_14default_configENS1_22reduce_config_selectorIiEEZNS1_11reduce_implILb1ES3_PiS7_iN6hipcub16HIPCUB_304000_NS6detail34convert_binary_result_type_wrapperINS9_3SumENS9_22TransformInputIteratorIbN2at6native12_GLOBAL__N_19NonZeroOpIaEEPKalEEiEEEE10hipError_tPvRmT1_T2_T3_mT4_P12ihipStream_tbEUlT_E0_NS1_11comp_targetILNS1_3genE8ELNS1_11target_archE1030ELNS1_3gpuE2ELNS1_3repE0EEENS1_30default_config_static_selectorELNS0_4arch9wavefront6targetE0EEEvSQ_.has_dyn_sized_stack, 0
	.set _ZN7rocprim17ROCPRIM_400000_NS6detail17trampoline_kernelINS0_14default_configENS1_22reduce_config_selectorIiEEZNS1_11reduce_implILb1ES3_PiS7_iN6hipcub16HIPCUB_304000_NS6detail34convert_binary_result_type_wrapperINS9_3SumENS9_22TransformInputIteratorIbN2at6native12_GLOBAL__N_19NonZeroOpIaEEPKalEEiEEEE10hipError_tPvRmT1_T2_T3_mT4_P12ihipStream_tbEUlT_E0_NS1_11comp_targetILNS1_3genE8ELNS1_11target_archE1030ELNS1_3gpuE2ELNS1_3repE0EEENS1_30default_config_static_selectorELNS0_4arch9wavefront6targetE0EEEvSQ_.has_recursion, 0
	.set _ZN7rocprim17ROCPRIM_400000_NS6detail17trampoline_kernelINS0_14default_configENS1_22reduce_config_selectorIiEEZNS1_11reduce_implILb1ES3_PiS7_iN6hipcub16HIPCUB_304000_NS6detail34convert_binary_result_type_wrapperINS9_3SumENS9_22TransformInputIteratorIbN2at6native12_GLOBAL__N_19NonZeroOpIaEEPKalEEiEEEE10hipError_tPvRmT1_T2_T3_mT4_P12ihipStream_tbEUlT_E0_NS1_11comp_targetILNS1_3genE8ELNS1_11target_archE1030ELNS1_3gpuE2ELNS1_3repE0EEENS1_30default_config_static_selectorELNS0_4arch9wavefront6targetE0EEEvSQ_.has_indirect_call, 0
	.section	.AMDGPU.csdata,"",@progbits
; Kernel info:
; codeLenInByte = 0
; TotalNumSgprs: 0
; NumVgprs: 0
; ScratchSize: 0
; MemoryBound: 0
; FloatMode: 240
; IeeeMode: 1
; LDSByteSize: 0 bytes/workgroup (compile time only)
; SGPRBlocks: 0
; VGPRBlocks: 0
; NumSGPRsForWavesPerEU: 1
; NumVGPRsForWavesPerEU: 1
; Occupancy: 16
; WaveLimiterHint : 0
; COMPUTE_PGM_RSRC2:SCRATCH_EN: 0
; COMPUTE_PGM_RSRC2:USER_SGPR: 2
; COMPUTE_PGM_RSRC2:TRAP_HANDLER: 0
; COMPUTE_PGM_RSRC2:TGID_X_EN: 1
; COMPUTE_PGM_RSRC2:TGID_Y_EN: 0
; COMPUTE_PGM_RSRC2:TGID_Z_EN: 0
; COMPUTE_PGM_RSRC2:TIDIG_COMP_CNT: 0
	.section	.text._ZN7rocprim17ROCPRIM_400000_NS6detail17trampoline_kernelINS0_14default_configENS1_22reduce_config_selectorIiEEZNS1_11reduce_implILb1ES3_PiS7_iN6hipcub16HIPCUB_304000_NS6detail34convert_binary_result_type_wrapperINS9_3SumENS9_22TransformInputIteratorIbN2at6native12_GLOBAL__N_19NonZeroOpIaEEPKalEEiEEEE10hipError_tPvRmT1_T2_T3_mT4_P12ihipStream_tbEUlT_E1_NS1_11comp_targetILNS1_3genE0ELNS1_11target_archE4294967295ELNS1_3gpuE0ELNS1_3repE0EEENS1_30default_config_static_selectorELNS0_4arch9wavefront6targetE0EEEvSQ_,"axG",@progbits,_ZN7rocprim17ROCPRIM_400000_NS6detail17trampoline_kernelINS0_14default_configENS1_22reduce_config_selectorIiEEZNS1_11reduce_implILb1ES3_PiS7_iN6hipcub16HIPCUB_304000_NS6detail34convert_binary_result_type_wrapperINS9_3SumENS9_22TransformInputIteratorIbN2at6native12_GLOBAL__N_19NonZeroOpIaEEPKalEEiEEEE10hipError_tPvRmT1_T2_T3_mT4_P12ihipStream_tbEUlT_E1_NS1_11comp_targetILNS1_3genE0ELNS1_11target_archE4294967295ELNS1_3gpuE0ELNS1_3repE0EEENS1_30default_config_static_selectorELNS0_4arch9wavefront6targetE0EEEvSQ_,comdat
	.globl	_ZN7rocprim17ROCPRIM_400000_NS6detail17trampoline_kernelINS0_14default_configENS1_22reduce_config_selectorIiEEZNS1_11reduce_implILb1ES3_PiS7_iN6hipcub16HIPCUB_304000_NS6detail34convert_binary_result_type_wrapperINS9_3SumENS9_22TransformInputIteratorIbN2at6native12_GLOBAL__N_19NonZeroOpIaEEPKalEEiEEEE10hipError_tPvRmT1_T2_T3_mT4_P12ihipStream_tbEUlT_E1_NS1_11comp_targetILNS1_3genE0ELNS1_11target_archE4294967295ELNS1_3gpuE0ELNS1_3repE0EEENS1_30default_config_static_selectorELNS0_4arch9wavefront6targetE0EEEvSQ_ ; -- Begin function _ZN7rocprim17ROCPRIM_400000_NS6detail17trampoline_kernelINS0_14default_configENS1_22reduce_config_selectorIiEEZNS1_11reduce_implILb1ES3_PiS7_iN6hipcub16HIPCUB_304000_NS6detail34convert_binary_result_type_wrapperINS9_3SumENS9_22TransformInputIteratorIbN2at6native12_GLOBAL__N_19NonZeroOpIaEEPKalEEiEEEE10hipError_tPvRmT1_T2_T3_mT4_P12ihipStream_tbEUlT_E1_NS1_11comp_targetILNS1_3genE0ELNS1_11target_archE4294967295ELNS1_3gpuE0ELNS1_3repE0EEENS1_30default_config_static_selectorELNS0_4arch9wavefront6targetE0EEEvSQ_
	.p2align	8
	.type	_ZN7rocprim17ROCPRIM_400000_NS6detail17trampoline_kernelINS0_14default_configENS1_22reduce_config_selectorIiEEZNS1_11reduce_implILb1ES3_PiS7_iN6hipcub16HIPCUB_304000_NS6detail34convert_binary_result_type_wrapperINS9_3SumENS9_22TransformInputIteratorIbN2at6native12_GLOBAL__N_19NonZeroOpIaEEPKalEEiEEEE10hipError_tPvRmT1_T2_T3_mT4_P12ihipStream_tbEUlT_E1_NS1_11comp_targetILNS1_3genE0ELNS1_11target_archE4294967295ELNS1_3gpuE0ELNS1_3repE0EEENS1_30default_config_static_selectorELNS0_4arch9wavefront6targetE0EEEvSQ_,@function
_ZN7rocprim17ROCPRIM_400000_NS6detail17trampoline_kernelINS0_14default_configENS1_22reduce_config_selectorIiEEZNS1_11reduce_implILb1ES3_PiS7_iN6hipcub16HIPCUB_304000_NS6detail34convert_binary_result_type_wrapperINS9_3SumENS9_22TransformInputIteratorIbN2at6native12_GLOBAL__N_19NonZeroOpIaEEPKalEEiEEEE10hipError_tPvRmT1_T2_T3_mT4_P12ihipStream_tbEUlT_E1_NS1_11comp_targetILNS1_3genE0ELNS1_11target_archE4294967295ELNS1_3gpuE0ELNS1_3repE0EEENS1_30default_config_static_selectorELNS0_4arch9wavefront6targetE0EEEvSQ_: ; @_ZN7rocprim17ROCPRIM_400000_NS6detail17trampoline_kernelINS0_14default_configENS1_22reduce_config_selectorIiEEZNS1_11reduce_implILb1ES3_PiS7_iN6hipcub16HIPCUB_304000_NS6detail34convert_binary_result_type_wrapperINS9_3SumENS9_22TransformInputIteratorIbN2at6native12_GLOBAL__N_19NonZeroOpIaEEPKalEEiEEEE10hipError_tPvRmT1_T2_T3_mT4_P12ihipStream_tbEUlT_E1_NS1_11comp_targetILNS1_3genE0ELNS1_11target_archE4294967295ELNS1_3gpuE0ELNS1_3repE0EEENS1_30default_config_static_selectorELNS0_4arch9wavefront6targetE0EEEvSQ_
; %bb.0:
	.section	.rodata,"a",@progbits
	.p2align	6, 0x0
	.amdhsa_kernel _ZN7rocprim17ROCPRIM_400000_NS6detail17trampoline_kernelINS0_14default_configENS1_22reduce_config_selectorIiEEZNS1_11reduce_implILb1ES3_PiS7_iN6hipcub16HIPCUB_304000_NS6detail34convert_binary_result_type_wrapperINS9_3SumENS9_22TransformInputIteratorIbN2at6native12_GLOBAL__N_19NonZeroOpIaEEPKalEEiEEEE10hipError_tPvRmT1_T2_T3_mT4_P12ihipStream_tbEUlT_E1_NS1_11comp_targetILNS1_3genE0ELNS1_11target_archE4294967295ELNS1_3gpuE0ELNS1_3repE0EEENS1_30default_config_static_selectorELNS0_4arch9wavefront6targetE0EEEvSQ_
		.amdhsa_group_segment_fixed_size 0
		.amdhsa_private_segment_fixed_size 0
		.amdhsa_kernarg_size 40
		.amdhsa_user_sgpr_count 2
		.amdhsa_user_sgpr_dispatch_ptr 0
		.amdhsa_user_sgpr_queue_ptr 0
		.amdhsa_user_sgpr_kernarg_segment_ptr 1
		.amdhsa_user_sgpr_dispatch_id 0
		.amdhsa_user_sgpr_private_segment_size 0
		.amdhsa_wavefront_size32 1
		.amdhsa_uses_dynamic_stack 0
		.amdhsa_enable_private_segment 0
		.amdhsa_system_sgpr_workgroup_id_x 1
		.amdhsa_system_sgpr_workgroup_id_y 0
		.amdhsa_system_sgpr_workgroup_id_z 0
		.amdhsa_system_sgpr_workgroup_info 0
		.amdhsa_system_vgpr_workitem_id 0
		.amdhsa_next_free_vgpr 1
		.amdhsa_next_free_sgpr 1
		.amdhsa_reserve_vcc 0
		.amdhsa_float_round_mode_32 0
		.amdhsa_float_round_mode_16_64 0
		.amdhsa_float_denorm_mode_32 3
		.amdhsa_float_denorm_mode_16_64 3
		.amdhsa_fp16_overflow 0
		.amdhsa_workgroup_processor_mode 1
		.amdhsa_memory_ordered 1
		.amdhsa_forward_progress 1
		.amdhsa_inst_pref_size 0
		.amdhsa_round_robin_scheduling 0
		.amdhsa_exception_fp_ieee_invalid_op 0
		.amdhsa_exception_fp_denorm_src 0
		.amdhsa_exception_fp_ieee_div_zero 0
		.amdhsa_exception_fp_ieee_overflow 0
		.amdhsa_exception_fp_ieee_underflow 0
		.amdhsa_exception_fp_ieee_inexact 0
		.amdhsa_exception_int_div_zero 0
	.end_amdhsa_kernel
	.section	.text._ZN7rocprim17ROCPRIM_400000_NS6detail17trampoline_kernelINS0_14default_configENS1_22reduce_config_selectorIiEEZNS1_11reduce_implILb1ES3_PiS7_iN6hipcub16HIPCUB_304000_NS6detail34convert_binary_result_type_wrapperINS9_3SumENS9_22TransformInputIteratorIbN2at6native12_GLOBAL__N_19NonZeroOpIaEEPKalEEiEEEE10hipError_tPvRmT1_T2_T3_mT4_P12ihipStream_tbEUlT_E1_NS1_11comp_targetILNS1_3genE0ELNS1_11target_archE4294967295ELNS1_3gpuE0ELNS1_3repE0EEENS1_30default_config_static_selectorELNS0_4arch9wavefront6targetE0EEEvSQ_,"axG",@progbits,_ZN7rocprim17ROCPRIM_400000_NS6detail17trampoline_kernelINS0_14default_configENS1_22reduce_config_selectorIiEEZNS1_11reduce_implILb1ES3_PiS7_iN6hipcub16HIPCUB_304000_NS6detail34convert_binary_result_type_wrapperINS9_3SumENS9_22TransformInputIteratorIbN2at6native12_GLOBAL__N_19NonZeroOpIaEEPKalEEiEEEE10hipError_tPvRmT1_T2_T3_mT4_P12ihipStream_tbEUlT_E1_NS1_11comp_targetILNS1_3genE0ELNS1_11target_archE4294967295ELNS1_3gpuE0ELNS1_3repE0EEENS1_30default_config_static_selectorELNS0_4arch9wavefront6targetE0EEEvSQ_,comdat
.Lfunc_end91:
	.size	_ZN7rocprim17ROCPRIM_400000_NS6detail17trampoline_kernelINS0_14default_configENS1_22reduce_config_selectorIiEEZNS1_11reduce_implILb1ES3_PiS7_iN6hipcub16HIPCUB_304000_NS6detail34convert_binary_result_type_wrapperINS9_3SumENS9_22TransformInputIteratorIbN2at6native12_GLOBAL__N_19NonZeroOpIaEEPKalEEiEEEE10hipError_tPvRmT1_T2_T3_mT4_P12ihipStream_tbEUlT_E1_NS1_11comp_targetILNS1_3genE0ELNS1_11target_archE4294967295ELNS1_3gpuE0ELNS1_3repE0EEENS1_30default_config_static_selectorELNS0_4arch9wavefront6targetE0EEEvSQ_, .Lfunc_end91-_ZN7rocprim17ROCPRIM_400000_NS6detail17trampoline_kernelINS0_14default_configENS1_22reduce_config_selectorIiEEZNS1_11reduce_implILb1ES3_PiS7_iN6hipcub16HIPCUB_304000_NS6detail34convert_binary_result_type_wrapperINS9_3SumENS9_22TransformInputIteratorIbN2at6native12_GLOBAL__N_19NonZeroOpIaEEPKalEEiEEEE10hipError_tPvRmT1_T2_T3_mT4_P12ihipStream_tbEUlT_E1_NS1_11comp_targetILNS1_3genE0ELNS1_11target_archE4294967295ELNS1_3gpuE0ELNS1_3repE0EEENS1_30default_config_static_selectorELNS0_4arch9wavefront6targetE0EEEvSQ_
                                        ; -- End function
	.set _ZN7rocprim17ROCPRIM_400000_NS6detail17trampoline_kernelINS0_14default_configENS1_22reduce_config_selectorIiEEZNS1_11reduce_implILb1ES3_PiS7_iN6hipcub16HIPCUB_304000_NS6detail34convert_binary_result_type_wrapperINS9_3SumENS9_22TransformInputIteratorIbN2at6native12_GLOBAL__N_19NonZeroOpIaEEPKalEEiEEEE10hipError_tPvRmT1_T2_T3_mT4_P12ihipStream_tbEUlT_E1_NS1_11comp_targetILNS1_3genE0ELNS1_11target_archE4294967295ELNS1_3gpuE0ELNS1_3repE0EEENS1_30default_config_static_selectorELNS0_4arch9wavefront6targetE0EEEvSQ_.num_vgpr, 0
	.set _ZN7rocprim17ROCPRIM_400000_NS6detail17trampoline_kernelINS0_14default_configENS1_22reduce_config_selectorIiEEZNS1_11reduce_implILb1ES3_PiS7_iN6hipcub16HIPCUB_304000_NS6detail34convert_binary_result_type_wrapperINS9_3SumENS9_22TransformInputIteratorIbN2at6native12_GLOBAL__N_19NonZeroOpIaEEPKalEEiEEEE10hipError_tPvRmT1_T2_T3_mT4_P12ihipStream_tbEUlT_E1_NS1_11comp_targetILNS1_3genE0ELNS1_11target_archE4294967295ELNS1_3gpuE0ELNS1_3repE0EEENS1_30default_config_static_selectorELNS0_4arch9wavefront6targetE0EEEvSQ_.num_agpr, 0
	.set _ZN7rocprim17ROCPRIM_400000_NS6detail17trampoline_kernelINS0_14default_configENS1_22reduce_config_selectorIiEEZNS1_11reduce_implILb1ES3_PiS7_iN6hipcub16HIPCUB_304000_NS6detail34convert_binary_result_type_wrapperINS9_3SumENS9_22TransformInputIteratorIbN2at6native12_GLOBAL__N_19NonZeroOpIaEEPKalEEiEEEE10hipError_tPvRmT1_T2_T3_mT4_P12ihipStream_tbEUlT_E1_NS1_11comp_targetILNS1_3genE0ELNS1_11target_archE4294967295ELNS1_3gpuE0ELNS1_3repE0EEENS1_30default_config_static_selectorELNS0_4arch9wavefront6targetE0EEEvSQ_.numbered_sgpr, 0
	.set _ZN7rocprim17ROCPRIM_400000_NS6detail17trampoline_kernelINS0_14default_configENS1_22reduce_config_selectorIiEEZNS1_11reduce_implILb1ES3_PiS7_iN6hipcub16HIPCUB_304000_NS6detail34convert_binary_result_type_wrapperINS9_3SumENS9_22TransformInputIteratorIbN2at6native12_GLOBAL__N_19NonZeroOpIaEEPKalEEiEEEE10hipError_tPvRmT1_T2_T3_mT4_P12ihipStream_tbEUlT_E1_NS1_11comp_targetILNS1_3genE0ELNS1_11target_archE4294967295ELNS1_3gpuE0ELNS1_3repE0EEENS1_30default_config_static_selectorELNS0_4arch9wavefront6targetE0EEEvSQ_.num_named_barrier, 0
	.set _ZN7rocprim17ROCPRIM_400000_NS6detail17trampoline_kernelINS0_14default_configENS1_22reduce_config_selectorIiEEZNS1_11reduce_implILb1ES3_PiS7_iN6hipcub16HIPCUB_304000_NS6detail34convert_binary_result_type_wrapperINS9_3SumENS9_22TransformInputIteratorIbN2at6native12_GLOBAL__N_19NonZeroOpIaEEPKalEEiEEEE10hipError_tPvRmT1_T2_T3_mT4_P12ihipStream_tbEUlT_E1_NS1_11comp_targetILNS1_3genE0ELNS1_11target_archE4294967295ELNS1_3gpuE0ELNS1_3repE0EEENS1_30default_config_static_selectorELNS0_4arch9wavefront6targetE0EEEvSQ_.private_seg_size, 0
	.set _ZN7rocprim17ROCPRIM_400000_NS6detail17trampoline_kernelINS0_14default_configENS1_22reduce_config_selectorIiEEZNS1_11reduce_implILb1ES3_PiS7_iN6hipcub16HIPCUB_304000_NS6detail34convert_binary_result_type_wrapperINS9_3SumENS9_22TransformInputIteratorIbN2at6native12_GLOBAL__N_19NonZeroOpIaEEPKalEEiEEEE10hipError_tPvRmT1_T2_T3_mT4_P12ihipStream_tbEUlT_E1_NS1_11comp_targetILNS1_3genE0ELNS1_11target_archE4294967295ELNS1_3gpuE0ELNS1_3repE0EEENS1_30default_config_static_selectorELNS0_4arch9wavefront6targetE0EEEvSQ_.uses_vcc, 0
	.set _ZN7rocprim17ROCPRIM_400000_NS6detail17trampoline_kernelINS0_14default_configENS1_22reduce_config_selectorIiEEZNS1_11reduce_implILb1ES3_PiS7_iN6hipcub16HIPCUB_304000_NS6detail34convert_binary_result_type_wrapperINS9_3SumENS9_22TransformInputIteratorIbN2at6native12_GLOBAL__N_19NonZeroOpIaEEPKalEEiEEEE10hipError_tPvRmT1_T2_T3_mT4_P12ihipStream_tbEUlT_E1_NS1_11comp_targetILNS1_3genE0ELNS1_11target_archE4294967295ELNS1_3gpuE0ELNS1_3repE0EEENS1_30default_config_static_selectorELNS0_4arch9wavefront6targetE0EEEvSQ_.uses_flat_scratch, 0
	.set _ZN7rocprim17ROCPRIM_400000_NS6detail17trampoline_kernelINS0_14default_configENS1_22reduce_config_selectorIiEEZNS1_11reduce_implILb1ES3_PiS7_iN6hipcub16HIPCUB_304000_NS6detail34convert_binary_result_type_wrapperINS9_3SumENS9_22TransformInputIteratorIbN2at6native12_GLOBAL__N_19NonZeroOpIaEEPKalEEiEEEE10hipError_tPvRmT1_T2_T3_mT4_P12ihipStream_tbEUlT_E1_NS1_11comp_targetILNS1_3genE0ELNS1_11target_archE4294967295ELNS1_3gpuE0ELNS1_3repE0EEENS1_30default_config_static_selectorELNS0_4arch9wavefront6targetE0EEEvSQ_.has_dyn_sized_stack, 0
	.set _ZN7rocprim17ROCPRIM_400000_NS6detail17trampoline_kernelINS0_14default_configENS1_22reduce_config_selectorIiEEZNS1_11reduce_implILb1ES3_PiS7_iN6hipcub16HIPCUB_304000_NS6detail34convert_binary_result_type_wrapperINS9_3SumENS9_22TransformInputIteratorIbN2at6native12_GLOBAL__N_19NonZeroOpIaEEPKalEEiEEEE10hipError_tPvRmT1_T2_T3_mT4_P12ihipStream_tbEUlT_E1_NS1_11comp_targetILNS1_3genE0ELNS1_11target_archE4294967295ELNS1_3gpuE0ELNS1_3repE0EEENS1_30default_config_static_selectorELNS0_4arch9wavefront6targetE0EEEvSQ_.has_recursion, 0
	.set _ZN7rocprim17ROCPRIM_400000_NS6detail17trampoline_kernelINS0_14default_configENS1_22reduce_config_selectorIiEEZNS1_11reduce_implILb1ES3_PiS7_iN6hipcub16HIPCUB_304000_NS6detail34convert_binary_result_type_wrapperINS9_3SumENS9_22TransformInputIteratorIbN2at6native12_GLOBAL__N_19NonZeroOpIaEEPKalEEiEEEE10hipError_tPvRmT1_T2_T3_mT4_P12ihipStream_tbEUlT_E1_NS1_11comp_targetILNS1_3genE0ELNS1_11target_archE4294967295ELNS1_3gpuE0ELNS1_3repE0EEENS1_30default_config_static_selectorELNS0_4arch9wavefront6targetE0EEEvSQ_.has_indirect_call, 0
	.section	.AMDGPU.csdata,"",@progbits
; Kernel info:
; codeLenInByte = 0
; TotalNumSgprs: 0
; NumVgprs: 0
; ScratchSize: 0
; MemoryBound: 0
; FloatMode: 240
; IeeeMode: 1
; LDSByteSize: 0 bytes/workgroup (compile time only)
; SGPRBlocks: 0
; VGPRBlocks: 0
; NumSGPRsForWavesPerEU: 1
; NumVGPRsForWavesPerEU: 1
; Occupancy: 16
; WaveLimiterHint : 0
; COMPUTE_PGM_RSRC2:SCRATCH_EN: 0
; COMPUTE_PGM_RSRC2:USER_SGPR: 2
; COMPUTE_PGM_RSRC2:TRAP_HANDLER: 0
; COMPUTE_PGM_RSRC2:TGID_X_EN: 1
; COMPUTE_PGM_RSRC2:TGID_Y_EN: 0
; COMPUTE_PGM_RSRC2:TGID_Z_EN: 0
; COMPUTE_PGM_RSRC2:TIDIG_COMP_CNT: 0
	.section	.text._ZN7rocprim17ROCPRIM_400000_NS6detail17trampoline_kernelINS0_14default_configENS1_22reduce_config_selectorIiEEZNS1_11reduce_implILb1ES3_PiS7_iN6hipcub16HIPCUB_304000_NS6detail34convert_binary_result_type_wrapperINS9_3SumENS9_22TransformInputIteratorIbN2at6native12_GLOBAL__N_19NonZeroOpIaEEPKalEEiEEEE10hipError_tPvRmT1_T2_T3_mT4_P12ihipStream_tbEUlT_E1_NS1_11comp_targetILNS1_3genE5ELNS1_11target_archE942ELNS1_3gpuE9ELNS1_3repE0EEENS1_30default_config_static_selectorELNS0_4arch9wavefront6targetE0EEEvSQ_,"axG",@progbits,_ZN7rocprim17ROCPRIM_400000_NS6detail17trampoline_kernelINS0_14default_configENS1_22reduce_config_selectorIiEEZNS1_11reduce_implILb1ES3_PiS7_iN6hipcub16HIPCUB_304000_NS6detail34convert_binary_result_type_wrapperINS9_3SumENS9_22TransformInputIteratorIbN2at6native12_GLOBAL__N_19NonZeroOpIaEEPKalEEiEEEE10hipError_tPvRmT1_T2_T3_mT4_P12ihipStream_tbEUlT_E1_NS1_11comp_targetILNS1_3genE5ELNS1_11target_archE942ELNS1_3gpuE9ELNS1_3repE0EEENS1_30default_config_static_selectorELNS0_4arch9wavefront6targetE0EEEvSQ_,comdat
	.globl	_ZN7rocprim17ROCPRIM_400000_NS6detail17trampoline_kernelINS0_14default_configENS1_22reduce_config_selectorIiEEZNS1_11reduce_implILb1ES3_PiS7_iN6hipcub16HIPCUB_304000_NS6detail34convert_binary_result_type_wrapperINS9_3SumENS9_22TransformInputIteratorIbN2at6native12_GLOBAL__N_19NonZeroOpIaEEPKalEEiEEEE10hipError_tPvRmT1_T2_T3_mT4_P12ihipStream_tbEUlT_E1_NS1_11comp_targetILNS1_3genE5ELNS1_11target_archE942ELNS1_3gpuE9ELNS1_3repE0EEENS1_30default_config_static_selectorELNS0_4arch9wavefront6targetE0EEEvSQ_ ; -- Begin function _ZN7rocprim17ROCPRIM_400000_NS6detail17trampoline_kernelINS0_14default_configENS1_22reduce_config_selectorIiEEZNS1_11reduce_implILb1ES3_PiS7_iN6hipcub16HIPCUB_304000_NS6detail34convert_binary_result_type_wrapperINS9_3SumENS9_22TransformInputIteratorIbN2at6native12_GLOBAL__N_19NonZeroOpIaEEPKalEEiEEEE10hipError_tPvRmT1_T2_T3_mT4_P12ihipStream_tbEUlT_E1_NS1_11comp_targetILNS1_3genE5ELNS1_11target_archE942ELNS1_3gpuE9ELNS1_3repE0EEENS1_30default_config_static_selectorELNS0_4arch9wavefront6targetE0EEEvSQ_
	.p2align	8
	.type	_ZN7rocprim17ROCPRIM_400000_NS6detail17trampoline_kernelINS0_14default_configENS1_22reduce_config_selectorIiEEZNS1_11reduce_implILb1ES3_PiS7_iN6hipcub16HIPCUB_304000_NS6detail34convert_binary_result_type_wrapperINS9_3SumENS9_22TransformInputIteratorIbN2at6native12_GLOBAL__N_19NonZeroOpIaEEPKalEEiEEEE10hipError_tPvRmT1_T2_T3_mT4_P12ihipStream_tbEUlT_E1_NS1_11comp_targetILNS1_3genE5ELNS1_11target_archE942ELNS1_3gpuE9ELNS1_3repE0EEENS1_30default_config_static_selectorELNS0_4arch9wavefront6targetE0EEEvSQ_,@function
_ZN7rocprim17ROCPRIM_400000_NS6detail17trampoline_kernelINS0_14default_configENS1_22reduce_config_selectorIiEEZNS1_11reduce_implILb1ES3_PiS7_iN6hipcub16HIPCUB_304000_NS6detail34convert_binary_result_type_wrapperINS9_3SumENS9_22TransformInputIteratorIbN2at6native12_GLOBAL__N_19NonZeroOpIaEEPKalEEiEEEE10hipError_tPvRmT1_T2_T3_mT4_P12ihipStream_tbEUlT_E1_NS1_11comp_targetILNS1_3genE5ELNS1_11target_archE942ELNS1_3gpuE9ELNS1_3repE0EEENS1_30default_config_static_selectorELNS0_4arch9wavefront6targetE0EEEvSQ_: ; @_ZN7rocprim17ROCPRIM_400000_NS6detail17trampoline_kernelINS0_14default_configENS1_22reduce_config_selectorIiEEZNS1_11reduce_implILb1ES3_PiS7_iN6hipcub16HIPCUB_304000_NS6detail34convert_binary_result_type_wrapperINS9_3SumENS9_22TransformInputIteratorIbN2at6native12_GLOBAL__N_19NonZeroOpIaEEPKalEEiEEEE10hipError_tPvRmT1_T2_T3_mT4_P12ihipStream_tbEUlT_E1_NS1_11comp_targetILNS1_3genE5ELNS1_11target_archE942ELNS1_3gpuE9ELNS1_3repE0EEENS1_30default_config_static_selectorELNS0_4arch9wavefront6targetE0EEEvSQ_
; %bb.0:
	.section	.rodata,"a",@progbits
	.p2align	6, 0x0
	.amdhsa_kernel _ZN7rocprim17ROCPRIM_400000_NS6detail17trampoline_kernelINS0_14default_configENS1_22reduce_config_selectorIiEEZNS1_11reduce_implILb1ES3_PiS7_iN6hipcub16HIPCUB_304000_NS6detail34convert_binary_result_type_wrapperINS9_3SumENS9_22TransformInputIteratorIbN2at6native12_GLOBAL__N_19NonZeroOpIaEEPKalEEiEEEE10hipError_tPvRmT1_T2_T3_mT4_P12ihipStream_tbEUlT_E1_NS1_11comp_targetILNS1_3genE5ELNS1_11target_archE942ELNS1_3gpuE9ELNS1_3repE0EEENS1_30default_config_static_selectorELNS0_4arch9wavefront6targetE0EEEvSQ_
		.amdhsa_group_segment_fixed_size 0
		.amdhsa_private_segment_fixed_size 0
		.amdhsa_kernarg_size 40
		.amdhsa_user_sgpr_count 2
		.amdhsa_user_sgpr_dispatch_ptr 0
		.amdhsa_user_sgpr_queue_ptr 0
		.amdhsa_user_sgpr_kernarg_segment_ptr 1
		.amdhsa_user_sgpr_dispatch_id 0
		.amdhsa_user_sgpr_private_segment_size 0
		.amdhsa_wavefront_size32 1
		.amdhsa_uses_dynamic_stack 0
		.amdhsa_enable_private_segment 0
		.amdhsa_system_sgpr_workgroup_id_x 1
		.amdhsa_system_sgpr_workgroup_id_y 0
		.amdhsa_system_sgpr_workgroup_id_z 0
		.amdhsa_system_sgpr_workgroup_info 0
		.amdhsa_system_vgpr_workitem_id 0
		.amdhsa_next_free_vgpr 1
		.amdhsa_next_free_sgpr 1
		.amdhsa_reserve_vcc 0
		.amdhsa_float_round_mode_32 0
		.amdhsa_float_round_mode_16_64 0
		.amdhsa_float_denorm_mode_32 3
		.amdhsa_float_denorm_mode_16_64 3
		.amdhsa_fp16_overflow 0
		.amdhsa_workgroup_processor_mode 1
		.amdhsa_memory_ordered 1
		.amdhsa_forward_progress 1
		.amdhsa_inst_pref_size 0
		.amdhsa_round_robin_scheduling 0
		.amdhsa_exception_fp_ieee_invalid_op 0
		.amdhsa_exception_fp_denorm_src 0
		.amdhsa_exception_fp_ieee_div_zero 0
		.amdhsa_exception_fp_ieee_overflow 0
		.amdhsa_exception_fp_ieee_underflow 0
		.amdhsa_exception_fp_ieee_inexact 0
		.amdhsa_exception_int_div_zero 0
	.end_amdhsa_kernel
	.section	.text._ZN7rocprim17ROCPRIM_400000_NS6detail17trampoline_kernelINS0_14default_configENS1_22reduce_config_selectorIiEEZNS1_11reduce_implILb1ES3_PiS7_iN6hipcub16HIPCUB_304000_NS6detail34convert_binary_result_type_wrapperINS9_3SumENS9_22TransformInputIteratorIbN2at6native12_GLOBAL__N_19NonZeroOpIaEEPKalEEiEEEE10hipError_tPvRmT1_T2_T3_mT4_P12ihipStream_tbEUlT_E1_NS1_11comp_targetILNS1_3genE5ELNS1_11target_archE942ELNS1_3gpuE9ELNS1_3repE0EEENS1_30default_config_static_selectorELNS0_4arch9wavefront6targetE0EEEvSQ_,"axG",@progbits,_ZN7rocprim17ROCPRIM_400000_NS6detail17trampoline_kernelINS0_14default_configENS1_22reduce_config_selectorIiEEZNS1_11reduce_implILb1ES3_PiS7_iN6hipcub16HIPCUB_304000_NS6detail34convert_binary_result_type_wrapperINS9_3SumENS9_22TransformInputIteratorIbN2at6native12_GLOBAL__N_19NonZeroOpIaEEPKalEEiEEEE10hipError_tPvRmT1_T2_T3_mT4_P12ihipStream_tbEUlT_E1_NS1_11comp_targetILNS1_3genE5ELNS1_11target_archE942ELNS1_3gpuE9ELNS1_3repE0EEENS1_30default_config_static_selectorELNS0_4arch9wavefront6targetE0EEEvSQ_,comdat
.Lfunc_end92:
	.size	_ZN7rocprim17ROCPRIM_400000_NS6detail17trampoline_kernelINS0_14default_configENS1_22reduce_config_selectorIiEEZNS1_11reduce_implILb1ES3_PiS7_iN6hipcub16HIPCUB_304000_NS6detail34convert_binary_result_type_wrapperINS9_3SumENS9_22TransformInputIteratorIbN2at6native12_GLOBAL__N_19NonZeroOpIaEEPKalEEiEEEE10hipError_tPvRmT1_T2_T3_mT4_P12ihipStream_tbEUlT_E1_NS1_11comp_targetILNS1_3genE5ELNS1_11target_archE942ELNS1_3gpuE9ELNS1_3repE0EEENS1_30default_config_static_selectorELNS0_4arch9wavefront6targetE0EEEvSQ_, .Lfunc_end92-_ZN7rocprim17ROCPRIM_400000_NS6detail17trampoline_kernelINS0_14default_configENS1_22reduce_config_selectorIiEEZNS1_11reduce_implILb1ES3_PiS7_iN6hipcub16HIPCUB_304000_NS6detail34convert_binary_result_type_wrapperINS9_3SumENS9_22TransformInputIteratorIbN2at6native12_GLOBAL__N_19NonZeroOpIaEEPKalEEiEEEE10hipError_tPvRmT1_T2_T3_mT4_P12ihipStream_tbEUlT_E1_NS1_11comp_targetILNS1_3genE5ELNS1_11target_archE942ELNS1_3gpuE9ELNS1_3repE0EEENS1_30default_config_static_selectorELNS0_4arch9wavefront6targetE0EEEvSQ_
                                        ; -- End function
	.set _ZN7rocprim17ROCPRIM_400000_NS6detail17trampoline_kernelINS0_14default_configENS1_22reduce_config_selectorIiEEZNS1_11reduce_implILb1ES3_PiS7_iN6hipcub16HIPCUB_304000_NS6detail34convert_binary_result_type_wrapperINS9_3SumENS9_22TransformInputIteratorIbN2at6native12_GLOBAL__N_19NonZeroOpIaEEPKalEEiEEEE10hipError_tPvRmT1_T2_T3_mT4_P12ihipStream_tbEUlT_E1_NS1_11comp_targetILNS1_3genE5ELNS1_11target_archE942ELNS1_3gpuE9ELNS1_3repE0EEENS1_30default_config_static_selectorELNS0_4arch9wavefront6targetE0EEEvSQ_.num_vgpr, 0
	.set _ZN7rocprim17ROCPRIM_400000_NS6detail17trampoline_kernelINS0_14default_configENS1_22reduce_config_selectorIiEEZNS1_11reduce_implILb1ES3_PiS7_iN6hipcub16HIPCUB_304000_NS6detail34convert_binary_result_type_wrapperINS9_3SumENS9_22TransformInputIteratorIbN2at6native12_GLOBAL__N_19NonZeroOpIaEEPKalEEiEEEE10hipError_tPvRmT1_T2_T3_mT4_P12ihipStream_tbEUlT_E1_NS1_11comp_targetILNS1_3genE5ELNS1_11target_archE942ELNS1_3gpuE9ELNS1_3repE0EEENS1_30default_config_static_selectorELNS0_4arch9wavefront6targetE0EEEvSQ_.num_agpr, 0
	.set _ZN7rocprim17ROCPRIM_400000_NS6detail17trampoline_kernelINS0_14default_configENS1_22reduce_config_selectorIiEEZNS1_11reduce_implILb1ES3_PiS7_iN6hipcub16HIPCUB_304000_NS6detail34convert_binary_result_type_wrapperINS9_3SumENS9_22TransformInputIteratorIbN2at6native12_GLOBAL__N_19NonZeroOpIaEEPKalEEiEEEE10hipError_tPvRmT1_T2_T3_mT4_P12ihipStream_tbEUlT_E1_NS1_11comp_targetILNS1_3genE5ELNS1_11target_archE942ELNS1_3gpuE9ELNS1_3repE0EEENS1_30default_config_static_selectorELNS0_4arch9wavefront6targetE0EEEvSQ_.numbered_sgpr, 0
	.set _ZN7rocprim17ROCPRIM_400000_NS6detail17trampoline_kernelINS0_14default_configENS1_22reduce_config_selectorIiEEZNS1_11reduce_implILb1ES3_PiS7_iN6hipcub16HIPCUB_304000_NS6detail34convert_binary_result_type_wrapperINS9_3SumENS9_22TransformInputIteratorIbN2at6native12_GLOBAL__N_19NonZeroOpIaEEPKalEEiEEEE10hipError_tPvRmT1_T2_T3_mT4_P12ihipStream_tbEUlT_E1_NS1_11comp_targetILNS1_3genE5ELNS1_11target_archE942ELNS1_3gpuE9ELNS1_3repE0EEENS1_30default_config_static_selectorELNS0_4arch9wavefront6targetE0EEEvSQ_.num_named_barrier, 0
	.set _ZN7rocprim17ROCPRIM_400000_NS6detail17trampoline_kernelINS0_14default_configENS1_22reduce_config_selectorIiEEZNS1_11reduce_implILb1ES3_PiS7_iN6hipcub16HIPCUB_304000_NS6detail34convert_binary_result_type_wrapperINS9_3SumENS9_22TransformInputIteratorIbN2at6native12_GLOBAL__N_19NonZeroOpIaEEPKalEEiEEEE10hipError_tPvRmT1_T2_T3_mT4_P12ihipStream_tbEUlT_E1_NS1_11comp_targetILNS1_3genE5ELNS1_11target_archE942ELNS1_3gpuE9ELNS1_3repE0EEENS1_30default_config_static_selectorELNS0_4arch9wavefront6targetE0EEEvSQ_.private_seg_size, 0
	.set _ZN7rocprim17ROCPRIM_400000_NS6detail17trampoline_kernelINS0_14default_configENS1_22reduce_config_selectorIiEEZNS1_11reduce_implILb1ES3_PiS7_iN6hipcub16HIPCUB_304000_NS6detail34convert_binary_result_type_wrapperINS9_3SumENS9_22TransformInputIteratorIbN2at6native12_GLOBAL__N_19NonZeroOpIaEEPKalEEiEEEE10hipError_tPvRmT1_T2_T3_mT4_P12ihipStream_tbEUlT_E1_NS1_11comp_targetILNS1_3genE5ELNS1_11target_archE942ELNS1_3gpuE9ELNS1_3repE0EEENS1_30default_config_static_selectorELNS0_4arch9wavefront6targetE0EEEvSQ_.uses_vcc, 0
	.set _ZN7rocprim17ROCPRIM_400000_NS6detail17trampoline_kernelINS0_14default_configENS1_22reduce_config_selectorIiEEZNS1_11reduce_implILb1ES3_PiS7_iN6hipcub16HIPCUB_304000_NS6detail34convert_binary_result_type_wrapperINS9_3SumENS9_22TransformInputIteratorIbN2at6native12_GLOBAL__N_19NonZeroOpIaEEPKalEEiEEEE10hipError_tPvRmT1_T2_T3_mT4_P12ihipStream_tbEUlT_E1_NS1_11comp_targetILNS1_3genE5ELNS1_11target_archE942ELNS1_3gpuE9ELNS1_3repE0EEENS1_30default_config_static_selectorELNS0_4arch9wavefront6targetE0EEEvSQ_.uses_flat_scratch, 0
	.set _ZN7rocprim17ROCPRIM_400000_NS6detail17trampoline_kernelINS0_14default_configENS1_22reduce_config_selectorIiEEZNS1_11reduce_implILb1ES3_PiS7_iN6hipcub16HIPCUB_304000_NS6detail34convert_binary_result_type_wrapperINS9_3SumENS9_22TransformInputIteratorIbN2at6native12_GLOBAL__N_19NonZeroOpIaEEPKalEEiEEEE10hipError_tPvRmT1_T2_T3_mT4_P12ihipStream_tbEUlT_E1_NS1_11comp_targetILNS1_3genE5ELNS1_11target_archE942ELNS1_3gpuE9ELNS1_3repE0EEENS1_30default_config_static_selectorELNS0_4arch9wavefront6targetE0EEEvSQ_.has_dyn_sized_stack, 0
	.set _ZN7rocprim17ROCPRIM_400000_NS6detail17trampoline_kernelINS0_14default_configENS1_22reduce_config_selectorIiEEZNS1_11reduce_implILb1ES3_PiS7_iN6hipcub16HIPCUB_304000_NS6detail34convert_binary_result_type_wrapperINS9_3SumENS9_22TransformInputIteratorIbN2at6native12_GLOBAL__N_19NonZeroOpIaEEPKalEEiEEEE10hipError_tPvRmT1_T2_T3_mT4_P12ihipStream_tbEUlT_E1_NS1_11comp_targetILNS1_3genE5ELNS1_11target_archE942ELNS1_3gpuE9ELNS1_3repE0EEENS1_30default_config_static_selectorELNS0_4arch9wavefront6targetE0EEEvSQ_.has_recursion, 0
	.set _ZN7rocprim17ROCPRIM_400000_NS6detail17trampoline_kernelINS0_14default_configENS1_22reduce_config_selectorIiEEZNS1_11reduce_implILb1ES3_PiS7_iN6hipcub16HIPCUB_304000_NS6detail34convert_binary_result_type_wrapperINS9_3SumENS9_22TransformInputIteratorIbN2at6native12_GLOBAL__N_19NonZeroOpIaEEPKalEEiEEEE10hipError_tPvRmT1_T2_T3_mT4_P12ihipStream_tbEUlT_E1_NS1_11comp_targetILNS1_3genE5ELNS1_11target_archE942ELNS1_3gpuE9ELNS1_3repE0EEENS1_30default_config_static_selectorELNS0_4arch9wavefront6targetE0EEEvSQ_.has_indirect_call, 0
	.section	.AMDGPU.csdata,"",@progbits
; Kernel info:
; codeLenInByte = 0
; TotalNumSgprs: 0
; NumVgprs: 0
; ScratchSize: 0
; MemoryBound: 0
; FloatMode: 240
; IeeeMode: 1
; LDSByteSize: 0 bytes/workgroup (compile time only)
; SGPRBlocks: 0
; VGPRBlocks: 0
; NumSGPRsForWavesPerEU: 1
; NumVGPRsForWavesPerEU: 1
; Occupancy: 16
; WaveLimiterHint : 0
; COMPUTE_PGM_RSRC2:SCRATCH_EN: 0
; COMPUTE_PGM_RSRC2:USER_SGPR: 2
; COMPUTE_PGM_RSRC2:TRAP_HANDLER: 0
; COMPUTE_PGM_RSRC2:TGID_X_EN: 1
; COMPUTE_PGM_RSRC2:TGID_Y_EN: 0
; COMPUTE_PGM_RSRC2:TGID_Z_EN: 0
; COMPUTE_PGM_RSRC2:TIDIG_COMP_CNT: 0
	.section	.text._ZN7rocprim17ROCPRIM_400000_NS6detail17trampoline_kernelINS0_14default_configENS1_22reduce_config_selectorIiEEZNS1_11reduce_implILb1ES3_PiS7_iN6hipcub16HIPCUB_304000_NS6detail34convert_binary_result_type_wrapperINS9_3SumENS9_22TransformInputIteratorIbN2at6native12_GLOBAL__N_19NonZeroOpIaEEPKalEEiEEEE10hipError_tPvRmT1_T2_T3_mT4_P12ihipStream_tbEUlT_E1_NS1_11comp_targetILNS1_3genE4ELNS1_11target_archE910ELNS1_3gpuE8ELNS1_3repE0EEENS1_30default_config_static_selectorELNS0_4arch9wavefront6targetE0EEEvSQ_,"axG",@progbits,_ZN7rocprim17ROCPRIM_400000_NS6detail17trampoline_kernelINS0_14default_configENS1_22reduce_config_selectorIiEEZNS1_11reduce_implILb1ES3_PiS7_iN6hipcub16HIPCUB_304000_NS6detail34convert_binary_result_type_wrapperINS9_3SumENS9_22TransformInputIteratorIbN2at6native12_GLOBAL__N_19NonZeroOpIaEEPKalEEiEEEE10hipError_tPvRmT1_T2_T3_mT4_P12ihipStream_tbEUlT_E1_NS1_11comp_targetILNS1_3genE4ELNS1_11target_archE910ELNS1_3gpuE8ELNS1_3repE0EEENS1_30default_config_static_selectorELNS0_4arch9wavefront6targetE0EEEvSQ_,comdat
	.globl	_ZN7rocprim17ROCPRIM_400000_NS6detail17trampoline_kernelINS0_14default_configENS1_22reduce_config_selectorIiEEZNS1_11reduce_implILb1ES3_PiS7_iN6hipcub16HIPCUB_304000_NS6detail34convert_binary_result_type_wrapperINS9_3SumENS9_22TransformInputIteratorIbN2at6native12_GLOBAL__N_19NonZeroOpIaEEPKalEEiEEEE10hipError_tPvRmT1_T2_T3_mT4_P12ihipStream_tbEUlT_E1_NS1_11comp_targetILNS1_3genE4ELNS1_11target_archE910ELNS1_3gpuE8ELNS1_3repE0EEENS1_30default_config_static_selectorELNS0_4arch9wavefront6targetE0EEEvSQ_ ; -- Begin function _ZN7rocprim17ROCPRIM_400000_NS6detail17trampoline_kernelINS0_14default_configENS1_22reduce_config_selectorIiEEZNS1_11reduce_implILb1ES3_PiS7_iN6hipcub16HIPCUB_304000_NS6detail34convert_binary_result_type_wrapperINS9_3SumENS9_22TransformInputIteratorIbN2at6native12_GLOBAL__N_19NonZeroOpIaEEPKalEEiEEEE10hipError_tPvRmT1_T2_T3_mT4_P12ihipStream_tbEUlT_E1_NS1_11comp_targetILNS1_3genE4ELNS1_11target_archE910ELNS1_3gpuE8ELNS1_3repE0EEENS1_30default_config_static_selectorELNS0_4arch9wavefront6targetE0EEEvSQ_
	.p2align	8
	.type	_ZN7rocprim17ROCPRIM_400000_NS6detail17trampoline_kernelINS0_14default_configENS1_22reduce_config_selectorIiEEZNS1_11reduce_implILb1ES3_PiS7_iN6hipcub16HIPCUB_304000_NS6detail34convert_binary_result_type_wrapperINS9_3SumENS9_22TransformInputIteratorIbN2at6native12_GLOBAL__N_19NonZeroOpIaEEPKalEEiEEEE10hipError_tPvRmT1_T2_T3_mT4_P12ihipStream_tbEUlT_E1_NS1_11comp_targetILNS1_3genE4ELNS1_11target_archE910ELNS1_3gpuE8ELNS1_3repE0EEENS1_30default_config_static_selectorELNS0_4arch9wavefront6targetE0EEEvSQ_,@function
_ZN7rocprim17ROCPRIM_400000_NS6detail17trampoline_kernelINS0_14default_configENS1_22reduce_config_selectorIiEEZNS1_11reduce_implILb1ES3_PiS7_iN6hipcub16HIPCUB_304000_NS6detail34convert_binary_result_type_wrapperINS9_3SumENS9_22TransformInputIteratorIbN2at6native12_GLOBAL__N_19NonZeroOpIaEEPKalEEiEEEE10hipError_tPvRmT1_T2_T3_mT4_P12ihipStream_tbEUlT_E1_NS1_11comp_targetILNS1_3genE4ELNS1_11target_archE910ELNS1_3gpuE8ELNS1_3repE0EEENS1_30default_config_static_selectorELNS0_4arch9wavefront6targetE0EEEvSQ_: ; @_ZN7rocprim17ROCPRIM_400000_NS6detail17trampoline_kernelINS0_14default_configENS1_22reduce_config_selectorIiEEZNS1_11reduce_implILb1ES3_PiS7_iN6hipcub16HIPCUB_304000_NS6detail34convert_binary_result_type_wrapperINS9_3SumENS9_22TransformInputIteratorIbN2at6native12_GLOBAL__N_19NonZeroOpIaEEPKalEEiEEEE10hipError_tPvRmT1_T2_T3_mT4_P12ihipStream_tbEUlT_E1_NS1_11comp_targetILNS1_3genE4ELNS1_11target_archE910ELNS1_3gpuE8ELNS1_3repE0EEENS1_30default_config_static_selectorELNS0_4arch9wavefront6targetE0EEEvSQ_
; %bb.0:
	.section	.rodata,"a",@progbits
	.p2align	6, 0x0
	.amdhsa_kernel _ZN7rocprim17ROCPRIM_400000_NS6detail17trampoline_kernelINS0_14default_configENS1_22reduce_config_selectorIiEEZNS1_11reduce_implILb1ES3_PiS7_iN6hipcub16HIPCUB_304000_NS6detail34convert_binary_result_type_wrapperINS9_3SumENS9_22TransformInputIteratorIbN2at6native12_GLOBAL__N_19NonZeroOpIaEEPKalEEiEEEE10hipError_tPvRmT1_T2_T3_mT4_P12ihipStream_tbEUlT_E1_NS1_11comp_targetILNS1_3genE4ELNS1_11target_archE910ELNS1_3gpuE8ELNS1_3repE0EEENS1_30default_config_static_selectorELNS0_4arch9wavefront6targetE0EEEvSQ_
		.amdhsa_group_segment_fixed_size 0
		.amdhsa_private_segment_fixed_size 0
		.amdhsa_kernarg_size 40
		.amdhsa_user_sgpr_count 2
		.amdhsa_user_sgpr_dispatch_ptr 0
		.amdhsa_user_sgpr_queue_ptr 0
		.amdhsa_user_sgpr_kernarg_segment_ptr 1
		.amdhsa_user_sgpr_dispatch_id 0
		.amdhsa_user_sgpr_private_segment_size 0
		.amdhsa_wavefront_size32 1
		.amdhsa_uses_dynamic_stack 0
		.amdhsa_enable_private_segment 0
		.amdhsa_system_sgpr_workgroup_id_x 1
		.amdhsa_system_sgpr_workgroup_id_y 0
		.amdhsa_system_sgpr_workgroup_id_z 0
		.amdhsa_system_sgpr_workgroup_info 0
		.amdhsa_system_vgpr_workitem_id 0
		.amdhsa_next_free_vgpr 1
		.amdhsa_next_free_sgpr 1
		.amdhsa_reserve_vcc 0
		.amdhsa_float_round_mode_32 0
		.amdhsa_float_round_mode_16_64 0
		.amdhsa_float_denorm_mode_32 3
		.amdhsa_float_denorm_mode_16_64 3
		.amdhsa_fp16_overflow 0
		.amdhsa_workgroup_processor_mode 1
		.amdhsa_memory_ordered 1
		.amdhsa_forward_progress 1
		.amdhsa_inst_pref_size 0
		.amdhsa_round_robin_scheduling 0
		.amdhsa_exception_fp_ieee_invalid_op 0
		.amdhsa_exception_fp_denorm_src 0
		.amdhsa_exception_fp_ieee_div_zero 0
		.amdhsa_exception_fp_ieee_overflow 0
		.amdhsa_exception_fp_ieee_underflow 0
		.amdhsa_exception_fp_ieee_inexact 0
		.amdhsa_exception_int_div_zero 0
	.end_amdhsa_kernel
	.section	.text._ZN7rocprim17ROCPRIM_400000_NS6detail17trampoline_kernelINS0_14default_configENS1_22reduce_config_selectorIiEEZNS1_11reduce_implILb1ES3_PiS7_iN6hipcub16HIPCUB_304000_NS6detail34convert_binary_result_type_wrapperINS9_3SumENS9_22TransformInputIteratorIbN2at6native12_GLOBAL__N_19NonZeroOpIaEEPKalEEiEEEE10hipError_tPvRmT1_T2_T3_mT4_P12ihipStream_tbEUlT_E1_NS1_11comp_targetILNS1_3genE4ELNS1_11target_archE910ELNS1_3gpuE8ELNS1_3repE0EEENS1_30default_config_static_selectorELNS0_4arch9wavefront6targetE0EEEvSQ_,"axG",@progbits,_ZN7rocprim17ROCPRIM_400000_NS6detail17trampoline_kernelINS0_14default_configENS1_22reduce_config_selectorIiEEZNS1_11reduce_implILb1ES3_PiS7_iN6hipcub16HIPCUB_304000_NS6detail34convert_binary_result_type_wrapperINS9_3SumENS9_22TransformInputIteratorIbN2at6native12_GLOBAL__N_19NonZeroOpIaEEPKalEEiEEEE10hipError_tPvRmT1_T2_T3_mT4_P12ihipStream_tbEUlT_E1_NS1_11comp_targetILNS1_3genE4ELNS1_11target_archE910ELNS1_3gpuE8ELNS1_3repE0EEENS1_30default_config_static_selectorELNS0_4arch9wavefront6targetE0EEEvSQ_,comdat
.Lfunc_end93:
	.size	_ZN7rocprim17ROCPRIM_400000_NS6detail17trampoline_kernelINS0_14default_configENS1_22reduce_config_selectorIiEEZNS1_11reduce_implILb1ES3_PiS7_iN6hipcub16HIPCUB_304000_NS6detail34convert_binary_result_type_wrapperINS9_3SumENS9_22TransformInputIteratorIbN2at6native12_GLOBAL__N_19NonZeroOpIaEEPKalEEiEEEE10hipError_tPvRmT1_T2_T3_mT4_P12ihipStream_tbEUlT_E1_NS1_11comp_targetILNS1_3genE4ELNS1_11target_archE910ELNS1_3gpuE8ELNS1_3repE0EEENS1_30default_config_static_selectorELNS0_4arch9wavefront6targetE0EEEvSQ_, .Lfunc_end93-_ZN7rocprim17ROCPRIM_400000_NS6detail17trampoline_kernelINS0_14default_configENS1_22reduce_config_selectorIiEEZNS1_11reduce_implILb1ES3_PiS7_iN6hipcub16HIPCUB_304000_NS6detail34convert_binary_result_type_wrapperINS9_3SumENS9_22TransformInputIteratorIbN2at6native12_GLOBAL__N_19NonZeroOpIaEEPKalEEiEEEE10hipError_tPvRmT1_T2_T3_mT4_P12ihipStream_tbEUlT_E1_NS1_11comp_targetILNS1_3genE4ELNS1_11target_archE910ELNS1_3gpuE8ELNS1_3repE0EEENS1_30default_config_static_selectorELNS0_4arch9wavefront6targetE0EEEvSQ_
                                        ; -- End function
	.set _ZN7rocprim17ROCPRIM_400000_NS6detail17trampoline_kernelINS0_14default_configENS1_22reduce_config_selectorIiEEZNS1_11reduce_implILb1ES3_PiS7_iN6hipcub16HIPCUB_304000_NS6detail34convert_binary_result_type_wrapperINS9_3SumENS9_22TransformInputIteratorIbN2at6native12_GLOBAL__N_19NonZeroOpIaEEPKalEEiEEEE10hipError_tPvRmT1_T2_T3_mT4_P12ihipStream_tbEUlT_E1_NS1_11comp_targetILNS1_3genE4ELNS1_11target_archE910ELNS1_3gpuE8ELNS1_3repE0EEENS1_30default_config_static_selectorELNS0_4arch9wavefront6targetE0EEEvSQ_.num_vgpr, 0
	.set _ZN7rocprim17ROCPRIM_400000_NS6detail17trampoline_kernelINS0_14default_configENS1_22reduce_config_selectorIiEEZNS1_11reduce_implILb1ES3_PiS7_iN6hipcub16HIPCUB_304000_NS6detail34convert_binary_result_type_wrapperINS9_3SumENS9_22TransformInputIteratorIbN2at6native12_GLOBAL__N_19NonZeroOpIaEEPKalEEiEEEE10hipError_tPvRmT1_T2_T3_mT4_P12ihipStream_tbEUlT_E1_NS1_11comp_targetILNS1_3genE4ELNS1_11target_archE910ELNS1_3gpuE8ELNS1_3repE0EEENS1_30default_config_static_selectorELNS0_4arch9wavefront6targetE0EEEvSQ_.num_agpr, 0
	.set _ZN7rocprim17ROCPRIM_400000_NS6detail17trampoline_kernelINS0_14default_configENS1_22reduce_config_selectorIiEEZNS1_11reduce_implILb1ES3_PiS7_iN6hipcub16HIPCUB_304000_NS6detail34convert_binary_result_type_wrapperINS9_3SumENS9_22TransformInputIteratorIbN2at6native12_GLOBAL__N_19NonZeroOpIaEEPKalEEiEEEE10hipError_tPvRmT1_T2_T3_mT4_P12ihipStream_tbEUlT_E1_NS1_11comp_targetILNS1_3genE4ELNS1_11target_archE910ELNS1_3gpuE8ELNS1_3repE0EEENS1_30default_config_static_selectorELNS0_4arch9wavefront6targetE0EEEvSQ_.numbered_sgpr, 0
	.set _ZN7rocprim17ROCPRIM_400000_NS6detail17trampoline_kernelINS0_14default_configENS1_22reduce_config_selectorIiEEZNS1_11reduce_implILb1ES3_PiS7_iN6hipcub16HIPCUB_304000_NS6detail34convert_binary_result_type_wrapperINS9_3SumENS9_22TransformInputIteratorIbN2at6native12_GLOBAL__N_19NonZeroOpIaEEPKalEEiEEEE10hipError_tPvRmT1_T2_T3_mT4_P12ihipStream_tbEUlT_E1_NS1_11comp_targetILNS1_3genE4ELNS1_11target_archE910ELNS1_3gpuE8ELNS1_3repE0EEENS1_30default_config_static_selectorELNS0_4arch9wavefront6targetE0EEEvSQ_.num_named_barrier, 0
	.set _ZN7rocprim17ROCPRIM_400000_NS6detail17trampoline_kernelINS0_14default_configENS1_22reduce_config_selectorIiEEZNS1_11reduce_implILb1ES3_PiS7_iN6hipcub16HIPCUB_304000_NS6detail34convert_binary_result_type_wrapperINS9_3SumENS9_22TransformInputIteratorIbN2at6native12_GLOBAL__N_19NonZeroOpIaEEPKalEEiEEEE10hipError_tPvRmT1_T2_T3_mT4_P12ihipStream_tbEUlT_E1_NS1_11comp_targetILNS1_3genE4ELNS1_11target_archE910ELNS1_3gpuE8ELNS1_3repE0EEENS1_30default_config_static_selectorELNS0_4arch9wavefront6targetE0EEEvSQ_.private_seg_size, 0
	.set _ZN7rocprim17ROCPRIM_400000_NS6detail17trampoline_kernelINS0_14default_configENS1_22reduce_config_selectorIiEEZNS1_11reduce_implILb1ES3_PiS7_iN6hipcub16HIPCUB_304000_NS6detail34convert_binary_result_type_wrapperINS9_3SumENS9_22TransformInputIteratorIbN2at6native12_GLOBAL__N_19NonZeroOpIaEEPKalEEiEEEE10hipError_tPvRmT1_T2_T3_mT4_P12ihipStream_tbEUlT_E1_NS1_11comp_targetILNS1_3genE4ELNS1_11target_archE910ELNS1_3gpuE8ELNS1_3repE0EEENS1_30default_config_static_selectorELNS0_4arch9wavefront6targetE0EEEvSQ_.uses_vcc, 0
	.set _ZN7rocprim17ROCPRIM_400000_NS6detail17trampoline_kernelINS0_14default_configENS1_22reduce_config_selectorIiEEZNS1_11reduce_implILb1ES3_PiS7_iN6hipcub16HIPCUB_304000_NS6detail34convert_binary_result_type_wrapperINS9_3SumENS9_22TransformInputIteratorIbN2at6native12_GLOBAL__N_19NonZeroOpIaEEPKalEEiEEEE10hipError_tPvRmT1_T2_T3_mT4_P12ihipStream_tbEUlT_E1_NS1_11comp_targetILNS1_3genE4ELNS1_11target_archE910ELNS1_3gpuE8ELNS1_3repE0EEENS1_30default_config_static_selectorELNS0_4arch9wavefront6targetE0EEEvSQ_.uses_flat_scratch, 0
	.set _ZN7rocprim17ROCPRIM_400000_NS6detail17trampoline_kernelINS0_14default_configENS1_22reduce_config_selectorIiEEZNS1_11reduce_implILb1ES3_PiS7_iN6hipcub16HIPCUB_304000_NS6detail34convert_binary_result_type_wrapperINS9_3SumENS9_22TransformInputIteratorIbN2at6native12_GLOBAL__N_19NonZeroOpIaEEPKalEEiEEEE10hipError_tPvRmT1_T2_T3_mT4_P12ihipStream_tbEUlT_E1_NS1_11comp_targetILNS1_3genE4ELNS1_11target_archE910ELNS1_3gpuE8ELNS1_3repE0EEENS1_30default_config_static_selectorELNS0_4arch9wavefront6targetE0EEEvSQ_.has_dyn_sized_stack, 0
	.set _ZN7rocprim17ROCPRIM_400000_NS6detail17trampoline_kernelINS0_14default_configENS1_22reduce_config_selectorIiEEZNS1_11reduce_implILb1ES3_PiS7_iN6hipcub16HIPCUB_304000_NS6detail34convert_binary_result_type_wrapperINS9_3SumENS9_22TransformInputIteratorIbN2at6native12_GLOBAL__N_19NonZeroOpIaEEPKalEEiEEEE10hipError_tPvRmT1_T2_T3_mT4_P12ihipStream_tbEUlT_E1_NS1_11comp_targetILNS1_3genE4ELNS1_11target_archE910ELNS1_3gpuE8ELNS1_3repE0EEENS1_30default_config_static_selectorELNS0_4arch9wavefront6targetE0EEEvSQ_.has_recursion, 0
	.set _ZN7rocprim17ROCPRIM_400000_NS6detail17trampoline_kernelINS0_14default_configENS1_22reduce_config_selectorIiEEZNS1_11reduce_implILb1ES3_PiS7_iN6hipcub16HIPCUB_304000_NS6detail34convert_binary_result_type_wrapperINS9_3SumENS9_22TransformInputIteratorIbN2at6native12_GLOBAL__N_19NonZeroOpIaEEPKalEEiEEEE10hipError_tPvRmT1_T2_T3_mT4_P12ihipStream_tbEUlT_E1_NS1_11comp_targetILNS1_3genE4ELNS1_11target_archE910ELNS1_3gpuE8ELNS1_3repE0EEENS1_30default_config_static_selectorELNS0_4arch9wavefront6targetE0EEEvSQ_.has_indirect_call, 0
	.section	.AMDGPU.csdata,"",@progbits
; Kernel info:
; codeLenInByte = 0
; TotalNumSgprs: 0
; NumVgprs: 0
; ScratchSize: 0
; MemoryBound: 0
; FloatMode: 240
; IeeeMode: 1
; LDSByteSize: 0 bytes/workgroup (compile time only)
; SGPRBlocks: 0
; VGPRBlocks: 0
; NumSGPRsForWavesPerEU: 1
; NumVGPRsForWavesPerEU: 1
; Occupancy: 16
; WaveLimiterHint : 0
; COMPUTE_PGM_RSRC2:SCRATCH_EN: 0
; COMPUTE_PGM_RSRC2:USER_SGPR: 2
; COMPUTE_PGM_RSRC2:TRAP_HANDLER: 0
; COMPUTE_PGM_RSRC2:TGID_X_EN: 1
; COMPUTE_PGM_RSRC2:TGID_Y_EN: 0
; COMPUTE_PGM_RSRC2:TGID_Z_EN: 0
; COMPUTE_PGM_RSRC2:TIDIG_COMP_CNT: 0
	.section	.text._ZN7rocprim17ROCPRIM_400000_NS6detail17trampoline_kernelINS0_14default_configENS1_22reduce_config_selectorIiEEZNS1_11reduce_implILb1ES3_PiS7_iN6hipcub16HIPCUB_304000_NS6detail34convert_binary_result_type_wrapperINS9_3SumENS9_22TransformInputIteratorIbN2at6native12_GLOBAL__N_19NonZeroOpIaEEPKalEEiEEEE10hipError_tPvRmT1_T2_T3_mT4_P12ihipStream_tbEUlT_E1_NS1_11comp_targetILNS1_3genE3ELNS1_11target_archE908ELNS1_3gpuE7ELNS1_3repE0EEENS1_30default_config_static_selectorELNS0_4arch9wavefront6targetE0EEEvSQ_,"axG",@progbits,_ZN7rocprim17ROCPRIM_400000_NS6detail17trampoline_kernelINS0_14default_configENS1_22reduce_config_selectorIiEEZNS1_11reduce_implILb1ES3_PiS7_iN6hipcub16HIPCUB_304000_NS6detail34convert_binary_result_type_wrapperINS9_3SumENS9_22TransformInputIteratorIbN2at6native12_GLOBAL__N_19NonZeroOpIaEEPKalEEiEEEE10hipError_tPvRmT1_T2_T3_mT4_P12ihipStream_tbEUlT_E1_NS1_11comp_targetILNS1_3genE3ELNS1_11target_archE908ELNS1_3gpuE7ELNS1_3repE0EEENS1_30default_config_static_selectorELNS0_4arch9wavefront6targetE0EEEvSQ_,comdat
	.globl	_ZN7rocprim17ROCPRIM_400000_NS6detail17trampoline_kernelINS0_14default_configENS1_22reduce_config_selectorIiEEZNS1_11reduce_implILb1ES3_PiS7_iN6hipcub16HIPCUB_304000_NS6detail34convert_binary_result_type_wrapperINS9_3SumENS9_22TransformInputIteratorIbN2at6native12_GLOBAL__N_19NonZeroOpIaEEPKalEEiEEEE10hipError_tPvRmT1_T2_T3_mT4_P12ihipStream_tbEUlT_E1_NS1_11comp_targetILNS1_3genE3ELNS1_11target_archE908ELNS1_3gpuE7ELNS1_3repE0EEENS1_30default_config_static_selectorELNS0_4arch9wavefront6targetE0EEEvSQ_ ; -- Begin function _ZN7rocprim17ROCPRIM_400000_NS6detail17trampoline_kernelINS0_14default_configENS1_22reduce_config_selectorIiEEZNS1_11reduce_implILb1ES3_PiS7_iN6hipcub16HIPCUB_304000_NS6detail34convert_binary_result_type_wrapperINS9_3SumENS9_22TransformInputIteratorIbN2at6native12_GLOBAL__N_19NonZeroOpIaEEPKalEEiEEEE10hipError_tPvRmT1_T2_T3_mT4_P12ihipStream_tbEUlT_E1_NS1_11comp_targetILNS1_3genE3ELNS1_11target_archE908ELNS1_3gpuE7ELNS1_3repE0EEENS1_30default_config_static_selectorELNS0_4arch9wavefront6targetE0EEEvSQ_
	.p2align	8
	.type	_ZN7rocprim17ROCPRIM_400000_NS6detail17trampoline_kernelINS0_14default_configENS1_22reduce_config_selectorIiEEZNS1_11reduce_implILb1ES3_PiS7_iN6hipcub16HIPCUB_304000_NS6detail34convert_binary_result_type_wrapperINS9_3SumENS9_22TransformInputIteratorIbN2at6native12_GLOBAL__N_19NonZeroOpIaEEPKalEEiEEEE10hipError_tPvRmT1_T2_T3_mT4_P12ihipStream_tbEUlT_E1_NS1_11comp_targetILNS1_3genE3ELNS1_11target_archE908ELNS1_3gpuE7ELNS1_3repE0EEENS1_30default_config_static_selectorELNS0_4arch9wavefront6targetE0EEEvSQ_,@function
_ZN7rocprim17ROCPRIM_400000_NS6detail17trampoline_kernelINS0_14default_configENS1_22reduce_config_selectorIiEEZNS1_11reduce_implILb1ES3_PiS7_iN6hipcub16HIPCUB_304000_NS6detail34convert_binary_result_type_wrapperINS9_3SumENS9_22TransformInputIteratorIbN2at6native12_GLOBAL__N_19NonZeroOpIaEEPKalEEiEEEE10hipError_tPvRmT1_T2_T3_mT4_P12ihipStream_tbEUlT_E1_NS1_11comp_targetILNS1_3genE3ELNS1_11target_archE908ELNS1_3gpuE7ELNS1_3repE0EEENS1_30default_config_static_selectorELNS0_4arch9wavefront6targetE0EEEvSQ_: ; @_ZN7rocprim17ROCPRIM_400000_NS6detail17trampoline_kernelINS0_14default_configENS1_22reduce_config_selectorIiEEZNS1_11reduce_implILb1ES3_PiS7_iN6hipcub16HIPCUB_304000_NS6detail34convert_binary_result_type_wrapperINS9_3SumENS9_22TransformInputIteratorIbN2at6native12_GLOBAL__N_19NonZeroOpIaEEPKalEEiEEEE10hipError_tPvRmT1_T2_T3_mT4_P12ihipStream_tbEUlT_E1_NS1_11comp_targetILNS1_3genE3ELNS1_11target_archE908ELNS1_3gpuE7ELNS1_3repE0EEENS1_30default_config_static_selectorELNS0_4arch9wavefront6targetE0EEEvSQ_
; %bb.0:
	.section	.rodata,"a",@progbits
	.p2align	6, 0x0
	.amdhsa_kernel _ZN7rocprim17ROCPRIM_400000_NS6detail17trampoline_kernelINS0_14default_configENS1_22reduce_config_selectorIiEEZNS1_11reduce_implILb1ES3_PiS7_iN6hipcub16HIPCUB_304000_NS6detail34convert_binary_result_type_wrapperINS9_3SumENS9_22TransformInputIteratorIbN2at6native12_GLOBAL__N_19NonZeroOpIaEEPKalEEiEEEE10hipError_tPvRmT1_T2_T3_mT4_P12ihipStream_tbEUlT_E1_NS1_11comp_targetILNS1_3genE3ELNS1_11target_archE908ELNS1_3gpuE7ELNS1_3repE0EEENS1_30default_config_static_selectorELNS0_4arch9wavefront6targetE0EEEvSQ_
		.amdhsa_group_segment_fixed_size 0
		.amdhsa_private_segment_fixed_size 0
		.amdhsa_kernarg_size 40
		.amdhsa_user_sgpr_count 2
		.amdhsa_user_sgpr_dispatch_ptr 0
		.amdhsa_user_sgpr_queue_ptr 0
		.amdhsa_user_sgpr_kernarg_segment_ptr 1
		.amdhsa_user_sgpr_dispatch_id 0
		.amdhsa_user_sgpr_private_segment_size 0
		.amdhsa_wavefront_size32 1
		.amdhsa_uses_dynamic_stack 0
		.amdhsa_enable_private_segment 0
		.amdhsa_system_sgpr_workgroup_id_x 1
		.amdhsa_system_sgpr_workgroup_id_y 0
		.amdhsa_system_sgpr_workgroup_id_z 0
		.amdhsa_system_sgpr_workgroup_info 0
		.amdhsa_system_vgpr_workitem_id 0
		.amdhsa_next_free_vgpr 1
		.amdhsa_next_free_sgpr 1
		.amdhsa_reserve_vcc 0
		.amdhsa_float_round_mode_32 0
		.amdhsa_float_round_mode_16_64 0
		.amdhsa_float_denorm_mode_32 3
		.amdhsa_float_denorm_mode_16_64 3
		.amdhsa_fp16_overflow 0
		.amdhsa_workgroup_processor_mode 1
		.amdhsa_memory_ordered 1
		.amdhsa_forward_progress 1
		.amdhsa_inst_pref_size 0
		.amdhsa_round_robin_scheduling 0
		.amdhsa_exception_fp_ieee_invalid_op 0
		.amdhsa_exception_fp_denorm_src 0
		.amdhsa_exception_fp_ieee_div_zero 0
		.amdhsa_exception_fp_ieee_overflow 0
		.amdhsa_exception_fp_ieee_underflow 0
		.amdhsa_exception_fp_ieee_inexact 0
		.amdhsa_exception_int_div_zero 0
	.end_amdhsa_kernel
	.section	.text._ZN7rocprim17ROCPRIM_400000_NS6detail17trampoline_kernelINS0_14default_configENS1_22reduce_config_selectorIiEEZNS1_11reduce_implILb1ES3_PiS7_iN6hipcub16HIPCUB_304000_NS6detail34convert_binary_result_type_wrapperINS9_3SumENS9_22TransformInputIteratorIbN2at6native12_GLOBAL__N_19NonZeroOpIaEEPKalEEiEEEE10hipError_tPvRmT1_T2_T3_mT4_P12ihipStream_tbEUlT_E1_NS1_11comp_targetILNS1_3genE3ELNS1_11target_archE908ELNS1_3gpuE7ELNS1_3repE0EEENS1_30default_config_static_selectorELNS0_4arch9wavefront6targetE0EEEvSQ_,"axG",@progbits,_ZN7rocprim17ROCPRIM_400000_NS6detail17trampoline_kernelINS0_14default_configENS1_22reduce_config_selectorIiEEZNS1_11reduce_implILb1ES3_PiS7_iN6hipcub16HIPCUB_304000_NS6detail34convert_binary_result_type_wrapperINS9_3SumENS9_22TransformInputIteratorIbN2at6native12_GLOBAL__N_19NonZeroOpIaEEPKalEEiEEEE10hipError_tPvRmT1_T2_T3_mT4_P12ihipStream_tbEUlT_E1_NS1_11comp_targetILNS1_3genE3ELNS1_11target_archE908ELNS1_3gpuE7ELNS1_3repE0EEENS1_30default_config_static_selectorELNS0_4arch9wavefront6targetE0EEEvSQ_,comdat
.Lfunc_end94:
	.size	_ZN7rocprim17ROCPRIM_400000_NS6detail17trampoline_kernelINS0_14default_configENS1_22reduce_config_selectorIiEEZNS1_11reduce_implILb1ES3_PiS7_iN6hipcub16HIPCUB_304000_NS6detail34convert_binary_result_type_wrapperINS9_3SumENS9_22TransformInputIteratorIbN2at6native12_GLOBAL__N_19NonZeroOpIaEEPKalEEiEEEE10hipError_tPvRmT1_T2_T3_mT4_P12ihipStream_tbEUlT_E1_NS1_11comp_targetILNS1_3genE3ELNS1_11target_archE908ELNS1_3gpuE7ELNS1_3repE0EEENS1_30default_config_static_selectorELNS0_4arch9wavefront6targetE0EEEvSQ_, .Lfunc_end94-_ZN7rocprim17ROCPRIM_400000_NS6detail17trampoline_kernelINS0_14default_configENS1_22reduce_config_selectorIiEEZNS1_11reduce_implILb1ES3_PiS7_iN6hipcub16HIPCUB_304000_NS6detail34convert_binary_result_type_wrapperINS9_3SumENS9_22TransformInputIteratorIbN2at6native12_GLOBAL__N_19NonZeroOpIaEEPKalEEiEEEE10hipError_tPvRmT1_T2_T3_mT4_P12ihipStream_tbEUlT_E1_NS1_11comp_targetILNS1_3genE3ELNS1_11target_archE908ELNS1_3gpuE7ELNS1_3repE0EEENS1_30default_config_static_selectorELNS0_4arch9wavefront6targetE0EEEvSQ_
                                        ; -- End function
	.set _ZN7rocprim17ROCPRIM_400000_NS6detail17trampoline_kernelINS0_14default_configENS1_22reduce_config_selectorIiEEZNS1_11reduce_implILb1ES3_PiS7_iN6hipcub16HIPCUB_304000_NS6detail34convert_binary_result_type_wrapperINS9_3SumENS9_22TransformInputIteratorIbN2at6native12_GLOBAL__N_19NonZeroOpIaEEPKalEEiEEEE10hipError_tPvRmT1_T2_T3_mT4_P12ihipStream_tbEUlT_E1_NS1_11comp_targetILNS1_3genE3ELNS1_11target_archE908ELNS1_3gpuE7ELNS1_3repE0EEENS1_30default_config_static_selectorELNS0_4arch9wavefront6targetE0EEEvSQ_.num_vgpr, 0
	.set _ZN7rocprim17ROCPRIM_400000_NS6detail17trampoline_kernelINS0_14default_configENS1_22reduce_config_selectorIiEEZNS1_11reduce_implILb1ES3_PiS7_iN6hipcub16HIPCUB_304000_NS6detail34convert_binary_result_type_wrapperINS9_3SumENS9_22TransformInputIteratorIbN2at6native12_GLOBAL__N_19NonZeroOpIaEEPKalEEiEEEE10hipError_tPvRmT1_T2_T3_mT4_P12ihipStream_tbEUlT_E1_NS1_11comp_targetILNS1_3genE3ELNS1_11target_archE908ELNS1_3gpuE7ELNS1_3repE0EEENS1_30default_config_static_selectorELNS0_4arch9wavefront6targetE0EEEvSQ_.num_agpr, 0
	.set _ZN7rocprim17ROCPRIM_400000_NS6detail17trampoline_kernelINS0_14default_configENS1_22reduce_config_selectorIiEEZNS1_11reduce_implILb1ES3_PiS7_iN6hipcub16HIPCUB_304000_NS6detail34convert_binary_result_type_wrapperINS9_3SumENS9_22TransformInputIteratorIbN2at6native12_GLOBAL__N_19NonZeroOpIaEEPKalEEiEEEE10hipError_tPvRmT1_T2_T3_mT4_P12ihipStream_tbEUlT_E1_NS1_11comp_targetILNS1_3genE3ELNS1_11target_archE908ELNS1_3gpuE7ELNS1_3repE0EEENS1_30default_config_static_selectorELNS0_4arch9wavefront6targetE0EEEvSQ_.numbered_sgpr, 0
	.set _ZN7rocprim17ROCPRIM_400000_NS6detail17trampoline_kernelINS0_14default_configENS1_22reduce_config_selectorIiEEZNS1_11reduce_implILb1ES3_PiS7_iN6hipcub16HIPCUB_304000_NS6detail34convert_binary_result_type_wrapperINS9_3SumENS9_22TransformInputIteratorIbN2at6native12_GLOBAL__N_19NonZeroOpIaEEPKalEEiEEEE10hipError_tPvRmT1_T2_T3_mT4_P12ihipStream_tbEUlT_E1_NS1_11comp_targetILNS1_3genE3ELNS1_11target_archE908ELNS1_3gpuE7ELNS1_3repE0EEENS1_30default_config_static_selectorELNS0_4arch9wavefront6targetE0EEEvSQ_.num_named_barrier, 0
	.set _ZN7rocprim17ROCPRIM_400000_NS6detail17trampoline_kernelINS0_14default_configENS1_22reduce_config_selectorIiEEZNS1_11reduce_implILb1ES3_PiS7_iN6hipcub16HIPCUB_304000_NS6detail34convert_binary_result_type_wrapperINS9_3SumENS9_22TransformInputIteratorIbN2at6native12_GLOBAL__N_19NonZeroOpIaEEPKalEEiEEEE10hipError_tPvRmT1_T2_T3_mT4_P12ihipStream_tbEUlT_E1_NS1_11comp_targetILNS1_3genE3ELNS1_11target_archE908ELNS1_3gpuE7ELNS1_3repE0EEENS1_30default_config_static_selectorELNS0_4arch9wavefront6targetE0EEEvSQ_.private_seg_size, 0
	.set _ZN7rocprim17ROCPRIM_400000_NS6detail17trampoline_kernelINS0_14default_configENS1_22reduce_config_selectorIiEEZNS1_11reduce_implILb1ES3_PiS7_iN6hipcub16HIPCUB_304000_NS6detail34convert_binary_result_type_wrapperINS9_3SumENS9_22TransformInputIteratorIbN2at6native12_GLOBAL__N_19NonZeroOpIaEEPKalEEiEEEE10hipError_tPvRmT1_T2_T3_mT4_P12ihipStream_tbEUlT_E1_NS1_11comp_targetILNS1_3genE3ELNS1_11target_archE908ELNS1_3gpuE7ELNS1_3repE0EEENS1_30default_config_static_selectorELNS0_4arch9wavefront6targetE0EEEvSQ_.uses_vcc, 0
	.set _ZN7rocprim17ROCPRIM_400000_NS6detail17trampoline_kernelINS0_14default_configENS1_22reduce_config_selectorIiEEZNS1_11reduce_implILb1ES3_PiS7_iN6hipcub16HIPCUB_304000_NS6detail34convert_binary_result_type_wrapperINS9_3SumENS9_22TransformInputIteratorIbN2at6native12_GLOBAL__N_19NonZeroOpIaEEPKalEEiEEEE10hipError_tPvRmT1_T2_T3_mT4_P12ihipStream_tbEUlT_E1_NS1_11comp_targetILNS1_3genE3ELNS1_11target_archE908ELNS1_3gpuE7ELNS1_3repE0EEENS1_30default_config_static_selectorELNS0_4arch9wavefront6targetE0EEEvSQ_.uses_flat_scratch, 0
	.set _ZN7rocprim17ROCPRIM_400000_NS6detail17trampoline_kernelINS0_14default_configENS1_22reduce_config_selectorIiEEZNS1_11reduce_implILb1ES3_PiS7_iN6hipcub16HIPCUB_304000_NS6detail34convert_binary_result_type_wrapperINS9_3SumENS9_22TransformInputIteratorIbN2at6native12_GLOBAL__N_19NonZeroOpIaEEPKalEEiEEEE10hipError_tPvRmT1_T2_T3_mT4_P12ihipStream_tbEUlT_E1_NS1_11comp_targetILNS1_3genE3ELNS1_11target_archE908ELNS1_3gpuE7ELNS1_3repE0EEENS1_30default_config_static_selectorELNS0_4arch9wavefront6targetE0EEEvSQ_.has_dyn_sized_stack, 0
	.set _ZN7rocprim17ROCPRIM_400000_NS6detail17trampoline_kernelINS0_14default_configENS1_22reduce_config_selectorIiEEZNS1_11reduce_implILb1ES3_PiS7_iN6hipcub16HIPCUB_304000_NS6detail34convert_binary_result_type_wrapperINS9_3SumENS9_22TransformInputIteratorIbN2at6native12_GLOBAL__N_19NonZeroOpIaEEPKalEEiEEEE10hipError_tPvRmT1_T2_T3_mT4_P12ihipStream_tbEUlT_E1_NS1_11comp_targetILNS1_3genE3ELNS1_11target_archE908ELNS1_3gpuE7ELNS1_3repE0EEENS1_30default_config_static_selectorELNS0_4arch9wavefront6targetE0EEEvSQ_.has_recursion, 0
	.set _ZN7rocprim17ROCPRIM_400000_NS6detail17trampoline_kernelINS0_14default_configENS1_22reduce_config_selectorIiEEZNS1_11reduce_implILb1ES3_PiS7_iN6hipcub16HIPCUB_304000_NS6detail34convert_binary_result_type_wrapperINS9_3SumENS9_22TransformInputIteratorIbN2at6native12_GLOBAL__N_19NonZeroOpIaEEPKalEEiEEEE10hipError_tPvRmT1_T2_T3_mT4_P12ihipStream_tbEUlT_E1_NS1_11comp_targetILNS1_3genE3ELNS1_11target_archE908ELNS1_3gpuE7ELNS1_3repE0EEENS1_30default_config_static_selectorELNS0_4arch9wavefront6targetE0EEEvSQ_.has_indirect_call, 0
	.section	.AMDGPU.csdata,"",@progbits
; Kernel info:
; codeLenInByte = 0
; TotalNumSgprs: 0
; NumVgprs: 0
; ScratchSize: 0
; MemoryBound: 0
; FloatMode: 240
; IeeeMode: 1
; LDSByteSize: 0 bytes/workgroup (compile time only)
; SGPRBlocks: 0
; VGPRBlocks: 0
; NumSGPRsForWavesPerEU: 1
; NumVGPRsForWavesPerEU: 1
; Occupancy: 16
; WaveLimiterHint : 0
; COMPUTE_PGM_RSRC2:SCRATCH_EN: 0
; COMPUTE_PGM_RSRC2:USER_SGPR: 2
; COMPUTE_PGM_RSRC2:TRAP_HANDLER: 0
; COMPUTE_PGM_RSRC2:TGID_X_EN: 1
; COMPUTE_PGM_RSRC2:TGID_Y_EN: 0
; COMPUTE_PGM_RSRC2:TGID_Z_EN: 0
; COMPUTE_PGM_RSRC2:TIDIG_COMP_CNT: 0
	.section	.text._ZN7rocprim17ROCPRIM_400000_NS6detail17trampoline_kernelINS0_14default_configENS1_22reduce_config_selectorIiEEZNS1_11reduce_implILb1ES3_PiS7_iN6hipcub16HIPCUB_304000_NS6detail34convert_binary_result_type_wrapperINS9_3SumENS9_22TransformInputIteratorIbN2at6native12_GLOBAL__N_19NonZeroOpIaEEPKalEEiEEEE10hipError_tPvRmT1_T2_T3_mT4_P12ihipStream_tbEUlT_E1_NS1_11comp_targetILNS1_3genE2ELNS1_11target_archE906ELNS1_3gpuE6ELNS1_3repE0EEENS1_30default_config_static_selectorELNS0_4arch9wavefront6targetE0EEEvSQ_,"axG",@progbits,_ZN7rocprim17ROCPRIM_400000_NS6detail17trampoline_kernelINS0_14default_configENS1_22reduce_config_selectorIiEEZNS1_11reduce_implILb1ES3_PiS7_iN6hipcub16HIPCUB_304000_NS6detail34convert_binary_result_type_wrapperINS9_3SumENS9_22TransformInputIteratorIbN2at6native12_GLOBAL__N_19NonZeroOpIaEEPKalEEiEEEE10hipError_tPvRmT1_T2_T3_mT4_P12ihipStream_tbEUlT_E1_NS1_11comp_targetILNS1_3genE2ELNS1_11target_archE906ELNS1_3gpuE6ELNS1_3repE0EEENS1_30default_config_static_selectorELNS0_4arch9wavefront6targetE0EEEvSQ_,comdat
	.globl	_ZN7rocprim17ROCPRIM_400000_NS6detail17trampoline_kernelINS0_14default_configENS1_22reduce_config_selectorIiEEZNS1_11reduce_implILb1ES3_PiS7_iN6hipcub16HIPCUB_304000_NS6detail34convert_binary_result_type_wrapperINS9_3SumENS9_22TransformInputIteratorIbN2at6native12_GLOBAL__N_19NonZeroOpIaEEPKalEEiEEEE10hipError_tPvRmT1_T2_T3_mT4_P12ihipStream_tbEUlT_E1_NS1_11comp_targetILNS1_3genE2ELNS1_11target_archE906ELNS1_3gpuE6ELNS1_3repE0EEENS1_30default_config_static_selectorELNS0_4arch9wavefront6targetE0EEEvSQ_ ; -- Begin function _ZN7rocprim17ROCPRIM_400000_NS6detail17trampoline_kernelINS0_14default_configENS1_22reduce_config_selectorIiEEZNS1_11reduce_implILb1ES3_PiS7_iN6hipcub16HIPCUB_304000_NS6detail34convert_binary_result_type_wrapperINS9_3SumENS9_22TransformInputIteratorIbN2at6native12_GLOBAL__N_19NonZeroOpIaEEPKalEEiEEEE10hipError_tPvRmT1_T2_T3_mT4_P12ihipStream_tbEUlT_E1_NS1_11comp_targetILNS1_3genE2ELNS1_11target_archE906ELNS1_3gpuE6ELNS1_3repE0EEENS1_30default_config_static_selectorELNS0_4arch9wavefront6targetE0EEEvSQ_
	.p2align	8
	.type	_ZN7rocprim17ROCPRIM_400000_NS6detail17trampoline_kernelINS0_14default_configENS1_22reduce_config_selectorIiEEZNS1_11reduce_implILb1ES3_PiS7_iN6hipcub16HIPCUB_304000_NS6detail34convert_binary_result_type_wrapperINS9_3SumENS9_22TransformInputIteratorIbN2at6native12_GLOBAL__N_19NonZeroOpIaEEPKalEEiEEEE10hipError_tPvRmT1_T2_T3_mT4_P12ihipStream_tbEUlT_E1_NS1_11comp_targetILNS1_3genE2ELNS1_11target_archE906ELNS1_3gpuE6ELNS1_3repE0EEENS1_30default_config_static_selectorELNS0_4arch9wavefront6targetE0EEEvSQ_,@function
_ZN7rocprim17ROCPRIM_400000_NS6detail17trampoline_kernelINS0_14default_configENS1_22reduce_config_selectorIiEEZNS1_11reduce_implILb1ES3_PiS7_iN6hipcub16HIPCUB_304000_NS6detail34convert_binary_result_type_wrapperINS9_3SumENS9_22TransformInputIteratorIbN2at6native12_GLOBAL__N_19NonZeroOpIaEEPKalEEiEEEE10hipError_tPvRmT1_T2_T3_mT4_P12ihipStream_tbEUlT_E1_NS1_11comp_targetILNS1_3genE2ELNS1_11target_archE906ELNS1_3gpuE6ELNS1_3repE0EEENS1_30default_config_static_selectorELNS0_4arch9wavefront6targetE0EEEvSQ_: ; @_ZN7rocprim17ROCPRIM_400000_NS6detail17trampoline_kernelINS0_14default_configENS1_22reduce_config_selectorIiEEZNS1_11reduce_implILb1ES3_PiS7_iN6hipcub16HIPCUB_304000_NS6detail34convert_binary_result_type_wrapperINS9_3SumENS9_22TransformInputIteratorIbN2at6native12_GLOBAL__N_19NonZeroOpIaEEPKalEEiEEEE10hipError_tPvRmT1_T2_T3_mT4_P12ihipStream_tbEUlT_E1_NS1_11comp_targetILNS1_3genE2ELNS1_11target_archE906ELNS1_3gpuE6ELNS1_3repE0EEENS1_30default_config_static_selectorELNS0_4arch9wavefront6targetE0EEEvSQ_
; %bb.0:
	.section	.rodata,"a",@progbits
	.p2align	6, 0x0
	.amdhsa_kernel _ZN7rocprim17ROCPRIM_400000_NS6detail17trampoline_kernelINS0_14default_configENS1_22reduce_config_selectorIiEEZNS1_11reduce_implILb1ES3_PiS7_iN6hipcub16HIPCUB_304000_NS6detail34convert_binary_result_type_wrapperINS9_3SumENS9_22TransformInputIteratorIbN2at6native12_GLOBAL__N_19NonZeroOpIaEEPKalEEiEEEE10hipError_tPvRmT1_T2_T3_mT4_P12ihipStream_tbEUlT_E1_NS1_11comp_targetILNS1_3genE2ELNS1_11target_archE906ELNS1_3gpuE6ELNS1_3repE0EEENS1_30default_config_static_selectorELNS0_4arch9wavefront6targetE0EEEvSQ_
		.amdhsa_group_segment_fixed_size 0
		.amdhsa_private_segment_fixed_size 0
		.amdhsa_kernarg_size 40
		.amdhsa_user_sgpr_count 2
		.amdhsa_user_sgpr_dispatch_ptr 0
		.amdhsa_user_sgpr_queue_ptr 0
		.amdhsa_user_sgpr_kernarg_segment_ptr 1
		.amdhsa_user_sgpr_dispatch_id 0
		.amdhsa_user_sgpr_private_segment_size 0
		.amdhsa_wavefront_size32 1
		.amdhsa_uses_dynamic_stack 0
		.amdhsa_enable_private_segment 0
		.amdhsa_system_sgpr_workgroup_id_x 1
		.amdhsa_system_sgpr_workgroup_id_y 0
		.amdhsa_system_sgpr_workgroup_id_z 0
		.amdhsa_system_sgpr_workgroup_info 0
		.amdhsa_system_vgpr_workitem_id 0
		.amdhsa_next_free_vgpr 1
		.amdhsa_next_free_sgpr 1
		.amdhsa_reserve_vcc 0
		.amdhsa_float_round_mode_32 0
		.amdhsa_float_round_mode_16_64 0
		.amdhsa_float_denorm_mode_32 3
		.amdhsa_float_denorm_mode_16_64 3
		.amdhsa_fp16_overflow 0
		.amdhsa_workgroup_processor_mode 1
		.amdhsa_memory_ordered 1
		.amdhsa_forward_progress 1
		.amdhsa_inst_pref_size 0
		.amdhsa_round_robin_scheduling 0
		.amdhsa_exception_fp_ieee_invalid_op 0
		.amdhsa_exception_fp_denorm_src 0
		.amdhsa_exception_fp_ieee_div_zero 0
		.amdhsa_exception_fp_ieee_overflow 0
		.amdhsa_exception_fp_ieee_underflow 0
		.amdhsa_exception_fp_ieee_inexact 0
		.amdhsa_exception_int_div_zero 0
	.end_amdhsa_kernel
	.section	.text._ZN7rocprim17ROCPRIM_400000_NS6detail17trampoline_kernelINS0_14default_configENS1_22reduce_config_selectorIiEEZNS1_11reduce_implILb1ES3_PiS7_iN6hipcub16HIPCUB_304000_NS6detail34convert_binary_result_type_wrapperINS9_3SumENS9_22TransformInputIteratorIbN2at6native12_GLOBAL__N_19NonZeroOpIaEEPKalEEiEEEE10hipError_tPvRmT1_T2_T3_mT4_P12ihipStream_tbEUlT_E1_NS1_11comp_targetILNS1_3genE2ELNS1_11target_archE906ELNS1_3gpuE6ELNS1_3repE0EEENS1_30default_config_static_selectorELNS0_4arch9wavefront6targetE0EEEvSQ_,"axG",@progbits,_ZN7rocprim17ROCPRIM_400000_NS6detail17trampoline_kernelINS0_14default_configENS1_22reduce_config_selectorIiEEZNS1_11reduce_implILb1ES3_PiS7_iN6hipcub16HIPCUB_304000_NS6detail34convert_binary_result_type_wrapperINS9_3SumENS9_22TransformInputIteratorIbN2at6native12_GLOBAL__N_19NonZeroOpIaEEPKalEEiEEEE10hipError_tPvRmT1_T2_T3_mT4_P12ihipStream_tbEUlT_E1_NS1_11comp_targetILNS1_3genE2ELNS1_11target_archE906ELNS1_3gpuE6ELNS1_3repE0EEENS1_30default_config_static_selectorELNS0_4arch9wavefront6targetE0EEEvSQ_,comdat
.Lfunc_end95:
	.size	_ZN7rocprim17ROCPRIM_400000_NS6detail17trampoline_kernelINS0_14default_configENS1_22reduce_config_selectorIiEEZNS1_11reduce_implILb1ES3_PiS7_iN6hipcub16HIPCUB_304000_NS6detail34convert_binary_result_type_wrapperINS9_3SumENS9_22TransformInputIteratorIbN2at6native12_GLOBAL__N_19NonZeroOpIaEEPKalEEiEEEE10hipError_tPvRmT1_T2_T3_mT4_P12ihipStream_tbEUlT_E1_NS1_11comp_targetILNS1_3genE2ELNS1_11target_archE906ELNS1_3gpuE6ELNS1_3repE0EEENS1_30default_config_static_selectorELNS0_4arch9wavefront6targetE0EEEvSQ_, .Lfunc_end95-_ZN7rocprim17ROCPRIM_400000_NS6detail17trampoline_kernelINS0_14default_configENS1_22reduce_config_selectorIiEEZNS1_11reduce_implILb1ES3_PiS7_iN6hipcub16HIPCUB_304000_NS6detail34convert_binary_result_type_wrapperINS9_3SumENS9_22TransformInputIteratorIbN2at6native12_GLOBAL__N_19NonZeroOpIaEEPKalEEiEEEE10hipError_tPvRmT1_T2_T3_mT4_P12ihipStream_tbEUlT_E1_NS1_11comp_targetILNS1_3genE2ELNS1_11target_archE906ELNS1_3gpuE6ELNS1_3repE0EEENS1_30default_config_static_selectorELNS0_4arch9wavefront6targetE0EEEvSQ_
                                        ; -- End function
	.set _ZN7rocprim17ROCPRIM_400000_NS6detail17trampoline_kernelINS0_14default_configENS1_22reduce_config_selectorIiEEZNS1_11reduce_implILb1ES3_PiS7_iN6hipcub16HIPCUB_304000_NS6detail34convert_binary_result_type_wrapperINS9_3SumENS9_22TransformInputIteratorIbN2at6native12_GLOBAL__N_19NonZeroOpIaEEPKalEEiEEEE10hipError_tPvRmT1_T2_T3_mT4_P12ihipStream_tbEUlT_E1_NS1_11comp_targetILNS1_3genE2ELNS1_11target_archE906ELNS1_3gpuE6ELNS1_3repE0EEENS1_30default_config_static_selectorELNS0_4arch9wavefront6targetE0EEEvSQ_.num_vgpr, 0
	.set _ZN7rocprim17ROCPRIM_400000_NS6detail17trampoline_kernelINS0_14default_configENS1_22reduce_config_selectorIiEEZNS1_11reduce_implILb1ES3_PiS7_iN6hipcub16HIPCUB_304000_NS6detail34convert_binary_result_type_wrapperINS9_3SumENS9_22TransformInputIteratorIbN2at6native12_GLOBAL__N_19NonZeroOpIaEEPKalEEiEEEE10hipError_tPvRmT1_T2_T3_mT4_P12ihipStream_tbEUlT_E1_NS1_11comp_targetILNS1_3genE2ELNS1_11target_archE906ELNS1_3gpuE6ELNS1_3repE0EEENS1_30default_config_static_selectorELNS0_4arch9wavefront6targetE0EEEvSQ_.num_agpr, 0
	.set _ZN7rocprim17ROCPRIM_400000_NS6detail17trampoline_kernelINS0_14default_configENS1_22reduce_config_selectorIiEEZNS1_11reduce_implILb1ES3_PiS7_iN6hipcub16HIPCUB_304000_NS6detail34convert_binary_result_type_wrapperINS9_3SumENS9_22TransformInputIteratorIbN2at6native12_GLOBAL__N_19NonZeroOpIaEEPKalEEiEEEE10hipError_tPvRmT1_T2_T3_mT4_P12ihipStream_tbEUlT_E1_NS1_11comp_targetILNS1_3genE2ELNS1_11target_archE906ELNS1_3gpuE6ELNS1_3repE0EEENS1_30default_config_static_selectorELNS0_4arch9wavefront6targetE0EEEvSQ_.numbered_sgpr, 0
	.set _ZN7rocprim17ROCPRIM_400000_NS6detail17trampoline_kernelINS0_14default_configENS1_22reduce_config_selectorIiEEZNS1_11reduce_implILb1ES3_PiS7_iN6hipcub16HIPCUB_304000_NS6detail34convert_binary_result_type_wrapperINS9_3SumENS9_22TransformInputIteratorIbN2at6native12_GLOBAL__N_19NonZeroOpIaEEPKalEEiEEEE10hipError_tPvRmT1_T2_T3_mT4_P12ihipStream_tbEUlT_E1_NS1_11comp_targetILNS1_3genE2ELNS1_11target_archE906ELNS1_3gpuE6ELNS1_3repE0EEENS1_30default_config_static_selectorELNS0_4arch9wavefront6targetE0EEEvSQ_.num_named_barrier, 0
	.set _ZN7rocprim17ROCPRIM_400000_NS6detail17trampoline_kernelINS0_14default_configENS1_22reduce_config_selectorIiEEZNS1_11reduce_implILb1ES3_PiS7_iN6hipcub16HIPCUB_304000_NS6detail34convert_binary_result_type_wrapperINS9_3SumENS9_22TransformInputIteratorIbN2at6native12_GLOBAL__N_19NonZeroOpIaEEPKalEEiEEEE10hipError_tPvRmT1_T2_T3_mT4_P12ihipStream_tbEUlT_E1_NS1_11comp_targetILNS1_3genE2ELNS1_11target_archE906ELNS1_3gpuE6ELNS1_3repE0EEENS1_30default_config_static_selectorELNS0_4arch9wavefront6targetE0EEEvSQ_.private_seg_size, 0
	.set _ZN7rocprim17ROCPRIM_400000_NS6detail17trampoline_kernelINS0_14default_configENS1_22reduce_config_selectorIiEEZNS1_11reduce_implILb1ES3_PiS7_iN6hipcub16HIPCUB_304000_NS6detail34convert_binary_result_type_wrapperINS9_3SumENS9_22TransformInputIteratorIbN2at6native12_GLOBAL__N_19NonZeroOpIaEEPKalEEiEEEE10hipError_tPvRmT1_T2_T3_mT4_P12ihipStream_tbEUlT_E1_NS1_11comp_targetILNS1_3genE2ELNS1_11target_archE906ELNS1_3gpuE6ELNS1_3repE0EEENS1_30default_config_static_selectorELNS0_4arch9wavefront6targetE0EEEvSQ_.uses_vcc, 0
	.set _ZN7rocprim17ROCPRIM_400000_NS6detail17trampoline_kernelINS0_14default_configENS1_22reduce_config_selectorIiEEZNS1_11reduce_implILb1ES3_PiS7_iN6hipcub16HIPCUB_304000_NS6detail34convert_binary_result_type_wrapperINS9_3SumENS9_22TransformInputIteratorIbN2at6native12_GLOBAL__N_19NonZeroOpIaEEPKalEEiEEEE10hipError_tPvRmT1_T2_T3_mT4_P12ihipStream_tbEUlT_E1_NS1_11comp_targetILNS1_3genE2ELNS1_11target_archE906ELNS1_3gpuE6ELNS1_3repE0EEENS1_30default_config_static_selectorELNS0_4arch9wavefront6targetE0EEEvSQ_.uses_flat_scratch, 0
	.set _ZN7rocprim17ROCPRIM_400000_NS6detail17trampoline_kernelINS0_14default_configENS1_22reduce_config_selectorIiEEZNS1_11reduce_implILb1ES3_PiS7_iN6hipcub16HIPCUB_304000_NS6detail34convert_binary_result_type_wrapperINS9_3SumENS9_22TransformInputIteratorIbN2at6native12_GLOBAL__N_19NonZeroOpIaEEPKalEEiEEEE10hipError_tPvRmT1_T2_T3_mT4_P12ihipStream_tbEUlT_E1_NS1_11comp_targetILNS1_3genE2ELNS1_11target_archE906ELNS1_3gpuE6ELNS1_3repE0EEENS1_30default_config_static_selectorELNS0_4arch9wavefront6targetE0EEEvSQ_.has_dyn_sized_stack, 0
	.set _ZN7rocprim17ROCPRIM_400000_NS6detail17trampoline_kernelINS0_14default_configENS1_22reduce_config_selectorIiEEZNS1_11reduce_implILb1ES3_PiS7_iN6hipcub16HIPCUB_304000_NS6detail34convert_binary_result_type_wrapperINS9_3SumENS9_22TransformInputIteratorIbN2at6native12_GLOBAL__N_19NonZeroOpIaEEPKalEEiEEEE10hipError_tPvRmT1_T2_T3_mT4_P12ihipStream_tbEUlT_E1_NS1_11comp_targetILNS1_3genE2ELNS1_11target_archE906ELNS1_3gpuE6ELNS1_3repE0EEENS1_30default_config_static_selectorELNS0_4arch9wavefront6targetE0EEEvSQ_.has_recursion, 0
	.set _ZN7rocprim17ROCPRIM_400000_NS6detail17trampoline_kernelINS0_14default_configENS1_22reduce_config_selectorIiEEZNS1_11reduce_implILb1ES3_PiS7_iN6hipcub16HIPCUB_304000_NS6detail34convert_binary_result_type_wrapperINS9_3SumENS9_22TransformInputIteratorIbN2at6native12_GLOBAL__N_19NonZeroOpIaEEPKalEEiEEEE10hipError_tPvRmT1_T2_T3_mT4_P12ihipStream_tbEUlT_E1_NS1_11comp_targetILNS1_3genE2ELNS1_11target_archE906ELNS1_3gpuE6ELNS1_3repE0EEENS1_30default_config_static_selectorELNS0_4arch9wavefront6targetE0EEEvSQ_.has_indirect_call, 0
	.section	.AMDGPU.csdata,"",@progbits
; Kernel info:
; codeLenInByte = 0
; TotalNumSgprs: 0
; NumVgprs: 0
; ScratchSize: 0
; MemoryBound: 0
; FloatMode: 240
; IeeeMode: 1
; LDSByteSize: 0 bytes/workgroup (compile time only)
; SGPRBlocks: 0
; VGPRBlocks: 0
; NumSGPRsForWavesPerEU: 1
; NumVGPRsForWavesPerEU: 1
; Occupancy: 16
; WaveLimiterHint : 0
; COMPUTE_PGM_RSRC2:SCRATCH_EN: 0
; COMPUTE_PGM_RSRC2:USER_SGPR: 2
; COMPUTE_PGM_RSRC2:TRAP_HANDLER: 0
; COMPUTE_PGM_RSRC2:TGID_X_EN: 1
; COMPUTE_PGM_RSRC2:TGID_Y_EN: 0
; COMPUTE_PGM_RSRC2:TGID_Z_EN: 0
; COMPUTE_PGM_RSRC2:TIDIG_COMP_CNT: 0
	.section	.text._ZN7rocprim17ROCPRIM_400000_NS6detail17trampoline_kernelINS0_14default_configENS1_22reduce_config_selectorIiEEZNS1_11reduce_implILb1ES3_PiS7_iN6hipcub16HIPCUB_304000_NS6detail34convert_binary_result_type_wrapperINS9_3SumENS9_22TransformInputIteratorIbN2at6native12_GLOBAL__N_19NonZeroOpIaEEPKalEEiEEEE10hipError_tPvRmT1_T2_T3_mT4_P12ihipStream_tbEUlT_E1_NS1_11comp_targetILNS1_3genE10ELNS1_11target_archE1201ELNS1_3gpuE5ELNS1_3repE0EEENS1_30default_config_static_selectorELNS0_4arch9wavefront6targetE0EEEvSQ_,"axG",@progbits,_ZN7rocprim17ROCPRIM_400000_NS6detail17trampoline_kernelINS0_14default_configENS1_22reduce_config_selectorIiEEZNS1_11reduce_implILb1ES3_PiS7_iN6hipcub16HIPCUB_304000_NS6detail34convert_binary_result_type_wrapperINS9_3SumENS9_22TransformInputIteratorIbN2at6native12_GLOBAL__N_19NonZeroOpIaEEPKalEEiEEEE10hipError_tPvRmT1_T2_T3_mT4_P12ihipStream_tbEUlT_E1_NS1_11comp_targetILNS1_3genE10ELNS1_11target_archE1201ELNS1_3gpuE5ELNS1_3repE0EEENS1_30default_config_static_selectorELNS0_4arch9wavefront6targetE0EEEvSQ_,comdat
	.globl	_ZN7rocprim17ROCPRIM_400000_NS6detail17trampoline_kernelINS0_14default_configENS1_22reduce_config_selectorIiEEZNS1_11reduce_implILb1ES3_PiS7_iN6hipcub16HIPCUB_304000_NS6detail34convert_binary_result_type_wrapperINS9_3SumENS9_22TransformInputIteratorIbN2at6native12_GLOBAL__N_19NonZeroOpIaEEPKalEEiEEEE10hipError_tPvRmT1_T2_T3_mT4_P12ihipStream_tbEUlT_E1_NS1_11comp_targetILNS1_3genE10ELNS1_11target_archE1201ELNS1_3gpuE5ELNS1_3repE0EEENS1_30default_config_static_selectorELNS0_4arch9wavefront6targetE0EEEvSQ_ ; -- Begin function _ZN7rocprim17ROCPRIM_400000_NS6detail17trampoline_kernelINS0_14default_configENS1_22reduce_config_selectorIiEEZNS1_11reduce_implILb1ES3_PiS7_iN6hipcub16HIPCUB_304000_NS6detail34convert_binary_result_type_wrapperINS9_3SumENS9_22TransformInputIteratorIbN2at6native12_GLOBAL__N_19NonZeroOpIaEEPKalEEiEEEE10hipError_tPvRmT1_T2_T3_mT4_P12ihipStream_tbEUlT_E1_NS1_11comp_targetILNS1_3genE10ELNS1_11target_archE1201ELNS1_3gpuE5ELNS1_3repE0EEENS1_30default_config_static_selectorELNS0_4arch9wavefront6targetE0EEEvSQ_
	.p2align	8
	.type	_ZN7rocprim17ROCPRIM_400000_NS6detail17trampoline_kernelINS0_14default_configENS1_22reduce_config_selectorIiEEZNS1_11reduce_implILb1ES3_PiS7_iN6hipcub16HIPCUB_304000_NS6detail34convert_binary_result_type_wrapperINS9_3SumENS9_22TransformInputIteratorIbN2at6native12_GLOBAL__N_19NonZeroOpIaEEPKalEEiEEEE10hipError_tPvRmT1_T2_T3_mT4_P12ihipStream_tbEUlT_E1_NS1_11comp_targetILNS1_3genE10ELNS1_11target_archE1201ELNS1_3gpuE5ELNS1_3repE0EEENS1_30default_config_static_selectorELNS0_4arch9wavefront6targetE0EEEvSQ_,@function
_ZN7rocprim17ROCPRIM_400000_NS6detail17trampoline_kernelINS0_14default_configENS1_22reduce_config_selectorIiEEZNS1_11reduce_implILb1ES3_PiS7_iN6hipcub16HIPCUB_304000_NS6detail34convert_binary_result_type_wrapperINS9_3SumENS9_22TransformInputIteratorIbN2at6native12_GLOBAL__N_19NonZeroOpIaEEPKalEEiEEEE10hipError_tPvRmT1_T2_T3_mT4_P12ihipStream_tbEUlT_E1_NS1_11comp_targetILNS1_3genE10ELNS1_11target_archE1201ELNS1_3gpuE5ELNS1_3repE0EEENS1_30default_config_static_selectorELNS0_4arch9wavefront6targetE0EEEvSQ_: ; @_ZN7rocprim17ROCPRIM_400000_NS6detail17trampoline_kernelINS0_14default_configENS1_22reduce_config_selectorIiEEZNS1_11reduce_implILb1ES3_PiS7_iN6hipcub16HIPCUB_304000_NS6detail34convert_binary_result_type_wrapperINS9_3SumENS9_22TransformInputIteratorIbN2at6native12_GLOBAL__N_19NonZeroOpIaEEPKalEEiEEEE10hipError_tPvRmT1_T2_T3_mT4_P12ihipStream_tbEUlT_E1_NS1_11comp_targetILNS1_3genE10ELNS1_11target_archE1201ELNS1_3gpuE5ELNS1_3repE0EEENS1_30default_config_static_selectorELNS0_4arch9wavefront6targetE0EEEvSQ_
; %bb.0:
	s_clause 0x1
	s_load_b32 s33, s[0:1], 0x4
	s_load_b128 s[36:39], s[0:1], 0x8
	s_mov_b32 s34, ttmp9
	s_wait_kmcnt 0x0
	s_cmp_lt_i32 s33, 8
	s_cbranch_scc1 .LBB96_11
; %bb.1:
	s_cmp_gt_i32 s33, 15
	s_cbranch_scc0 .LBB96_12
; %bb.2:
	s_cmp_gt_i32 s33, 31
	s_cbranch_scc0 .LBB96_13
; %bb.3:
	s_cmp_eq_u32 s33, 32
	s_mov_b32 s42, 0
	s_cbranch_scc0 .LBB96_14
; %bb.4:
	s_mov_b32 s35, 0
	s_lshl_b32 s2, s34, 13
	s_mov_b32 s3, s35
	s_lshr_b64 s[4:5], s[38:39], 13
	s_lshl_b64 s[6:7], s[2:3], 2
	s_cmp_lg_u64 s[4:5], s[34:35]
	s_add_nc_u64 s[40:41], s[36:37], s[6:7]
	s_cbranch_scc0 .LBB96_23
; %bb.5:
	v_lshlrev_b32_e32 v1, 2, v0
	s_mov_b32 s3, exec_lo
	s_clause 0x1f
	global_load_b32 v2, v1, s[40:41]
	global_load_b32 v3, v1, s[40:41] offset:1024
	global_load_b32 v4, v1, s[40:41] offset:2048
	global_load_b32 v5, v1, s[40:41] offset:3072
	global_load_b32 v6, v1, s[40:41] offset:4096
	global_load_b32 v7, v1, s[40:41] offset:5120
	global_load_b32 v8, v1, s[40:41] offset:6144
	global_load_b32 v9, v1, s[40:41] offset:7168
	global_load_b32 v10, v1, s[40:41] offset:8192
	global_load_b32 v11, v1, s[40:41] offset:9216
	global_load_b32 v12, v1, s[40:41] offset:10240
	global_load_b32 v13, v1, s[40:41] offset:11264
	global_load_b32 v14, v1, s[40:41] offset:12288
	global_load_b32 v15, v1, s[40:41] offset:13312
	global_load_b32 v16, v1, s[40:41] offset:14336
	global_load_b32 v17, v1, s[40:41] offset:15360
	global_load_b32 v18, v1, s[40:41] offset:16384
	global_load_b32 v19, v1, s[40:41] offset:17408
	global_load_b32 v20, v1, s[40:41] offset:18432
	global_load_b32 v21, v1, s[40:41] offset:19456
	global_load_b32 v22, v1, s[40:41] offset:20480
	global_load_b32 v23, v1, s[40:41] offset:21504
	global_load_b32 v24, v1, s[40:41] offset:22528
	global_load_b32 v25, v1, s[40:41] offset:23552
	global_load_b32 v26, v1, s[40:41] offset:24576
	global_load_b32 v27, v1, s[40:41] offset:25600
	global_load_b32 v28, v1, s[40:41] offset:26624
	global_load_b32 v29, v1, s[40:41] offset:27648
	global_load_b32 v30, v1, s[40:41] offset:28672
	global_load_b32 v31, v1, s[40:41] offset:29696
	global_load_b32 v32, v1, s[40:41] offset:30720
	global_load_b32 v1, v1, s[40:41] offset:31744
	s_wait_loadcnt 0x1e
	v_add_nc_u32_e32 v2, v3, v2
	s_wait_loadcnt 0x1c
	s_delay_alu instid0(VALU_DEP_1) | instskip(SKIP_1) | instid1(VALU_DEP_1)
	v_add3_u32 v2, v2, v4, v5
	s_wait_loadcnt 0x1a
	v_add3_u32 v2, v2, v6, v7
	s_wait_loadcnt 0x18
	s_delay_alu instid0(VALU_DEP_1) | instskip(SKIP_1) | instid1(VALU_DEP_1)
	v_add3_u32 v2, v2, v8, v9
	s_wait_loadcnt 0x16
	v_add3_u32 v2, v2, v10, v11
	;; [unrolled: 5-line block ×7, first 2 shown]
	s_wait_loadcnt 0x0
	s_delay_alu instid0(VALU_DEP_1) | instskip(NEXT) | instid1(VALU_DEP_1)
	v_add3_u32 v1, v2, v32, v1
	v_mov_b32_dpp v2, v1 quad_perm:[1,0,3,2] row_mask:0xf bank_mask:0xf
	s_delay_alu instid0(VALU_DEP_1) | instskip(NEXT) | instid1(VALU_DEP_1)
	v_add_nc_u32_e32 v1, v2, v1
	v_mov_b32_dpp v2, v1 quad_perm:[2,3,0,1] row_mask:0xf bank_mask:0xf
	s_delay_alu instid0(VALU_DEP_1) | instskip(NEXT) | instid1(VALU_DEP_1)
	v_add_nc_u32_e32 v1, v1, v2
	v_mov_b32_dpp v2, v1 row_ror:4 row_mask:0xf bank_mask:0xf
	s_delay_alu instid0(VALU_DEP_1) | instskip(NEXT) | instid1(VALU_DEP_1)
	v_add_nc_u32_e32 v1, v1, v2
	v_mov_b32_dpp v2, v1 row_ror:8 row_mask:0xf bank_mask:0xf
	s_delay_alu instid0(VALU_DEP_1)
	v_add_nc_u32_e32 v1, v1, v2
	ds_swizzle_b32 v2, v1 offset:swizzle(BROADCAST,32,15)
	s_wait_dscnt 0x0
	v_dual_mov_b32 v2, 0 :: v_dual_add_nc_u32 v1, v1, v2
	ds_bpermute_b32 v1, v2, v1 offset:124
	v_mbcnt_lo_u32_b32 v2, -1, 0
	s_delay_alu instid0(VALU_DEP_1)
	v_cmpx_eq_u32_e32 0, v2
	s_cbranch_execz .LBB96_7
; %bb.6:
	v_lshrrev_b32_e32 v3, 3, v0
	s_delay_alu instid0(VALU_DEP_1)
	v_and_b32_e32 v3, 28, v3
	s_wait_dscnt 0x0
	ds_store_b32 v3, v1 offset:96
.LBB96_7:
	s_or_b32 exec_lo, exec_lo, s3
	s_delay_alu instid0(SALU_CYCLE_1)
	s_mov_b32 s3, exec_lo
	s_wait_dscnt 0x0
	s_barrier_signal -1
	s_barrier_wait -1
	global_inv scope:SCOPE_SE
	v_cmpx_gt_u32_e32 32, v0
	s_cbranch_execz .LBB96_9
; %bb.8:
	v_lshl_or_b32 v1, v2, 2, 0x60
	v_and_b32_e32 v3, 7, v2
	ds_load_b32 v1, v1
	v_cmp_ne_u32_e32 vcc_lo, 7, v3
	v_add_co_ci_u32_e64 v4, null, 0, v2, vcc_lo
	v_cmp_gt_u32_e32 vcc_lo, 6, v3
	s_delay_alu instid0(VALU_DEP_2) | instskip(SKIP_2) | instid1(VALU_DEP_1)
	v_lshlrev_b32_e32 v4, 2, v4
	s_wait_alu 0xfffd
	v_cndmask_b32_e64 v3, 0, 2, vcc_lo
	v_add_lshl_u32 v3, v3, v2, 2
	v_lshlrev_b32_e32 v2, 2, v2
	s_wait_dscnt 0x0
	ds_bpermute_b32 v4, v4, v1
	v_or_b32_e32 v2, 16, v2
	s_wait_dscnt 0x0
	v_add_nc_u32_e32 v1, v4, v1
	ds_bpermute_b32 v3, v3, v1
	s_wait_dscnt 0x0
	v_add_nc_u32_e32 v1, v3, v1
	ds_bpermute_b32 v2, v2, v1
	s_wait_dscnt 0x0
	v_add_nc_u32_e32 v1, v2, v1
.LBB96_9:
	s_or_b32 exec_lo, exec_lo, s3
.LBB96_10:
	v_cmp_eq_u32_e64 s2, 0, v0
	s_and_b32 vcc_lo, exec_lo, s42
	s_wait_alu 0xfffe
	s_cbranch_vccnz .LBB96_15
	s_branch .LBB96_93
.LBB96_11:
	s_mov_b32 s2, 0
                                        ; implicit-def: $vgpr1
	s_cbranch_execnz .LBB96_166
	s_branch .LBB96_224
.LBB96_12:
	s_mov_b32 s2, 0
                                        ; implicit-def: $vgpr1
	s_cbranch_execnz .LBB96_134
	s_branch .LBB96_142
.LBB96_13:
	s_mov_b32 s42, -1
.LBB96_14:
	s_mov_b32 s2, 0
                                        ; implicit-def: $vgpr1
	s_and_b32 vcc_lo, exec_lo, s42
	s_cbranch_vccz .LBB96_93
.LBB96_15:
	s_cmp_eq_u32 s33, 16
	s_cbranch_scc0 .LBB96_22
; %bb.16:
	s_mov_b32 s35, 0
	s_lshl_b32 s2, s34, 12
	s_mov_b32 s3, s35
	s_lshr_b64 s[4:5], s[38:39], 12
	s_wait_alu 0xfffe
	s_lshl_b64 s[6:7], s[2:3], 2
	s_cmp_lg_u64 s[4:5], s[34:35]
	s_wait_alu 0xfffe
	s_add_nc_u64 s[16:17], s[36:37], s[6:7]
	s_cbranch_scc0 .LBB96_94
; %bb.17:
	v_lshlrev_b32_e32 v1, 2, v0
	s_mov_b32 s3, exec_lo
	s_clause 0xf
	global_load_b32 v2, v1, s[16:17]
	global_load_b32 v3, v1, s[16:17] offset:1024
	global_load_b32 v4, v1, s[16:17] offset:2048
	;; [unrolled: 1-line block ×15, first 2 shown]
	s_wait_loadcnt 0xe
	v_add_nc_u32_e32 v2, v3, v2
	s_wait_loadcnt 0xc
	s_delay_alu instid0(VALU_DEP_1) | instskip(SKIP_1) | instid1(VALU_DEP_1)
	v_add3_u32 v2, v2, v4, v5
	s_wait_loadcnt 0xa
	v_add3_u32 v2, v2, v6, v7
	s_wait_loadcnt 0x8
	s_delay_alu instid0(VALU_DEP_1) | instskip(SKIP_1) | instid1(VALU_DEP_1)
	v_add3_u32 v2, v2, v8, v9
	s_wait_loadcnt 0x6
	v_add3_u32 v2, v2, v10, v11
	;; [unrolled: 5-line block ×3, first 2 shown]
	s_wait_loadcnt 0x0
	s_delay_alu instid0(VALU_DEP_1) | instskip(NEXT) | instid1(VALU_DEP_1)
	v_add3_u32 v1, v2, v16, v1
	v_mov_b32_dpp v2, v1 quad_perm:[1,0,3,2] row_mask:0xf bank_mask:0xf
	s_delay_alu instid0(VALU_DEP_1) | instskip(NEXT) | instid1(VALU_DEP_1)
	v_add_nc_u32_e32 v1, v2, v1
	v_mov_b32_dpp v2, v1 quad_perm:[2,3,0,1] row_mask:0xf bank_mask:0xf
	s_delay_alu instid0(VALU_DEP_1) | instskip(NEXT) | instid1(VALU_DEP_1)
	v_add_nc_u32_e32 v1, v1, v2
	v_mov_b32_dpp v2, v1 row_ror:4 row_mask:0xf bank_mask:0xf
	s_delay_alu instid0(VALU_DEP_1) | instskip(NEXT) | instid1(VALU_DEP_1)
	v_add_nc_u32_e32 v1, v1, v2
	v_mov_b32_dpp v2, v1 row_ror:8 row_mask:0xf bank_mask:0xf
	s_delay_alu instid0(VALU_DEP_1)
	v_add_nc_u32_e32 v1, v1, v2
	ds_swizzle_b32 v2, v1 offset:swizzle(BROADCAST,32,15)
	s_wait_dscnt 0x0
	v_dual_mov_b32 v2, 0 :: v_dual_add_nc_u32 v1, v1, v2
	ds_bpermute_b32 v1, v2, v1 offset:124
	v_mbcnt_lo_u32_b32 v2, -1, 0
	s_delay_alu instid0(VALU_DEP_1)
	v_cmpx_eq_u32_e32 0, v2
	s_cbranch_execz .LBB96_19
; %bb.18:
	v_lshrrev_b32_e32 v3, 3, v0
	s_delay_alu instid0(VALU_DEP_1)
	v_and_b32_e32 v3, 28, v3
	s_wait_dscnt 0x0
	ds_store_b32 v3, v1
.LBB96_19:
	s_wait_alu 0xfffe
	s_or_b32 exec_lo, exec_lo, s3
	s_delay_alu instid0(SALU_CYCLE_1)
	s_mov_b32 s3, exec_lo
	s_wait_dscnt 0x0
	s_barrier_signal -1
	s_barrier_wait -1
	global_inv scope:SCOPE_SE
	v_cmpx_gt_u32_e32 32, v0
	s_cbranch_execz .LBB96_21
; %bb.20:
	v_and_b32_e32 v1, 7, v2
	s_delay_alu instid0(VALU_DEP_1)
	v_lshlrev_b32_e32 v3, 2, v1
	v_cmp_ne_u32_e32 vcc_lo, 7, v1
	ds_load_b32 v3, v3
	s_wait_alu 0xfffd
	v_add_co_ci_u32_e64 v4, null, 0, v2, vcc_lo
	v_cmp_gt_u32_e32 vcc_lo, 6, v1
	s_delay_alu instid0(VALU_DEP_2) | instskip(SKIP_2) | instid1(VALU_DEP_1)
	v_lshlrev_b32_e32 v4, 2, v4
	s_wait_alu 0xfffd
	v_cndmask_b32_e64 v1, 0, 2, vcc_lo
	v_add_lshl_u32 v1, v1, v2, 2
	v_lshlrev_b32_e32 v2, 2, v2
	s_delay_alu instid0(VALU_DEP_1)
	v_or_b32_e32 v2, 16, v2
	s_wait_dscnt 0x0
	ds_bpermute_b32 v4, v4, v3
	s_wait_dscnt 0x0
	v_add_nc_u32_e32 v3, v4, v3
	ds_bpermute_b32 v1, v1, v3
	s_wait_dscnt 0x0
	v_add_nc_u32_e32 v1, v1, v3
	;; [unrolled: 3-line block ×3, first 2 shown]
.LBB96_21:
	s_wait_alu 0xfffe
	s_or_b32 exec_lo, exec_lo, s3
	s_mov_b32 s3, 0
	s_branch .LBB96_95
.LBB96_22:
                                        ; implicit-def: $vgpr1
	s_branch .LBB96_142
.LBB96_23:
                                        ; implicit-def: $vgpr1
	s_cbranch_execz .LBB96_10
; %bb.24:
	v_mov_b32_e32 v1, 0
	s_sub_co_i32 s43, s38, s2
	s_delay_alu instid0(SALU_CYCLE_1) | instskip(NEXT) | instid1(VALU_DEP_2)
	v_cmp_gt_u32_e32 vcc_lo, s43, v0
	v_dual_mov_b32 v2, v1 :: v_dual_mov_b32 v3, v1
	v_dual_mov_b32 v4, v1 :: v_dual_mov_b32 v5, v1
	;; [unrolled: 1-line block ×15, first 2 shown]
	v_mov_b32_e32 v32, v1
	s_and_saveexec_b32 s2, vcc_lo
	s_cbranch_execz .LBB96_26
; %bb.25:
	v_dual_mov_b32 v3, v1 :: v_dual_lshlrev_b32 v2, 2, v0
	v_dual_mov_b32 v32, v1 :: v_dual_mov_b32 v33, v1
	v_dual_mov_b32 v4, v1 :: v_dual_mov_b32 v5, v1
	global_load_b32 v2, v2, s[40:41]
	v_dual_mov_b32 v6, v1 :: v_dual_mov_b32 v7, v1
	v_dual_mov_b32 v8, v1 :: v_dual_mov_b32 v9, v1
	;; [unrolled: 1-line block ×13, first 2 shown]
	s_wait_loadcnt 0x0
	v_mov_b32_e32 v1, v2
	v_mov_b32_e32 v2, v3
	;; [unrolled: 1-line block ×32, first 2 shown]
.LBB96_26:
	s_or_b32 exec_lo, exec_lo, s2
	v_or_b32_e32 v33, 0x100, v0
	s_delay_alu instid0(VALU_DEP_1)
	v_cmp_gt_u32_e32 vcc_lo, s43, v33
	s_and_saveexec_b32 s2, vcc_lo
	s_cbranch_execz .LBB96_28
; %bb.27:
	v_lshlrev_b32_e32 v2, 2, v0
	global_load_b32 v2, v2, s[40:41] offset:1024
.LBB96_28:
	s_or_b32 exec_lo, exec_lo, s2
	v_or_b32_e32 v33, 0x200, v0
	s_delay_alu instid0(VALU_DEP_1)
	v_cmp_gt_u32_e64 s2, s43, v33
	s_and_saveexec_b32 s3, s2
	s_cbranch_execz .LBB96_30
; %bb.29:
	v_lshlrev_b32_e32 v3, 2, v0
	global_load_b32 v3, v3, s[40:41] offset:2048
.LBB96_30:
	s_or_b32 exec_lo, exec_lo, s3
	v_or_b32_e32 v33, 0x300, v0
	s_delay_alu instid0(VALU_DEP_1)
	v_cmp_gt_u32_e64 s3, s43, v33
	s_and_saveexec_b32 s4, s3
	;; [unrolled: 10-line block ×30, first 2 shown]
	s_cbranch_execz .LBB96_88
; %bb.87:
	v_lshlrev_b32_e32 v32, 2, v0
	global_load_b32 v32, v32, s[40:41] offset:31744
.LBB96_88:
	s_or_b32 exec_lo, exec_lo, s44
	s_wait_loadcnt 0x0
	v_cndmask_b32_e32 v2, 0, v2, vcc_lo
	v_cndmask_b32_e64 v3, 0, v3, s2
	v_cndmask_b32_e64 v4, 0, v4, s3
	s_min_u32 s2, s43, 0x100
	s_mov_b32 s3, exec_lo
	v_add_nc_u32_e32 v1, v2, v1
	v_cndmask_b32_e64 v2, 0, v5, s4
	v_cndmask_b32_e64 v5, 0, v6, s5
	;; [unrolled: 1-line block ×3, first 2 shown]
	s_delay_alu instid0(VALU_DEP_4) | instskip(SKIP_3) | instid1(VALU_DEP_4)
	v_add3_u32 v1, v1, v3, v4
	v_cndmask_b32_e64 v3, 0, v7, s6
	v_cndmask_b32_e64 v4, 0, v8, s7
	;; [unrolled: 1-line block ×3, first 2 shown]
	v_add3_u32 v1, v1, v2, v5
	v_cndmask_b32_e64 v2, 0, v9, s8
	v_cndmask_b32_e64 v5, 0, v10, s9
	s_delay_alu instid0(VALU_DEP_3) | instskip(SKIP_2) | instid1(VALU_DEP_3)
	v_add3_u32 v1, v1, v3, v4
	v_cndmask_b32_e64 v3, 0, v11, s10
	v_cndmask_b32_e64 v4, 0, v12, s11
	v_add3_u32 v1, v1, v2, v5
	v_cndmask_b32_e64 v2, 0, v13, s12
	v_cndmask_b32_e64 v5, 0, v14, s13
	s_delay_alu instid0(VALU_DEP_3) | instskip(SKIP_2) | instid1(VALU_DEP_3)
	v_add3_u32 v1, v1, v3, v4
	v_cndmask_b32_e64 v3, 0, v15, s14
	v_cndmask_b32_e64 v4, 0, v16, s15
	v_add3_u32 v1, v1, v2, v5
	v_cndmask_b32_e64 v2, 0, v17, s16
	v_cndmask_b32_e64 v5, 0, v18, s17
	s_delay_alu instid0(VALU_DEP_3) | instskip(SKIP_2) | instid1(VALU_DEP_3)
	v_add3_u32 v1, v1, v3, v4
	v_cndmask_b32_e64 v3, 0, v19, s18
	v_cndmask_b32_e64 v4, 0, v20, s19
	v_add3_u32 v1, v1, v2, v5
	v_cndmask_b32_e64 v2, 0, v21, s20
	v_cndmask_b32_e64 v5, 0, v22, s21
	s_delay_alu instid0(VALU_DEP_3) | instskip(SKIP_2) | instid1(VALU_DEP_3)
	v_add3_u32 v1, v1, v3, v4
	v_cndmask_b32_e64 v3, 0, v23, s22
	v_cndmask_b32_e64 v4, 0, v24, s23
	v_add3_u32 v1, v1, v2, v5
	v_cndmask_b32_e64 v2, 0, v25, s24
	v_cndmask_b32_e64 v5, 0, v26, s25
	s_delay_alu instid0(VALU_DEP_3) | instskip(SKIP_2) | instid1(VALU_DEP_3)
	v_add3_u32 v1, v1, v3, v4
	v_cndmask_b32_e64 v3, 0, v27, s26
	v_cndmask_b32_e64 v4, 0, v28, s27
	v_add3_u32 v1, v1, v2, v5
	v_mbcnt_lo_u32_b32 v2, -1, 0
	v_cndmask_b32_e64 v5, 0, v29, s28
	s_delay_alu instid0(VALU_DEP_3) | instskip(NEXT) | instid1(VALU_DEP_3)
	v_add3_u32 v1, v1, v3, v4
	v_cmp_ne_u32_e32 vcc_lo, 31, v2
	v_cndmask_b32_e64 v3, 0, v32, s31
	s_delay_alu instid0(VALU_DEP_3)
	v_add3_u32 v1, v1, v5, v6
	s_wait_alu 0xfffd
	v_add_co_ci_u32_e64 v4, null, 0, v2, vcc_lo
	v_add_nc_u32_e32 v5, 1, v2
	v_cmp_gt_u32_e32 vcc_lo, 30, v2
	v_add3_u32 v1, v1, v7, v3
	s_delay_alu instid0(VALU_DEP_4)
	v_lshlrev_b32_e32 v4, 2, v4
	s_wait_alu 0xfffd
	v_cndmask_b32_e64 v6, 0, 2, vcc_lo
	ds_bpermute_b32 v3, v4, v1
	v_and_b32_e32 v4, 0xe0, v0
	s_wait_alu 0xfffe
	s_delay_alu instid0(VALU_DEP_1) | instskip(NEXT) | instid1(VALU_DEP_1)
	v_sub_nc_u32_e64 v4, s2, v4 clamp
	v_cmp_lt_u32_e32 vcc_lo, v5, v4
	v_add_lshl_u32 v5, v6, v2, 2
	s_wait_dscnt 0x0
	s_wait_alu 0xfffd
	v_cndmask_b32_e32 v3, 0, v3, vcc_lo
	v_cmp_gt_u32_e32 vcc_lo, 28, v2
	s_delay_alu instid0(VALU_DEP_2) | instskip(SKIP_4) | instid1(VALU_DEP_1)
	v_add_nc_u32_e32 v1, v1, v3
	s_wait_alu 0xfffd
	v_cndmask_b32_e64 v6, 0, 4, vcc_lo
	ds_bpermute_b32 v3, v5, v1
	v_add_nc_u32_e32 v5, 2, v2
	v_cmp_lt_u32_e32 vcc_lo, v5, v4
	v_add_lshl_u32 v5, v6, v2, 2
	s_wait_dscnt 0x0
	s_wait_alu 0xfffd
	v_cndmask_b32_e32 v3, 0, v3, vcc_lo
	v_cmp_gt_u32_e32 vcc_lo, 24, v2
	s_delay_alu instid0(VALU_DEP_2) | instskip(SKIP_4) | instid1(VALU_DEP_1)
	v_add_nc_u32_e32 v1, v1, v3
	s_wait_alu 0xfffd
	v_cndmask_b32_e64 v6, 0, 8, vcc_lo
	ds_bpermute_b32 v3, v5, v1
	v_add_nc_u32_e32 v5, 4, v2
	v_cmp_lt_u32_e32 vcc_lo, v5, v4
	v_add_lshl_u32 v5, v6, v2, 2
	s_wait_dscnt 0x0
	s_wait_alu 0xfffd
	v_cndmask_b32_e32 v3, 0, v3, vcc_lo
	s_delay_alu instid0(VALU_DEP_1) | instskip(SKIP_3) | instid1(VALU_DEP_1)
	v_add_nc_u32_e32 v1, v1, v3
	v_lshlrev_b32_e32 v3, 2, v2
	ds_bpermute_b32 v5, v5, v1
	v_add_nc_u32_e32 v6, 8, v2
	v_cmp_lt_u32_e32 vcc_lo, v6, v4
	v_or_b32_e32 v6, 64, v3
	s_wait_dscnt 0x0
	s_wait_alu 0xfffd
	v_cndmask_b32_e32 v5, 0, v5, vcc_lo
	s_delay_alu instid0(VALU_DEP_1) | instskip(SKIP_2) | instid1(VALU_DEP_1)
	v_add_nc_u32_e32 v1, v1, v5
	ds_bpermute_b32 v5, v6, v1
	v_add_nc_u32_e32 v6, 16, v2
	v_cmp_lt_u32_e32 vcc_lo, v6, v4
	s_wait_dscnt 0x0
	s_wait_alu 0xfffd
	v_cndmask_b32_e32 v4, 0, v5, vcc_lo
	s_delay_alu instid0(VALU_DEP_1)
	v_add_nc_u32_e32 v1, v1, v4
	v_cmpx_eq_u32_e32 0, v2
; %bb.89:
	v_lshrrev_b32_e32 v4, 3, v0
	s_delay_alu instid0(VALU_DEP_1)
	v_and_b32_e32 v4, 28, v4
	ds_store_b32 v4, v1 offset:192
; %bb.90:
	s_or_b32 exec_lo, exec_lo, s3
	s_delay_alu instid0(SALU_CYCLE_1)
	s_mov_b32 s3, exec_lo
	s_wait_dscnt 0x0
	s_barrier_signal -1
	s_barrier_wait -1
	global_inv scope:SCOPE_SE
	v_cmpx_gt_u32_e32 8, v0
	s_cbranch_execz .LBB96_92
; %bb.91:
	ds_load_b32 v1, v3 offset:192
	v_and_b32_e32 v4, 7, v2
	s_add_co_i32 s2, s2, 31
	s_wait_alu 0xfffe
	s_lshr_b32 s2, s2, 5
	s_delay_alu instid0(VALU_DEP_1) | instskip(SKIP_4) | instid1(VALU_DEP_2)
	v_cmp_ne_u32_e32 vcc_lo, 7, v4
	v_add_nc_u32_e32 v6, 1, v4
	s_wait_alu 0xfffd
	v_add_co_ci_u32_e64 v5, null, 0, v2, vcc_lo
	v_cmp_gt_u32_e32 vcc_lo, 6, v4
	v_lshlrev_b32_e32 v5, 2, v5
	s_wait_alu 0xfffd
	v_cndmask_b32_e64 v7, 0, 2, vcc_lo
	s_wait_alu 0xfffe
	v_cmp_gt_u32_e32 vcc_lo, s2, v6
	s_wait_dscnt 0x0
	ds_bpermute_b32 v5, v5, v1
	v_add_lshl_u32 v2, v7, v2, 2
	s_wait_dscnt 0x0
	s_wait_alu 0xfffd
	v_cndmask_b32_e32 v5, 0, v5, vcc_lo
	s_delay_alu instid0(VALU_DEP_1)
	v_add_nc_u32_e32 v1, v5, v1
	v_add_nc_u32_e32 v5, 2, v4
	ds_bpermute_b32 v2, v2, v1
	v_cmp_gt_u32_e32 vcc_lo, s2, v5
	s_wait_dscnt 0x0
	s_wait_alu 0xfffd
	v_cndmask_b32_e32 v2, 0, v2, vcc_lo
	s_delay_alu instid0(VALU_DEP_1)
	v_add_nc_u32_e32 v1, v1, v2
	v_or_b32_e32 v2, 16, v3
	v_add_nc_u32_e32 v3, 4, v4
	ds_bpermute_b32 v2, v2, v1
	v_cmp_gt_u32_e32 vcc_lo, s2, v3
	s_wait_dscnt 0x0
	s_wait_alu 0xfffd
	v_cndmask_b32_e32 v2, 0, v2, vcc_lo
	s_delay_alu instid0(VALU_DEP_1)
	v_add_nc_u32_e32 v1, v1, v2
.LBB96_92:
	s_wait_alu 0xfffe
	s_or_b32 exec_lo, exec_lo, s3
	v_cmp_eq_u32_e64 s2, 0, v0
	s_and_b32 vcc_lo, exec_lo, s42
	s_wait_alu 0xfffe
	s_cbranch_vccnz .LBB96_15
.LBB96_93:
	s_branch .LBB96_142
.LBB96_94:
	s_mov_b32 s3, -1
                                        ; implicit-def: $vgpr1
.LBB96_95:
	s_wait_alu 0xfffe
	s_and_b32 vcc_lo, exec_lo, s3
	s_wait_alu 0xfffe
	s_cbranch_vccz .LBB96_133
; %bb.96:
	v_mov_b32_e32 v1, 0
	s_sub_co_i32 s18, s38, s2
	s_mov_b32 s2, exec_lo
	s_delay_alu instid0(VALU_DEP_1)
	v_dual_mov_b32 v2, v1 :: v_dual_mov_b32 v3, v1
	v_dual_mov_b32 v4, v1 :: v_dual_mov_b32 v5, v1
	v_dual_mov_b32 v6, v1 :: v_dual_mov_b32 v7, v1
	v_dual_mov_b32 v8, v1 :: v_dual_mov_b32 v9, v1
	v_dual_mov_b32 v10, v1 :: v_dual_mov_b32 v11, v1
	v_dual_mov_b32 v12, v1 :: v_dual_mov_b32 v13, v1
	v_dual_mov_b32 v14, v1 :: v_dual_mov_b32 v15, v1
	v_mov_b32_e32 v16, v1
	s_wait_alu 0xfffe
	v_cmpx_gt_u32_e64 s18, v0
	s_cbranch_execz .LBB96_98
; %bb.97:
	v_dual_mov_b32 v3, v1 :: v_dual_lshlrev_b32 v2, 2, v0
	v_dual_mov_b32 v16, v1 :: v_dual_mov_b32 v17, v1
	v_dual_mov_b32 v4, v1 :: v_dual_mov_b32 v5, v1
	global_load_b32 v2, v2, s[16:17]
	v_dual_mov_b32 v6, v1 :: v_dual_mov_b32 v7, v1
	v_dual_mov_b32 v8, v1 :: v_dual_mov_b32 v9, v1
	;; [unrolled: 1-line block ×5, first 2 shown]
	s_wait_loadcnt 0x0
	v_mov_b32_e32 v1, v2
	v_mov_b32_e32 v2, v3
	;; [unrolled: 1-line block ×16, first 2 shown]
.LBB96_98:
	s_or_b32 exec_lo, exec_lo, s2
	v_or_b32_e32 v17, 0x100, v0
	s_delay_alu instid0(VALU_DEP_1)
	v_cmp_gt_u32_e32 vcc_lo, s18, v17
	s_and_saveexec_b32 s2, vcc_lo
	s_cbranch_execz .LBB96_100
; %bb.99:
	v_lshlrev_b32_e32 v2, 2, v0
	global_load_b32 v2, v2, s[16:17] offset:1024
.LBB96_100:
	s_wait_alu 0xfffe
	s_or_b32 exec_lo, exec_lo, s2
	v_or_b32_e32 v17, 0x200, v0
	s_delay_alu instid0(VALU_DEP_1)
	v_cmp_gt_u32_e64 s2, s18, v17
	s_and_saveexec_b32 s3, s2
	s_cbranch_execz .LBB96_102
; %bb.101:
	v_lshlrev_b32_e32 v3, 2, v0
	global_load_b32 v3, v3, s[16:17] offset:2048
.LBB96_102:
	s_wait_alu 0xfffe
	s_or_b32 exec_lo, exec_lo, s3
	v_or_b32_e32 v17, 0x300, v0
	s_delay_alu instid0(VALU_DEP_1)
	v_cmp_gt_u32_e64 s3, s18, v17
	s_and_saveexec_b32 s4, s3
	;; [unrolled: 11-line block ×14, first 2 shown]
	s_cbranch_execz .LBB96_128
; %bb.127:
	v_lshlrev_b32_e32 v16, 2, v0
	global_load_b32 v16, v16, s[16:17] offset:15360
.LBB96_128:
	s_wait_alu 0xfffe
	s_or_b32 exec_lo, exec_lo, s19
	s_wait_loadcnt 0x0
	v_cndmask_b32_e32 v2, 0, v2, vcc_lo
	v_cndmask_b32_e64 v3, 0, v3, s2
	v_cndmask_b32_e64 v4, 0, v4, s3
	s_min_u32 s2, s18, 0x100
	s_mov_b32 s3, exec_lo
	v_add_nc_u32_e32 v1, v2, v1
	v_cndmask_b32_e64 v2, 0, v5, s4
	v_cndmask_b32_e64 v5, 0, v6, s5
	;; [unrolled: 1-line block ×3, first 2 shown]
	s_delay_alu instid0(VALU_DEP_4) | instskip(SKIP_3) | instid1(VALU_DEP_4)
	v_add3_u32 v1, v1, v3, v4
	v_cndmask_b32_e64 v3, 0, v7, s6
	v_cndmask_b32_e64 v4, 0, v8, s7
	;; [unrolled: 1-line block ×3, first 2 shown]
	v_add3_u32 v1, v1, v2, v5
	v_cndmask_b32_e64 v2, 0, v9, s8
	v_cndmask_b32_e64 v5, 0, v10, s9
	s_delay_alu instid0(VALU_DEP_3) | instskip(SKIP_2) | instid1(VALU_DEP_3)
	v_add3_u32 v1, v1, v3, v4
	v_cndmask_b32_e64 v3, 0, v11, s10
	v_cndmask_b32_e64 v4, 0, v12, s11
	v_add3_u32 v1, v1, v2, v5
	v_mbcnt_lo_u32_b32 v2, -1, 0
	v_cndmask_b32_e64 v5, 0, v13, s12
	s_delay_alu instid0(VALU_DEP_3) | instskip(NEXT) | instid1(VALU_DEP_3)
	v_add3_u32 v1, v1, v3, v4
	v_cmp_ne_u32_e32 vcc_lo, 31, v2
	v_cndmask_b32_e64 v3, 0, v16, s15
	s_delay_alu instid0(VALU_DEP_3)
	v_add3_u32 v1, v1, v5, v6
	s_wait_alu 0xfffd
	v_add_co_ci_u32_e64 v4, null, 0, v2, vcc_lo
	v_add_nc_u32_e32 v5, 1, v2
	v_cmp_gt_u32_e32 vcc_lo, 30, v2
	v_add3_u32 v1, v1, v7, v3
	s_delay_alu instid0(VALU_DEP_4)
	v_lshlrev_b32_e32 v4, 2, v4
	s_wait_alu 0xfffd
	v_cndmask_b32_e64 v6, 0, 2, vcc_lo
	ds_bpermute_b32 v3, v4, v1
	v_and_b32_e32 v4, 0xe0, v0
	s_wait_alu 0xfffe
	s_delay_alu instid0(VALU_DEP_1) | instskip(NEXT) | instid1(VALU_DEP_1)
	v_sub_nc_u32_e64 v4, s2, v4 clamp
	v_cmp_lt_u32_e32 vcc_lo, v5, v4
	v_add_lshl_u32 v5, v6, v2, 2
	s_wait_dscnt 0x0
	s_wait_alu 0xfffd
	v_cndmask_b32_e32 v3, 0, v3, vcc_lo
	v_cmp_gt_u32_e32 vcc_lo, 28, v2
	s_delay_alu instid0(VALU_DEP_2) | instskip(SKIP_4) | instid1(VALU_DEP_1)
	v_add_nc_u32_e32 v1, v1, v3
	s_wait_alu 0xfffd
	v_cndmask_b32_e64 v6, 0, 4, vcc_lo
	ds_bpermute_b32 v3, v5, v1
	v_add_nc_u32_e32 v5, 2, v2
	v_cmp_lt_u32_e32 vcc_lo, v5, v4
	v_add_lshl_u32 v5, v6, v2, 2
	s_wait_dscnt 0x0
	s_wait_alu 0xfffd
	v_cndmask_b32_e32 v3, 0, v3, vcc_lo
	v_cmp_gt_u32_e32 vcc_lo, 24, v2
	s_delay_alu instid0(VALU_DEP_2) | instskip(SKIP_4) | instid1(VALU_DEP_1)
	v_add_nc_u32_e32 v1, v1, v3
	s_wait_alu 0xfffd
	v_cndmask_b32_e64 v6, 0, 8, vcc_lo
	ds_bpermute_b32 v3, v5, v1
	v_add_nc_u32_e32 v5, 4, v2
	v_cmp_lt_u32_e32 vcc_lo, v5, v4
	v_add_lshl_u32 v5, v6, v2, 2
	s_wait_dscnt 0x0
	s_wait_alu 0xfffd
	v_cndmask_b32_e32 v3, 0, v3, vcc_lo
	s_delay_alu instid0(VALU_DEP_1) | instskip(SKIP_3) | instid1(VALU_DEP_1)
	v_add_nc_u32_e32 v1, v1, v3
	v_lshlrev_b32_e32 v3, 2, v2
	ds_bpermute_b32 v5, v5, v1
	v_add_nc_u32_e32 v6, 8, v2
	v_cmp_lt_u32_e32 vcc_lo, v6, v4
	v_or_b32_e32 v6, 64, v3
	s_wait_dscnt 0x0
	s_wait_alu 0xfffd
	v_cndmask_b32_e32 v5, 0, v5, vcc_lo
	s_delay_alu instid0(VALU_DEP_1) | instskip(SKIP_2) | instid1(VALU_DEP_1)
	v_add_nc_u32_e32 v1, v1, v5
	ds_bpermute_b32 v5, v6, v1
	v_add_nc_u32_e32 v6, 16, v2
	v_cmp_lt_u32_e32 vcc_lo, v6, v4
	s_wait_dscnt 0x0
	s_wait_alu 0xfffd
	v_cndmask_b32_e32 v4, 0, v5, vcc_lo
	s_delay_alu instid0(VALU_DEP_1)
	v_add_nc_u32_e32 v1, v1, v4
	v_cmpx_eq_u32_e32 0, v2
; %bb.129:
	v_lshrrev_b32_e32 v4, 3, v0
	s_delay_alu instid0(VALU_DEP_1)
	v_and_b32_e32 v4, 28, v4
	ds_store_b32 v4, v1 offset:192
; %bb.130:
	s_or_b32 exec_lo, exec_lo, s3
	s_delay_alu instid0(SALU_CYCLE_1)
	s_mov_b32 s3, exec_lo
	s_wait_dscnt 0x0
	s_barrier_signal -1
	s_barrier_wait -1
	global_inv scope:SCOPE_SE
	v_cmpx_gt_u32_e32 8, v0
	s_cbranch_execz .LBB96_132
; %bb.131:
	ds_load_b32 v1, v3 offset:192
	v_and_b32_e32 v4, 7, v2
	s_add_co_i32 s2, s2, 31
	s_wait_alu 0xfffe
	s_lshr_b32 s2, s2, 5
	s_delay_alu instid0(VALU_DEP_1) | instskip(SKIP_4) | instid1(VALU_DEP_2)
	v_cmp_ne_u32_e32 vcc_lo, 7, v4
	v_add_nc_u32_e32 v6, 1, v4
	s_wait_alu 0xfffd
	v_add_co_ci_u32_e64 v5, null, 0, v2, vcc_lo
	v_cmp_gt_u32_e32 vcc_lo, 6, v4
	v_lshlrev_b32_e32 v5, 2, v5
	s_wait_alu 0xfffd
	v_cndmask_b32_e64 v7, 0, 2, vcc_lo
	s_wait_alu 0xfffe
	v_cmp_gt_u32_e32 vcc_lo, s2, v6
	s_wait_dscnt 0x0
	ds_bpermute_b32 v5, v5, v1
	v_add_lshl_u32 v2, v7, v2, 2
	s_wait_dscnt 0x0
	s_wait_alu 0xfffd
	v_cndmask_b32_e32 v5, 0, v5, vcc_lo
	s_delay_alu instid0(VALU_DEP_1)
	v_add_nc_u32_e32 v1, v5, v1
	v_add_nc_u32_e32 v5, 2, v4
	ds_bpermute_b32 v2, v2, v1
	v_cmp_gt_u32_e32 vcc_lo, s2, v5
	s_wait_dscnt 0x0
	s_wait_alu 0xfffd
	v_cndmask_b32_e32 v2, 0, v2, vcc_lo
	s_delay_alu instid0(VALU_DEP_1)
	v_add_nc_u32_e32 v1, v1, v2
	v_or_b32_e32 v2, 16, v3
	v_add_nc_u32_e32 v3, 4, v4
	ds_bpermute_b32 v2, v2, v1
	v_cmp_gt_u32_e32 vcc_lo, s2, v3
	s_wait_dscnt 0x0
	s_wait_alu 0xfffd
	v_cndmask_b32_e32 v2, 0, v2, vcc_lo
	s_delay_alu instid0(VALU_DEP_1)
	v_add_nc_u32_e32 v1, v1, v2
.LBB96_132:
	s_wait_alu 0xfffe
	s_or_b32 exec_lo, exec_lo, s3
.LBB96_133:
	v_cmp_eq_u32_e64 s2, 0, v0
	s_branch .LBB96_142
.LBB96_134:
	s_cmp_eq_u32 s33, 8
	s_cbranch_scc0 .LBB96_141
; %bb.135:
	s_mov_b32 s35, 0
	s_lshl_b32 s2, s34, 11
	s_mov_b32 s3, s35
	s_lshr_b64 s[4:5], s[38:39], 11
	s_lshl_b64 s[6:7], s[2:3], 2
	s_cmp_lg_u64 s[4:5], s[34:35]
	s_add_nc_u64 s[8:9], s[36:37], s[6:7]
	s_cbranch_scc0 .LBB96_143
; %bb.136:
	v_lshlrev_b32_e32 v1, 2, v0
	s_mov_b32 s3, exec_lo
	s_clause 0x7
	global_load_b32 v2, v1, s[8:9]
	global_load_b32 v3, v1, s[8:9] offset:1024
	global_load_b32 v4, v1, s[8:9] offset:2048
	;; [unrolled: 1-line block ×7, first 2 shown]
	s_wait_loadcnt 0x6
	v_add_nc_u32_e32 v2, v3, v2
	s_wait_loadcnt 0x4
	s_delay_alu instid0(VALU_DEP_1) | instskip(SKIP_1) | instid1(VALU_DEP_1)
	v_add3_u32 v2, v2, v4, v5
	s_wait_loadcnt 0x2
	v_add3_u32 v2, v2, v6, v7
	s_wait_loadcnt 0x0
	s_delay_alu instid0(VALU_DEP_1) | instskip(NEXT) | instid1(VALU_DEP_1)
	v_add3_u32 v1, v2, v8, v1
	v_mov_b32_dpp v2, v1 quad_perm:[1,0,3,2] row_mask:0xf bank_mask:0xf
	s_delay_alu instid0(VALU_DEP_1) | instskip(NEXT) | instid1(VALU_DEP_1)
	v_add_nc_u32_e32 v1, v2, v1
	v_mov_b32_dpp v2, v1 quad_perm:[2,3,0,1] row_mask:0xf bank_mask:0xf
	s_delay_alu instid0(VALU_DEP_1) | instskip(NEXT) | instid1(VALU_DEP_1)
	v_add_nc_u32_e32 v1, v1, v2
	v_mov_b32_dpp v2, v1 row_ror:4 row_mask:0xf bank_mask:0xf
	s_delay_alu instid0(VALU_DEP_1) | instskip(NEXT) | instid1(VALU_DEP_1)
	v_add_nc_u32_e32 v1, v1, v2
	v_mov_b32_dpp v2, v1 row_ror:8 row_mask:0xf bank_mask:0xf
	s_delay_alu instid0(VALU_DEP_1)
	v_add_nc_u32_e32 v1, v1, v2
	ds_swizzle_b32 v2, v1 offset:swizzle(BROADCAST,32,15)
	s_wait_dscnt 0x0
	v_dual_mov_b32 v2, 0 :: v_dual_add_nc_u32 v1, v1, v2
	ds_bpermute_b32 v1, v2, v1 offset:124
	v_mbcnt_lo_u32_b32 v2, -1, 0
	s_delay_alu instid0(VALU_DEP_1)
	v_cmpx_eq_u32_e32 0, v2
	s_cbranch_execz .LBB96_138
; %bb.137:
	v_lshrrev_b32_e32 v3, 3, v0
	s_delay_alu instid0(VALU_DEP_1)
	v_and_b32_e32 v3, 28, v3
	s_wait_dscnt 0x0
	ds_store_b32 v3, v1 offset:160
.LBB96_138:
	s_or_b32 exec_lo, exec_lo, s3
	s_delay_alu instid0(SALU_CYCLE_1)
	s_mov_b32 s3, exec_lo
	s_wait_dscnt 0x0
	s_barrier_signal -1
	s_barrier_wait -1
	global_inv scope:SCOPE_SE
	v_cmpx_gt_u32_e32 32, v0
	s_cbranch_execz .LBB96_140
; %bb.139:
	v_and_b32_e32 v1, 7, v2
	s_delay_alu instid0(VALU_DEP_1) | instskip(SKIP_4) | instid1(VALU_DEP_2)
	v_lshlrev_b32_e32 v3, 2, v1
	v_cmp_ne_u32_e32 vcc_lo, 7, v1
	ds_load_b32 v3, v3 offset:160
	v_add_co_ci_u32_e64 v4, null, 0, v2, vcc_lo
	v_cmp_gt_u32_e32 vcc_lo, 6, v1
	v_lshlrev_b32_e32 v4, 2, v4
	s_wait_alu 0xfffd
	v_cndmask_b32_e64 v1, 0, 2, vcc_lo
	s_delay_alu instid0(VALU_DEP_1) | instskip(SKIP_1) | instid1(VALU_DEP_1)
	v_add_lshl_u32 v1, v1, v2, 2
	v_lshlrev_b32_e32 v2, 2, v2
	v_or_b32_e32 v2, 16, v2
	s_wait_dscnt 0x0
	ds_bpermute_b32 v4, v4, v3
	s_wait_dscnt 0x0
	v_add_nc_u32_e32 v3, v4, v3
	ds_bpermute_b32 v1, v1, v3
	s_wait_dscnt 0x0
	v_add_nc_u32_e32 v1, v1, v3
	ds_bpermute_b32 v2, v2, v1
	s_wait_dscnt 0x0
	v_add_nc_u32_e32 v1, v2, v1
.LBB96_140:
	s_or_b32 exec_lo, exec_lo, s3
	s_branch .LBB96_165
.LBB96_141:
                                        ; implicit-def: $vgpr1
.LBB96_142:
	s_branch .LBB96_224
.LBB96_143:
                                        ; implicit-def: $vgpr1
	s_cbranch_execz .LBB96_165
; %bb.144:
	v_mov_b32_e32 v1, 0
	s_sub_co_i32 s10, s38, s2
	s_mov_b32 s2, exec_lo
	s_delay_alu instid0(VALU_DEP_1)
	v_dual_mov_b32 v2, v1 :: v_dual_mov_b32 v3, v1
	v_dual_mov_b32 v4, v1 :: v_dual_mov_b32 v5, v1
	;; [unrolled: 1-line block ×3, first 2 shown]
	v_mov_b32_e32 v8, v1
	v_cmpx_gt_u32_e64 s10, v0
	s_cbranch_execz .LBB96_146
; %bb.145:
	v_dual_mov_b32 v3, v1 :: v_dual_lshlrev_b32 v2, 2, v0
	v_dual_mov_b32 v8, v1 :: v_dual_mov_b32 v9, v1
	v_dual_mov_b32 v4, v1 :: v_dual_mov_b32 v5, v1
	global_load_b32 v2, v2, s[8:9]
	v_dual_mov_b32 v6, v1 :: v_dual_mov_b32 v7, v1
	s_wait_loadcnt 0x0
	v_mov_b32_e32 v1, v2
	v_mov_b32_e32 v2, v3
	;; [unrolled: 1-line block ×8, first 2 shown]
.LBB96_146:
	s_or_b32 exec_lo, exec_lo, s2
	v_or_b32_e32 v9, 0x100, v0
	s_delay_alu instid0(VALU_DEP_1)
	v_cmp_gt_u32_e32 vcc_lo, s10, v9
	s_and_saveexec_b32 s2, vcc_lo
	s_cbranch_execz .LBB96_148
; %bb.147:
	v_lshlrev_b32_e32 v2, 2, v0
	global_load_b32 v2, v2, s[8:9] offset:1024
.LBB96_148:
	s_or_b32 exec_lo, exec_lo, s2
	v_or_b32_e32 v9, 0x200, v0
	s_delay_alu instid0(VALU_DEP_1)
	v_cmp_gt_u32_e64 s2, s10, v9
	s_and_saveexec_b32 s3, s2
	s_cbranch_execz .LBB96_150
; %bb.149:
	v_lshlrev_b32_e32 v3, 2, v0
	global_load_b32 v3, v3, s[8:9] offset:2048
.LBB96_150:
	s_or_b32 exec_lo, exec_lo, s3
	v_or_b32_e32 v9, 0x300, v0
	s_delay_alu instid0(VALU_DEP_1)
	v_cmp_gt_u32_e64 s3, s10, v9
	s_and_saveexec_b32 s4, s3
	;; [unrolled: 10-line block ×6, first 2 shown]
	s_cbranch_execz .LBB96_160
; %bb.159:
	v_lshlrev_b32_e32 v8, 2, v0
	global_load_b32 v8, v8, s[8:9] offset:7168
.LBB96_160:
	s_wait_alu 0xfffe
	s_or_b32 exec_lo, exec_lo, s11
	s_wait_loadcnt 0x0
	v_cndmask_b32_e32 v2, 0, v2, vcc_lo
	v_cndmask_b32_e64 v3, 0, v3, s2
	v_cndmask_b32_e64 v4, 0, v4, s3
	;; [unrolled: 1-line block ×4, first 2 shown]
	v_add_nc_u32_e32 v1, v2, v1
	v_mbcnt_lo_u32_b32 v2, -1, 0
	v_cndmask_b32_e64 v7, 0, v7, s6
	s_min_u32 s2, s10, 0x100
	s_mov_b32 s3, exec_lo
	v_add3_u32 v1, v1, v3, v4
	v_cmp_ne_u32_e32 vcc_lo, 31, v2
	v_cndmask_b32_e64 v3, 0, v8, s7
	s_delay_alu instid0(VALU_DEP_3)
	v_add3_u32 v1, v1, v5, v6
	s_wait_alu 0xfffd
	v_add_co_ci_u32_e64 v4, null, 0, v2, vcc_lo
	v_add_nc_u32_e32 v5, 1, v2
	v_cmp_gt_u32_e32 vcc_lo, 30, v2
	v_add3_u32 v1, v1, v7, v3
	s_delay_alu instid0(VALU_DEP_4)
	v_lshlrev_b32_e32 v4, 2, v4
	s_wait_alu 0xfffd
	v_cndmask_b32_e64 v6, 0, 2, vcc_lo
	ds_bpermute_b32 v3, v4, v1
	v_and_b32_e32 v4, 0xe0, v0
	s_wait_alu 0xfffe
	s_delay_alu instid0(VALU_DEP_1) | instskip(NEXT) | instid1(VALU_DEP_1)
	v_sub_nc_u32_e64 v4, s2, v4 clamp
	v_cmp_lt_u32_e32 vcc_lo, v5, v4
	v_add_lshl_u32 v5, v6, v2, 2
	s_wait_dscnt 0x0
	s_wait_alu 0xfffd
	v_cndmask_b32_e32 v3, 0, v3, vcc_lo
	v_cmp_gt_u32_e32 vcc_lo, 28, v2
	s_delay_alu instid0(VALU_DEP_2) | instskip(SKIP_4) | instid1(VALU_DEP_1)
	v_add_nc_u32_e32 v1, v1, v3
	s_wait_alu 0xfffd
	v_cndmask_b32_e64 v6, 0, 4, vcc_lo
	ds_bpermute_b32 v3, v5, v1
	v_add_nc_u32_e32 v5, 2, v2
	v_cmp_lt_u32_e32 vcc_lo, v5, v4
	v_add_lshl_u32 v5, v6, v2, 2
	s_wait_dscnt 0x0
	s_wait_alu 0xfffd
	v_cndmask_b32_e32 v3, 0, v3, vcc_lo
	v_cmp_gt_u32_e32 vcc_lo, 24, v2
	s_delay_alu instid0(VALU_DEP_2) | instskip(SKIP_4) | instid1(VALU_DEP_1)
	v_add_nc_u32_e32 v1, v1, v3
	s_wait_alu 0xfffd
	v_cndmask_b32_e64 v6, 0, 8, vcc_lo
	ds_bpermute_b32 v3, v5, v1
	v_add_nc_u32_e32 v5, 4, v2
	v_cmp_lt_u32_e32 vcc_lo, v5, v4
	v_add_lshl_u32 v5, v6, v2, 2
	s_wait_dscnt 0x0
	s_wait_alu 0xfffd
	v_cndmask_b32_e32 v3, 0, v3, vcc_lo
	s_delay_alu instid0(VALU_DEP_1) | instskip(SKIP_3) | instid1(VALU_DEP_1)
	v_add_nc_u32_e32 v1, v1, v3
	v_lshlrev_b32_e32 v3, 2, v2
	ds_bpermute_b32 v5, v5, v1
	v_add_nc_u32_e32 v6, 8, v2
	v_cmp_lt_u32_e32 vcc_lo, v6, v4
	v_or_b32_e32 v6, 64, v3
	s_wait_dscnt 0x0
	s_wait_alu 0xfffd
	v_cndmask_b32_e32 v5, 0, v5, vcc_lo
	s_delay_alu instid0(VALU_DEP_1) | instskip(SKIP_2) | instid1(VALU_DEP_1)
	v_add_nc_u32_e32 v1, v1, v5
	ds_bpermute_b32 v5, v6, v1
	v_add_nc_u32_e32 v6, 16, v2
	v_cmp_lt_u32_e32 vcc_lo, v6, v4
	s_wait_dscnt 0x0
	s_wait_alu 0xfffd
	v_cndmask_b32_e32 v4, 0, v5, vcc_lo
	s_delay_alu instid0(VALU_DEP_1)
	v_add_nc_u32_e32 v1, v1, v4
	v_cmpx_eq_u32_e32 0, v2
; %bb.161:
	v_lshrrev_b32_e32 v4, 3, v0
	s_delay_alu instid0(VALU_DEP_1)
	v_and_b32_e32 v4, 28, v4
	ds_store_b32 v4, v1 offset:192
; %bb.162:
	s_or_b32 exec_lo, exec_lo, s3
	s_delay_alu instid0(SALU_CYCLE_1)
	s_mov_b32 s3, exec_lo
	s_wait_dscnt 0x0
	s_barrier_signal -1
	s_barrier_wait -1
	global_inv scope:SCOPE_SE
	v_cmpx_gt_u32_e32 8, v0
	s_cbranch_execz .LBB96_164
; %bb.163:
	ds_load_b32 v1, v3 offset:192
	v_and_b32_e32 v4, 7, v2
	s_add_co_i32 s2, s2, 31
	s_wait_alu 0xfffe
	s_lshr_b32 s2, s2, 5
	s_delay_alu instid0(VALU_DEP_1) | instskip(SKIP_4) | instid1(VALU_DEP_2)
	v_cmp_ne_u32_e32 vcc_lo, 7, v4
	v_add_nc_u32_e32 v6, 1, v4
	s_wait_alu 0xfffd
	v_add_co_ci_u32_e64 v5, null, 0, v2, vcc_lo
	v_cmp_gt_u32_e32 vcc_lo, 6, v4
	v_lshlrev_b32_e32 v5, 2, v5
	s_wait_alu 0xfffd
	v_cndmask_b32_e64 v7, 0, 2, vcc_lo
	s_wait_alu 0xfffe
	v_cmp_gt_u32_e32 vcc_lo, s2, v6
	s_wait_dscnt 0x0
	ds_bpermute_b32 v5, v5, v1
	v_add_lshl_u32 v2, v7, v2, 2
	s_wait_dscnt 0x0
	s_wait_alu 0xfffd
	v_cndmask_b32_e32 v5, 0, v5, vcc_lo
	s_delay_alu instid0(VALU_DEP_1)
	v_add_nc_u32_e32 v1, v5, v1
	v_add_nc_u32_e32 v5, 2, v4
	ds_bpermute_b32 v2, v2, v1
	v_cmp_gt_u32_e32 vcc_lo, s2, v5
	s_wait_dscnt 0x0
	s_wait_alu 0xfffd
	v_cndmask_b32_e32 v2, 0, v2, vcc_lo
	s_delay_alu instid0(VALU_DEP_1)
	v_add_nc_u32_e32 v1, v1, v2
	v_or_b32_e32 v2, 16, v3
	v_add_nc_u32_e32 v3, 4, v4
	ds_bpermute_b32 v2, v2, v1
	v_cmp_gt_u32_e32 vcc_lo, s2, v3
	s_wait_dscnt 0x0
	s_wait_alu 0xfffd
	v_cndmask_b32_e32 v2, 0, v2, vcc_lo
	s_delay_alu instid0(VALU_DEP_1)
	v_add_nc_u32_e32 v1, v1, v2
.LBB96_164:
	s_wait_alu 0xfffe
	s_or_b32 exec_lo, exec_lo, s3
.LBB96_165:
	v_cmp_eq_u32_e64 s2, 0, v0
	s_branch .LBB96_224
.LBB96_166:
	s_cmp_gt_i32 s33, 1
	s_cbranch_scc0 .LBB96_175
; %bb.167:
	s_cmp_gt_i32 s33, 3
	s_cbranch_scc0 .LBB96_176
; %bb.168:
	s_cmp_eq_u32 s33, 4
	s_cbranch_scc0 .LBB96_177
; %bb.169:
	s_mov_b32 s35, 0
	s_lshl_b32 s2, s34, 10
	s_mov_b32 s3, s35
	s_lshr_b64 s[4:5], s[38:39], 10
	s_lshl_b64 s[6:7], s[2:3], 2
	s_cmp_lg_u64 s[4:5], s[34:35]
	s_add_nc_u64 s[4:5], s[36:37], s[6:7]
	s_cbranch_scc0 .LBB96_179
; %bb.170:
	v_lshlrev_b32_e32 v1, 2, v0
	s_mov_b32 s3, exec_lo
	s_clause 0x3
	global_load_b32 v2, v1, s[4:5]
	global_load_b32 v3, v1, s[4:5] offset:1024
	global_load_b32 v4, v1, s[4:5] offset:2048
	;; [unrolled: 1-line block ×3, first 2 shown]
	s_wait_loadcnt 0x2
	v_add_nc_u32_e32 v2, v3, v2
	s_wait_loadcnt 0x0
	s_delay_alu instid0(VALU_DEP_1) | instskip(NEXT) | instid1(VALU_DEP_1)
	v_add3_u32 v1, v2, v4, v1
	v_mov_b32_dpp v2, v1 quad_perm:[1,0,3,2] row_mask:0xf bank_mask:0xf
	s_delay_alu instid0(VALU_DEP_1) | instskip(NEXT) | instid1(VALU_DEP_1)
	v_add_nc_u32_e32 v1, v2, v1
	v_mov_b32_dpp v2, v1 quad_perm:[2,3,0,1] row_mask:0xf bank_mask:0xf
	s_delay_alu instid0(VALU_DEP_1) | instskip(NEXT) | instid1(VALU_DEP_1)
	v_add_nc_u32_e32 v1, v1, v2
	v_mov_b32_dpp v2, v1 row_ror:4 row_mask:0xf bank_mask:0xf
	s_delay_alu instid0(VALU_DEP_1) | instskip(NEXT) | instid1(VALU_DEP_1)
	v_add_nc_u32_e32 v1, v1, v2
	v_mov_b32_dpp v2, v1 row_ror:8 row_mask:0xf bank_mask:0xf
	s_delay_alu instid0(VALU_DEP_1)
	v_add_nc_u32_e32 v1, v1, v2
	ds_swizzle_b32 v2, v1 offset:swizzle(BROADCAST,32,15)
	s_wait_dscnt 0x0
	v_dual_mov_b32 v2, 0 :: v_dual_add_nc_u32 v1, v1, v2
	ds_bpermute_b32 v1, v2, v1 offset:124
	v_mbcnt_lo_u32_b32 v2, -1, 0
	s_delay_alu instid0(VALU_DEP_1)
	v_cmpx_eq_u32_e32 0, v2
	s_cbranch_execz .LBB96_172
; %bb.171:
	v_lshrrev_b32_e32 v3, 3, v0
	s_delay_alu instid0(VALU_DEP_1)
	v_and_b32_e32 v3, 28, v3
	s_wait_dscnt 0x0
	ds_store_b32 v3, v1 offset:128
.LBB96_172:
	s_or_b32 exec_lo, exec_lo, s3
	s_delay_alu instid0(SALU_CYCLE_1)
	s_mov_b32 s3, exec_lo
	s_wait_dscnt 0x0
	s_barrier_signal -1
	s_barrier_wait -1
	global_inv scope:SCOPE_SE
	v_cmpx_gt_u32_e32 32, v0
	s_cbranch_execz .LBB96_174
; %bb.173:
	v_and_b32_e32 v1, 7, v2
	s_delay_alu instid0(VALU_DEP_1) | instskip(SKIP_4) | instid1(VALU_DEP_2)
	v_lshlrev_b32_e32 v3, 2, v1
	v_cmp_ne_u32_e32 vcc_lo, 7, v1
	ds_load_b32 v3, v3 offset:128
	v_add_co_ci_u32_e64 v4, null, 0, v2, vcc_lo
	v_cmp_gt_u32_e32 vcc_lo, 6, v1
	v_lshlrev_b32_e32 v4, 2, v4
	s_wait_alu 0xfffd
	v_cndmask_b32_e64 v1, 0, 2, vcc_lo
	s_delay_alu instid0(VALU_DEP_1) | instskip(SKIP_1) | instid1(VALU_DEP_1)
	v_add_lshl_u32 v1, v1, v2, 2
	v_lshlrev_b32_e32 v2, 2, v2
	v_or_b32_e32 v2, 16, v2
	s_wait_dscnt 0x0
	ds_bpermute_b32 v4, v4, v3
	s_wait_dscnt 0x0
	v_add_nc_u32_e32 v3, v4, v3
	ds_bpermute_b32 v1, v1, v3
	s_wait_dscnt 0x0
	v_add_nc_u32_e32 v1, v1, v3
	;; [unrolled: 3-line block ×3, first 2 shown]
.LBB96_174:
	s_or_b32 exec_lo, exec_lo, s3
	s_mov_b32 s3, 0
	s_branch .LBB96_180
.LBB96_175:
                                        ; implicit-def: $vgpr1
	s_cbranch_execnz .LBB96_215
	s_branch .LBB96_224
.LBB96_176:
                                        ; implicit-def: $vgpr1
	s_cbranch_execz .LBB96_178
	s_branch .LBB96_195
.LBB96_177:
                                        ; implicit-def: $vgpr1
.LBB96_178:
	s_branch .LBB96_224
.LBB96_179:
	s_mov_b32 s3, -1
                                        ; implicit-def: $vgpr1
.LBB96_180:
	s_delay_alu instid0(SALU_CYCLE_1)
	s_and_b32 vcc_lo, exec_lo, s3
	s_wait_alu 0xfffe
	s_cbranch_vccz .LBB96_194
; %bb.181:
	v_mov_b32_e32 v1, 0
	s_sub_co_i32 s6, s38, s2
	s_mov_b32 s2, exec_lo
	s_delay_alu instid0(VALU_DEP_1)
	v_dual_mov_b32 v2, v1 :: v_dual_mov_b32 v3, v1
	v_mov_b32_e32 v4, v1
	v_cmpx_gt_u32_e64 s6, v0
	s_cbranch_execz .LBB96_183
; %bb.182:
	v_dual_mov_b32 v3, v1 :: v_dual_lshlrev_b32 v2, 2, v0
	v_dual_mov_b32 v4, v1 :: v_dual_mov_b32 v5, v1
	global_load_b32 v2, v2, s[4:5]
	s_wait_loadcnt 0x0
	v_mov_b32_e32 v1, v2
	v_mov_b32_e32 v2, v3
	;; [unrolled: 1-line block ×4, first 2 shown]
.LBB96_183:
	s_or_b32 exec_lo, exec_lo, s2
	v_or_b32_e32 v5, 0x100, v0
	s_delay_alu instid0(VALU_DEP_1)
	v_cmp_gt_u32_e32 vcc_lo, s6, v5
	s_and_saveexec_b32 s2, vcc_lo
	s_cbranch_execz .LBB96_185
; %bb.184:
	v_lshlrev_b32_e32 v2, 2, v0
	global_load_b32 v2, v2, s[4:5] offset:1024
.LBB96_185:
	s_or_b32 exec_lo, exec_lo, s2
	v_or_b32_e32 v5, 0x200, v0
	s_delay_alu instid0(VALU_DEP_1)
	v_cmp_gt_u32_e64 s2, s6, v5
	s_and_saveexec_b32 s3, s2
	s_cbranch_execz .LBB96_187
; %bb.186:
	v_lshlrev_b32_e32 v3, 2, v0
	global_load_b32 v3, v3, s[4:5] offset:2048
.LBB96_187:
	s_or_b32 exec_lo, exec_lo, s3
	v_or_b32_e32 v5, 0x300, v0
	s_delay_alu instid0(VALU_DEP_1)
	v_cmp_gt_u32_e64 s3, s6, v5
	s_and_saveexec_b32 s7, s3
	s_cbranch_execz .LBB96_189
; %bb.188:
	v_lshlrev_b32_e32 v4, 2, v0
	global_load_b32 v4, v4, s[4:5] offset:3072
.LBB96_189:
	s_wait_alu 0xfffe
	s_or_b32 exec_lo, exec_lo, s7
	s_wait_loadcnt 0x0
	v_cndmask_b32_e32 v5, 0, v2, vcc_lo
	v_mbcnt_lo_u32_b32 v2, -1, 0
	v_cndmask_b32_e64 v3, 0, v3, s2
	v_cndmask_b32_e64 v4, 0, v4, s3
	s_min_u32 s2, s6, 0x100
	v_add_nc_u32_e32 v1, v5, v1
	v_cmp_ne_u32_e32 vcc_lo, 31, v2
	s_mov_b32 s3, exec_lo
	s_delay_alu instid0(VALU_DEP_2) | instskip(SKIP_4) | instid1(VALU_DEP_3)
	v_add3_u32 v1, v1, v3, v4
	s_wait_alu 0xfffd
	v_add_co_ci_u32_e64 v5, null, 0, v2, vcc_lo
	v_and_b32_e32 v4, 0xe0, v0
	v_cmp_gt_u32_e32 vcc_lo, 30, v2
	v_lshlrev_b32_e32 v3, 2, v5
	v_add_nc_u32_e32 v5, 1, v2
	s_wait_alu 0xfffe
	v_sub_nc_u32_e64 v4, s2, v4 clamp
	s_wait_alu 0xfffd
	v_cndmask_b32_e64 v6, 0, 2, vcc_lo
	ds_bpermute_b32 v3, v3, v1
	v_cmp_lt_u32_e32 vcc_lo, v5, v4
	v_add_lshl_u32 v5, v6, v2, 2
	s_wait_dscnt 0x0
	s_wait_alu 0xfffd
	v_cndmask_b32_e32 v3, 0, v3, vcc_lo
	v_cmp_gt_u32_e32 vcc_lo, 28, v2
	s_delay_alu instid0(VALU_DEP_2) | instskip(SKIP_4) | instid1(VALU_DEP_1)
	v_add_nc_u32_e32 v1, v3, v1
	s_wait_alu 0xfffd
	v_cndmask_b32_e64 v6, 0, 4, vcc_lo
	ds_bpermute_b32 v3, v5, v1
	v_add_nc_u32_e32 v5, 2, v2
	v_cmp_lt_u32_e32 vcc_lo, v5, v4
	v_add_lshl_u32 v5, v6, v2, 2
	s_wait_dscnt 0x0
	s_wait_alu 0xfffd
	v_cndmask_b32_e32 v3, 0, v3, vcc_lo
	v_cmp_gt_u32_e32 vcc_lo, 24, v2
	s_delay_alu instid0(VALU_DEP_2) | instskip(SKIP_4) | instid1(VALU_DEP_1)
	v_add_nc_u32_e32 v1, v1, v3
	s_wait_alu 0xfffd
	v_cndmask_b32_e64 v6, 0, 8, vcc_lo
	ds_bpermute_b32 v3, v5, v1
	v_add_nc_u32_e32 v5, 4, v2
	v_cmp_lt_u32_e32 vcc_lo, v5, v4
	v_add_lshl_u32 v5, v6, v2, 2
	s_wait_dscnt 0x0
	s_wait_alu 0xfffd
	v_dual_cndmask_b32 v3, 0, v3 :: v_dual_add_nc_u32 v6, 8, v2
	s_delay_alu instid0(VALU_DEP_1) | instskip(NEXT) | instid1(VALU_DEP_2)
	v_cmp_lt_u32_e32 vcc_lo, v6, v4
	v_add_nc_u32_e32 v1, v1, v3
	v_lshlrev_b32_e32 v3, 2, v2
	ds_bpermute_b32 v5, v5, v1
	v_or_b32_e32 v6, 64, v3
	s_wait_dscnt 0x0
	s_wait_alu 0xfffd
	v_cndmask_b32_e32 v5, 0, v5, vcc_lo
	s_delay_alu instid0(VALU_DEP_1) | instskip(SKIP_2) | instid1(VALU_DEP_1)
	v_add_nc_u32_e32 v1, v1, v5
	ds_bpermute_b32 v5, v6, v1
	v_add_nc_u32_e32 v6, 16, v2
	v_cmp_lt_u32_e32 vcc_lo, v6, v4
	s_wait_dscnt 0x0
	s_wait_alu 0xfffd
	v_cndmask_b32_e32 v4, 0, v5, vcc_lo
	s_delay_alu instid0(VALU_DEP_1)
	v_add_nc_u32_e32 v1, v1, v4
	v_cmpx_eq_u32_e32 0, v2
; %bb.190:
	v_lshrrev_b32_e32 v4, 3, v0
	s_delay_alu instid0(VALU_DEP_1)
	v_and_b32_e32 v4, 28, v4
	ds_store_b32 v4, v1 offset:192
; %bb.191:
	s_or_b32 exec_lo, exec_lo, s3
	s_delay_alu instid0(SALU_CYCLE_1)
	s_mov_b32 s3, exec_lo
	s_wait_dscnt 0x0
	s_barrier_signal -1
	s_barrier_wait -1
	global_inv scope:SCOPE_SE
	v_cmpx_gt_u32_e32 8, v0
	s_cbranch_execz .LBB96_193
; %bb.192:
	ds_load_b32 v1, v3 offset:192
	v_and_b32_e32 v4, 7, v2
	s_add_co_i32 s2, s2, 31
	s_wait_alu 0xfffe
	s_lshr_b32 s2, s2, 5
	s_delay_alu instid0(VALU_DEP_1) | instskip(SKIP_4) | instid1(VALU_DEP_2)
	v_cmp_ne_u32_e32 vcc_lo, 7, v4
	v_add_nc_u32_e32 v6, 1, v4
	s_wait_alu 0xfffd
	v_add_co_ci_u32_e64 v5, null, 0, v2, vcc_lo
	v_cmp_gt_u32_e32 vcc_lo, 6, v4
	v_lshlrev_b32_e32 v5, 2, v5
	s_wait_alu 0xfffd
	v_cndmask_b32_e64 v7, 0, 2, vcc_lo
	s_wait_alu 0xfffe
	v_cmp_gt_u32_e32 vcc_lo, s2, v6
	s_wait_dscnt 0x0
	ds_bpermute_b32 v5, v5, v1
	v_add_lshl_u32 v2, v7, v2, 2
	s_wait_dscnt 0x0
	s_wait_alu 0xfffd
	v_cndmask_b32_e32 v5, 0, v5, vcc_lo
	s_delay_alu instid0(VALU_DEP_1)
	v_add_nc_u32_e32 v1, v5, v1
	v_add_nc_u32_e32 v5, 2, v4
	ds_bpermute_b32 v2, v2, v1
	v_cmp_gt_u32_e32 vcc_lo, s2, v5
	s_wait_dscnt 0x0
	s_wait_alu 0xfffd
	v_cndmask_b32_e32 v2, 0, v2, vcc_lo
	s_delay_alu instid0(VALU_DEP_1)
	v_add_nc_u32_e32 v1, v1, v2
	v_or_b32_e32 v2, 16, v3
	v_add_nc_u32_e32 v3, 4, v4
	ds_bpermute_b32 v2, v2, v1
	v_cmp_gt_u32_e32 vcc_lo, s2, v3
	s_wait_dscnt 0x0
	s_wait_alu 0xfffd
	v_cndmask_b32_e32 v2, 0, v2, vcc_lo
	s_delay_alu instid0(VALU_DEP_1)
	v_add_nc_u32_e32 v1, v1, v2
.LBB96_193:
	s_wait_alu 0xfffe
	s_or_b32 exec_lo, exec_lo, s3
.LBB96_194:
	v_cmp_eq_u32_e64 s2, 0, v0
	s_branch .LBB96_178
.LBB96_195:
	s_cmp_eq_u32 s33, 2
	s_cbranch_scc0 .LBB96_202
; %bb.196:
	s_mov_b32 s35, 0
	s_lshl_b32 s4, s34, 9
	s_mov_b32 s5, s35
	s_lshr_b64 s[2:3], s[38:39], 9
	s_lshl_b64 s[6:7], s[4:5], 2
	s_cmp_lg_u64 s[2:3], s[34:35]
	s_add_nc_u64 s[2:3], s[36:37], s[6:7]
	s_cbranch_scc0 .LBB96_203
; %bb.197:
	v_lshlrev_b32_e32 v1, 2, v0
	s_mov_b32 s5, exec_lo
	s_clause 0x1
	global_load_b32 v2, v1, s[2:3]
	global_load_b32 v1, v1, s[2:3] offset:1024
	s_wait_loadcnt 0x0
	v_add_nc_u32_e32 v1, v1, v2
	s_delay_alu instid0(VALU_DEP_1) | instskip(NEXT) | instid1(VALU_DEP_1)
	v_mov_b32_dpp v2, v1 quad_perm:[1,0,3,2] row_mask:0xf bank_mask:0xf
	v_add_nc_u32_e32 v1, v2, v1
	s_delay_alu instid0(VALU_DEP_1) | instskip(NEXT) | instid1(VALU_DEP_1)
	v_mov_b32_dpp v2, v1 quad_perm:[2,3,0,1] row_mask:0xf bank_mask:0xf
	v_add_nc_u32_e32 v1, v1, v2
	s_delay_alu instid0(VALU_DEP_1) | instskip(NEXT) | instid1(VALU_DEP_1)
	v_mov_b32_dpp v2, v1 row_ror:4 row_mask:0xf bank_mask:0xf
	v_add_nc_u32_e32 v1, v1, v2
	s_delay_alu instid0(VALU_DEP_1) | instskip(NEXT) | instid1(VALU_DEP_1)
	v_mov_b32_dpp v2, v1 row_ror:8 row_mask:0xf bank_mask:0xf
	v_add_nc_u32_e32 v1, v1, v2
	ds_swizzle_b32 v2, v1 offset:swizzle(BROADCAST,32,15)
	s_wait_dscnt 0x0
	v_dual_mov_b32 v2, 0 :: v_dual_add_nc_u32 v1, v1, v2
	ds_bpermute_b32 v1, v2, v1 offset:124
	v_mbcnt_lo_u32_b32 v2, -1, 0
	s_delay_alu instid0(VALU_DEP_1)
	v_cmpx_eq_u32_e32 0, v2
	s_cbranch_execz .LBB96_199
; %bb.198:
	v_lshrrev_b32_e32 v3, 3, v0
	s_delay_alu instid0(VALU_DEP_1)
	v_and_b32_e32 v3, 28, v3
	s_wait_dscnt 0x0
	ds_store_b32 v3, v1 offset:64
.LBB96_199:
	s_or_b32 exec_lo, exec_lo, s5
	s_delay_alu instid0(SALU_CYCLE_1)
	s_mov_b32 s5, exec_lo
	s_wait_dscnt 0x0
	s_barrier_signal -1
	s_barrier_wait -1
	global_inv scope:SCOPE_SE
	v_cmpx_gt_u32_e32 32, v0
	s_cbranch_execz .LBB96_201
; %bb.200:
	v_and_b32_e32 v1, 7, v2
	s_delay_alu instid0(VALU_DEP_1) | instskip(SKIP_4) | instid1(VALU_DEP_2)
	v_lshlrev_b32_e32 v3, 2, v1
	v_cmp_ne_u32_e32 vcc_lo, 7, v1
	ds_load_b32 v3, v3 offset:64
	v_add_co_ci_u32_e64 v4, null, 0, v2, vcc_lo
	v_cmp_gt_u32_e32 vcc_lo, 6, v1
	v_lshlrev_b32_e32 v4, 2, v4
	s_wait_alu 0xfffd
	v_cndmask_b32_e64 v1, 0, 2, vcc_lo
	s_delay_alu instid0(VALU_DEP_1) | instskip(SKIP_1) | instid1(VALU_DEP_1)
	v_add_lshl_u32 v1, v1, v2, 2
	v_lshlrev_b32_e32 v2, 2, v2
	v_or_b32_e32 v2, 16, v2
	s_wait_dscnt 0x0
	ds_bpermute_b32 v4, v4, v3
	s_wait_dscnt 0x0
	v_add_nc_u32_e32 v3, v4, v3
	ds_bpermute_b32 v1, v1, v3
	s_wait_dscnt 0x0
	v_add_nc_u32_e32 v1, v1, v3
	;; [unrolled: 3-line block ×3, first 2 shown]
.LBB96_201:
	s_or_b32 exec_lo, exec_lo, s5
	s_mov_b32 s5, 0
	s_branch .LBB96_204
.LBB96_202:
                                        ; implicit-def: $vgpr1
	s_branch .LBB96_224
.LBB96_203:
	s_mov_b32 s5, -1
                                        ; implicit-def: $vgpr1
.LBB96_204:
	s_delay_alu instid0(SALU_CYCLE_1)
	s_and_b32 vcc_lo, exec_lo, s5
	s_wait_alu 0xfffe
	s_cbranch_vccz .LBB96_214
; %bb.205:
	v_mov_b32_e32 v1, 0
	s_sub_co_i32 s4, s38, s4
	s_mov_b32 s5, exec_lo
	s_delay_alu instid0(VALU_DEP_1)
	v_mov_b32_e32 v2, v1
	v_cmpx_gt_u32_e64 s4, v0
	s_cbranch_execz .LBB96_207
; %bb.206:
	v_dual_mov_b32 v3, v1 :: v_dual_lshlrev_b32 v2, 2, v0
	global_load_b32 v2, v2, s[2:3]
	s_wait_loadcnt 0x0
	v_mov_b32_e32 v1, v2
	v_mov_b32_e32 v2, v3
.LBB96_207:
	s_or_b32 exec_lo, exec_lo, s5
	v_or_b32_e32 v3, 0x100, v0
	s_delay_alu instid0(VALU_DEP_1)
	v_cmp_gt_u32_e32 vcc_lo, s4, v3
	s_and_saveexec_b32 s5, vcc_lo
	s_cbranch_execz .LBB96_209
; %bb.208:
	v_lshlrev_b32_e32 v2, 2, v0
	global_load_b32 v2, v2, s[2:3] offset:1024
.LBB96_209:
	s_wait_alu 0xfffe
	s_or_b32 exec_lo, exec_lo, s5
	v_mbcnt_lo_u32_b32 v3, -1, 0
	s_wait_loadcnt 0x0
	v_cndmask_b32_e32 v2, 0, v2, vcc_lo
	s_min_u32 s2, s4, 0x100
	s_mov_b32 s3, exec_lo
	v_cmp_ne_u32_e32 vcc_lo, 31, v3
	v_add_nc_u32_e32 v5, 1, v3
	v_add_nc_u32_e32 v1, v2, v1
	s_wait_alu 0xfffd
	v_add_co_ci_u32_e64 v4, null, 0, v3, vcc_lo
	v_cmp_gt_u32_e32 vcc_lo, 30, v3
	s_delay_alu instid0(VALU_DEP_2)
	v_lshlrev_b32_e32 v2, 2, v4
	v_and_b32_e32 v4, 0xe0, v0
	s_wait_alu 0xfffd
	v_cndmask_b32_e64 v6, 0, 2, vcc_lo
	ds_bpermute_b32 v2, v2, v1
	v_sub_nc_u32_e64 v4, s2, v4 clamp
	s_delay_alu instid0(VALU_DEP_1)
	v_cmp_lt_u32_e32 vcc_lo, v5, v4
	v_add_lshl_u32 v5, v6, v3, 2
	s_wait_dscnt 0x0
	s_wait_alu 0xfffd
	v_cndmask_b32_e32 v2, 0, v2, vcc_lo
	v_cmp_gt_u32_e32 vcc_lo, 28, v3
	s_delay_alu instid0(VALU_DEP_2) | instskip(SKIP_4) | instid1(VALU_DEP_1)
	v_add_nc_u32_e32 v1, v2, v1
	s_wait_alu 0xfffd
	v_cndmask_b32_e64 v6, 0, 4, vcc_lo
	ds_bpermute_b32 v2, v5, v1
	v_add_nc_u32_e32 v5, 2, v3
	v_cmp_lt_u32_e32 vcc_lo, v5, v4
	v_add_lshl_u32 v5, v6, v3, 2
	s_wait_dscnt 0x0
	s_wait_alu 0xfffd
	v_cndmask_b32_e32 v2, 0, v2, vcc_lo
	v_cmp_gt_u32_e32 vcc_lo, 24, v3
	s_delay_alu instid0(VALU_DEP_2) | instskip(SKIP_4) | instid1(VALU_DEP_1)
	v_add_nc_u32_e32 v1, v1, v2
	s_wait_alu 0xfffd
	v_cndmask_b32_e64 v6, 0, 8, vcc_lo
	ds_bpermute_b32 v2, v5, v1
	v_add_nc_u32_e32 v5, 4, v3
	v_cmp_lt_u32_e32 vcc_lo, v5, v4
	v_add_lshl_u32 v5, v6, v3, 2
	v_add_nc_u32_e32 v6, 8, v3
	s_wait_dscnt 0x0
	s_wait_alu 0xfffd
	v_cndmask_b32_e32 v2, 0, v2, vcc_lo
	s_delay_alu instid0(VALU_DEP_2) | instskip(NEXT) | instid1(VALU_DEP_2)
	v_cmp_lt_u32_e32 vcc_lo, v6, v4
	v_add_nc_u32_e32 v1, v1, v2
	v_lshlrev_b32_e32 v2, 2, v3
	ds_bpermute_b32 v5, v5, v1
	v_or_b32_e32 v6, 64, v2
	s_wait_dscnt 0x0
	s_wait_alu 0xfffd
	v_cndmask_b32_e32 v5, 0, v5, vcc_lo
	s_delay_alu instid0(VALU_DEP_1) | instskip(SKIP_2) | instid1(VALU_DEP_1)
	v_add_nc_u32_e32 v1, v1, v5
	ds_bpermute_b32 v5, v6, v1
	v_add_nc_u32_e32 v6, 16, v3
	v_cmp_lt_u32_e32 vcc_lo, v6, v4
	s_wait_dscnt 0x0
	s_wait_alu 0xfffd
	v_cndmask_b32_e32 v4, 0, v5, vcc_lo
	s_delay_alu instid0(VALU_DEP_1)
	v_add_nc_u32_e32 v1, v1, v4
	v_cmpx_eq_u32_e32 0, v3
; %bb.210:
	v_lshrrev_b32_e32 v4, 3, v0
	s_delay_alu instid0(VALU_DEP_1)
	v_and_b32_e32 v4, 28, v4
	ds_store_b32 v4, v1 offset:192
; %bb.211:
	s_or_b32 exec_lo, exec_lo, s3
	s_delay_alu instid0(SALU_CYCLE_1)
	s_mov_b32 s3, exec_lo
	s_wait_dscnt 0x0
	s_barrier_signal -1
	s_barrier_wait -1
	global_inv scope:SCOPE_SE
	v_cmpx_gt_u32_e32 8, v0
	s_cbranch_execz .LBB96_213
; %bb.212:
	ds_load_b32 v1, v2 offset:192
	v_and_b32_e32 v4, 7, v3
	s_add_co_i32 s2, s2, 31
	v_or_b32_e32 v2, 16, v2
	s_wait_alu 0xfffe
	s_lshr_b32 s2, s2, 5
	v_cmp_ne_u32_e32 vcc_lo, 7, v4
	v_add_nc_u32_e32 v6, 1, v4
	s_wait_alu 0xfffd
	v_add_co_ci_u32_e64 v5, null, 0, v3, vcc_lo
	v_cmp_gt_u32_e32 vcc_lo, 6, v4
	s_delay_alu instid0(VALU_DEP_2)
	v_lshlrev_b32_e32 v5, 2, v5
	s_wait_alu 0xfffd
	v_cndmask_b32_e64 v7, 0, 2, vcc_lo
	s_wait_alu 0xfffe
	v_cmp_gt_u32_e32 vcc_lo, s2, v6
	s_wait_dscnt 0x0
	ds_bpermute_b32 v5, v5, v1
	v_add_lshl_u32 v3, v7, v3, 2
	s_wait_dscnt 0x0
	s_wait_alu 0xfffd
	v_cndmask_b32_e32 v5, 0, v5, vcc_lo
	s_delay_alu instid0(VALU_DEP_1)
	v_add_nc_u32_e32 v1, v5, v1
	v_add_nc_u32_e32 v5, 2, v4
	ds_bpermute_b32 v3, v3, v1
	v_cmp_gt_u32_e32 vcc_lo, s2, v5
	s_wait_dscnt 0x0
	s_wait_alu 0xfffd
	v_cndmask_b32_e32 v3, 0, v3, vcc_lo
	s_delay_alu instid0(VALU_DEP_1)
	v_add_nc_u32_e32 v1, v1, v3
	v_add_nc_u32_e32 v3, 4, v4
	ds_bpermute_b32 v2, v2, v1
	v_cmp_gt_u32_e32 vcc_lo, s2, v3
	s_wait_dscnt 0x0
	s_wait_alu 0xfffd
	v_cndmask_b32_e32 v2, 0, v2, vcc_lo
	s_delay_alu instid0(VALU_DEP_1)
	v_add_nc_u32_e32 v1, v1, v2
.LBB96_213:
	s_wait_alu 0xfffe
	s_or_b32 exec_lo, exec_lo, s3
.LBB96_214:
	v_cmp_eq_u32_e64 s2, 0, v0
	s_branch .LBB96_224
.LBB96_215:
	s_cmp_eq_u32 s33, 1
	s_cbranch_scc0 .LBB96_223
; %bb.216:
	s_mov_b32 s3, 0
	v_mbcnt_lo_u32_b32 v2, -1, 0
	s_lshr_b64 s[4:5], s[38:39], 8
	s_mov_b32 s35, s3
	s_lshl_b32 s2, s34, 8
	s_cmp_lg_u64 s[4:5], s[34:35]
	s_cbranch_scc0 .LBB96_227
; %bb.217:
	v_lshlrev_b32_e32 v1, 2, v0
	s_lshl_b64 s[4:5], s[2:3], 2
	s_delay_alu instid0(SALU_CYCLE_1) | instskip(SKIP_4) | instid1(VALU_DEP_1)
	s_add_nc_u64 s[4:5], s[36:37], s[4:5]
	global_load_b32 v1, v1, s[4:5]
	s_mov_b32 s4, exec_lo
	s_wait_loadcnt 0x0
	v_mov_b32_dpp v3, v1 quad_perm:[1,0,3,2] row_mask:0xf bank_mask:0xf
	v_add_nc_u32_e32 v1, v3, v1
	s_delay_alu instid0(VALU_DEP_1) | instskip(NEXT) | instid1(VALU_DEP_1)
	v_mov_b32_dpp v3, v1 quad_perm:[2,3,0,1] row_mask:0xf bank_mask:0xf
	v_add_nc_u32_e32 v1, v1, v3
	s_delay_alu instid0(VALU_DEP_1) | instskip(NEXT) | instid1(VALU_DEP_1)
	v_mov_b32_dpp v3, v1 row_ror:4 row_mask:0xf bank_mask:0xf
	v_add_nc_u32_e32 v1, v1, v3
	s_delay_alu instid0(VALU_DEP_1) | instskip(NEXT) | instid1(VALU_DEP_1)
	v_mov_b32_dpp v3, v1 row_ror:8 row_mask:0xf bank_mask:0xf
	v_add_nc_u32_e32 v1, v1, v3
	ds_swizzle_b32 v3, v1 offset:swizzle(BROADCAST,32,15)
	s_wait_dscnt 0x0
	v_add_nc_u32_e32 v1, v1, v3
	v_mov_b32_e32 v3, 0
	ds_bpermute_b32 v1, v3, v1 offset:124
	v_cmpx_eq_u32_e32 0, v2
	s_cbranch_execz .LBB96_219
; %bb.218:
	v_lshrrev_b32_e32 v3, 3, v0
	s_delay_alu instid0(VALU_DEP_1)
	v_and_b32_e32 v3, 28, v3
	s_wait_dscnt 0x0
	ds_store_b32 v3, v1 offset:32
.LBB96_219:
	s_or_b32 exec_lo, exec_lo, s4
	s_delay_alu instid0(SALU_CYCLE_1)
	s_mov_b32 s4, exec_lo
	s_wait_dscnt 0x0
	s_barrier_signal -1
	s_barrier_wait -1
	global_inv scope:SCOPE_SE
	v_cmpx_gt_u32_e32 32, v0
	s_cbranch_execz .LBB96_221
; %bb.220:
	v_and_b32_e32 v1, 7, v2
	s_delay_alu instid0(VALU_DEP_1) | instskip(SKIP_4) | instid1(VALU_DEP_2)
	v_lshlrev_b32_e32 v3, 2, v1
	v_cmp_ne_u32_e32 vcc_lo, 7, v1
	ds_load_b32 v3, v3 offset:32
	v_add_co_ci_u32_e64 v4, null, 0, v2, vcc_lo
	v_cmp_gt_u32_e32 vcc_lo, 6, v1
	v_lshlrev_b32_e32 v4, 2, v4
	s_wait_alu 0xfffd
	v_cndmask_b32_e64 v1, 0, 2, vcc_lo
	s_delay_alu instid0(VALU_DEP_1)
	v_add_lshl_u32 v1, v1, v2, 2
	s_wait_dscnt 0x0
	ds_bpermute_b32 v4, v4, v3
	s_wait_dscnt 0x0
	v_add_nc_u32_e32 v3, v4, v3
	v_lshlrev_b32_e32 v4, 2, v2
	ds_bpermute_b32 v1, v1, v3
	s_wait_dscnt 0x0
	v_add_nc_u32_e32 v1, v1, v3
	v_or_b32_e32 v3, 16, v4
	ds_bpermute_b32 v3, v3, v1
	s_wait_dscnt 0x0
	v_add_nc_u32_e32 v1, v3, v1
.LBB96_221:
	s_or_b32 exec_lo, exec_lo, s4
.LBB96_222:
	v_cmp_eq_u32_e64 s2, 0, v0
	s_and_saveexec_b32 s3, s2
	s_cbranch_execnz .LBB96_225
	s_branch .LBB96_226
.LBB96_223:
                                        ; implicit-def: $vgpr1
                                        ; implicit-def: $sgpr34_sgpr35
.LBB96_224:
	s_delay_alu instid0(VALU_DEP_1)
	s_and_saveexec_b32 s3, s2
	s_cbranch_execz .LBB96_226
.LBB96_225:
	s_load_b96 s[0:2], s[0:1], 0x18
	s_lshl_b64 s[4:5], s[34:35], 2
	s_cmp_lg_u64 s[38:39], 0
	s_cselect_b32 vcc_lo, -1, 0
	s_wait_alu 0xfffe
	v_dual_cndmask_b32 v0, 0, v1 :: v_dual_mov_b32 v1, 0
	s_wait_kmcnt 0x0
	s_delay_alu instid0(VALU_DEP_1)
	v_add_nc_u32_e32 v0, s2, v0
	s_add_nc_u64 s[0:1], s[0:1], s[4:5]
	global_store_b32 v1, v0, s[0:1]
.LBB96_226:
	s_endpgm
.LBB96_227:
                                        ; implicit-def: $vgpr1
	s_cbranch_execz .LBB96_222
; %bb.228:
	s_sub_co_i32 s4, s38, s2
	s_mov_b32 s5, exec_lo
                                        ; implicit-def: $vgpr1
	v_cmpx_gt_u32_e64 s4, v0
	s_cbranch_execz .LBB96_230
; %bb.229:
	v_lshlrev_b32_e32 v1, 2, v0
	s_lshl_b64 s[2:3], s[2:3], 2
	s_delay_alu instid0(SALU_CYCLE_1)
	s_add_nc_u64 s[2:3], s[36:37], s[2:3]
	global_load_b32 v1, v1, s[2:3]
.LBB96_230:
	s_or_b32 exec_lo, exec_lo, s5
	v_cmp_ne_u32_e32 vcc_lo, 31, v2
	s_min_u32 s2, s4, 0x100
	v_add_nc_u32_e32 v5, 1, v2
	s_mov_b32 s3, exec_lo
	v_add_co_ci_u32_e64 v3, null, 0, v2, vcc_lo
	v_cmp_gt_u32_e32 vcc_lo, 30, v2
	s_delay_alu instid0(VALU_DEP_2)
	v_lshlrev_b32_e32 v3, 2, v3
	s_wait_alu 0xfffd
	v_cndmask_b32_e64 v6, 0, 2, vcc_lo
	s_wait_loadcnt 0x0
	ds_bpermute_b32 v3, v3, v1
	v_and_b32_e32 v4, 0xe0, v0
	s_delay_alu instid0(VALU_DEP_1) | instskip(NEXT) | instid1(VALU_DEP_1)
	v_sub_nc_u32_e64 v4, s2, v4 clamp
	v_cmp_lt_u32_e32 vcc_lo, v5, v4
	v_add_lshl_u32 v5, v6, v2, 2
	s_wait_dscnt 0x0
	s_wait_alu 0xfffd
	v_cndmask_b32_e32 v3, 0, v3, vcc_lo
	v_cmp_gt_u32_e32 vcc_lo, 28, v2
	s_delay_alu instid0(VALU_DEP_2) | instskip(SKIP_4) | instid1(VALU_DEP_1)
	v_add_nc_u32_e32 v1, v3, v1
	s_wait_alu 0xfffd
	v_cndmask_b32_e64 v6, 0, 4, vcc_lo
	ds_bpermute_b32 v3, v5, v1
	v_add_nc_u32_e32 v5, 2, v2
	v_cmp_lt_u32_e32 vcc_lo, v5, v4
	v_add_lshl_u32 v5, v6, v2, 2
	s_wait_dscnt 0x0
	s_wait_alu 0xfffd
	v_cndmask_b32_e32 v3, 0, v3, vcc_lo
	v_cmp_gt_u32_e32 vcc_lo, 24, v2
	s_delay_alu instid0(VALU_DEP_2) | instskip(SKIP_4) | instid1(VALU_DEP_1)
	v_add_nc_u32_e32 v1, v1, v3
	s_wait_alu 0xfffd
	v_cndmask_b32_e64 v6, 0, 8, vcc_lo
	ds_bpermute_b32 v3, v5, v1
	v_add_nc_u32_e32 v5, 4, v2
	v_cmp_lt_u32_e32 vcc_lo, v5, v4
	v_add_lshl_u32 v5, v6, v2, 2
	s_wait_dscnt 0x0
	s_wait_alu 0xfffd
	v_dual_cndmask_b32 v3, 0, v3 :: v_dual_add_nc_u32 v6, 8, v2
	s_delay_alu instid0(VALU_DEP_1) | instskip(NEXT) | instid1(VALU_DEP_2)
	v_cmp_lt_u32_e32 vcc_lo, v6, v4
	v_add_nc_u32_e32 v1, v1, v3
	v_lshlrev_b32_e32 v3, 2, v2
	ds_bpermute_b32 v5, v5, v1
	v_or_b32_e32 v6, 64, v3
	s_wait_dscnt 0x0
	s_wait_alu 0xfffd
	v_cndmask_b32_e32 v5, 0, v5, vcc_lo
	s_delay_alu instid0(VALU_DEP_1) | instskip(SKIP_2) | instid1(VALU_DEP_1)
	v_add_nc_u32_e32 v1, v1, v5
	ds_bpermute_b32 v5, v6, v1
	v_add_nc_u32_e32 v6, 16, v2
	v_cmp_lt_u32_e32 vcc_lo, v6, v4
	s_wait_dscnt 0x0
	s_wait_alu 0xfffd
	v_cndmask_b32_e32 v4, 0, v5, vcc_lo
	s_delay_alu instid0(VALU_DEP_1)
	v_add_nc_u32_e32 v1, v1, v4
	v_cmpx_eq_u32_e32 0, v2
; %bb.231:
	v_lshrrev_b32_e32 v4, 3, v0
	s_delay_alu instid0(VALU_DEP_1)
	v_and_b32_e32 v4, 28, v4
	ds_store_b32 v4, v1 offset:192
; %bb.232:
	s_or_b32 exec_lo, exec_lo, s3
	s_delay_alu instid0(SALU_CYCLE_1)
	s_mov_b32 s3, exec_lo
	s_wait_dscnt 0x0
	s_barrier_signal -1
	s_barrier_wait -1
	global_inv scope:SCOPE_SE
	v_cmpx_gt_u32_e32 8, v0
	s_cbranch_execz .LBB96_234
; %bb.233:
	ds_load_b32 v1, v3 offset:192
	v_and_b32_e32 v4, 7, v2
	s_add_co_i32 s2, s2, 31
	s_wait_alu 0xfffe
	s_lshr_b32 s2, s2, 5
	s_delay_alu instid0(VALU_DEP_1) | instskip(SKIP_4) | instid1(VALU_DEP_2)
	v_cmp_ne_u32_e32 vcc_lo, 7, v4
	v_add_nc_u32_e32 v6, 1, v4
	s_wait_alu 0xfffd
	v_add_co_ci_u32_e64 v5, null, 0, v2, vcc_lo
	v_cmp_gt_u32_e32 vcc_lo, 6, v4
	v_lshlrev_b32_e32 v5, 2, v5
	s_wait_alu 0xfffd
	v_cndmask_b32_e64 v7, 0, 2, vcc_lo
	s_wait_alu 0xfffe
	v_cmp_gt_u32_e32 vcc_lo, s2, v6
	s_wait_dscnt 0x0
	ds_bpermute_b32 v5, v5, v1
	v_add_lshl_u32 v2, v7, v2, 2
	s_wait_dscnt 0x0
	s_wait_alu 0xfffd
	v_cndmask_b32_e32 v5, 0, v5, vcc_lo
	s_delay_alu instid0(VALU_DEP_1)
	v_add_nc_u32_e32 v1, v5, v1
	v_add_nc_u32_e32 v5, 2, v4
	ds_bpermute_b32 v2, v2, v1
	v_cmp_gt_u32_e32 vcc_lo, s2, v5
	s_wait_dscnt 0x0
	s_wait_alu 0xfffd
	v_cndmask_b32_e32 v2, 0, v2, vcc_lo
	s_delay_alu instid0(VALU_DEP_1)
	v_add_nc_u32_e32 v1, v1, v2
	v_or_b32_e32 v2, 16, v3
	v_add_nc_u32_e32 v3, 4, v4
	ds_bpermute_b32 v2, v2, v1
	v_cmp_gt_u32_e32 vcc_lo, s2, v3
	s_wait_dscnt 0x0
	s_wait_alu 0xfffd
	v_cndmask_b32_e32 v2, 0, v2, vcc_lo
	s_delay_alu instid0(VALU_DEP_1)
	v_add_nc_u32_e32 v1, v1, v2
.LBB96_234:
	s_wait_alu 0xfffe
	s_or_b32 exec_lo, exec_lo, s3
	v_cmp_eq_u32_e64 s2, 0, v0
	s_and_saveexec_b32 s3, s2
	s_cbranch_execnz .LBB96_225
	s_branch .LBB96_226
	.section	.rodata,"a",@progbits
	.p2align	6, 0x0
	.amdhsa_kernel _ZN7rocprim17ROCPRIM_400000_NS6detail17trampoline_kernelINS0_14default_configENS1_22reduce_config_selectorIiEEZNS1_11reduce_implILb1ES3_PiS7_iN6hipcub16HIPCUB_304000_NS6detail34convert_binary_result_type_wrapperINS9_3SumENS9_22TransformInputIteratorIbN2at6native12_GLOBAL__N_19NonZeroOpIaEEPKalEEiEEEE10hipError_tPvRmT1_T2_T3_mT4_P12ihipStream_tbEUlT_E1_NS1_11comp_targetILNS1_3genE10ELNS1_11target_archE1201ELNS1_3gpuE5ELNS1_3repE0EEENS1_30default_config_static_selectorELNS0_4arch9wavefront6targetE0EEEvSQ_
		.amdhsa_group_segment_fixed_size 224
		.amdhsa_private_segment_fixed_size 0
		.amdhsa_kernarg_size 40
		.amdhsa_user_sgpr_count 2
		.amdhsa_user_sgpr_dispatch_ptr 0
		.amdhsa_user_sgpr_queue_ptr 0
		.amdhsa_user_sgpr_kernarg_segment_ptr 1
		.amdhsa_user_sgpr_dispatch_id 0
		.amdhsa_user_sgpr_private_segment_size 0
		.amdhsa_wavefront_size32 1
		.amdhsa_uses_dynamic_stack 0
		.amdhsa_enable_private_segment 0
		.amdhsa_system_sgpr_workgroup_id_x 1
		.amdhsa_system_sgpr_workgroup_id_y 0
		.amdhsa_system_sgpr_workgroup_id_z 0
		.amdhsa_system_sgpr_workgroup_info 0
		.amdhsa_system_vgpr_workitem_id 0
		.amdhsa_next_free_vgpr 34
		.amdhsa_next_free_sgpr 45
		.amdhsa_reserve_vcc 1
		.amdhsa_float_round_mode_32 0
		.amdhsa_float_round_mode_16_64 0
		.amdhsa_float_denorm_mode_32 3
		.amdhsa_float_denorm_mode_16_64 3
		.amdhsa_fp16_overflow 0
		.amdhsa_workgroup_processor_mode 1
		.amdhsa_memory_ordered 1
		.amdhsa_forward_progress 1
		.amdhsa_inst_pref_size 93
		.amdhsa_round_robin_scheduling 0
		.amdhsa_exception_fp_ieee_invalid_op 0
		.amdhsa_exception_fp_denorm_src 0
		.amdhsa_exception_fp_ieee_div_zero 0
		.amdhsa_exception_fp_ieee_overflow 0
		.amdhsa_exception_fp_ieee_underflow 0
		.amdhsa_exception_fp_ieee_inexact 0
		.amdhsa_exception_int_div_zero 0
	.end_amdhsa_kernel
	.section	.text._ZN7rocprim17ROCPRIM_400000_NS6detail17trampoline_kernelINS0_14default_configENS1_22reduce_config_selectorIiEEZNS1_11reduce_implILb1ES3_PiS7_iN6hipcub16HIPCUB_304000_NS6detail34convert_binary_result_type_wrapperINS9_3SumENS9_22TransformInputIteratorIbN2at6native12_GLOBAL__N_19NonZeroOpIaEEPKalEEiEEEE10hipError_tPvRmT1_T2_T3_mT4_P12ihipStream_tbEUlT_E1_NS1_11comp_targetILNS1_3genE10ELNS1_11target_archE1201ELNS1_3gpuE5ELNS1_3repE0EEENS1_30default_config_static_selectorELNS0_4arch9wavefront6targetE0EEEvSQ_,"axG",@progbits,_ZN7rocprim17ROCPRIM_400000_NS6detail17trampoline_kernelINS0_14default_configENS1_22reduce_config_selectorIiEEZNS1_11reduce_implILb1ES3_PiS7_iN6hipcub16HIPCUB_304000_NS6detail34convert_binary_result_type_wrapperINS9_3SumENS9_22TransformInputIteratorIbN2at6native12_GLOBAL__N_19NonZeroOpIaEEPKalEEiEEEE10hipError_tPvRmT1_T2_T3_mT4_P12ihipStream_tbEUlT_E1_NS1_11comp_targetILNS1_3genE10ELNS1_11target_archE1201ELNS1_3gpuE5ELNS1_3repE0EEENS1_30default_config_static_selectorELNS0_4arch9wavefront6targetE0EEEvSQ_,comdat
.Lfunc_end96:
	.size	_ZN7rocprim17ROCPRIM_400000_NS6detail17trampoline_kernelINS0_14default_configENS1_22reduce_config_selectorIiEEZNS1_11reduce_implILb1ES3_PiS7_iN6hipcub16HIPCUB_304000_NS6detail34convert_binary_result_type_wrapperINS9_3SumENS9_22TransformInputIteratorIbN2at6native12_GLOBAL__N_19NonZeroOpIaEEPKalEEiEEEE10hipError_tPvRmT1_T2_T3_mT4_P12ihipStream_tbEUlT_E1_NS1_11comp_targetILNS1_3genE10ELNS1_11target_archE1201ELNS1_3gpuE5ELNS1_3repE0EEENS1_30default_config_static_selectorELNS0_4arch9wavefront6targetE0EEEvSQ_, .Lfunc_end96-_ZN7rocprim17ROCPRIM_400000_NS6detail17trampoline_kernelINS0_14default_configENS1_22reduce_config_selectorIiEEZNS1_11reduce_implILb1ES3_PiS7_iN6hipcub16HIPCUB_304000_NS6detail34convert_binary_result_type_wrapperINS9_3SumENS9_22TransformInputIteratorIbN2at6native12_GLOBAL__N_19NonZeroOpIaEEPKalEEiEEEE10hipError_tPvRmT1_T2_T3_mT4_P12ihipStream_tbEUlT_E1_NS1_11comp_targetILNS1_3genE10ELNS1_11target_archE1201ELNS1_3gpuE5ELNS1_3repE0EEENS1_30default_config_static_selectorELNS0_4arch9wavefront6targetE0EEEvSQ_
                                        ; -- End function
	.set _ZN7rocprim17ROCPRIM_400000_NS6detail17trampoline_kernelINS0_14default_configENS1_22reduce_config_selectorIiEEZNS1_11reduce_implILb1ES3_PiS7_iN6hipcub16HIPCUB_304000_NS6detail34convert_binary_result_type_wrapperINS9_3SumENS9_22TransformInputIteratorIbN2at6native12_GLOBAL__N_19NonZeroOpIaEEPKalEEiEEEE10hipError_tPvRmT1_T2_T3_mT4_P12ihipStream_tbEUlT_E1_NS1_11comp_targetILNS1_3genE10ELNS1_11target_archE1201ELNS1_3gpuE5ELNS1_3repE0EEENS1_30default_config_static_selectorELNS0_4arch9wavefront6targetE0EEEvSQ_.num_vgpr, 34
	.set _ZN7rocprim17ROCPRIM_400000_NS6detail17trampoline_kernelINS0_14default_configENS1_22reduce_config_selectorIiEEZNS1_11reduce_implILb1ES3_PiS7_iN6hipcub16HIPCUB_304000_NS6detail34convert_binary_result_type_wrapperINS9_3SumENS9_22TransformInputIteratorIbN2at6native12_GLOBAL__N_19NonZeroOpIaEEPKalEEiEEEE10hipError_tPvRmT1_T2_T3_mT4_P12ihipStream_tbEUlT_E1_NS1_11comp_targetILNS1_3genE10ELNS1_11target_archE1201ELNS1_3gpuE5ELNS1_3repE0EEENS1_30default_config_static_selectorELNS0_4arch9wavefront6targetE0EEEvSQ_.num_agpr, 0
	.set _ZN7rocprim17ROCPRIM_400000_NS6detail17trampoline_kernelINS0_14default_configENS1_22reduce_config_selectorIiEEZNS1_11reduce_implILb1ES3_PiS7_iN6hipcub16HIPCUB_304000_NS6detail34convert_binary_result_type_wrapperINS9_3SumENS9_22TransformInputIteratorIbN2at6native12_GLOBAL__N_19NonZeroOpIaEEPKalEEiEEEE10hipError_tPvRmT1_T2_T3_mT4_P12ihipStream_tbEUlT_E1_NS1_11comp_targetILNS1_3genE10ELNS1_11target_archE1201ELNS1_3gpuE5ELNS1_3repE0EEENS1_30default_config_static_selectorELNS0_4arch9wavefront6targetE0EEEvSQ_.numbered_sgpr, 45
	.set _ZN7rocprim17ROCPRIM_400000_NS6detail17trampoline_kernelINS0_14default_configENS1_22reduce_config_selectorIiEEZNS1_11reduce_implILb1ES3_PiS7_iN6hipcub16HIPCUB_304000_NS6detail34convert_binary_result_type_wrapperINS9_3SumENS9_22TransformInputIteratorIbN2at6native12_GLOBAL__N_19NonZeroOpIaEEPKalEEiEEEE10hipError_tPvRmT1_T2_T3_mT4_P12ihipStream_tbEUlT_E1_NS1_11comp_targetILNS1_3genE10ELNS1_11target_archE1201ELNS1_3gpuE5ELNS1_3repE0EEENS1_30default_config_static_selectorELNS0_4arch9wavefront6targetE0EEEvSQ_.num_named_barrier, 0
	.set _ZN7rocprim17ROCPRIM_400000_NS6detail17trampoline_kernelINS0_14default_configENS1_22reduce_config_selectorIiEEZNS1_11reduce_implILb1ES3_PiS7_iN6hipcub16HIPCUB_304000_NS6detail34convert_binary_result_type_wrapperINS9_3SumENS9_22TransformInputIteratorIbN2at6native12_GLOBAL__N_19NonZeroOpIaEEPKalEEiEEEE10hipError_tPvRmT1_T2_T3_mT4_P12ihipStream_tbEUlT_E1_NS1_11comp_targetILNS1_3genE10ELNS1_11target_archE1201ELNS1_3gpuE5ELNS1_3repE0EEENS1_30default_config_static_selectorELNS0_4arch9wavefront6targetE0EEEvSQ_.private_seg_size, 0
	.set _ZN7rocprim17ROCPRIM_400000_NS6detail17trampoline_kernelINS0_14default_configENS1_22reduce_config_selectorIiEEZNS1_11reduce_implILb1ES3_PiS7_iN6hipcub16HIPCUB_304000_NS6detail34convert_binary_result_type_wrapperINS9_3SumENS9_22TransformInputIteratorIbN2at6native12_GLOBAL__N_19NonZeroOpIaEEPKalEEiEEEE10hipError_tPvRmT1_T2_T3_mT4_P12ihipStream_tbEUlT_E1_NS1_11comp_targetILNS1_3genE10ELNS1_11target_archE1201ELNS1_3gpuE5ELNS1_3repE0EEENS1_30default_config_static_selectorELNS0_4arch9wavefront6targetE0EEEvSQ_.uses_vcc, 1
	.set _ZN7rocprim17ROCPRIM_400000_NS6detail17trampoline_kernelINS0_14default_configENS1_22reduce_config_selectorIiEEZNS1_11reduce_implILb1ES3_PiS7_iN6hipcub16HIPCUB_304000_NS6detail34convert_binary_result_type_wrapperINS9_3SumENS9_22TransformInputIteratorIbN2at6native12_GLOBAL__N_19NonZeroOpIaEEPKalEEiEEEE10hipError_tPvRmT1_T2_T3_mT4_P12ihipStream_tbEUlT_E1_NS1_11comp_targetILNS1_3genE10ELNS1_11target_archE1201ELNS1_3gpuE5ELNS1_3repE0EEENS1_30default_config_static_selectorELNS0_4arch9wavefront6targetE0EEEvSQ_.uses_flat_scratch, 0
	.set _ZN7rocprim17ROCPRIM_400000_NS6detail17trampoline_kernelINS0_14default_configENS1_22reduce_config_selectorIiEEZNS1_11reduce_implILb1ES3_PiS7_iN6hipcub16HIPCUB_304000_NS6detail34convert_binary_result_type_wrapperINS9_3SumENS9_22TransformInputIteratorIbN2at6native12_GLOBAL__N_19NonZeroOpIaEEPKalEEiEEEE10hipError_tPvRmT1_T2_T3_mT4_P12ihipStream_tbEUlT_E1_NS1_11comp_targetILNS1_3genE10ELNS1_11target_archE1201ELNS1_3gpuE5ELNS1_3repE0EEENS1_30default_config_static_selectorELNS0_4arch9wavefront6targetE0EEEvSQ_.has_dyn_sized_stack, 0
	.set _ZN7rocprim17ROCPRIM_400000_NS6detail17trampoline_kernelINS0_14default_configENS1_22reduce_config_selectorIiEEZNS1_11reduce_implILb1ES3_PiS7_iN6hipcub16HIPCUB_304000_NS6detail34convert_binary_result_type_wrapperINS9_3SumENS9_22TransformInputIteratorIbN2at6native12_GLOBAL__N_19NonZeroOpIaEEPKalEEiEEEE10hipError_tPvRmT1_T2_T3_mT4_P12ihipStream_tbEUlT_E1_NS1_11comp_targetILNS1_3genE10ELNS1_11target_archE1201ELNS1_3gpuE5ELNS1_3repE0EEENS1_30default_config_static_selectorELNS0_4arch9wavefront6targetE0EEEvSQ_.has_recursion, 0
	.set _ZN7rocprim17ROCPRIM_400000_NS6detail17trampoline_kernelINS0_14default_configENS1_22reduce_config_selectorIiEEZNS1_11reduce_implILb1ES3_PiS7_iN6hipcub16HIPCUB_304000_NS6detail34convert_binary_result_type_wrapperINS9_3SumENS9_22TransformInputIteratorIbN2at6native12_GLOBAL__N_19NonZeroOpIaEEPKalEEiEEEE10hipError_tPvRmT1_T2_T3_mT4_P12ihipStream_tbEUlT_E1_NS1_11comp_targetILNS1_3genE10ELNS1_11target_archE1201ELNS1_3gpuE5ELNS1_3repE0EEENS1_30default_config_static_selectorELNS0_4arch9wavefront6targetE0EEEvSQ_.has_indirect_call, 0
	.section	.AMDGPU.csdata,"",@progbits
; Kernel info:
; codeLenInByte = 11904
; TotalNumSgprs: 47
; NumVgprs: 34
; ScratchSize: 0
; MemoryBound: 0
; FloatMode: 240
; IeeeMode: 1
; LDSByteSize: 224 bytes/workgroup (compile time only)
; SGPRBlocks: 0
; VGPRBlocks: 4
; NumSGPRsForWavesPerEU: 47
; NumVGPRsForWavesPerEU: 34
; Occupancy: 16
; WaveLimiterHint : 1
; COMPUTE_PGM_RSRC2:SCRATCH_EN: 0
; COMPUTE_PGM_RSRC2:USER_SGPR: 2
; COMPUTE_PGM_RSRC2:TRAP_HANDLER: 0
; COMPUTE_PGM_RSRC2:TGID_X_EN: 1
; COMPUTE_PGM_RSRC2:TGID_Y_EN: 0
; COMPUTE_PGM_RSRC2:TGID_Z_EN: 0
; COMPUTE_PGM_RSRC2:TIDIG_COMP_CNT: 0
	.section	.text._ZN7rocprim17ROCPRIM_400000_NS6detail17trampoline_kernelINS0_14default_configENS1_22reduce_config_selectorIiEEZNS1_11reduce_implILb1ES3_PiS7_iN6hipcub16HIPCUB_304000_NS6detail34convert_binary_result_type_wrapperINS9_3SumENS9_22TransformInputIteratorIbN2at6native12_GLOBAL__N_19NonZeroOpIaEEPKalEEiEEEE10hipError_tPvRmT1_T2_T3_mT4_P12ihipStream_tbEUlT_E1_NS1_11comp_targetILNS1_3genE10ELNS1_11target_archE1200ELNS1_3gpuE4ELNS1_3repE0EEENS1_30default_config_static_selectorELNS0_4arch9wavefront6targetE0EEEvSQ_,"axG",@progbits,_ZN7rocprim17ROCPRIM_400000_NS6detail17trampoline_kernelINS0_14default_configENS1_22reduce_config_selectorIiEEZNS1_11reduce_implILb1ES3_PiS7_iN6hipcub16HIPCUB_304000_NS6detail34convert_binary_result_type_wrapperINS9_3SumENS9_22TransformInputIteratorIbN2at6native12_GLOBAL__N_19NonZeroOpIaEEPKalEEiEEEE10hipError_tPvRmT1_T2_T3_mT4_P12ihipStream_tbEUlT_E1_NS1_11comp_targetILNS1_3genE10ELNS1_11target_archE1200ELNS1_3gpuE4ELNS1_3repE0EEENS1_30default_config_static_selectorELNS0_4arch9wavefront6targetE0EEEvSQ_,comdat
	.globl	_ZN7rocprim17ROCPRIM_400000_NS6detail17trampoline_kernelINS0_14default_configENS1_22reduce_config_selectorIiEEZNS1_11reduce_implILb1ES3_PiS7_iN6hipcub16HIPCUB_304000_NS6detail34convert_binary_result_type_wrapperINS9_3SumENS9_22TransformInputIteratorIbN2at6native12_GLOBAL__N_19NonZeroOpIaEEPKalEEiEEEE10hipError_tPvRmT1_T2_T3_mT4_P12ihipStream_tbEUlT_E1_NS1_11comp_targetILNS1_3genE10ELNS1_11target_archE1200ELNS1_3gpuE4ELNS1_3repE0EEENS1_30default_config_static_selectorELNS0_4arch9wavefront6targetE0EEEvSQ_ ; -- Begin function _ZN7rocprim17ROCPRIM_400000_NS6detail17trampoline_kernelINS0_14default_configENS1_22reduce_config_selectorIiEEZNS1_11reduce_implILb1ES3_PiS7_iN6hipcub16HIPCUB_304000_NS6detail34convert_binary_result_type_wrapperINS9_3SumENS9_22TransformInputIteratorIbN2at6native12_GLOBAL__N_19NonZeroOpIaEEPKalEEiEEEE10hipError_tPvRmT1_T2_T3_mT4_P12ihipStream_tbEUlT_E1_NS1_11comp_targetILNS1_3genE10ELNS1_11target_archE1200ELNS1_3gpuE4ELNS1_3repE0EEENS1_30default_config_static_selectorELNS0_4arch9wavefront6targetE0EEEvSQ_
	.p2align	8
	.type	_ZN7rocprim17ROCPRIM_400000_NS6detail17trampoline_kernelINS0_14default_configENS1_22reduce_config_selectorIiEEZNS1_11reduce_implILb1ES3_PiS7_iN6hipcub16HIPCUB_304000_NS6detail34convert_binary_result_type_wrapperINS9_3SumENS9_22TransformInputIteratorIbN2at6native12_GLOBAL__N_19NonZeroOpIaEEPKalEEiEEEE10hipError_tPvRmT1_T2_T3_mT4_P12ihipStream_tbEUlT_E1_NS1_11comp_targetILNS1_3genE10ELNS1_11target_archE1200ELNS1_3gpuE4ELNS1_3repE0EEENS1_30default_config_static_selectorELNS0_4arch9wavefront6targetE0EEEvSQ_,@function
_ZN7rocprim17ROCPRIM_400000_NS6detail17trampoline_kernelINS0_14default_configENS1_22reduce_config_selectorIiEEZNS1_11reduce_implILb1ES3_PiS7_iN6hipcub16HIPCUB_304000_NS6detail34convert_binary_result_type_wrapperINS9_3SumENS9_22TransformInputIteratorIbN2at6native12_GLOBAL__N_19NonZeroOpIaEEPKalEEiEEEE10hipError_tPvRmT1_T2_T3_mT4_P12ihipStream_tbEUlT_E1_NS1_11comp_targetILNS1_3genE10ELNS1_11target_archE1200ELNS1_3gpuE4ELNS1_3repE0EEENS1_30default_config_static_selectorELNS0_4arch9wavefront6targetE0EEEvSQ_: ; @_ZN7rocprim17ROCPRIM_400000_NS6detail17trampoline_kernelINS0_14default_configENS1_22reduce_config_selectorIiEEZNS1_11reduce_implILb1ES3_PiS7_iN6hipcub16HIPCUB_304000_NS6detail34convert_binary_result_type_wrapperINS9_3SumENS9_22TransformInputIteratorIbN2at6native12_GLOBAL__N_19NonZeroOpIaEEPKalEEiEEEE10hipError_tPvRmT1_T2_T3_mT4_P12ihipStream_tbEUlT_E1_NS1_11comp_targetILNS1_3genE10ELNS1_11target_archE1200ELNS1_3gpuE4ELNS1_3repE0EEENS1_30default_config_static_selectorELNS0_4arch9wavefront6targetE0EEEvSQ_
; %bb.0:
	.section	.rodata,"a",@progbits
	.p2align	6, 0x0
	.amdhsa_kernel _ZN7rocprim17ROCPRIM_400000_NS6detail17trampoline_kernelINS0_14default_configENS1_22reduce_config_selectorIiEEZNS1_11reduce_implILb1ES3_PiS7_iN6hipcub16HIPCUB_304000_NS6detail34convert_binary_result_type_wrapperINS9_3SumENS9_22TransformInputIteratorIbN2at6native12_GLOBAL__N_19NonZeroOpIaEEPKalEEiEEEE10hipError_tPvRmT1_T2_T3_mT4_P12ihipStream_tbEUlT_E1_NS1_11comp_targetILNS1_3genE10ELNS1_11target_archE1200ELNS1_3gpuE4ELNS1_3repE0EEENS1_30default_config_static_selectorELNS0_4arch9wavefront6targetE0EEEvSQ_
		.amdhsa_group_segment_fixed_size 0
		.amdhsa_private_segment_fixed_size 0
		.amdhsa_kernarg_size 40
		.amdhsa_user_sgpr_count 2
		.amdhsa_user_sgpr_dispatch_ptr 0
		.amdhsa_user_sgpr_queue_ptr 0
		.amdhsa_user_sgpr_kernarg_segment_ptr 1
		.amdhsa_user_sgpr_dispatch_id 0
		.amdhsa_user_sgpr_private_segment_size 0
		.amdhsa_wavefront_size32 1
		.amdhsa_uses_dynamic_stack 0
		.amdhsa_enable_private_segment 0
		.amdhsa_system_sgpr_workgroup_id_x 1
		.amdhsa_system_sgpr_workgroup_id_y 0
		.amdhsa_system_sgpr_workgroup_id_z 0
		.amdhsa_system_sgpr_workgroup_info 0
		.amdhsa_system_vgpr_workitem_id 0
		.amdhsa_next_free_vgpr 1
		.amdhsa_next_free_sgpr 1
		.amdhsa_reserve_vcc 0
		.amdhsa_float_round_mode_32 0
		.amdhsa_float_round_mode_16_64 0
		.amdhsa_float_denorm_mode_32 3
		.amdhsa_float_denorm_mode_16_64 3
		.amdhsa_fp16_overflow 0
		.amdhsa_workgroup_processor_mode 1
		.amdhsa_memory_ordered 1
		.amdhsa_forward_progress 1
		.amdhsa_inst_pref_size 0
		.amdhsa_round_robin_scheduling 0
		.amdhsa_exception_fp_ieee_invalid_op 0
		.amdhsa_exception_fp_denorm_src 0
		.amdhsa_exception_fp_ieee_div_zero 0
		.amdhsa_exception_fp_ieee_overflow 0
		.amdhsa_exception_fp_ieee_underflow 0
		.amdhsa_exception_fp_ieee_inexact 0
		.amdhsa_exception_int_div_zero 0
	.end_amdhsa_kernel
	.section	.text._ZN7rocprim17ROCPRIM_400000_NS6detail17trampoline_kernelINS0_14default_configENS1_22reduce_config_selectorIiEEZNS1_11reduce_implILb1ES3_PiS7_iN6hipcub16HIPCUB_304000_NS6detail34convert_binary_result_type_wrapperINS9_3SumENS9_22TransformInputIteratorIbN2at6native12_GLOBAL__N_19NonZeroOpIaEEPKalEEiEEEE10hipError_tPvRmT1_T2_T3_mT4_P12ihipStream_tbEUlT_E1_NS1_11comp_targetILNS1_3genE10ELNS1_11target_archE1200ELNS1_3gpuE4ELNS1_3repE0EEENS1_30default_config_static_selectorELNS0_4arch9wavefront6targetE0EEEvSQ_,"axG",@progbits,_ZN7rocprim17ROCPRIM_400000_NS6detail17trampoline_kernelINS0_14default_configENS1_22reduce_config_selectorIiEEZNS1_11reduce_implILb1ES3_PiS7_iN6hipcub16HIPCUB_304000_NS6detail34convert_binary_result_type_wrapperINS9_3SumENS9_22TransformInputIteratorIbN2at6native12_GLOBAL__N_19NonZeroOpIaEEPKalEEiEEEE10hipError_tPvRmT1_T2_T3_mT4_P12ihipStream_tbEUlT_E1_NS1_11comp_targetILNS1_3genE10ELNS1_11target_archE1200ELNS1_3gpuE4ELNS1_3repE0EEENS1_30default_config_static_selectorELNS0_4arch9wavefront6targetE0EEEvSQ_,comdat
.Lfunc_end97:
	.size	_ZN7rocprim17ROCPRIM_400000_NS6detail17trampoline_kernelINS0_14default_configENS1_22reduce_config_selectorIiEEZNS1_11reduce_implILb1ES3_PiS7_iN6hipcub16HIPCUB_304000_NS6detail34convert_binary_result_type_wrapperINS9_3SumENS9_22TransformInputIteratorIbN2at6native12_GLOBAL__N_19NonZeroOpIaEEPKalEEiEEEE10hipError_tPvRmT1_T2_T3_mT4_P12ihipStream_tbEUlT_E1_NS1_11comp_targetILNS1_3genE10ELNS1_11target_archE1200ELNS1_3gpuE4ELNS1_3repE0EEENS1_30default_config_static_selectorELNS0_4arch9wavefront6targetE0EEEvSQ_, .Lfunc_end97-_ZN7rocprim17ROCPRIM_400000_NS6detail17trampoline_kernelINS0_14default_configENS1_22reduce_config_selectorIiEEZNS1_11reduce_implILb1ES3_PiS7_iN6hipcub16HIPCUB_304000_NS6detail34convert_binary_result_type_wrapperINS9_3SumENS9_22TransformInputIteratorIbN2at6native12_GLOBAL__N_19NonZeroOpIaEEPKalEEiEEEE10hipError_tPvRmT1_T2_T3_mT4_P12ihipStream_tbEUlT_E1_NS1_11comp_targetILNS1_3genE10ELNS1_11target_archE1200ELNS1_3gpuE4ELNS1_3repE0EEENS1_30default_config_static_selectorELNS0_4arch9wavefront6targetE0EEEvSQ_
                                        ; -- End function
	.set _ZN7rocprim17ROCPRIM_400000_NS6detail17trampoline_kernelINS0_14default_configENS1_22reduce_config_selectorIiEEZNS1_11reduce_implILb1ES3_PiS7_iN6hipcub16HIPCUB_304000_NS6detail34convert_binary_result_type_wrapperINS9_3SumENS9_22TransformInputIteratorIbN2at6native12_GLOBAL__N_19NonZeroOpIaEEPKalEEiEEEE10hipError_tPvRmT1_T2_T3_mT4_P12ihipStream_tbEUlT_E1_NS1_11comp_targetILNS1_3genE10ELNS1_11target_archE1200ELNS1_3gpuE4ELNS1_3repE0EEENS1_30default_config_static_selectorELNS0_4arch9wavefront6targetE0EEEvSQ_.num_vgpr, 0
	.set _ZN7rocprim17ROCPRIM_400000_NS6detail17trampoline_kernelINS0_14default_configENS1_22reduce_config_selectorIiEEZNS1_11reduce_implILb1ES3_PiS7_iN6hipcub16HIPCUB_304000_NS6detail34convert_binary_result_type_wrapperINS9_3SumENS9_22TransformInputIteratorIbN2at6native12_GLOBAL__N_19NonZeroOpIaEEPKalEEiEEEE10hipError_tPvRmT1_T2_T3_mT4_P12ihipStream_tbEUlT_E1_NS1_11comp_targetILNS1_3genE10ELNS1_11target_archE1200ELNS1_3gpuE4ELNS1_3repE0EEENS1_30default_config_static_selectorELNS0_4arch9wavefront6targetE0EEEvSQ_.num_agpr, 0
	.set _ZN7rocprim17ROCPRIM_400000_NS6detail17trampoline_kernelINS0_14default_configENS1_22reduce_config_selectorIiEEZNS1_11reduce_implILb1ES3_PiS7_iN6hipcub16HIPCUB_304000_NS6detail34convert_binary_result_type_wrapperINS9_3SumENS9_22TransformInputIteratorIbN2at6native12_GLOBAL__N_19NonZeroOpIaEEPKalEEiEEEE10hipError_tPvRmT1_T2_T3_mT4_P12ihipStream_tbEUlT_E1_NS1_11comp_targetILNS1_3genE10ELNS1_11target_archE1200ELNS1_3gpuE4ELNS1_3repE0EEENS1_30default_config_static_selectorELNS0_4arch9wavefront6targetE0EEEvSQ_.numbered_sgpr, 0
	.set _ZN7rocprim17ROCPRIM_400000_NS6detail17trampoline_kernelINS0_14default_configENS1_22reduce_config_selectorIiEEZNS1_11reduce_implILb1ES3_PiS7_iN6hipcub16HIPCUB_304000_NS6detail34convert_binary_result_type_wrapperINS9_3SumENS9_22TransformInputIteratorIbN2at6native12_GLOBAL__N_19NonZeroOpIaEEPKalEEiEEEE10hipError_tPvRmT1_T2_T3_mT4_P12ihipStream_tbEUlT_E1_NS1_11comp_targetILNS1_3genE10ELNS1_11target_archE1200ELNS1_3gpuE4ELNS1_3repE0EEENS1_30default_config_static_selectorELNS0_4arch9wavefront6targetE0EEEvSQ_.num_named_barrier, 0
	.set _ZN7rocprim17ROCPRIM_400000_NS6detail17trampoline_kernelINS0_14default_configENS1_22reduce_config_selectorIiEEZNS1_11reduce_implILb1ES3_PiS7_iN6hipcub16HIPCUB_304000_NS6detail34convert_binary_result_type_wrapperINS9_3SumENS9_22TransformInputIteratorIbN2at6native12_GLOBAL__N_19NonZeroOpIaEEPKalEEiEEEE10hipError_tPvRmT1_T2_T3_mT4_P12ihipStream_tbEUlT_E1_NS1_11comp_targetILNS1_3genE10ELNS1_11target_archE1200ELNS1_3gpuE4ELNS1_3repE0EEENS1_30default_config_static_selectorELNS0_4arch9wavefront6targetE0EEEvSQ_.private_seg_size, 0
	.set _ZN7rocprim17ROCPRIM_400000_NS6detail17trampoline_kernelINS0_14default_configENS1_22reduce_config_selectorIiEEZNS1_11reduce_implILb1ES3_PiS7_iN6hipcub16HIPCUB_304000_NS6detail34convert_binary_result_type_wrapperINS9_3SumENS9_22TransformInputIteratorIbN2at6native12_GLOBAL__N_19NonZeroOpIaEEPKalEEiEEEE10hipError_tPvRmT1_T2_T3_mT4_P12ihipStream_tbEUlT_E1_NS1_11comp_targetILNS1_3genE10ELNS1_11target_archE1200ELNS1_3gpuE4ELNS1_3repE0EEENS1_30default_config_static_selectorELNS0_4arch9wavefront6targetE0EEEvSQ_.uses_vcc, 0
	.set _ZN7rocprim17ROCPRIM_400000_NS6detail17trampoline_kernelINS0_14default_configENS1_22reduce_config_selectorIiEEZNS1_11reduce_implILb1ES3_PiS7_iN6hipcub16HIPCUB_304000_NS6detail34convert_binary_result_type_wrapperINS9_3SumENS9_22TransformInputIteratorIbN2at6native12_GLOBAL__N_19NonZeroOpIaEEPKalEEiEEEE10hipError_tPvRmT1_T2_T3_mT4_P12ihipStream_tbEUlT_E1_NS1_11comp_targetILNS1_3genE10ELNS1_11target_archE1200ELNS1_3gpuE4ELNS1_3repE0EEENS1_30default_config_static_selectorELNS0_4arch9wavefront6targetE0EEEvSQ_.uses_flat_scratch, 0
	.set _ZN7rocprim17ROCPRIM_400000_NS6detail17trampoline_kernelINS0_14default_configENS1_22reduce_config_selectorIiEEZNS1_11reduce_implILb1ES3_PiS7_iN6hipcub16HIPCUB_304000_NS6detail34convert_binary_result_type_wrapperINS9_3SumENS9_22TransformInputIteratorIbN2at6native12_GLOBAL__N_19NonZeroOpIaEEPKalEEiEEEE10hipError_tPvRmT1_T2_T3_mT4_P12ihipStream_tbEUlT_E1_NS1_11comp_targetILNS1_3genE10ELNS1_11target_archE1200ELNS1_3gpuE4ELNS1_3repE0EEENS1_30default_config_static_selectorELNS0_4arch9wavefront6targetE0EEEvSQ_.has_dyn_sized_stack, 0
	.set _ZN7rocprim17ROCPRIM_400000_NS6detail17trampoline_kernelINS0_14default_configENS1_22reduce_config_selectorIiEEZNS1_11reduce_implILb1ES3_PiS7_iN6hipcub16HIPCUB_304000_NS6detail34convert_binary_result_type_wrapperINS9_3SumENS9_22TransformInputIteratorIbN2at6native12_GLOBAL__N_19NonZeroOpIaEEPKalEEiEEEE10hipError_tPvRmT1_T2_T3_mT4_P12ihipStream_tbEUlT_E1_NS1_11comp_targetILNS1_3genE10ELNS1_11target_archE1200ELNS1_3gpuE4ELNS1_3repE0EEENS1_30default_config_static_selectorELNS0_4arch9wavefront6targetE0EEEvSQ_.has_recursion, 0
	.set _ZN7rocprim17ROCPRIM_400000_NS6detail17trampoline_kernelINS0_14default_configENS1_22reduce_config_selectorIiEEZNS1_11reduce_implILb1ES3_PiS7_iN6hipcub16HIPCUB_304000_NS6detail34convert_binary_result_type_wrapperINS9_3SumENS9_22TransformInputIteratorIbN2at6native12_GLOBAL__N_19NonZeroOpIaEEPKalEEiEEEE10hipError_tPvRmT1_T2_T3_mT4_P12ihipStream_tbEUlT_E1_NS1_11comp_targetILNS1_3genE10ELNS1_11target_archE1200ELNS1_3gpuE4ELNS1_3repE0EEENS1_30default_config_static_selectorELNS0_4arch9wavefront6targetE0EEEvSQ_.has_indirect_call, 0
	.section	.AMDGPU.csdata,"",@progbits
; Kernel info:
; codeLenInByte = 0
; TotalNumSgprs: 0
; NumVgprs: 0
; ScratchSize: 0
; MemoryBound: 0
; FloatMode: 240
; IeeeMode: 1
; LDSByteSize: 0 bytes/workgroup (compile time only)
; SGPRBlocks: 0
; VGPRBlocks: 0
; NumSGPRsForWavesPerEU: 1
; NumVGPRsForWavesPerEU: 1
; Occupancy: 16
; WaveLimiterHint : 0
; COMPUTE_PGM_RSRC2:SCRATCH_EN: 0
; COMPUTE_PGM_RSRC2:USER_SGPR: 2
; COMPUTE_PGM_RSRC2:TRAP_HANDLER: 0
; COMPUTE_PGM_RSRC2:TGID_X_EN: 1
; COMPUTE_PGM_RSRC2:TGID_Y_EN: 0
; COMPUTE_PGM_RSRC2:TGID_Z_EN: 0
; COMPUTE_PGM_RSRC2:TIDIG_COMP_CNT: 0
	.section	.text._ZN7rocprim17ROCPRIM_400000_NS6detail17trampoline_kernelINS0_14default_configENS1_22reduce_config_selectorIiEEZNS1_11reduce_implILb1ES3_PiS7_iN6hipcub16HIPCUB_304000_NS6detail34convert_binary_result_type_wrapperINS9_3SumENS9_22TransformInputIteratorIbN2at6native12_GLOBAL__N_19NonZeroOpIaEEPKalEEiEEEE10hipError_tPvRmT1_T2_T3_mT4_P12ihipStream_tbEUlT_E1_NS1_11comp_targetILNS1_3genE9ELNS1_11target_archE1100ELNS1_3gpuE3ELNS1_3repE0EEENS1_30default_config_static_selectorELNS0_4arch9wavefront6targetE0EEEvSQ_,"axG",@progbits,_ZN7rocprim17ROCPRIM_400000_NS6detail17trampoline_kernelINS0_14default_configENS1_22reduce_config_selectorIiEEZNS1_11reduce_implILb1ES3_PiS7_iN6hipcub16HIPCUB_304000_NS6detail34convert_binary_result_type_wrapperINS9_3SumENS9_22TransformInputIteratorIbN2at6native12_GLOBAL__N_19NonZeroOpIaEEPKalEEiEEEE10hipError_tPvRmT1_T2_T3_mT4_P12ihipStream_tbEUlT_E1_NS1_11comp_targetILNS1_3genE9ELNS1_11target_archE1100ELNS1_3gpuE3ELNS1_3repE0EEENS1_30default_config_static_selectorELNS0_4arch9wavefront6targetE0EEEvSQ_,comdat
	.globl	_ZN7rocprim17ROCPRIM_400000_NS6detail17trampoline_kernelINS0_14default_configENS1_22reduce_config_selectorIiEEZNS1_11reduce_implILb1ES3_PiS7_iN6hipcub16HIPCUB_304000_NS6detail34convert_binary_result_type_wrapperINS9_3SumENS9_22TransformInputIteratorIbN2at6native12_GLOBAL__N_19NonZeroOpIaEEPKalEEiEEEE10hipError_tPvRmT1_T2_T3_mT4_P12ihipStream_tbEUlT_E1_NS1_11comp_targetILNS1_3genE9ELNS1_11target_archE1100ELNS1_3gpuE3ELNS1_3repE0EEENS1_30default_config_static_selectorELNS0_4arch9wavefront6targetE0EEEvSQ_ ; -- Begin function _ZN7rocprim17ROCPRIM_400000_NS6detail17trampoline_kernelINS0_14default_configENS1_22reduce_config_selectorIiEEZNS1_11reduce_implILb1ES3_PiS7_iN6hipcub16HIPCUB_304000_NS6detail34convert_binary_result_type_wrapperINS9_3SumENS9_22TransformInputIteratorIbN2at6native12_GLOBAL__N_19NonZeroOpIaEEPKalEEiEEEE10hipError_tPvRmT1_T2_T3_mT4_P12ihipStream_tbEUlT_E1_NS1_11comp_targetILNS1_3genE9ELNS1_11target_archE1100ELNS1_3gpuE3ELNS1_3repE0EEENS1_30default_config_static_selectorELNS0_4arch9wavefront6targetE0EEEvSQ_
	.p2align	8
	.type	_ZN7rocprim17ROCPRIM_400000_NS6detail17trampoline_kernelINS0_14default_configENS1_22reduce_config_selectorIiEEZNS1_11reduce_implILb1ES3_PiS7_iN6hipcub16HIPCUB_304000_NS6detail34convert_binary_result_type_wrapperINS9_3SumENS9_22TransformInputIteratorIbN2at6native12_GLOBAL__N_19NonZeroOpIaEEPKalEEiEEEE10hipError_tPvRmT1_T2_T3_mT4_P12ihipStream_tbEUlT_E1_NS1_11comp_targetILNS1_3genE9ELNS1_11target_archE1100ELNS1_3gpuE3ELNS1_3repE0EEENS1_30default_config_static_selectorELNS0_4arch9wavefront6targetE0EEEvSQ_,@function
_ZN7rocprim17ROCPRIM_400000_NS6detail17trampoline_kernelINS0_14default_configENS1_22reduce_config_selectorIiEEZNS1_11reduce_implILb1ES3_PiS7_iN6hipcub16HIPCUB_304000_NS6detail34convert_binary_result_type_wrapperINS9_3SumENS9_22TransformInputIteratorIbN2at6native12_GLOBAL__N_19NonZeroOpIaEEPKalEEiEEEE10hipError_tPvRmT1_T2_T3_mT4_P12ihipStream_tbEUlT_E1_NS1_11comp_targetILNS1_3genE9ELNS1_11target_archE1100ELNS1_3gpuE3ELNS1_3repE0EEENS1_30default_config_static_selectorELNS0_4arch9wavefront6targetE0EEEvSQ_: ; @_ZN7rocprim17ROCPRIM_400000_NS6detail17trampoline_kernelINS0_14default_configENS1_22reduce_config_selectorIiEEZNS1_11reduce_implILb1ES3_PiS7_iN6hipcub16HIPCUB_304000_NS6detail34convert_binary_result_type_wrapperINS9_3SumENS9_22TransformInputIteratorIbN2at6native12_GLOBAL__N_19NonZeroOpIaEEPKalEEiEEEE10hipError_tPvRmT1_T2_T3_mT4_P12ihipStream_tbEUlT_E1_NS1_11comp_targetILNS1_3genE9ELNS1_11target_archE1100ELNS1_3gpuE3ELNS1_3repE0EEENS1_30default_config_static_selectorELNS0_4arch9wavefront6targetE0EEEvSQ_
; %bb.0:
	.section	.rodata,"a",@progbits
	.p2align	6, 0x0
	.amdhsa_kernel _ZN7rocprim17ROCPRIM_400000_NS6detail17trampoline_kernelINS0_14default_configENS1_22reduce_config_selectorIiEEZNS1_11reduce_implILb1ES3_PiS7_iN6hipcub16HIPCUB_304000_NS6detail34convert_binary_result_type_wrapperINS9_3SumENS9_22TransformInputIteratorIbN2at6native12_GLOBAL__N_19NonZeroOpIaEEPKalEEiEEEE10hipError_tPvRmT1_T2_T3_mT4_P12ihipStream_tbEUlT_E1_NS1_11comp_targetILNS1_3genE9ELNS1_11target_archE1100ELNS1_3gpuE3ELNS1_3repE0EEENS1_30default_config_static_selectorELNS0_4arch9wavefront6targetE0EEEvSQ_
		.amdhsa_group_segment_fixed_size 0
		.amdhsa_private_segment_fixed_size 0
		.amdhsa_kernarg_size 40
		.amdhsa_user_sgpr_count 2
		.amdhsa_user_sgpr_dispatch_ptr 0
		.amdhsa_user_sgpr_queue_ptr 0
		.amdhsa_user_sgpr_kernarg_segment_ptr 1
		.amdhsa_user_sgpr_dispatch_id 0
		.amdhsa_user_sgpr_private_segment_size 0
		.amdhsa_wavefront_size32 1
		.amdhsa_uses_dynamic_stack 0
		.amdhsa_enable_private_segment 0
		.amdhsa_system_sgpr_workgroup_id_x 1
		.amdhsa_system_sgpr_workgroup_id_y 0
		.amdhsa_system_sgpr_workgroup_id_z 0
		.amdhsa_system_sgpr_workgroup_info 0
		.amdhsa_system_vgpr_workitem_id 0
		.amdhsa_next_free_vgpr 1
		.amdhsa_next_free_sgpr 1
		.amdhsa_reserve_vcc 0
		.amdhsa_float_round_mode_32 0
		.amdhsa_float_round_mode_16_64 0
		.amdhsa_float_denorm_mode_32 3
		.amdhsa_float_denorm_mode_16_64 3
		.amdhsa_fp16_overflow 0
		.amdhsa_workgroup_processor_mode 1
		.amdhsa_memory_ordered 1
		.amdhsa_forward_progress 1
		.amdhsa_inst_pref_size 0
		.amdhsa_round_robin_scheduling 0
		.amdhsa_exception_fp_ieee_invalid_op 0
		.amdhsa_exception_fp_denorm_src 0
		.amdhsa_exception_fp_ieee_div_zero 0
		.amdhsa_exception_fp_ieee_overflow 0
		.amdhsa_exception_fp_ieee_underflow 0
		.amdhsa_exception_fp_ieee_inexact 0
		.amdhsa_exception_int_div_zero 0
	.end_amdhsa_kernel
	.section	.text._ZN7rocprim17ROCPRIM_400000_NS6detail17trampoline_kernelINS0_14default_configENS1_22reduce_config_selectorIiEEZNS1_11reduce_implILb1ES3_PiS7_iN6hipcub16HIPCUB_304000_NS6detail34convert_binary_result_type_wrapperINS9_3SumENS9_22TransformInputIteratorIbN2at6native12_GLOBAL__N_19NonZeroOpIaEEPKalEEiEEEE10hipError_tPvRmT1_T2_T3_mT4_P12ihipStream_tbEUlT_E1_NS1_11comp_targetILNS1_3genE9ELNS1_11target_archE1100ELNS1_3gpuE3ELNS1_3repE0EEENS1_30default_config_static_selectorELNS0_4arch9wavefront6targetE0EEEvSQ_,"axG",@progbits,_ZN7rocprim17ROCPRIM_400000_NS6detail17trampoline_kernelINS0_14default_configENS1_22reduce_config_selectorIiEEZNS1_11reduce_implILb1ES3_PiS7_iN6hipcub16HIPCUB_304000_NS6detail34convert_binary_result_type_wrapperINS9_3SumENS9_22TransformInputIteratorIbN2at6native12_GLOBAL__N_19NonZeroOpIaEEPKalEEiEEEE10hipError_tPvRmT1_T2_T3_mT4_P12ihipStream_tbEUlT_E1_NS1_11comp_targetILNS1_3genE9ELNS1_11target_archE1100ELNS1_3gpuE3ELNS1_3repE0EEENS1_30default_config_static_selectorELNS0_4arch9wavefront6targetE0EEEvSQ_,comdat
.Lfunc_end98:
	.size	_ZN7rocprim17ROCPRIM_400000_NS6detail17trampoline_kernelINS0_14default_configENS1_22reduce_config_selectorIiEEZNS1_11reduce_implILb1ES3_PiS7_iN6hipcub16HIPCUB_304000_NS6detail34convert_binary_result_type_wrapperINS9_3SumENS9_22TransformInputIteratorIbN2at6native12_GLOBAL__N_19NonZeroOpIaEEPKalEEiEEEE10hipError_tPvRmT1_T2_T3_mT4_P12ihipStream_tbEUlT_E1_NS1_11comp_targetILNS1_3genE9ELNS1_11target_archE1100ELNS1_3gpuE3ELNS1_3repE0EEENS1_30default_config_static_selectorELNS0_4arch9wavefront6targetE0EEEvSQ_, .Lfunc_end98-_ZN7rocprim17ROCPRIM_400000_NS6detail17trampoline_kernelINS0_14default_configENS1_22reduce_config_selectorIiEEZNS1_11reduce_implILb1ES3_PiS7_iN6hipcub16HIPCUB_304000_NS6detail34convert_binary_result_type_wrapperINS9_3SumENS9_22TransformInputIteratorIbN2at6native12_GLOBAL__N_19NonZeroOpIaEEPKalEEiEEEE10hipError_tPvRmT1_T2_T3_mT4_P12ihipStream_tbEUlT_E1_NS1_11comp_targetILNS1_3genE9ELNS1_11target_archE1100ELNS1_3gpuE3ELNS1_3repE0EEENS1_30default_config_static_selectorELNS0_4arch9wavefront6targetE0EEEvSQ_
                                        ; -- End function
	.set _ZN7rocprim17ROCPRIM_400000_NS6detail17trampoline_kernelINS0_14default_configENS1_22reduce_config_selectorIiEEZNS1_11reduce_implILb1ES3_PiS7_iN6hipcub16HIPCUB_304000_NS6detail34convert_binary_result_type_wrapperINS9_3SumENS9_22TransformInputIteratorIbN2at6native12_GLOBAL__N_19NonZeroOpIaEEPKalEEiEEEE10hipError_tPvRmT1_T2_T3_mT4_P12ihipStream_tbEUlT_E1_NS1_11comp_targetILNS1_3genE9ELNS1_11target_archE1100ELNS1_3gpuE3ELNS1_3repE0EEENS1_30default_config_static_selectorELNS0_4arch9wavefront6targetE0EEEvSQ_.num_vgpr, 0
	.set _ZN7rocprim17ROCPRIM_400000_NS6detail17trampoline_kernelINS0_14default_configENS1_22reduce_config_selectorIiEEZNS1_11reduce_implILb1ES3_PiS7_iN6hipcub16HIPCUB_304000_NS6detail34convert_binary_result_type_wrapperINS9_3SumENS9_22TransformInputIteratorIbN2at6native12_GLOBAL__N_19NonZeroOpIaEEPKalEEiEEEE10hipError_tPvRmT1_T2_T3_mT4_P12ihipStream_tbEUlT_E1_NS1_11comp_targetILNS1_3genE9ELNS1_11target_archE1100ELNS1_3gpuE3ELNS1_3repE0EEENS1_30default_config_static_selectorELNS0_4arch9wavefront6targetE0EEEvSQ_.num_agpr, 0
	.set _ZN7rocprim17ROCPRIM_400000_NS6detail17trampoline_kernelINS0_14default_configENS1_22reduce_config_selectorIiEEZNS1_11reduce_implILb1ES3_PiS7_iN6hipcub16HIPCUB_304000_NS6detail34convert_binary_result_type_wrapperINS9_3SumENS9_22TransformInputIteratorIbN2at6native12_GLOBAL__N_19NonZeroOpIaEEPKalEEiEEEE10hipError_tPvRmT1_T2_T3_mT4_P12ihipStream_tbEUlT_E1_NS1_11comp_targetILNS1_3genE9ELNS1_11target_archE1100ELNS1_3gpuE3ELNS1_3repE0EEENS1_30default_config_static_selectorELNS0_4arch9wavefront6targetE0EEEvSQ_.numbered_sgpr, 0
	.set _ZN7rocprim17ROCPRIM_400000_NS6detail17trampoline_kernelINS0_14default_configENS1_22reduce_config_selectorIiEEZNS1_11reduce_implILb1ES3_PiS7_iN6hipcub16HIPCUB_304000_NS6detail34convert_binary_result_type_wrapperINS9_3SumENS9_22TransformInputIteratorIbN2at6native12_GLOBAL__N_19NonZeroOpIaEEPKalEEiEEEE10hipError_tPvRmT1_T2_T3_mT4_P12ihipStream_tbEUlT_E1_NS1_11comp_targetILNS1_3genE9ELNS1_11target_archE1100ELNS1_3gpuE3ELNS1_3repE0EEENS1_30default_config_static_selectorELNS0_4arch9wavefront6targetE0EEEvSQ_.num_named_barrier, 0
	.set _ZN7rocprim17ROCPRIM_400000_NS6detail17trampoline_kernelINS0_14default_configENS1_22reduce_config_selectorIiEEZNS1_11reduce_implILb1ES3_PiS7_iN6hipcub16HIPCUB_304000_NS6detail34convert_binary_result_type_wrapperINS9_3SumENS9_22TransformInputIteratorIbN2at6native12_GLOBAL__N_19NonZeroOpIaEEPKalEEiEEEE10hipError_tPvRmT1_T2_T3_mT4_P12ihipStream_tbEUlT_E1_NS1_11comp_targetILNS1_3genE9ELNS1_11target_archE1100ELNS1_3gpuE3ELNS1_3repE0EEENS1_30default_config_static_selectorELNS0_4arch9wavefront6targetE0EEEvSQ_.private_seg_size, 0
	.set _ZN7rocprim17ROCPRIM_400000_NS6detail17trampoline_kernelINS0_14default_configENS1_22reduce_config_selectorIiEEZNS1_11reduce_implILb1ES3_PiS7_iN6hipcub16HIPCUB_304000_NS6detail34convert_binary_result_type_wrapperINS9_3SumENS9_22TransformInputIteratorIbN2at6native12_GLOBAL__N_19NonZeroOpIaEEPKalEEiEEEE10hipError_tPvRmT1_T2_T3_mT4_P12ihipStream_tbEUlT_E1_NS1_11comp_targetILNS1_3genE9ELNS1_11target_archE1100ELNS1_3gpuE3ELNS1_3repE0EEENS1_30default_config_static_selectorELNS0_4arch9wavefront6targetE0EEEvSQ_.uses_vcc, 0
	.set _ZN7rocprim17ROCPRIM_400000_NS6detail17trampoline_kernelINS0_14default_configENS1_22reduce_config_selectorIiEEZNS1_11reduce_implILb1ES3_PiS7_iN6hipcub16HIPCUB_304000_NS6detail34convert_binary_result_type_wrapperINS9_3SumENS9_22TransformInputIteratorIbN2at6native12_GLOBAL__N_19NonZeroOpIaEEPKalEEiEEEE10hipError_tPvRmT1_T2_T3_mT4_P12ihipStream_tbEUlT_E1_NS1_11comp_targetILNS1_3genE9ELNS1_11target_archE1100ELNS1_3gpuE3ELNS1_3repE0EEENS1_30default_config_static_selectorELNS0_4arch9wavefront6targetE0EEEvSQ_.uses_flat_scratch, 0
	.set _ZN7rocprim17ROCPRIM_400000_NS6detail17trampoline_kernelINS0_14default_configENS1_22reduce_config_selectorIiEEZNS1_11reduce_implILb1ES3_PiS7_iN6hipcub16HIPCUB_304000_NS6detail34convert_binary_result_type_wrapperINS9_3SumENS9_22TransformInputIteratorIbN2at6native12_GLOBAL__N_19NonZeroOpIaEEPKalEEiEEEE10hipError_tPvRmT1_T2_T3_mT4_P12ihipStream_tbEUlT_E1_NS1_11comp_targetILNS1_3genE9ELNS1_11target_archE1100ELNS1_3gpuE3ELNS1_3repE0EEENS1_30default_config_static_selectorELNS0_4arch9wavefront6targetE0EEEvSQ_.has_dyn_sized_stack, 0
	.set _ZN7rocprim17ROCPRIM_400000_NS6detail17trampoline_kernelINS0_14default_configENS1_22reduce_config_selectorIiEEZNS1_11reduce_implILb1ES3_PiS7_iN6hipcub16HIPCUB_304000_NS6detail34convert_binary_result_type_wrapperINS9_3SumENS9_22TransformInputIteratorIbN2at6native12_GLOBAL__N_19NonZeroOpIaEEPKalEEiEEEE10hipError_tPvRmT1_T2_T3_mT4_P12ihipStream_tbEUlT_E1_NS1_11comp_targetILNS1_3genE9ELNS1_11target_archE1100ELNS1_3gpuE3ELNS1_3repE0EEENS1_30default_config_static_selectorELNS0_4arch9wavefront6targetE0EEEvSQ_.has_recursion, 0
	.set _ZN7rocprim17ROCPRIM_400000_NS6detail17trampoline_kernelINS0_14default_configENS1_22reduce_config_selectorIiEEZNS1_11reduce_implILb1ES3_PiS7_iN6hipcub16HIPCUB_304000_NS6detail34convert_binary_result_type_wrapperINS9_3SumENS9_22TransformInputIteratorIbN2at6native12_GLOBAL__N_19NonZeroOpIaEEPKalEEiEEEE10hipError_tPvRmT1_T2_T3_mT4_P12ihipStream_tbEUlT_E1_NS1_11comp_targetILNS1_3genE9ELNS1_11target_archE1100ELNS1_3gpuE3ELNS1_3repE0EEENS1_30default_config_static_selectorELNS0_4arch9wavefront6targetE0EEEvSQ_.has_indirect_call, 0
	.section	.AMDGPU.csdata,"",@progbits
; Kernel info:
; codeLenInByte = 0
; TotalNumSgprs: 0
; NumVgprs: 0
; ScratchSize: 0
; MemoryBound: 0
; FloatMode: 240
; IeeeMode: 1
; LDSByteSize: 0 bytes/workgroup (compile time only)
; SGPRBlocks: 0
; VGPRBlocks: 0
; NumSGPRsForWavesPerEU: 1
; NumVGPRsForWavesPerEU: 1
; Occupancy: 16
; WaveLimiterHint : 0
; COMPUTE_PGM_RSRC2:SCRATCH_EN: 0
; COMPUTE_PGM_RSRC2:USER_SGPR: 2
; COMPUTE_PGM_RSRC2:TRAP_HANDLER: 0
; COMPUTE_PGM_RSRC2:TGID_X_EN: 1
; COMPUTE_PGM_RSRC2:TGID_Y_EN: 0
; COMPUTE_PGM_RSRC2:TGID_Z_EN: 0
; COMPUTE_PGM_RSRC2:TIDIG_COMP_CNT: 0
	.section	.text._ZN7rocprim17ROCPRIM_400000_NS6detail17trampoline_kernelINS0_14default_configENS1_22reduce_config_selectorIiEEZNS1_11reduce_implILb1ES3_PiS7_iN6hipcub16HIPCUB_304000_NS6detail34convert_binary_result_type_wrapperINS9_3SumENS9_22TransformInputIteratorIbN2at6native12_GLOBAL__N_19NonZeroOpIaEEPKalEEiEEEE10hipError_tPvRmT1_T2_T3_mT4_P12ihipStream_tbEUlT_E1_NS1_11comp_targetILNS1_3genE8ELNS1_11target_archE1030ELNS1_3gpuE2ELNS1_3repE0EEENS1_30default_config_static_selectorELNS0_4arch9wavefront6targetE0EEEvSQ_,"axG",@progbits,_ZN7rocprim17ROCPRIM_400000_NS6detail17trampoline_kernelINS0_14default_configENS1_22reduce_config_selectorIiEEZNS1_11reduce_implILb1ES3_PiS7_iN6hipcub16HIPCUB_304000_NS6detail34convert_binary_result_type_wrapperINS9_3SumENS9_22TransformInputIteratorIbN2at6native12_GLOBAL__N_19NonZeroOpIaEEPKalEEiEEEE10hipError_tPvRmT1_T2_T3_mT4_P12ihipStream_tbEUlT_E1_NS1_11comp_targetILNS1_3genE8ELNS1_11target_archE1030ELNS1_3gpuE2ELNS1_3repE0EEENS1_30default_config_static_selectorELNS0_4arch9wavefront6targetE0EEEvSQ_,comdat
	.globl	_ZN7rocprim17ROCPRIM_400000_NS6detail17trampoline_kernelINS0_14default_configENS1_22reduce_config_selectorIiEEZNS1_11reduce_implILb1ES3_PiS7_iN6hipcub16HIPCUB_304000_NS6detail34convert_binary_result_type_wrapperINS9_3SumENS9_22TransformInputIteratorIbN2at6native12_GLOBAL__N_19NonZeroOpIaEEPKalEEiEEEE10hipError_tPvRmT1_T2_T3_mT4_P12ihipStream_tbEUlT_E1_NS1_11comp_targetILNS1_3genE8ELNS1_11target_archE1030ELNS1_3gpuE2ELNS1_3repE0EEENS1_30default_config_static_selectorELNS0_4arch9wavefront6targetE0EEEvSQ_ ; -- Begin function _ZN7rocprim17ROCPRIM_400000_NS6detail17trampoline_kernelINS0_14default_configENS1_22reduce_config_selectorIiEEZNS1_11reduce_implILb1ES3_PiS7_iN6hipcub16HIPCUB_304000_NS6detail34convert_binary_result_type_wrapperINS9_3SumENS9_22TransformInputIteratorIbN2at6native12_GLOBAL__N_19NonZeroOpIaEEPKalEEiEEEE10hipError_tPvRmT1_T2_T3_mT4_P12ihipStream_tbEUlT_E1_NS1_11comp_targetILNS1_3genE8ELNS1_11target_archE1030ELNS1_3gpuE2ELNS1_3repE0EEENS1_30default_config_static_selectorELNS0_4arch9wavefront6targetE0EEEvSQ_
	.p2align	8
	.type	_ZN7rocprim17ROCPRIM_400000_NS6detail17trampoline_kernelINS0_14default_configENS1_22reduce_config_selectorIiEEZNS1_11reduce_implILb1ES3_PiS7_iN6hipcub16HIPCUB_304000_NS6detail34convert_binary_result_type_wrapperINS9_3SumENS9_22TransformInputIteratorIbN2at6native12_GLOBAL__N_19NonZeroOpIaEEPKalEEiEEEE10hipError_tPvRmT1_T2_T3_mT4_P12ihipStream_tbEUlT_E1_NS1_11comp_targetILNS1_3genE8ELNS1_11target_archE1030ELNS1_3gpuE2ELNS1_3repE0EEENS1_30default_config_static_selectorELNS0_4arch9wavefront6targetE0EEEvSQ_,@function
_ZN7rocprim17ROCPRIM_400000_NS6detail17trampoline_kernelINS0_14default_configENS1_22reduce_config_selectorIiEEZNS1_11reduce_implILb1ES3_PiS7_iN6hipcub16HIPCUB_304000_NS6detail34convert_binary_result_type_wrapperINS9_3SumENS9_22TransformInputIteratorIbN2at6native12_GLOBAL__N_19NonZeroOpIaEEPKalEEiEEEE10hipError_tPvRmT1_T2_T3_mT4_P12ihipStream_tbEUlT_E1_NS1_11comp_targetILNS1_3genE8ELNS1_11target_archE1030ELNS1_3gpuE2ELNS1_3repE0EEENS1_30default_config_static_selectorELNS0_4arch9wavefront6targetE0EEEvSQ_: ; @_ZN7rocprim17ROCPRIM_400000_NS6detail17trampoline_kernelINS0_14default_configENS1_22reduce_config_selectorIiEEZNS1_11reduce_implILb1ES3_PiS7_iN6hipcub16HIPCUB_304000_NS6detail34convert_binary_result_type_wrapperINS9_3SumENS9_22TransformInputIteratorIbN2at6native12_GLOBAL__N_19NonZeroOpIaEEPKalEEiEEEE10hipError_tPvRmT1_T2_T3_mT4_P12ihipStream_tbEUlT_E1_NS1_11comp_targetILNS1_3genE8ELNS1_11target_archE1030ELNS1_3gpuE2ELNS1_3repE0EEENS1_30default_config_static_selectorELNS0_4arch9wavefront6targetE0EEEvSQ_
; %bb.0:
	.section	.rodata,"a",@progbits
	.p2align	6, 0x0
	.amdhsa_kernel _ZN7rocprim17ROCPRIM_400000_NS6detail17trampoline_kernelINS0_14default_configENS1_22reduce_config_selectorIiEEZNS1_11reduce_implILb1ES3_PiS7_iN6hipcub16HIPCUB_304000_NS6detail34convert_binary_result_type_wrapperINS9_3SumENS9_22TransformInputIteratorIbN2at6native12_GLOBAL__N_19NonZeroOpIaEEPKalEEiEEEE10hipError_tPvRmT1_T2_T3_mT4_P12ihipStream_tbEUlT_E1_NS1_11comp_targetILNS1_3genE8ELNS1_11target_archE1030ELNS1_3gpuE2ELNS1_3repE0EEENS1_30default_config_static_selectorELNS0_4arch9wavefront6targetE0EEEvSQ_
		.amdhsa_group_segment_fixed_size 0
		.amdhsa_private_segment_fixed_size 0
		.amdhsa_kernarg_size 40
		.amdhsa_user_sgpr_count 2
		.amdhsa_user_sgpr_dispatch_ptr 0
		.amdhsa_user_sgpr_queue_ptr 0
		.amdhsa_user_sgpr_kernarg_segment_ptr 1
		.amdhsa_user_sgpr_dispatch_id 0
		.amdhsa_user_sgpr_private_segment_size 0
		.amdhsa_wavefront_size32 1
		.amdhsa_uses_dynamic_stack 0
		.amdhsa_enable_private_segment 0
		.amdhsa_system_sgpr_workgroup_id_x 1
		.amdhsa_system_sgpr_workgroup_id_y 0
		.amdhsa_system_sgpr_workgroup_id_z 0
		.amdhsa_system_sgpr_workgroup_info 0
		.amdhsa_system_vgpr_workitem_id 0
		.amdhsa_next_free_vgpr 1
		.amdhsa_next_free_sgpr 1
		.amdhsa_reserve_vcc 0
		.amdhsa_float_round_mode_32 0
		.amdhsa_float_round_mode_16_64 0
		.amdhsa_float_denorm_mode_32 3
		.amdhsa_float_denorm_mode_16_64 3
		.amdhsa_fp16_overflow 0
		.amdhsa_workgroup_processor_mode 1
		.amdhsa_memory_ordered 1
		.amdhsa_forward_progress 1
		.amdhsa_inst_pref_size 0
		.amdhsa_round_robin_scheduling 0
		.amdhsa_exception_fp_ieee_invalid_op 0
		.amdhsa_exception_fp_denorm_src 0
		.amdhsa_exception_fp_ieee_div_zero 0
		.amdhsa_exception_fp_ieee_overflow 0
		.amdhsa_exception_fp_ieee_underflow 0
		.amdhsa_exception_fp_ieee_inexact 0
		.amdhsa_exception_int_div_zero 0
	.end_amdhsa_kernel
	.section	.text._ZN7rocprim17ROCPRIM_400000_NS6detail17trampoline_kernelINS0_14default_configENS1_22reduce_config_selectorIiEEZNS1_11reduce_implILb1ES3_PiS7_iN6hipcub16HIPCUB_304000_NS6detail34convert_binary_result_type_wrapperINS9_3SumENS9_22TransformInputIteratorIbN2at6native12_GLOBAL__N_19NonZeroOpIaEEPKalEEiEEEE10hipError_tPvRmT1_T2_T3_mT4_P12ihipStream_tbEUlT_E1_NS1_11comp_targetILNS1_3genE8ELNS1_11target_archE1030ELNS1_3gpuE2ELNS1_3repE0EEENS1_30default_config_static_selectorELNS0_4arch9wavefront6targetE0EEEvSQ_,"axG",@progbits,_ZN7rocprim17ROCPRIM_400000_NS6detail17trampoline_kernelINS0_14default_configENS1_22reduce_config_selectorIiEEZNS1_11reduce_implILb1ES3_PiS7_iN6hipcub16HIPCUB_304000_NS6detail34convert_binary_result_type_wrapperINS9_3SumENS9_22TransformInputIteratorIbN2at6native12_GLOBAL__N_19NonZeroOpIaEEPKalEEiEEEE10hipError_tPvRmT1_T2_T3_mT4_P12ihipStream_tbEUlT_E1_NS1_11comp_targetILNS1_3genE8ELNS1_11target_archE1030ELNS1_3gpuE2ELNS1_3repE0EEENS1_30default_config_static_selectorELNS0_4arch9wavefront6targetE0EEEvSQ_,comdat
.Lfunc_end99:
	.size	_ZN7rocprim17ROCPRIM_400000_NS6detail17trampoline_kernelINS0_14default_configENS1_22reduce_config_selectorIiEEZNS1_11reduce_implILb1ES3_PiS7_iN6hipcub16HIPCUB_304000_NS6detail34convert_binary_result_type_wrapperINS9_3SumENS9_22TransformInputIteratorIbN2at6native12_GLOBAL__N_19NonZeroOpIaEEPKalEEiEEEE10hipError_tPvRmT1_T2_T3_mT4_P12ihipStream_tbEUlT_E1_NS1_11comp_targetILNS1_3genE8ELNS1_11target_archE1030ELNS1_3gpuE2ELNS1_3repE0EEENS1_30default_config_static_selectorELNS0_4arch9wavefront6targetE0EEEvSQ_, .Lfunc_end99-_ZN7rocprim17ROCPRIM_400000_NS6detail17trampoline_kernelINS0_14default_configENS1_22reduce_config_selectorIiEEZNS1_11reduce_implILb1ES3_PiS7_iN6hipcub16HIPCUB_304000_NS6detail34convert_binary_result_type_wrapperINS9_3SumENS9_22TransformInputIteratorIbN2at6native12_GLOBAL__N_19NonZeroOpIaEEPKalEEiEEEE10hipError_tPvRmT1_T2_T3_mT4_P12ihipStream_tbEUlT_E1_NS1_11comp_targetILNS1_3genE8ELNS1_11target_archE1030ELNS1_3gpuE2ELNS1_3repE0EEENS1_30default_config_static_selectorELNS0_4arch9wavefront6targetE0EEEvSQ_
                                        ; -- End function
	.set _ZN7rocprim17ROCPRIM_400000_NS6detail17trampoline_kernelINS0_14default_configENS1_22reduce_config_selectorIiEEZNS1_11reduce_implILb1ES3_PiS7_iN6hipcub16HIPCUB_304000_NS6detail34convert_binary_result_type_wrapperINS9_3SumENS9_22TransformInputIteratorIbN2at6native12_GLOBAL__N_19NonZeroOpIaEEPKalEEiEEEE10hipError_tPvRmT1_T2_T3_mT4_P12ihipStream_tbEUlT_E1_NS1_11comp_targetILNS1_3genE8ELNS1_11target_archE1030ELNS1_3gpuE2ELNS1_3repE0EEENS1_30default_config_static_selectorELNS0_4arch9wavefront6targetE0EEEvSQ_.num_vgpr, 0
	.set _ZN7rocprim17ROCPRIM_400000_NS6detail17trampoline_kernelINS0_14default_configENS1_22reduce_config_selectorIiEEZNS1_11reduce_implILb1ES3_PiS7_iN6hipcub16HIPCUB_304000_NS6detail34convert_binary_result_type_wrapperINS9_3SumENS9_22TransformInputIteratorIbN2at6native12_GLOBAL__N_19NonZeroOpIaEEPKalEEiEEEE10hipError_tPvRmT1_T2_T3_mT4_P12ihipStream_tbEUlT_E1_NS1_11comp_targetILNS1_3genE8ELNS1_11target_archE1030ELNS1_3gpuE2ELNS1_3repE0EEENS1_30default_config_static_selectorELNS0_4arch9wavefront6targetE0EEEvSQ_.num_agpr, 0
	.set _ZN7rocprim17ROCPRIM_400000_NS6detail17trampoline_kernelINS0_14default_configENS1_22reduce_config_selectorIiEEZNS1_11reduce_implILb1ES3_PiS7_iN6hipcub16HIPCUB_304000_NS6detail34convert_binary_result_type_wrapperINS9_3SumENS9_22TransformInputIteratorIbN2at6native12_GLOBAL__N_19NonZeroOpIaEEPKalEEiEEEE10hipError_tPvRmT1_T2_T3_mT4_P12ihipStream_tbEUlT_E1_NS1_11comp_targetILNS1_3genE8ELNS1_11target_archE1030ELNS1_3gpuE2ELNS1_3repE0EEENS1_30default_config_static_selectorELNS0_4arch9wavefront6targetE0EEEvSQ_.numbered_sgpr, 0
	.set _ZN7rocprim17ROCPRIM_400000_NS6detail17trampoline_kernelINS0_14default_configENS1_22reduce_config_selectorIiEEZNS1_11reduce_implILb1ES3_PiS7_iN6hipcub16HIPCUB_304000_NS6detail34convert_binary_result_type_wrapperINS9_3SumENS9_22TransformInputIteratorIbN2at6native12_GLOBAL__N_19NonZeroOpIaEEPKalEEiEEEE10hipError_tPvRmT1_T2_T3_mT4_P12ihipStream_tbEUlT_E1_NS1_11comp_targetILNS1_3genE8ELNS1_11target_archE1030ELNS1_3gpuE2ELNS1_3repE0EEENS1_30default_config_static_selectorELNS0_4arch9wavefront6targetE0EEEvSQ_.num_named_barrier, 0
	.set _ZN7rocprim17ROCPRIM_400000_NS6detail17trampoline_kernelINS0_14default_configENS1_22reduce_config_selectorIiEEZNS1_11reduce_implILb1ES3_PiS7_iN6hipcub16HIPCUB_304000_NS6detail34convert_binary_result_type_wrapperINS9_3SumENS9_22TransformInputIteratorIbN2at6native12_GLOBAL__N_19NonZeroOpIaEEPKalEEiEEEE10hipError_tPvRmT1_T2_T3_mT4_P12ihipStream_tbEUlT_E1_NS1_11comp_targetILNS1_3genE8ELNS1_11target_archE1030ELNS1_3gpuE2ELNS1_3repE0EEENS1_30default_config_static_selectorELNS0_4arch9wavefront6targetE0EEEvSQ_.private_seg_size, 0
	.set _ZN7rocprim17ROCPRIM_400000_NS6detail17trampoline_kernelINS0_14default_configENS1_22reduce_config_selectorIiEEZNS1_11reduce_implILb1ES3_PiS7_iN6hipcub16HIPCUB_304000_NS6detail34convert_binary_result_type_wrapperINS9_3SumENS9_22TransformInputIteratorIbN2at6native12_GLOBAL__N_19NonZeroOpIaEEPKalEEiEEEE10hipError_tPvRmT1_T2_T3_mT4_P12ihipStream_tbEUlT_E1_NS1_11comp_targetILNS1_3genE8ELNS1_11target_archE1030ELNS1_3gpuE2ELNS1_3repE0EEENS1_30default_config_static_selectorELNS0_4arch9wavefront6targetE0EEEvSQ_.uses_vcc, 0
	.set _ZN7rocprim17ROCPRIM_400000_NS6detail17trampoline_kernelINS0_14default_configENS1_22reduce_config_selectorIiEEZNS1_11reduce_implILb1ES3_PiS7_iN6hipcub16HIPCUB_304000_NS6detail34convert_binary_result_type_wrapperINS9_3SumENS9_22TransformInputIteratorIbN2at6native12_GLOBAL__N_19NonZeroOpIaEEPKalEEiEEEE10hipError_tPvRmT1_T2_T3_mT4_P12ihipStream_tbEUlT_E1_NS1_11comp_targetILNS1_3genE8ELNS1_11target_archE1030ELNS1_3gpuE2ELNS1_3repE0EEENS1_30default_config_static_selectorELNS0_4arch9wavefront6targetE0EEEvSQ_.uses_flat_scratch, 0
	.set _ZN7rocprim17ROCPRIM_400000_NS6detail17trampoline_kernelINS0_14default_configENS1_22reduce_config_selectorIiEEZNS1_11reduce_implILb1ES3_PiS7_iN6hipcub16HIPCUB_304000_NS6detail34convert_binary_result_type_wrapperINS9_3SumENS9_22TransformInputIteratorIbN2at6native12_GLOBAL__N_19NonZeroOpIaEEPKalEEiEEEE10hipError_tPvRmT1_T2_T3_mT4_P12ihipStream_tbEUlT_E1_NS1_11comp_targetILNS1_3genE8ELNS1_11target_archE1030ELNS1_3gpuE2ELNS1_3repE0EEENS1_30default_config_static_selectorELNS0_4arch9wavefront6targetE0EEEvSQ_.has_dyn_sized_stack, 0
	.set _ZN7rocprim17ROCPRIM_400000_NS6detail17trampoline_kernelINS0_14default_configENS1_22reduce_config_selectorIiEEZNS1_11reduce_implILb1ES3_PiS7_iN6hipcub16HIPCUB_304000_NS6detail34convert_binary_result_type_wrapperINS9_3SumENS9_22TransformInputIteratorIbN2at6native12_GLOBAL__N_19NonZeroOpIaEEPKalEEiEEEE10hipError_tPvRmT1_T2_T3_mT4_P12ihipStream_tbEUlT_E1_NS1_11comp_targetILNS1_3genE8ELNS1_11target_archE1030ELNS1_3gpuE2ELNS1_3repE0EEENS1_30default_config_static_selectorELNS0_4arch9wavefront6targetE0EEEvSQ_.has_recursion, 0
	.set _ZN7rocprim17ROCPRIM_400000_NS6detail17trampoline_kernelINS0_14default_configENS1_22reduce_config_selectorIiEEZNS1_11reduce_implILb1ES3_PiS7_iN6hipcub16HIPCUB_304000_NS6detail34convert_binary_result_type_wrapperINS9_3SumENS9_22TransformInputIteratorIbN2at6native12_GLOBAL__N_19NonZeroOpIaEEPKalEEiEEEE10hipError_tPvRmT1_T2_T3_mT4_P12ihipStream_tbEUlT_E1_NS1_11comp_targetILNS1_3genE8ELNS1_11target_archE1030ELNS1_3gpuE2ELNS1_3repE0EEENS1_30default_config_static_selectorELNS0_4arch9wavefront6targetE0EEEvSQ_.has_indirect_call, 0
	.section	.AMDGPU.csdata,"",@progbits
; Kernel info:
; codeLenInByte = 0
; TotalNumSgprs: 0
; NumVgprs: 0
; ScratchSize: 0
; MemoryBound: 0
; FloatMode: 240
; IeeeMode: 1
; LDSByteSize: 0 bytes/workgroup (compile time only)
; SGPRBlocks: 0
; VGPRBlocks: 0
; NumSGPRsForWavesPerEU: 1
; NumVGPRsForWavesPerEU: 1
; Occupancy: 16
; WaveLimiterHint : 0
; COMPUTE_PGM_RSRC2:SCRATCH_EN: 0
; COMPUTE_PGM_RSRC2:USER_SGPR: 2
; COMPUTE_PGM_RSRC2:TRAP_HANDLER: 0
; COMPUTE_PGM_RSRC2:TGID_X_EN: 1
; COMPUTE_PGM_RSRC2:TGID_Y_EN: 0
; COMPUTE_PGM_RSRC2:TGID_Z_EN: 0
; COMPUTE_PGM_RSRC2:TIDIG_COMP_CNT: 0
	.section	.text._ZN7rocprim17ROCPRIM_400000_NS6detail17trampoline_kernelINS0_14default_configENS1_22reduce_config_selectorIbEEZNS1_11reduce_implILb1ES3_N6hipcub16HIPCUB_304000_NS22TransformInputIteratorIbN2at6native12_GLOBAL__N_19NonZeroOpIaEEPKalEEPiiNS8_6detail34convert_binary_result_type_wrapperINS8_3SumESH_iEEEE10hipError_tPvRmT1_T2_T3_mT4_P12ihipStream_tbEUlT_E0_NS1_11comp_targetILNS1_3genE0ELNS1_11target_archE4294967295ELNS1_3gpuE0ELNS1_3repE0EEENS1_30default_config_static_selectorELNS0_4arch9wavefront6targetE0EEEvSQ_,"axG",@progbits,_ZN7rocprim17ROCPRIM_400000_NS6detail17trampoline_kernelINS0_14default_configENS1_22reduce_config_selectorIbEEZNS1_11reduce_implILb1ES3_N6hipcub16HIPCUB_304000_NS22TransformInputIteratorIbN2at6native12_GLOBAL__N_19NonZeroOpIaEEPKalEEPiiNS8_6detail34convert_binary_result_type_wrapperINS8_3SumESH_iEEEE10hipError_tPvRmT1_T2_T3_mT4_P12ihipStream_tbEUlT_E0_NS1_11comp_targetILNS1_3genE0ELNS1_11target_archE4294967295ELNS1_3gpuE0ELNS1_3repE0EEENS1_30default_config_static_selectorELNS0_4arch9wavefront6targetE0EEEvSQ_,comdat
	.globl	_ZN7rocprim17ROCPRIM_400000_NS6detail17trampoline_kernelINS0_14default_configENS1_22reduce_config_selectorIbEEZNS1_11reduce_implILb1ES3_N6hipcub16HIPCUB_304000_NS22TransformInputIteratorIbN2at6native12_GLOBAL__N_19NonZeroOpIaEEPKalEEPiiNS8_6detail34convert_binary_result_type_wrapperINS8_3SumESH_iEEEE10hipError_tPvRmT1_T2_T3_mT4_P12ihipStream_tbEUlT_E0_NS1_11comp_targetILNS1_3genE0ELNS1_11target_archE4294967295ELNS1_3gpuE0ELNS1_3repE0EEENS1_30default_config_static_selectorELNS0_4arch9wavefront6targetE0EEEvSQ_ ; -- Begin function _ZN7rocprim17ROCPRIM_400000_NS6detail17trampoline_kernelINS0_14default_configENS1_22reduce_config_selectorIbEEZNS1_11reduce_implILb1ES3_N6hipcub16HIPCUB_304000_NS22TransformInputIteratorIbN2at6native12_GLOBAL__N_19NonZeroOpIaEEPKalEEPiiNS8_6detail34convert_binary_result_type_wrapperINS8_3SumESH_iEEEE10hipError_tPvRmT1_T2_T3_mT4_P12ihipStream_tbEUlT_E0_NS1_11comp_targetILNS1_3genE0ELNS1_11target_archE4294967295ELNS1_3gpuE0ELNS1_3repE0EEENS1_30default_config_static_selectorELNS0_4arch9wavefront6targetE0EEEvSQ_
	.p2align	8
	.type	_ZN7rocprim17ROCPRIM_400000_NS6detail17trampoline_kernelINS0_14default_configENS1_22reduce_config_selectorIbEEZNS1_11reduce_implILb1ES3_N6hipcub16HIPCUB_304000_NS22TransformInputIteratorIbN2at6native12_GLOBAL__N_19NonZeroOpIaEEPKalEEPiiNS8_6detail34convert_binary_result_type_wrapperINS8_3SumESH_iEEEE10hipError_tPvRmT1_T2_T3_mT4_P12ihipStream_tbEUlT_E0_NS1_11comp_targetILNS1_3genE0ELNS1_11target_archE4294967295ELNS1_3gpuE0ELNS1_3repE0EEENS1_30default_config_static_selectorELNS0_4arch9wavefront6targetE0EEEvSQ_,@function
_ZN7rocprim17ROCPRIM_400000_NS6detail17trampoline_kernelINS0_14default_configENS1_22reduce_config_selectorIbEEZNS1_11reduce_implILb1ES3_N6hipcub16HIPCUB_304000_NS22TransformInputIteratorIbN2at6native12_GLOBAL__N_19NonZeroOpIaEEPKalEEPiiNS8_6detail34convert_binary_result_type_wrapperINS8_3SumESH_iEEEE10hipError_tPvRmT1_T2_T3_mT4_P12ihipStream_tbEUlT_E0_NS1_11comp_targetILNS1_3genE0ELNS1_11target_archE4294967295ELNS1_3gpuE0ELNS1_3repE0EEENS1_30default_config_static_selectorELNS0_4arch9wavefront6targetE0EEEvSQ_: ; @_ZN7rocprim17ROCPRIM_400000_NS6detail17trampoline_kernelINS0_14default_configENS1_22reduce_config_selectorIbEEZNS1_11reduce_implILb1ES3_N6hipcub16HIPCUB_304000_NS22TransformInputIteratorIbN2at6native12_GLOBAL__N_19NonZeroOpIaEEPKalEEPiiNS8_6detail34convert_binary_result_type_wrapperINS8_3SumESH_iEEEE10hipError_tPvRmT1_T2_T3_mT4_P12ihipStream_tbEUlT_E0_NS1_11comp_targetILNS1_3genE0ELNS1_11target_archE4294967295ELNS1_3gpuE0ELNS1_3repE0EEENS1_30default_config_static_selectorELNS0_4arch9wavefront6targetE0EEEvSQ_
; %bb.0:
	.section	.rodata,"a",@progbits
	.p2align	6, 0x0
	.amdhsa_kernel _ZN7rocprim17ROCPRIM_400000_NS6detail17trampoline_kernelINS0_14default_configENS1_22reduce_config_selectorIbEEZNS1_11reduce_implILb1ES3_N6hipcub16HIPCUB_304000_NS22TransformInputIteratorIbN2at6native12_GLOBAL__N_19NonZeroOpIaEEPKalEEPiiNS8_6detail34convert_binary_result_type_wrapperINS8_3SumESH_iEEEE10hipError_tPvRmT1_T2_T3_mT4_P12ihipStream_tbEUlT_E0_NS1_11comp_targetILNS1_3genE0ELNS1_11target_archE4294967295ELNS1_3gpuE0ELNS1_3repE0EEENS1_30default_config_static_selectorELNS0_4arch9wavefront6targetE0EEEvSQ_
		.amdhsa_group_segment_fixed_size 0
		.amdhsa_private_segment_fixed_size 0
		.amdhsa_kernarg_size 64
		.amdhsa_user_sgpr_count 2
		.amdhsa_user_sgpr_dispatch_ptr 0
		.amdhsa_user_sgpr_queue_ptr 0
		.amdhsa_user_sgpr_kernarg_segment_ptr 1
		.amdhsa_user_sgpr_dispatch_id 0
		.amdhsa_user_sgpr_private_segment_size 0
		.amdhsa_wavefront_size32 1
		.amdhsa_uses_dynamic_stack 0
		.amdhsa_enable_private_segment 0
		.amdhsa_system_sgpr_workgroup_id_x 1
		.amdhsa_system_sgpr_workgroup_id_y 0
		.amdhsa_system_sgpr_workgroup_id_z 0
		.amdhsa_system_sgpr_workgroup_info 0
		.amdhsa_system_vgpr_workitem_id 0
		.amdhsa_next_free_vgpr 1
		.amdhsa_next_free_sgpr 1
		.amdhsa_reserve_vcc 0
		.amdhsa_float_round_mode_32 0
		.amdhsa_float_round_mode_16_64 0
		.amdhsa_float_denorm_mode_32 3
		.amdhsa_float_denorm_mode_16_64 3
		.amdhsa_fp16_overflow 0
		.amdhsa_workgroup_processor_mode 1
		.amdhsa_memory_ordered 1
		.amdhsa_forward_progress 1
		.amdhsa_inst_pref_size 0
		.amdhsa_round_robin_scheduling 0
		.amdhsa_exception_fp_ieee_invalid_op 0
		.amdhsa_exception_fp_denorm_src 0
		.amdhsa_exception_fp_ieee_div_zero 0
		.amdhsa_exception_fp_ieee_overflow 0
		.amdhsa_exception_fp_ieee_underflow 0
		.amdhsa_exception_fp_ieee_inexact 0
		.amdhsa_exception_int_div_zero 0
	.end_amdhsa_kernel
	.section	.text._ZN7rocprim17ROCPRIM_400000_NS6detail17trampoline_kernelINS0_14default_configENS1_22reduce_config_selectorIbEEZNS1_11reduce_implILb1ES3_N6hipcub16HIPCUB_304000_NS22TransformInputIteratorIbN2at6native12_GLOBAL__N_19NonZeroOpIaEEPKalEEPiiNS8_6detail34convert_binary_result_type_wrapperINS8_3SumESH_iEEEE10hipError_tPvRmT1_T2_T3_mT4_P12ihipStream_tbEUlT_E0_NS1_11comp_targetILNS1_3genE0ELNS1_11target_archE4294967295ELNS1_3gpuE0ELNS1_3repE0EEENS1_30default_config_static_selectorELNS0_4arch9wavefront6targetE0EEEvSQ_,"axG",@progbits,_ZN7rocprim17ROCPRIM_400000_NS6detail17trampoline_kernelINS0_14default_configENS1_22reduce_config_selectorIbEEZNS1_11reduce_implILb1ES3_N6hipcub16HIPCUB_304000_NS22TransformInputIteratorIbN2at6native12_GLOBAL__N_19NonZeroOpIaEEPKalEEPiiNS8_6detail34convert_binary_result_type_wrapperINS8_3SumESH_iEEEE10hipError_tPvRmT1_T2_T3_mT4_P12ihipStream_tbEUlT_E0_NS1_11comp_targetILNS1_3genE0ELNS1_11target_archE4294967295ELNS1_3gpuE0ELNS1_3repE0EEENS1_30default_config_static_selectorELNS0_4arch9wavefront6targetE0EEEvSQ_,comdat
.Lfunc_end100:
	.size	_ZN7rocprim17ROCPRIM_400000_NS6detail17trampoline_kernelINS0_14default_configENS1_22reduce_config_selectorIbEEZNS1_11reduce_implILb1ES3_N6hipcub16HIPCUB_304000_NS22TransformInputIteratorIbN2at6native12_GLOBAL__N_19NonZeroOpIaEEPKalEEPiiNS8_6detail34convert_binary_result_type_wrapperINS8_3SumESH_iEEEE10hipError_tPvRmT1_T2_T3_mT4_P12ihipStream_tbEUlT_E0_NS1_11comp_targetILNS1_3genE0ELNS1_11target_archE4294967295ELNS1_3gpuE0ELNS1_3repE0EEENS1_30default_config_static_selectorELNS0_4arch9wavefront6targetE0EEEvSQ_, .Lfunc_end100-_ZN7rocprim17ROCPRIM_400000_NS6detail17trampoline_kernelINS0_14default_configENS1_22reduce_config_selectorIbEEZNS1_11reduce_implILb1ES3_N6hipcub16HIPCUB_304000_NS22TransformInputIteratorIbN2at6native12_GLOBAL__N_19NonZeroOpIaEEPKalEEPiiNS8_6detail34convert_binary_result_type_wrapperINS8_3SumESH_iEEEE10hipError_tPvRmT1_T2_T3_mT4_P12ihipStream_tbEUlT_E0_NS1_11comp_targetILNS1_3genE0ELNS1_11target_archE4294967295ELNS1_3gpuE0ELNS1_3repE0EEENS1_30default_config_static_selectorELNS0_4arch9wavefront6targetE0EEEvSQ_
                                        ; -- End function
	.set _ZN7rocprim17ROCPRIM_400000_NS6detail17trampoline_kernelINS0_14default_configENS1_22reduce_config_selectorIbEEZNS1_11reduce_implILb1ES3_N6hipcub16HIPCUB_304000_NS22TransformInputIteratorIbN2at6native12_GLOBAL__N_19NonZeroOpIaEEPKalEEPiiNS8_6detail34convert_binary_result_type_wrapperINS8_3SumESH_iEEEE10hipError_tPvRmT1_T2_T3_mT4_P12ihipStream_tbEUlT_E0_NS1_11comp_targetILNS1_3genE0ELNS1_11target_archE4294967295ELNS1_3gpuE0ELNS1_3repE0EEENS1_30default_config_static_selectorELNS0_4arch9wavefront6targetE0EEEvSQ_.num_vgpr, 0
	.set _ZN7rocprim17ROCPRIM_400000_NS6detail17trampoline_kernelINS0_14default_configENS1_22reduce_config_selectorIbEEZNS1_11reduce_implILb1ES3_N6hipcub16HIPCUB_304000_NS22TransformInputIteratorIbN2at6native12_GLOBAL__N_19NonZeroOpIaEEPKalEEPiiNS8_6detail34convert_binary_result_type_wrapperINS8_3SumESH_iEEEE10hipError_tPvRmT1_T2_T3_mT4_P12ihipStream_tbEUlT_E0_NS1_11comp_targetILNS1_3genE0ELNS1_11target_archE4294967295ELNS1_3gpuE0ELNS1_3repE0EEENS1_30default_config_static_selectorELNS0_4arch9wavefront6targetE0EEEvSQ_.num_agpr, 0
	.set _ZN7rocprim17ROCPRIM_400000_NS6detail17trampoline_kernelINS0_14default_configENS1_22reduce_config_selectorIbEEZNS1_11reduce_implILb1ES3_N6hipcub16HIPCUB_304000_NS22TransformInputIteratorIbN2at6native12_GLOBAL__N_19NonZeroOpIaEEPKalEEPiiNS8_6detail34convert_binary_result_type_wrapperINS8_3SumESH_iEEEE10hipError_tPvRmT1_T2_T3_mT4_P12ihipStream_tbEUlT_E0_NS1_11comp_targetILNS1_3genE0ELNS1_11target_archE4294967295ELNS1_3gpuE0ELNS1_3repE0EEENS1_30default_config_static_selectorELNS0_4arch9wavefront6targetE0EEEvSQ_.numbered_sgpr, 0
	.set _ZN7rocprim17ROCPRIM_400000_NS6detail17trampoline_kernelINS0_14default_configENS1_22reduce_config_selectorIbEEZNS1_11reduce_implILb1ES3_N6hipcub16HIPCUB_304000_NS22TransformInputIteratorIbN2at6native12_GLOBAL__N_19NonZeroOpIaEEPKalEEPiiNS8_6detail34convert_binary_result_type_wrapperINS8_3SumESH_iEEEE10hipError_tPvRmT1_T2_T3_mT4_P12ihipStream_tbEUlT_E0_NS1_11comp_targetILNS1_3genE0ELNS1_11target_archE4294967295ELNS1_3gpuE0ELNS1_3repE0EEENS1_30default_config_static_selectorELNS0_4arch9wavefront6targetE0EEEvSQ_.num_named_barrier, 0
	.set _ZN7rocprim17ROCPRIM_400000_NS6detail17trampoline_kernelINS0_14default_configENS1_22reduce_config_selectorIbEEZNS1_11reduce_implILb1ES3_N6hipcub16HIPCUB_304000_NS22TransformInputIteratorIbN2at6native12_GLOBAL__N_19NonZeroOpIaEEPKalEEPiiNS8_6detail34convert_binary_result_type_wrapperINS8_3SumESH_iEEEE10hipError_tPvRmT1_T2_T3_mT4_P12ihipStream_tbEUlT_E0_NS1_11comp_targetILNS1_3genE0ELNS1_11target_archE4294967295ELNS1_3gpuE0ELNS1_3repE0EEENS1_30default_config_static_selectorELNS0_4arch9wavefront6targetE0EEEvSQ_.private_seg_size, 0
	.set _ZN7rocprim17ROCPRIM_400000_NS6detail17trampoline_kernelINS0_14default_configENS1_22reduce_config_selectorIbEEZNS1_11reduce_implILb1ES3_N6hipcub16HIPCUB_304000_NS22TransformInputIteratorIbN2at6native12_GLOBAL__N_19NonZeroOpIaEEPKalEEPiiNS8_6detail34convert_binary_result_type_wrapperINS8_3SumESH_iEEEE10hipError_tPvRmT1_T2_T3_mT4_P12ihipStream_tbEUlT_E0_NS1_11comp_targetILNS1_3genE0ELNS1_11target_archE4294967295ELNS1_3gpuE0ELNS1_3repE0EEENS1_30default_config_static_selectorELNS0_4arch9wavefront6targetE0EEEvSQ_.uses_vcc, 0
	.set _ZN7rocprim17ROCPRIM_400000_NS6detail17trampoline_kernelINS0_14default_configENS1_22reduce_config_selectorIbEEZNS1_11reduce_implILb1ES3_N6hipcub16HIPCUB_304000_NS22TransformInputIteratorIbN2at6native12_GLOBAL__N_19NonZeroOpIaEEPKalEEPiiNS8_6detail34convert_binary_result_type_wrapperINS8_3SumESH_iEEEE10hipError_tPvRmT1_T2_T3_mT4_P12ihipStream_tbEUlT_E0_NS1_11comp_targetILNS1_3genE0ELNS1_11target_archE4294967295ELNS1_3gpuE0ELNS1_3repE0EEENS1_30default_config_static_selectorELNS0_4arch9wavefront6targetE0EEEvSQ_.uses_flat_scratch, 0
	.set _ZN7rocprim17ROCPRIM_400000_NS6detail17trampoline_kernelINS0_14default_configENS1_22reduce_config_selectorIbEEZNS1_11reduce_implILb1ES3_N6hipcub16HIPCUB_304000_NS22TransformInputIteratorIbN2at6native12_GLOBAL__N_19NonZeroOpIaEEPKalEEPiiNS8_6detail34convert_binary_result_type_wrapperINS8_3SumESH_iEEEE10hipError_tPvRmT1_T2_T3_mT4_P12ihipStream_tbEUlT_E0_NS1_11comp_targetILNS1_3genE0ELNS1_11target_archE4294967295ELNS1_3gpuE0ELNS1_3repE0EEENS1_30default_config_static_selectorELNS0_4arch9wavefront6targetE0EEEvSQ_.has_dyn_sized_stack, 0
	.set _ZN7rocprim17ROCPRIM_400000_NS6detail17trampoline_kernelINS0_14default_configENS1_22reduce_config_selectorIbEEZNS1_11reduce_implILb1ES3_N6hipcub16HIPCUB_304000_NS22TransformInputIteratorIbN2at6native12_GLOBAL__N_19NonZeroOpIaEEPKalEEPiiNS8_6detail34convert_binary_result_type_wrapperINS8_3SumESH_iEEEE10hipError_tPvRmT1_T2_T3_mT4_P12ihipStream_tbEUlT_E0_NS1_11comp_targetILNS1_3genE0ELNS1_11target_archE4294967295ELNS1_3gpuE0ELNS1_3repE0EEENS1_30default_config_static_selectorELNS0_4arch9wavefront6targetE0EEEvSQ_.has_recursion, 0
	.set _ZN7rocprim17ROCPRIM_400000_NS6detail17trampoline_kernelINS0_14default_configENS1_22reduce_config_selectorIbEEZNS1_11reduce_implILb1ES3_N6hipcub16HIPCUB_304000_NS22TransformInputIteratorIbN2at6native12_GLOBAL__N_19NonZeroOpIaEEPKalEEPiiNS8_6detail34convert_binary_result_type_wrapperINS8_3SumESH_iEEEE10hipError_tPvRmT1_T2_T3_mT4_P12ihipStream_tbEUlT_E0_NS1_11comp_targetILNS1_3genE0ELNS1_11target_archE4294967295ELNS1_3gpuE0ELNS1_3repE0EEENS1_30default_config_static_selectorELNS0_4arch9wavefront6targetE0EEEvSQ_.has_indirect_call, 0
	.section	.AMDGPU.csdata,"",@progbits
; Kernel info:
; codeLenInByte = 0
; TotalNumSgprs: 0
; NumVgprs: 0
; ScratchSize: 0
; MemoryBound: 0
; FloatMode: 240
; IeeeMode: 1
; LDSByteSize: 0 bytes/workgroup (compile time only)
; SGPRBlocks: 0
; VGPRBlocks: 0
; NumSGPRsForWavesPerEU: 1
; NumVGPRsForWavesPerEU: 1
; Occupancy: 16
; WaveLimiterHint : 0
; COMPUTE_PGM_RSRC2:SCRATCH_EN: 0
; COMPUTE_PGM_RSRC2:USER_SGPR: 2
; COMPUTE_PGM_RSRC2:TRAP_HANDLER: 0
; COMPUTE_PGM_RSRC2:TGID_X_EN: 1
; COMPUTE_PGM_RSRC2:TGID_Y_EN: 0
; COMPUTE_PGM_RSRC2:TGID_Z_EN: 0
; COMPUTE_PGM_RSRC2:TIDIG_COMP_CNT: 0
	.section	.text._ZN7rocprim17ROCPRIM_400000_NS6detail17trampoline_kernelINS0_14default_configENS1_22reduce_config_selectorIbEEZNS1_11reduce_implILb1ES3_N6hipcub16HIPCUB_304000_NS22TransformInputIteratorIbN2at6native12_GLOBAL__N_19NonZeroOpIaEEPKalEEPiiNS8_6detail34convert_binary_result_type_wrapperINS8_3SumESH_iEEEE10hipError_tPvRmT1_T2_T3_mT4_P12ihipStream_tbEUlT_E0_NS1_11comp_targetILNS1_3genE5ELNS1_11target_archE942ELNS1_3gpuE9ELNS1_3repE0EEENS1_30default_config_static_selectorELNS0_4arch9wavefront6targetE0EEEvSQ_,"axG",@progbits,_ZN7rocprim17ROCPRIM_400000_NS6detail17trampoline_kernelINS0_14default_configENS1_22reduce_config_selectorIbEEZNS1_11reduce_implILb1ES3_N6hipcub16HIPCUB_304000_NS22TransformInputIteratorIbN2at6native12_GLOBAL__N_19NonZeroOpIaEEPKalEEPiiNS8_6detail34convert_binary_result_type_wrapperINS8_3SumESH_iEEEE10hipError_tPvRmT1_T2_T3_mT4_P12ihipStream_tbEUlT_E0_NS1_11comp_targetILNS1_3genE5ELNS1_11target_archE942ELNS1_3gpuE9ELNS1_3repE0EEENS1_30default_config_static_selectorELNS0_4arch9wavefront6targetE0EEEvSQ_,comdat
	.globl	_ZN7rocprim17ROCPRIM_400000_NS6detail17trampoline_kernelINS0_14default_configENS1_22reduce_config_selectorIbEEZNS1_11reduce_implILb1ES3_N6hipcub16HIPCUB_304000_NS22TransformInputIteratorIbN2at6native12_GLOBAL__N_19NonZeroOpIaEEPKalEEPiiNS8_6detail34convert_binary_result_type_wrapperINS8_3SumESH_iEEEE10hipError_tPvRmT1_T2_T3_mT4_P12ihipStream_tbEUlT_E0_NS1_11comp_targetILNS1_3genE5ELNS1_11target_archE942ELNS1_3gpuE9ELNS1_3repE0EEENS1_30default_config_static_selectorELNS0_4arch9wavefront6targetE0EEEvSQ_ ; -- Begin function _ZN7rocprim17ROCPRIM_400000_NS6detail17trampoline_kernelINS0_14default_configENS1_22reduce_config_selectorIbEEZNS1_11reduce_implILb1ES3_N6hipcub16HIPCUB_304000_NS22TransformInputIteratorIbN2at6native12_GLOBAL__N_19NonZeroOpIaEEPKalEEPiiNS8_6detail34convert_binary_result_type_wrapperINS8_3SumESH_iEEEE10hipError_tPvRmT1_T2_T3_mT4_P12ihipStream_tbEUlT_E0_NS1_11comp_targetILNS1_3genE5ELNS1_11target_archE942ELNS1_3gpuE9ELNS1_3repE0EEENS1_30default_config_static_selectorELNS0_4arch9wavefront6targetE0EEEvSQ_
	.p2align	8
	.type	_ZN7rocprim17ROCPRIM_400000_NS6detail17trampoline_kernelINS0_14default_configENS1_22reduce_config_selectorIbEEZNS1_11reduce_implILb1ES3_N6hipcub16HIPCUB_304000_NS22TransformInputIteratorIbN2at6native12_GLOBAL__N_19NonZeroOpIaEEPKalEEPiiNS8_6detail34convert_binary_result_type_wrapperINS8_3SumESH_iEEEE10hipError_tPvRmT1_T2_T3_mT4_P12ihipStream_tbEUlT_E0_NS1_11comp_targetILNS1_3genE5ELNS1_11target_archE942ELNS1_3gpuE9ELNS1_3repE0EEENS1_30default_config_static_selectorELNS0_4arch9wavefront6targetE0EEEvSQ_,@function
_ZN7rocprim17ROCPRIM_400000_NS6detail17trampoline_kernelINS0_14default_configENS1_22reduce_config_selectorIbEEZNS1_11reduce_implILb1ES3_N6hipcub16HIPCUB_304000_NS22TransformInputIteratorIbN2at6native12_GLOBAL__N_19NonZeroOpIaEEPKalEEPiiNS8_6detail34convert_binary_result_type_wrapperINS8_3SumESH_iEEEE10hipError_tPvRmT1_T2_T3_mT4_P12ihipStream_tbEUlT_E0_NS1_11comp_targetILNS1_3genE5ELNS1_11target_archE942ELNS1_3gpuE9ELNS1_3repE0EEENS1_30default_config_static_selectorELNS0_4arch9wavefront6targetE0EEEvSQ_: ; @_ZN7rocprim17ROCPRIM_400000_NS6detail17trampoline_kernelINS0_14default_configENS1_22reduce_config_selectorIbEEZNS1_11reduce_implILb1ES3_N6hipcub16HIPCUB_304000_NS22TransformInputIteratorIbN2at6native12_GLOBAL__N_19NonZeroOpIaEEPKalEEPiiNS8_6detail34convert_binary_result_type_wrapperINS8_3SumESH_iEEEE10hipError_tPvRmT1_T2_T3_mT4_P12ihipStream_tbEUlT_E0_NS1_11comp_targetILNS1_3genE5ELNS1_11target_archE942ELNS1_3gpuE9ELNS1_3repE0EEENS1_30default_config_static_selectorELNS0_4arch9wavefront6targetE0EEEvSQ_
; %bb.0:
	.section	.rodata,"a",@progbits
	.p2align	6, 0x0
	.amdhsa_kernel _ZN7rocprim17ROCPRIM_400000_NS6detail17trampoline_kernelINS0_14default_configENS1_22reduce_config_selectorIbEEZNS1_11reduce_implILb1ES3_N6hipcub16HIPCUB_304000_NS22TransformInputIteratorIbN2at6native12_GLOBAL__N_19NonZeroOpIaEEPKalEEPiiNS8_6detail34convert_binary_result_type_wrapperINS8_3SumESH_iEEEE10hipError_tPvRmT1_T2_T3_mT4_P12ihipStream_tbEUlT_E0_NS1_11comp_targetILNS1_3genE5ELNS1_11target_archE942ELNS1_3gpuE9ELNS1_3repE0EEENS1_30default_config_static_selectorELNS0_4arch9wavefront6targetE0EEEvSQ_
		.amdhsa_group_segment_fixed_size 0
		.amdhsa_private_segment_fixed_size 0
		.amdhsa_kernarg_size 64
		.amdhsa_user_sgpr_count 2
		.amdhsa_user_sgpr_dispatch_ptr 0
		.amdhsa_user_sgpr_queue_ptr 0
		.amdhsa_user_sgpr_kernarg_segment_ptr 1
		.amdhsa_user_sgpr_dispatch_id 0
		.amdhsa_user_sgpr_private_segment_size 0
		.amdhsa_wavefront_size32 1
		.amdhsa_uses_dynamic_stack 0
		.amdhsa_enable_private_segment 0
		.amdhsa_system_sgpr_workgroup_id_x 1
		.amdhsa_system_sgpr_workgroup_id_y 0
		.amdhsa_system_sgpr_workgroup_id_z 0
		.amdhsa_system_sgpr_workgroup_info 0
		.amdhsa_system_vgpr_workitem_id 0
		.amdhsa_next_free_vgpr 1
		.amdhsa_next_free_sgpr 1
		.amdhsa_reserve_vcc 0
		.amdhsa_float_round_mode_32 0
		.amdhsa_float_round_mode_16_64 0
		.amdhsa_float_denorm_mode_32 3
		.amdhsa_float_denorm_mode_16_64 3
		.amdhsa_fp16_overflow 0
		.amdhsa_workgroup_processor_mode 1
		.amdhsa_memory_ordered 1
		.amdhsa_forward_progress 1
		.amdhsa_inst_pref_size 0
		.amdhsa_round_robin_scheduling 0
		.amdhsa_exception_fp_ieee_invalid_op 0
		.amdhsa_exception_fp_denorm_src 0
		.amdhsa_exception_fp_ieee_div_zero 0
		.amdhsa_exception_fp_ieee_overflow 0
		.amdhsa_exception_fp_ieee_underflow 0
		.amdhsa_exception_fp_ieee_inexact 0
		.amdhsa_exception_int_div_zero 0
	.end_amdhsa_kernel
	.section	.text._ZN7rocprim17ROCPRIM_400000_NS6detail17trampoline_kernelINS0_14default_configENS1_22reduce_config_selectorIbEEZNS1_11reduce_implILb1ES3_N6hipcub16HIPCUB_304000_NS22TransformInputIteratorIbN2at6native12_GLOBAL__N_19NonZeroOpIaEEPKalEEPiiNS8_6detail34convert_binary_result_type_wrapperINS8_3SumESH_iEEEE10hipError_tPvRmT1_T2_T3_mT4_P12ihipStream_tbEUlT_E0_NS1_11comp_targetILNS1_3genE5ELNS1_11target_archE942ELNS1_3gpuE9ELNS1_3repE0EEENS1_30default_config_static_selectorELNS0_4arch9wavefront6targetE0EEEvSQ_,"axG",@progbits,_ZN7rocprim17ROCPRIM_400000_NS6detail17trampoline_kernelINS0_14default_configENS1_22reduce_config_selectorIbEEZNS1_11reduce_implILb1ES3_N6hipcub16HIPCUB_304000_NS22TransformInputIteratorIbN2at6native12_GLOBAL__N_19NonZeroOpIaEEPKalEEPiiNS8_6detail34convert_binary_result_type_wrapperINS8_3SumESH_iEEEE10hipError_tPvRmT1_T2_T3_mT4_P12ihipStream_tbEUlT_E0_NS1_11comp_targetILNS1_3genE5ELNS1_11target_archE942ELNS1_3gpuE9ELNS1_3repE0EEENS1_30default_config_static_selectorELNS0_4arch9wavefront6targetE0EEEvSQ_,comdat
.Lfunc_end101:
	.size	_ZN7rocprim17ROCPRIM_400000_NS6detail17trampoline_kernelINS0_14default_configENS1_22reduce_config_selectorIbEEZNS1_11reduce_implILb1ES3_N6hipcub16HIPCUB_304000_NS22TransformInputIteratorIbN2at6native12_GLOBAL__N_19NonZeroOpIaEEPKalEEPiiNS8_6detail34convert_binary_result_type_wrapperINS8_3SumESH_iEEEE10hipError_tPvRmT1_T2_T3_mT4_P12ihipStream_tbEUlT_E0_NS1_11comp_targetILNS1_3genE5ELNS1_11target_archE942ELNS1_3gpuE9ELNS1_3repE0EEENS1_30default_config_static_selectorELNS0_4arch9wavefront6targetE0EEEvSQ_, .Lfunc_end101-_ZN7rocprim17ROCPRIM_400000_NS6detail17trampoline_kernelINS0_14default_configENS1_22reduce_config_selectorIbEEZNS1_11reduce_implILb1ES3_N6hipcub16HIPCUB_304000_NS22TransformInputIteratorIbN2at6native12_GLOBAL__N_19NonZeroOpIaEEPKalEEPiiNS8_6detail34convert_binary_result_type_wrapperINS8_3SumESH_iEEEE10hipError_tPvRmT1_T2_T3_mT4_P12ihipStream_tbEUlT_E0_NS1_11comp_targetILNS1_3genE5ELNS1_11target_archE942ELNS1_3gpuE9ELNS1_3repE0EEENS1_30default_config_static_selectorELNS0_4arch9wavefront6targetE0EEEvSQ_
                                        ; -- End function
	.set _ZN7rocprim17ROCPRIM_400000_NS6detail17trampoline_kernelINS0_14default_configENS1_22reduce_config_selectorIbEEZNS1_11reduce_implILb1ES3_N6hipcub16HIPCUB_304000_NS22TransformInputIteratorIbN2at6native12_GLOBAL__N_19NonZeroOpIaEEPKalEEPiiNS8_6detail34convert_binary_result_type_wrapperINS8_3SumESH_iEEEE10hipError_tPvRmT1_T2_T3_mT4_P12ihipStream_tbEUlT_E0_NS1_11comp_targetILNS1_3genE5ELNS1_11target_archE942ELNS1_3gpuE9ELNS1_3repE0EEENS1_30default_config_static_selectorELNS0_4arch9wavefront6targetE0EEEvSQ_.num_vgpr, 0
	.set _ZN7rocprim17ROCPRIM_400000_NS6detail17trampoline_kernelINS0_14default_configENS1_22reduce_config_selectorIbEEZNS1_11reduce_implILb1ES3_N6hipcub16HIPCUB_304000_NS22TransformInputIteratorIbN2at6native12_GLOBAL__N_19NonZeroOpIaEEPKalEEPiiNS8_6detail34convert_binary_result_type_wrapperINS8_3SumESH_iEEEE10hipError_tPvRmT1_T2_T3_mT4_P12ihipStream_tbEUlT_E0_NS1_11comp_targetILNS1_3genE5ELNS1_11target_archE942ELNS1_3gpuE9ELNS1_3repE0EEENS1_30default_config_static_selectorELNS0_4arch9wavefront6targetE0EEEvSQ_.num_agpr, 0
	.set _ZN7rocprim17ROCPRIM_400000_NS6detail17trampoline_kernelINS0_14default_configENS1_22reduce_config_selectorIbEEZNS1_11reduce_implILb1ES3_N6hipcub16HIPCUB_304000_NS22TransformInputIteratorIbN2at6native12_GLOBAL__N_19NonZeroOpIaEEPKalEEPiiNS8_6detail34convert_binary_result_type_wrapperINS8_3SumESH_iEEEE10hipError_tPvRmT1_T2_T3_mT4_P12ihipStream_tbEUlT_E0_NS1_11comp_targetILNS1_3genE5ELNS1_11target_archE942ELNS1_3gpuE9ELNS1_3repE0EEENS1_30default_config_static_selectorELNS0_4arch9wavefront6targetE0EEEvSQ_.numbered_sgpr, 0
	.set _ZN7rocprim17ROCPRIM_400000_NS6detail17trampoline_kernelINS0_14default_configENS1_22reduce_config_selectorIbEEZNS1_11reduce_implILb1ES3_N6hipcub16HIPCUB_304000_NS22TransformInputIteratorIbN2at6native12_GLOBAL__N_19NonZeroOpIaEEPKalEEPiiNS8_6detail34convert_binary_result_type_wrapperINS8_3SumESH_iEEEE10hipError_tPvRmT1_T2_T3_mT4_P12ihipStream_tbEUlT_E0_NS1_11comp_targetILNS1_3genE5ELNS1_11target_archE942ELNS1_3gpuE9ELNS1_3repE0EEENS1_30default_config_static_selectorELNS0_4arch9wavefront6targetE0EEEvSQ_.num_named_barrier, 0
	.set _ZN7rocprim17ROCPRIM_400000_NS6detail17trampoline_kernelINS0_14default_configENS1_22reduce_config_selectorIbEEZNS1_11reduce_implILb1ES3_N6hipcub16HIPCUB_304000_NS22TransformInputIteratorIbN2at6native12_GLOBAL__N_19NonZeroOpIaEEPKalEEPiiNS8_6detail34convert_binary_result_type_wrapperINS8_3SumESH_iEEEE10hipError_tPvRmT1_T2_T3_mT4_P12ihipStream_tbEUlT_E0_NS1_11comp_targetILNS1_3genE5ELNS1_11target_archE942ELNS1_3gpuE9ELNS1_3repE0EEENS1_30default_config_static_selectorELNS0_4arch9wavefront6targetE0EEEvSQ_.private_seg_size, 0
	.set _ZN7rocprim17ROCPRIM_400000_NS6detail17trampoline_kernelINS0_14default_configENS1_22reduce_config_selectorIbEEZNS1_11reduce_implILb1ES3_N6hipcub16HIPCUB_304000_NS22TransformInputIteratorIbN2at6native12_GLOBAL__N_19NonZeroOpIaEEPKalEEPiiNS8_6detail34convert_binary_result_type_wrapperINS8_3SumESH_iEEEE10hipError_tPvRmT1_T2_T3_mT4_P12ihipStream_tbEUlT_E0_NS1_11comp_targetILNS1_3genE5ELNS1_11target_archE942ELNS1_3gpuE9ELNS1_3repE0EEENS1_30default_config_static_selectorELNS0_4arch9wavefront6targetE0EEEvSQ_.uses_vcc, 0
	.set _ZN7rocprim17ROCPRIM_400000_NS6detail17trampoline_kernelINS0_14default_configENS1_22reduce_config_selectorIbEEZNS1_11reduce_implILb1ES3_N6hipcub16HIPCUB_304000_NS22TransformInputIteratorIbN2at6native12_GLOBAL__N_19NonZeroOpIaEEPKalEEPiiNS8_6detail34convert_binary_result_type_wrapperINS8_3SumESH_iEEEE10hipError_tPvRmT1_T2_T3_mT4_P12ihipStream_tbEUlT_E0_NS1_11comp_targetILNS1_3genE5ELNS1_11target_archE942ELNS1_3gpuE9ELNS1_3repE0EEENS1_30default_config_static_selectorELNS0_4arch9wavefront6targetE0EEEvSQ_.uses_flat_scratch, 0
	.set _ZN7rocprim17ROCPRIM_400000_NS6detail17trampoline_kernelINS0_14default_configENS1_22reduce_config_selectorIbEEZNS1_11reduce_implILb1ES3_N6hipcub16HIPCUB_304000_NS22TransformInputIteratorIbN2at6native12_GLOBAL__N_19NonZeroOpIaEEPKalEEPiiNS8_6detail34convert_binary_result_type_wrapperINS8_3SumESH_iEEEE10hipError_tPvRmT1_T2_T3_mT4_P12ihipStream_tbEUlT_E0_NS1_11comp_targetILNS1_3genE5ELNS1_11target_archE942ELNS1_3gpuE9ELNS1_3repE0EEENS1_30default_config_static_selectorELNS0_4arch9wavefront6targetE0EEEvSQ_.has_dyn_sized_stack, 0
	.set _ZN7rocprim17ROCPRIM_400000_NS6detail17trampoline_kernelINS0_14default_configENS1_22reduce_config_selectorIbEEZNS1_11reduce_implILb1ES3_N6hipcub16HIPCUB_304000_NS22TransformInputIteratorIbN2at6native12_GLOBAL__N_19NonZeroOpIaEEPKalEEPiiNS8_6detail34convert_binary_result_type_wrapperINS8_3SumESH_iEEEE10hipError_tPvRmT1_T2_T3_mT4_P12ihipStream_tbEUlT_E0_NS1_11comp_targetILNS1_3genE5ELNS1_11target_archE942ELNS1_3gpuE9ELNS1_3repE0EEENS1_30default_config_static_selectorELNS0_4arch9wavefront6targetE0EEEvSQ_.has_recursion, 0
	.set _ZN7rocprim17ROCPRIM_400000_NS6detail17trampoline_kernelINS0_14default_configENS1_22reduce_config_selectorIbEEZNS1_11reduce_implILb1ES3_N6hipcub16HIPCUB_304000_NS22TransformInputIteratorIbN2at6native12_GLOBAL__N_19NonZeroOpIaEEPKalEEPiiNS8_6detail34convert_binary_result_type_wrapperINS8_3SumESH_iEEEE10hipError_tPvRmT1_T2_T3_mT4_P12ihipStream_tbEUlT_E0_NS1_11comp_targetILNS1_3genE5ELNS1_11target_archE942ELNS1_3gpuE9ELNS1_3repE0EEENS1_30default_config_static_selectorELNS0_4arch9wavefront6targetE0EEEvSQ_.has_indirect_call, 0
	.section	.AMDGPU.csdata,"",@progbits
; Kernel info:
; codeLenInByte = 0
; TotalNumSgprs: 0
; NumVgprs: 0
; ScratchSize: 0
; MemoryBound: 0
; FloatMode: 240
; IeeeMode: 1
; LDSByteSize: 0 bytes/workgroup (compile time only)
; SGPRBlocks: 0
; VGPRBlocks: 0
; NumSGPRsForWavesPerEU: 1
; NumVGPRsForWavesPerEU: 1
; Occupancy: 16
; WaveLimiterHint : 0
; COMPUTE_PGM_RSRC2:SCRATCH_EN: 0
; COMPUTE_PGM_RSRC2:USER_SGPR: 2
; COMPUTE_PGM_RSRC2:TRAP_HANDLER: 0
; COMPUTE_PGM_RSRC2:TGID_X_EN: 1
; COMPUTE_PGM_RSRC2:TGID_Y_EN: 0
; COMPUTE_PGM_RSRC2:TGID_Z_EN: 0
; COMPUTE_PGM_RSRC2:TIDIG_COMP_CNT: 0
	.section	.text._ZN7rocprim17ROCPRIM_400000_NS6detail17trampoline_kernelINS0_14default_configENS1_22reduce_config_selectorIbEEZNS1_11reduce_implILb1ES3_N6hipcub16HIPCUB_304000_NS22TransformInputIteratorIbN2at6native12_GLOBAL__N_19NonZeroOpIaEEPKalEEPiiNS8_6detail34convert_binary_result_type_wrapperINS8_3SumESH_iEEEE10hipError_tPvRmT1_T2_T3_mT4_P12ihipStream_tbEUlT_E0_NS1_11comp_targetILNS1_3genE4ELNS1_11target_archE910ELNS1_3gpuE8ELNS1_3repE0EEENS1_30default_config_static_selectorELNS0_4arch9wavefront6targetE0EEEvSQ_,"axG",@progbits,_ZN7rocprim17ROCPRIM_400000_NS6detail17trampoline_kernelINS0_14default_configENS1_22reduce_config_selectorIbEEZNS1_11reduce_implILb1ES3_N6hipcub16HIPCUB_304000_NS22TransformInputIteratorIbN2at6native12_GLOBAL__N_19NonZeroOpIaEEPKalEEPiiNS8_6detail34convert_binary_result_type_wrapperINS8_3SumESH_iEEEE10hipError_tPvRmT1_T2_T3_mT4_P12ihipStream_tbEUlT_E0_NS1_11comp_targetILNS1_3genE4ELNS1_11target_archE910ELNS1_3gpuE8ELNS1_3repE0EEENS1_30default_config_static_selectorELNS0_4arch9wavefront6targetE0EEEvSQ_,comdat
	.globl	_ZN7rocprim17ROCPRIM_400000_NS6detail17trampoline_kernelINS0_14default_configENS1_22reduce_config_selectorIbEEZNS1_11reduce_implILb1ES3_N6hipcub16HIPCUB_304000_NS22TransformInputIteratorIbN2at6native12_GLOBAL__N_19NonZeroOpIaEEPKalEEPiiNS8_6detail34convert_binary_result_type_wrapperINS8_3SumESH_iEEEE10hipError_tPvRmT1_T2_T3_mT4_P12ihipStream_tbEUlT_E0_NS1_11comp_targetILNS1_3genE4ELNS1_11target_archE910ELNS1_3gpuE8ELNS1_3repE0EEENS1_30default_config_static_selectorELNS0_4arch9wavefront6targetE0EEEvSQ_ ; -- Begin function _ZN7rocprim17ROCPRIM_400000_NS6detail17trampoline_kernelINS0_14default_configENS1_22reduce_config_selectorIbEEZNS1_11reduce_implILb1ES3_N6hipcub16HIPCUB_304000_NS22TransformInputIteratorIbN2at6native12_GLOBAL__N_19NonZeroOpIaEEPKalEEPiiNS8_6detail34convert_binary_result_type_wrapperINS8_3SumESH_iEEEE10hipError_tPvRmT1_T2_T3_mT4_P12ihipStream_tbEUlT_E0_NS1_11comp_targetILNS1_3genE4ELNS1_11target_archE910ELNS1_3gpuE8ELNS1_3repE0EEENS1_30default_config_static_selectorELNS0_4arch9wavefront6targetE0EEEvSQ_
	.p2align	8
	.type	_ZN7rocprim17ROCPRIM_400000_NS6detail17trampoline_kernelINS0_14default_configENS1_22reduce_config_selectorIbEEZNS1_11reduce_implILb1ES3_N6hipcub16HIPCUB_304000_NS22TransformInputIteratorIbN2at6native12_GLOBAL__N_19NonZeroOpIaEEPKalEEPiiNS8_6detail34convert_binary_result_type_wrapperINS8_3SumESH_iEEEE10hipError_tPvRmT1_T2_T3_mT4_P12ihipStream_tbEUlT_E0_NS1_11comp_targetILNS1_3genE4ELNS1_11target_archE910ELNS1_3gpuE8ELNS1_3repE0EEENS1_30default_config_static_selectorELNS0_4arch9wavefront6targetE0EEEvSQ_,@function
_ZN7rocprim17ROCPRIM_400000_NS6detail17trampoline_kernelINS0_14default_configENS1_22reduce_config_selectorIbEEZNS1_11reduce_implILb1ES3_N6hipcub16HIPCUB_304000_NS22TransformInputIteratorIbN2at6native12_GLOBAL__N_19NonZeroOpIaEEPKalEEPiiNS8_6detail34convert_binary_result_type_wrapperINS8_3SumESH_iEEEE10hipError_tPvRmT1_T2_T3_mT4_P12ihipStream_tbEUlT_E0_NS1_11comp_targetILNS1_3genE4ELNS1_11target_archE910ELNS1_3gpuE8ELNS1_3repE0EEENS1_30default_config_static_selectorELNS0_4arch9wavefront6targetE0EEEvSQ_: ; @_ZN7rocprim17ROCPRIM_400000_NS6detail17trampoline_kernelINS0_14default_configENS1_22reduce_config_selectorIbEEZNS1_11reduce_implILb1ES3_N6hipcub16HIPCUB_304000_NS22TransformInputIteratorIbN2at6native12_GLOBAL__N_19NonZeroOpIaEEPKalEEPiiNS8_6detail34convert_binary_result_type_wrapperINS8_3SumESH_iEEEE10hipError_tPvRmT1_T2_T3_mT4_P12ihipStream_tbEUlT_E0_NS1_11comp_targetILNS1_3genE4ELNS1_11target_archE910ELNS1_3gpuE8ELNS1_3repE0EEENS1_30default_config_static_selectorELNS0_4arch9wavefront6targetE0EEEvSQ_
; %bb.0:
	.section	.rodata,"a",@progbits
	.p2align	6, 0x0
	.amdhsa_kernel _ZN7rocprim17ROCPRIM_400000_NS6detail17trampoline_kernelINS0_14default_configENS1_22reduce_config_selectorIbEEZNS1_11reduce_implILb1ES3_N6hipcub16HIPCUB_304000_NS22TransformInputIteratorIbN2at6native12_GLOBAL__N_19NonZeroOpIaEEPKalEEPiiNS8_6detail34convert_binary_result_type_wrapperINS8_3SumESH_iEEEE10hipError_tPvRmT1_T2_T3_mT4_P12ihipStream_tbEUlT_E0_NS1_11comp_targetILNS1_3genE4ELNS1_11target_archE910ELNS1_3gpuE8ELNS1_3repE0EEENS1_30default_config_static_selectorELNS0_4arch9wavefront6targetE0EEEvSQ_
		.amdhsa_group_segment_fixed_size 0
		.amdhsa_private_segment_fixed_size 0
		.amdhsa_kernarg_size 64
		.amdhsa_user_sgpr_count 2
		.amdhsa_user_sgpr_dispatch_ptr 0
		.amdhsa_user_sgpr_queue_ptr 0
		.amdhsa_user_sgpr_kernarg_segment_ptr 1
		.amdhsa_user_sgpr_dispatch_id 0
		.amdhsa_user_sgpr_private_segment_size 0
		.amdhsa_wavefront_size32 1
		.amdhsa_uses_dynamic_stack 0
		.amdhsa_enable_private_segment 0
		.amdhsa_system_sgpr_workgroup_id_x 1
		.amdhsa_system_sgpr_workgroup_id_y 0
		.amdhsa_system_sgpr_workgroup_id_z 0
		.amdhsa_system_sgpr_workgroup_info 0
		.amdhsa_system_vgpr_workitem_id 0
		.amdhsa_next_free_vgpr 1
		.amdhsa_next_free_sgpr 1
		.amdhsa_reserve_vcc 0
		.amdhsa_float_round_mode_32 0
		.amdhsa_float_round_mode_16_64 0
		.amdhsa_float_denorm_mode_32 3
		.amdhsa_float_denorm_mode_16_64 3
		.amdhsa_fp16_overflow 0
		.amdhsa_workgroup_processor_mode 1
		.amdhsa_memory_ordered 1
		.amdhsa_forward_progress 1
		.amdhsa_inst_pref_size 0
		.amdhsa_round_robin_scheduling 0
		.amdhsa_exception_fp_ieee_invalid_op 0
		.amdhsa_exception_fp_denorm_src 0
		.amdhsa_exception_fp_ieee_div_zero 0
		.amdhsa_exception_fp_ieee_overflow 0
		.amdhsa_exception_fp_ieee_underflow 0
		.amdhsa_exception_fp_ieee_inexact 0
		.amdhsa_exception_int_div_zero 0
	.end_amdhsa_kernel
	.section	.text._ZN7rocprim17ROCPRIM_400000_NS6detail17trampoline_kernelINS0_14default_configENS1_22reduce_config_selectorIbEEZNS1_11reduce_implILb1ES3_N6hipcub16HIPCUB_304000_NS22TransformInputIteratorIbN2at6native12_GLOBAL__N_19NonZeroOpIaEEPKalEEPiiNS8_6detail34convert_binary_result_type_wrapperINS8_3SumESH_iEEEE10hipError_tPvRmT1_T2_T3_mT4_P12ihipStream_tbEUlT_E0_NS1_11comp_targetILNS1_3genE4ELNS1_11target_archE910ELNS1_3gpuE8ELNS1_3repE0EEENS1_30default_config_static_selectorELNS0_4arch9wavefront6targetE0EEEvSQ_,"axG",@progbits,_ZN7rocprim17ROCPRIM_400000_NS6detail17trampoline_kernelINS0_14default_configENS1_22reduce_config_selectorIbEEZNS1_11reduce_implILb1ES3_N6hipcub16HIPCUB_304000_NS22TransformInputIteratorIbN2at6native12_GLOBAL__N_19NonZeroOpIaEEPKalEEPiiNS8_6detail34convert_binary_result_type_wrapperINS8_3SumESH_iEEEE10hipError_tPvRmT1_T2_T3_mT4_P12ihipStream_tbEUlT_E0_NS1_11comp_targetILNS1_3genE4ELNS1_11target_archE910ELNS1_3gpuE8ELNS1_3repE0EEENS1_30default_config_static_selectorELNS0_4arch9wavefront6targetE0EEEvSQ_,comdat
.Lfunc_end102:
	.size	_ZN7rocprim17ROCPRIM_400000_NS6detail17trampoline_kernelINS0_14default_configENS1_22reduce_config_selectorIbEEZNS1_11reduce_implILb1ES3_N6hipcub16HIPCUB_304000_NS22TransformInputIteratorIbN2at6native12_GLOBAL__N_19NonZeroOpIaEEPKalEEPiiNS8_6detail34convert_binary_result_type_wrapperINS8_3SumESH_iEEEE10hipError_tPvRmT1_T2_T3_mT4_P12ihipStream_tbEUlT_E0_NS1_11comp_targetILNS1_3genE4ELNS1_11target_archE910ELNS1_3gpuE8ELNS1_3repE0EEENS1_30default_config_static_selectorELNS0_4arch9wavefront6targetE0EEEvSQ_, .Lfunc_end102-_ZN7rocprim17ROCPRIM_400000_NS6detail17trampoline_kernelINS0_14default_configENS1_22reduce_config_selectorIbEEZNS1_11reduce_implILb1ES3_N6hipcub16HIPCUB_304000_NS22TransformInputIteratorIbN2at6native12_GLOBAL__N_19NonZeroOpIaEEPKalEEPiiNS8_6detail34convert_binary_result_type_wrapperINS8_3SumESH_iEEEE10hipError_tPvRmT1_T2_T3_mT4_P12ihipStream_tbEUlT_E0_NS1_11comp_targetILNS1_3genE4ELNS1_11target_archE910ELNS1_3gpuE8ELNS1_3repE0EEENS1_30default_config_static_selectorELNS0_4arch9wavefront6targetE0EEEvSQ_
                                        ; -- End function
	.set _ZN7rocprim17ROCPRIM_400000_NS6detail17trampoline_kernelINS0_14default_configENS1_22reduce_config_selectorIbEEZNS1_11reduce_implILb1ES3_N6hipcub16HIPCUB_304000_NS22TransformInputIteratorIbN2at6native12_GLOBAL__N_19NonZeroOpIaEEPKalEEPiiNS8_6detail34convert_binary_result_type_wrapperINS8_3SumESH_iEEEE10hipError_tPvRmT1_T2_T3_mT4_P12ihipStream_tbEUlT_E0_NS1_11comp_targetILNS1_3genE4ELNS1_11target_archE910ELNS1_3gpuE8ELNS1_3repE0EEENS1_30default_config_static_selectorELNS0_4arch9wavefront6targetE0EEEvSQ_.num_vgpr, 0
	.set _ZN7rocprim17ROCPRIM_400000_NS6detail17trampoline_kernelINS0_14default_configENS1_22reduce_config_selectorIbEEZNS1_11reduce_implILb1ES3_N6hipcub16HIPCUB_304000_NS22TransformInputIteratorIbN2at6native12_GLOBAL__N_19NonZeroOpIaEEPKalEEPiiNS8_6detail34convert_binary_result_type_wrapperINS8_3SumESH_iEEEE10hipError_tPvRmT1_T2_T3_mT4_P12ihipStream_tbEUlT_E0_NS1_11comp_targetILNS1_3genE4ELNS1_11target_archE910ELNS1_3gpuE8ELNS1_3repE0EEENS1_30default_config_static_selectorELNS0_4arch9wavefront6targetE0EEEvSQ_.num_agpr, 0
	.set _ZN7rocprim17ROCPRIM_400000_NS6detail17trampoline_kernelINS0_14default_configENS1_22reduce_config_selectorIbEEZNS1_11reduce_implILb1ES3_N6hipcub16HIPCUB_304000_NS22TransformInputIteratorIbN2at6native12_GLOBAL__N_19NonZeroOpIaEEPKalEEPiiNS8_6detail34convert_binary_result_type_wrapperINS8_3SumESH_iEEEE10hipError_tPvRmT1_T2_T3_mT4_P12ihipStream_tbEUlT_E0_NS1_11comp_targetILNS1_3genE4ELNS1_11target_archE910ELNS1_3gpuE8ELNS1_3repE0EEENS1_30default_config_static_selectorELNS0_4arch9wavefront6targetE0EEEvSQ_.numbered_sgpr, 0
	.set _ZN7rocprim17ROCPRIM_400000_NS6detail17trampoline_kernelINS0_14default_configENS1_22reduce_config_selectorIbEEZNS1_11reduce_implILb1ES3_N6hipcub16HIPCUB_304000_NS22TransformInputIteratorIbN2at6native12_GLOBAL__N_19NonZeroOpIaEEPKalEEPiiNS8_6detail34convert_binary_result_type_wrapperINS8_3SumESH_iEEEE10hipError_tPvRmT1_T2_T3_mT4_P12ihipStream_tbEUlT_E0_NS1_11comp_targetILNS1_3genE4ELNS1_11target_archE910ELNS1_3gpuE8ELNS1_3repE0EEENS1_30default_config_static_selectorELNS0_4arch9wavefront6targetE0EEEvSQ_.num_named_barrier, 0
	.set _ZN7rocprim17ROCPRIM_400000_NS6detail17trampoline_kernelINS0_14default_configENS1_22reduce_config_selectorIbEEZNS1_11reduce_implILb1ES3_N6hipcub16HIPCUB_304000_NS22TransformInputIteratorIbN2at6native12_GLOBAL__N_19NonZeroOpIaEEPKalEEPiiNS8_6detail34convert_binary_result_type_wrapperINS8_3SumESH_iEEEE10hipError_tPvRmT1_T2_T3_mT4_P12ihipStream_tbEUlT_E0_NS1_11comp_targetILNS1_3genE4ELNS1_11target_archE910ELNS1_3gpuE8ELNS1_3repE0EEENS1_30default_config_static_selectorELNS0_4arch9wavefront6targetE0EEEvSQ_.private_seg_size, 0
	.set _ZN7rocprim17ROCPRIM_400000_NS6detail17trampoline_kernelINS0_14default_configENS1_22reduce_config_selectorIbEEZNS1_11reduce_implILb1ES3_N6hipcub16HIPCUB_304000_NS22TransformInputIteratorIbN2at6native12_GLOBAL__N_19NonZeroOpIaEEPKalEEPiiNS8_6detail34convert_binary_result_type_wrapperINS8_3SumESH_iEEEE10hipError_tPvRmT1_T2_T3_mT4_P12ihipStream_tbEUlT_E0_NS1_11comp_targetILNS1_3genE4ELNS1_11target_archE910ELNS1_3gpuE8ELNS1_3repE0EEENS1_30default_config_static_selectorELNS0_4arch9wavefront6targetE0EEEvSQ_.uses_vcc, 0
	.set _ZN7rocprim17ROCPRIM_400000_NS6detail17trampoline_kernelINS0_14default_configENS1_22reduce_config_selectorIbEEZNS1_11reduce_implILb1ES3_N6hipcub16HIPCUB_304000_NS22TransformInputIteratorIbN2at6native12_GLOBAL__N_19NonZeroOpIaEEPKalEEPiiNS8_6detail34convert_binary_result_type_wrapperINS8_3SumESH_iEEEE10hipError_tPvRmT1_T2_T3_mT4_P12ihipStream_tbEUlT_E0_NS1_11comp_targetILNS1_3genE4ELNS1_11target_archE910ELNS1_3gpuE8ELNS1_3repE0EEENS1_30default_config_static_selectorELNS0_4arch9wavefront6targetE0EEEvSQ_.uses_flat_scratch, 0
	.set _ZN7rocprim17ROCPRIM_400000_NS6detail17trampoline_kernelINS0_14default_configENS1_22reduce_config_selectorIbEEZNS1_11reduce_implILb1ES3_N6hipcub16HIPCUB_304000_NS22TransformInputIteratorIbN2at6native12_GLOBAL__N_19NonZeroOpIaEEPKalEEPiiNS8_6detail34convert_binary_result_type_wrapperINS8_3SumESH_iEEEE10hipError_tPvRmT1_T2_T3_mT4_P12ihipStream_tbEUlT_E0_NS1_11comp_targetILNS1_3genE4ELNS1_11target_archE910ELNS1_3gpuE8ELNS1_3repE0EEENS1_30default_config_static_selectorELNS0_4arch9wavefront6targetE0EEEvSQ_.has_dyn_sized_stack, 0
	.set _ZN7rocprim17ROCPRIM_400000_NS6detail17trampoline_kernelINS0_14default_configENS1_22reduce_config_selectorIbEEZNS1_11reduce_implILb1ES3_N6hipcub16HIPCUB_304000_NS22TransformInputIteratorIbN2at6native12_GLOBAL__N_19NonZeroOpIaEEPKalEEPiiNS8_6detail34convert_binary_result_type_wrapperINS8_3SumESH_iEEEE10hipError_tPvRmT1_T2_T3_mT4_P12ihipStream_tbEUlT_E0_NS1_11comp_targetILNS1_3genE4ELNS1_11target_archE910ELNS1_3gpuE8ELNS1_3repE0EEENS1_30default_config_static_selectorELNS0_4arch9wavefront6targetE0EEEvSQ_.has_recursion, 0
	.set _ZN7rocprim17ROCPRIM_400000_NS6detail17trampoline_kernelINS0_14default_configENS1_22reduce_config_selectorIbEEZNS1_11reduce_implILb1ES3_N6hipcub16HIPCUB_304000_NS22TransformInputIteratorIbN2at6native12_GLOBAL__N_19NonZeroOpIaEEPKalEEPiiNS8_6detail34convert_binary_result_type_wrapperINS8_3SumESH_iEEEE10hipError_tPvRmT1_T2_T3_mT4_P12ihipStream_tbEUlT_E0_NS1_11comp_targetILNS1_3genE4ELNS1_11target_archE910ELNS1_3gpuE8ELNS1_3repE0EEENS1_30default_config_static_selectorELNS0_4arch9wavefront6targetE0EEEvSQ_.has_indirect_call, 0
	.section	.AMDGPU.csdata,"",@progbits
; Kernel info:
; codeLenInByte = 0
; TotalNumSgprs: 0
; NumVgprs: 0
; ScratchSize: 0
; MemoryBound: 0
; FloatMode: 240
; IeeeMode: 1
; LDSByteSize: 0 bytes/workgroup (compile time only)
; SGPRBlocks: 0
; VGPRBlocks: 0
; NumSGPRsForWavesPerEU: 1
; NumVGPRsForWavesPerEU: 1
; Occupancy: 16
; WaveLimiterHint : 0
; COMPUTE_PGM_RSRC2:SCRATCH_EN: 0
; COMPUTE_PGM_RSRC2:USER_SGPR: 2
; COMPUTE_PGM_RSRC2:TRAP_HANDLER: 0
; COMPUTE_PGM_RSRC2:TGID_X_EN: 1
; COMPUTE_PGM_RSRC2:TGID_Y_EN: 0
; COMPUTE_PGM_RSRC2:TGID_Z_EN: 0
; COMPUTE_PGM_RSRC2:TIDIG_COMP_CNT: 0
	.section	.text._ZN7rocprim17ROCPRIM_400000_NS6detail17trampoline_kernelINS0_14default_configENS1_22reduce_config_selectorIbEEZNS1_11reduce_implILb1ES3_N6hipcub16HIPCUB_304000_NS22TransformInputIteratorIbN2at6native12_GLOBAL__N_19NonZeroOpIaEEPKalEEPiiNS8_6detail34convert_binary_result_type_wrapperINS8_3SumESH_iEEEE10hipError_tPvRmT1_T2_T3_mT4_P12ihipStream_tbEUlT_E0_NS1_11comp_targetILNS1_3genE3ELNS1_11target_archE908ELNS1_3gpuE7ELNS1_3repE0EEENS1_30default_config_static_selectorELNS0_4arch9wavefront6targetE0EEEvSQ_,"axG",@progbits,_ZN7rocprim17ROCPRIM_400000_NS6detail17trampoline_kernelINS0_14default_configENS1_22reduce_config_selectorIbEEZNS1_11reduce_implILb1ES3_N6hipcub16HIPCUB_304000_NS22TransformInputIteratorIbN2at6native12_GLOBAL__N_19NonZeroOpIaEEPKalEEPiiNS8_6detail34convert_binary_result_type_wrapperINS8_3SumESH_iEEEE10hipError_tPvRmT1_T2_T3_mT4_P12ihipStream_tbEUlT_E0_NS1_11comp_targetILNS1_3genE3ELNS1_11target_archE908ELNS1_3gpuE7ELNS1_3repE0EEENS1_30default_config_static_selectorELNS0_4arch9wavefront6targetE0EEEvSQ_,comdat
	.globl	_ZN7rocprim17ROCPRIM_400000_NS6detail17trampoline_kernelINS0_14default_configENS1_22reduce_config_selectorIbEEZNS1_11reduce_implILb1ES3_N6hipcub16HIPCUB_304000_NS22TransformInputIteratorIbN2at6native12_GLOBAL__N_19NonZeroOpIaEEPKalEEPiiNS8_6detail34convert_binary_result_type_wrapperINS8_3SumESH_iEEEE10hipError_tPvRmT1_T2_T3_mT4_P12ihipStream_tbEUlT_E0_NS1_11comp_targetILNS1_3genE3ELNS1_11target_archE908ELNS1_3gpuE7ELNS1_3repE0EEENS1_30default_config_static_selectorELNS0_4arch9wavefront6targetE0EEEvSQ_ ; -- Begin function _ZN7rocprim17ROCPRIM_400000_NS6detail17trampoline_kernelINS0_14default_configENS1_22reduce_config_selectorIbEEZNS1_11reduce_implILb1ES3_N6hipcub16HIPCUB_304000_NS22TransformInputIteratorIbN2at6native12_GLOBAL__N_19NonZeroOpIaEEPKalEEPiiNS8_6detail34convert_binary_result_type_wrapperINS8_3SumESH_iEEEE10hipError_tPvRmT1_T2_T3_mT4_P12ihipStream_tbEUlT_E0_NS1_11comp_targetILNS1_3genE3ELNS1_11target_archE908ELNS1_3gpuE7ELNS1_3repE0EEENS1_30default_config_static_selectorELNS0_4arch9wavefront6targetE0EEEvSQ_
	.p2align	8
	.type	_ZN7rocprim17ROCPRIM_400000_NS6detail17trampoline_kernelINS0_14default_configENS1_22reduce_config_selectorIbEEZNS1_11reduce_implILb1ES3_N6hipcub16HIPCUB_304000_NS22TransformInputIteratorIbN2at6native12_GLOBAL__N_19NonZeroOpIaEEPKalEEPiiNS8_6detail34convert_binary_result_type_wrapperINS8_3SumESH_iEEEE10hipError_tPvRmT1_T2_T3_mT4_P12ihipStream_tbEUlT_E0_NS1_11comp_targetILNS1_3genE3ELNS1_11target_archE908ELNS1_3gpuE7ELNS1_3repE0EEENS1_30default_config_static_selectorELNS0_4arch9wavefront6targetE0EEEvSQ_,@function
_ZN7rocprim17ROCPRIM_400000_NS6detail17trampoline_kernelINS0_14default_configENS1_22reduce_config_selectorIbEEZNS1_11reduce_implILb1ES3_N6hipcub16HIPCUB_304000_NS22TransformInputIteratorIbN2at6native12_GLOBAL__N_19NonZeroOpIaEEPKalEEPiiNS8_6detail34convert_binary_result_type_wrapperINS8_3SumESH_iEEEE10hipError_tPvRmT1_T2_T3_mT4_P12ihipStream_tbEUlT_E0_NS1_11comp_targetILNS1_3genE3ELNS1_11target_archE908ELNS1_3gpuE7ELNS1_3repE0EEENS1_30default_config_static_selectorELNS0_4arch9wavefront6targetE0EEEvSQ_: ; @_ZN7rocprim17ROCPRIM_400000_NS6detail17trampoline_kernelINS0_14default_configENS1_22reduce_config_selectorIbEEZNS1_11reduce_implILb1ES3_N6hipcub16HIPCUB_304000_NS22TransformInputIteratorIbN2at6native12_GLOBAL__N_19NonZeroOpIaEEPKalEEPiiNS8_6detail34convert_binary_result_type_wrapperINS8_3SumESH_iEEEE10hipError_tPvRmT1_T2_T3_mT4_P12ihipStream_tbEUlT_E0_NS1_11comp_targetILNS1_3genE3ELNS1_11target_archE908ELNS1_3gpuE7ELNS1_3repE0EEENS1_30default_config_static_selectorELNS0_4arch9wavefront6targetE0EEEvSQ_
; %bb.0:
	.section	.rodata,"a",@progbits
	.p2align	6, 0x0
	.amdhsa_kernel _ZN7rocprim17ROCPRIM_400000_NS6detail17trampoline_kernelINS0_14default_configENS1_22reduce_config_selectorIbEEZNS1_11reduce_implILb1ES3_N6hipcub16HIPCUB_304000_NS22TransformInputIteratorIbN2at6native12_GLOBAL__N_19NonZeroOpIaEEPKalEEPiiNS8_6detail34convert_binary_result_type_wrapperINS8_3SumESH_iEEEE10hipError_tPvRmT1_T2_T3_mT4_P12ihipStream_tbEUlT_E0_NS1_11comp_targetILNS1_3genE3ELNS1_11target_archE908ELNS1_3gpuE7ELNS1_3repE0EEENS1_30default_config_static_selectorELNS0_4arch9wavefront6targetE0EEEvSQ_
		.amdhsa_group_segment_fixed_size 0
		.amdhsa_private_segment_fixed_size 0
		.amdhsa_kernarg_size 64
		.amdhsa_user_sgpr_count 2
		.amdhsa_user_sgpr_dispatch_ptr 0
		.amdhsa_user_sgpr_queue_ptr 0
		.amdhsa_user_sgpr_kernarg_segment_ptr 1
		.amdhsa_user_sgpr_dispatch_id 0
		.amdhsa_user_sgpr_private_segment_size 0
		.amdhsa_wavefront_size32 1
		.amdhsa_uses_dynamic_stack 0
		.amdhsa_enable_private_segment 0
		.amdhsa_system_sgpr_workgroup_id_x 1
		.amdhsa_system_sgpr_workgroup_id_y 0
		.amdhsa_system_sgpr_workgroup_id_z 0
		.amdhsa_system_sgpr_workgroup_info 0
		.amdhsa_system_vgpr_workitem_id 0
		.amdhsa_next_free_vgpr 1
		.amdhsa_next_free_sgpr 1
		.amdhsa_reserve_vcc 0
		.amdhsa_float_round_mode_32 0
		.amdhsa_float_round_mode_16_64 0
		.amdhsa_float_denorm_mode_32 3
		.amdhsa_float_denorm_mode_16_64 3
		.amdhsa_fp16_overflow 0
		.amdhsa_workgroup_processor_mode 1
		.amdhsa_memory_ordered 1
		.amdhsa_forward_progress 1
		.amdhsa_inst_pref_size 0
		.amdhsa_round_robin_scheduling 0
		.amdhsa_exception_fp_ieee_invalid_op 0
		.amdhsa_exception_fp_denorm_src 0
		.amdhsa_exception_fp_ieee_div_zero 0
		.amdhsa_exception_fp_ieee_overflow 0
		.amdhsa_exception_fp_ieee_underflow 0
		.amdhsa_exception_fp_ieee_inexact 0
		.amdhsa_exception_int_div_zero 0
	.end_amdhsa_kernel
	.section	.text._ZN7rocprim17ROCPRIM_400000_NS6detail17trampoline_kernelINS0_14default_configENS1_22reduce_config_selectorIbEEZNS1_11reduce_implILb1ES3_N6hipcub16HIPCUB_304000_NS22TransformInputIteratorIbN2at6native12_GLOBAL__N_19NonZeroOpIaEEPKalEEPiiNS8_6detail34convert_binary_result_type_wrapperINS8_3SumESH_iEEEE10hipError_tPvRmT1_T2_T3_mT4_P12ihipStream_tbEUlT_E0_NS1_11comp_targetILNS1_3genE3ELNS1_11target_archE908ELNS1_3gpuE7ELNS1_3repE0EEENS1_30default_config_static_selectorELNS0_4arch9wavefront6targetE0EEEvSQ_,"axG",@progbits,_ZN7rocprim17ROCPRIM_400000_NS6detail17trampoline_kernelINS0_14default_configENS1_22reduce_config_selectorIbEEZNS1_11reduce_implILb1ES3_N6hipcub16HIPCUB_304000_NS22TransformInputIteratorIbN2at6native12_GLOBAL__N_19NonZeroOpIaEEPKalEEPiiNS8_6detail34convert_binary_result_type_wrapperINS8_3SumESH_iEEEE10hipError_tPvRmT1_T2_T3_mT4_P12ihipStream_tbEUlT_E0_NS1_11comp_targetILNS1_3genE3ELNS1_11target_archE908ELNS1_3gpuE7ELNS1_3repE0EEENS1_30default_config_static_selectorELNS0_4arch9wavefront6targetE0EEEvSQ_,comdat
.Lfunc_end103:
	.size	_ZN7rocprim17ROCPRIM_400000_NS6detail17trampoline_kernelINS0_14default_configENS1_22reduce_config_selectorIbEEZNS1_11reduce_implILb1ES3_N6hipcub16HIPCUB_304000_NS22TransformInputIteratorIbN2at6native12_GLOBAL__N_19NonZeroOpIaEEPKalEEPiiNS8_6detail34convert_binary_result_type_wrapperINS8_3SumESH_iEEEE10hipError_tPvRmT1_T2_T3_mT4_P12ihipStream_tbEUlT_E0_NS1_11comp_targetILNS1_3genE3ELNS1_11target_archE908ELNS1_3gpuE7ELNS1_3repE0EEENS1_30default_config_static_selectorELNS0_4arch9wavefront6targetE0EEEvSQ_, .Lfunc_end103-_ZN7rocprim17ROCPRIM_400000_NS6detail17trampoline_kernelINS0_14default_configENS1_22reduce_config_selectorIbEEZNS1_11reduce_implILb1ES3_N6hipcub16HIPCUB_304000_NS22TransformInputIteratorIbN2at6native12_GLOBAL__N_19NonZeroOpIaEEPKalEEPiiNS8_6detail34convert_binary_result_type_wrapperINS8_3SumESH_iEEEE10hipError_tPvRmT1_T2_T3_mT4_P12ihipStream_tbEUlT_E0_NS1_11comp_targetILNS1_3genE3ELNS1_11target_archE908ELNS1_3gpuE7ELNS1_3repE0EEENS1_30default_config_static_selectorELNS0_4arch9wavefront6targetE0EEEvSQ_
                                        ; -- End function
	.set _ZN7rocprim17ROCPRIM_400000_NS6detail17trampoline_kernelINS0_14default_configENS1_22reduce_config_selectorIbEEZNS1_11reduce_implILb1ES3_N6hipcub16HIPCUB_304000_NS22TransformInputIteratorIbN2at6native12_GLOBAL__N_19NonZeroOpIaEEPKalEEPiiNS8_6detail34convert_binary_result_type_wrapperINS8_3SumESH_iEEEE10hipError_tPvRmT1_T2_T3_mT4_P12ihipStream_tbEUlT_E0_NS1_11comp_targetILNS1_3genE3ELNS1_11target_archE908ELNS1_3gpuE7ELNS1_3repE0EEENS1_30default_config_static_selectorELNS0_4arch9wavefront6targetE0EEEvSQ_.num_vgpr, 0
	.set _ZN7rocprim17ROCPRIM_400000_NS6detail17trampoline_kernelINS0_14default_configENS1_22reduce_config_selectorIbEEZNS1_11reduce_implILb1ES3_N6hipcub16HIPCUB_304000_NS22TransformInputIteratorIbN2at6native12_GLOBAL__N_19NonZeroOpIaEEPKalEEPiiNS8_6detail34convert_binary_result_type_wrapperINS8_3SumESH_iEEEE10hipError_tPvRmT1_T2_T3_mT4_P12ihipStream_tbEUlT_E0_NS1_11comp_targetILNS1_3genE3ELNS1_11target_archE908ELNS1_3gpuE7ELNS1_3repE0EEENS1_30default_config_static_selectorELNS0_4arch9wavefront6targetE0EEEvSQ_.num_agpr, 0
	.set _ZN7rocprim17ROCPRIM_400000_NS6detail17trampoline_kernelINS0_14default_configENS1_22reduce_config_selectorIbEEZNS1_11reduce_implILb1ES3_N6hipcub16HIPCUB_304000_NS22TransformInputIteratorIbN2at6native12_GLOBAL__N_19NonZeroOpIaEEPKalEEPiiNS8_6detail34convert_binary_result_type_wrapperINS8_3SumESH_iEEEE10hipError_tPvRmT1_T2_T3_mT4_P12ihipStream_tbEUlT_E0_NS1_11comp_targetILNS1_3genE3ELNS1_11target_archE908ELNS1_3gpuE7ELNS1_3repE0EEENS1_30default_config_static_selectorELNS0_4arch9wavefront6targetE0EEEvSQ_.numbered_sgpr, 0
	.set _ZN7rocprim17ROCPRIM_400000_NS6detail17trampoline_kernelINS0_14default_configENS1_22reduce_config_selectorIbEEZNS1_11reduce_implILb1ES3_N6hipcub16HIPCUB_304000_NS22TransformInputIteratorIbN2at6native12_GLOBAL__N_19NonZeroOpIaEEPKalEEPiiNS8_6detail34convert_binary_result_type_wrapperINS8_3SumESH_iEEEE10hipError_tPvRmT1_T2_T3_mT4_P12ihipStream_tbEUlT_E0_NS1_11comp_targetILNS1_3genE3ELNS1_11target_archE908ELNS1_3gpuE7ELNS1_3repE0EEENS1_30default_config_static_selectorELNS0_4arch9wavefront6targetE0EEEvSQ_.num_named_barrier, 0
	.set _ZN7rocprim17ROCPRIM_400000_NS6detail17trampoline_kernelINS0_14default_configENS1_22reduce_config_selectorIbEEZNS1_11reduce_implILb1ES3_N6hipcub16HIPCUB_304000_NS22TransformInputIteratorIbN2at6native12_GLOBAL__N_19NonZeroOpIaEEPKalEEPiiNS8_6detail34convert_binary_result_type_wrapperINS8_3SumESH_iEEEE10hipError_tPvRmT1_T2_T3_mT4_P12ihipStream_tbEUlT_E0_NS1_11comp_targetILNS1_3genE3ELNS1_11target_archE908ELNS1_3gpuE7ELNS1_3repE0EEENS1_30default_config_static_selectorELNS0_4arch9wavefront6targetE0EEEvSQ_.private_seg_size, 0
	.set _ZN7rocprim17ROCPRIM_400000_NS6detail17trampoline_kernelINS0_14default_configENS1_22reduce_config_selectorIbEEZNS1_11reduce_implILb1ES3_N6hipcub16HIPCUB_304000_NS22TransformInputIteratorIbN2at6native12_GLOBAL__N_19NonZeroOpIaEEPKalEEPiiNS8_6detail34convert_binary_result_type_wrapperINS8_3SumESH_iEEEE10hipError_tPvRmT1_T2_T3_mT4_P12ihipStream_tbEUlT_E0_NS1_11comp_targetILNS1_3genE3ELNS1_11target_archE908ELNS1_3gpuE7ELNS1_3repE0EEENS1_30default_config_static_selectorELNS0_4arch9wavefront6targetE0EEEvSQ_.uses_vcc, 0
	.set _ZN7rocprim17ROCPRIM_400000_NS6detail17trampoline_kernelINS0_14default_configENS1_22reduce_config_selectorIbEEZNS1_11reduce_implILb1ES3_N6hipcub16HIPCUB_304000_NS22TransformInputIteratorIbN2at6native12_GLOBAL__N_19NonZeroOpIaEEPKalEEPiiNS8_6detail34convert_binary_result_type_wrapperINS8_3SumESH_iEEEE10hipError_tPvRmT1_T2_T3_mT4_P12ihipStream_tbEUlT_E0_NS1_11comp_targetILNS1_3genE3ELNS1_11target_archE908ELNS1_3gpuE7ELNS1_3repE0EEENS1_30default_config_static_selectorELNS0_4arch9wavefront6targetE0EEEvSQ_.uses_flat_scratch, 0
	.set _ZN7rocprim17ROCPRIM_400000_NS6detail17trampoline_kernelINS0_14default_configENS1_22reduce_config_selectorIbEEZNS1_11reduce_implILb1ES3_N6hipcub16HIPCUB_304000_NS22TransformInputIteratorIbN2at6native12_GLOBAL__N_19NonZeroOpIaEEPKalEEPiiNS8_6detail34convert_binary_result_type_wrapperINS8_3SumESH_iEEEE10hipError_tPvRmT1_T2_T3_mT4_P12ihipStream_tbEUlT_E0_NS1_11comp_targetILNS1_3genE3ELNS1_11target_archE908ELNS1_3gpuE7ELNS1_3repE0EEENS1_30default_config_static_selectorELNS0_4arch9wavefront6targetE0EEEvSQ_.has_dyn_sized_stack, 0
	.set _ZN7rocprim17ROCPRIM_400000_NS6detail17trampoline_kernelINS0_14default_configENS1_22reduce_config_selectorIbEEZNS1_11reduce_implILb1ES3_N6hipcub16HIPCUB_304000_NS22TransformInputIteratorIbN2at6native12_GLOBAL__N_19NonZeroOpIaEEPKalEEPiiNS8_6detail34convert_binary_result_type_wrapperINS8_3SumESH_iEEEE10hipError_tPvRmT1_T2_T3_mT4_P12ihipStream_tbEUlT_E0_NS1_11comp_targetILNS1_3genE3ELNS1_11target_archE908ELNS1_3gpuE7ELNS1_3repE0EEENS1_30default_config_static_selectorELNS0_4arch9wavefront6targetE0EEEvSQ_.has_recursion, 0
	.set _ZN7rocprim17ROCPRIM_400000_NS6detail17trampoline_kernelINS0_14default_configENS1_22reduce_config_selectorIbEEZNS1_11reduce_implILb1ES3_N6hipcub16HIPCUB_304000_NS22TransformInputIteratorIbN2at6native12_GLOBAL__N_19NonZeroOpIaEEPKalEEPiiNS8_6detail34convert_binary_result_type_wrapperINS8_3SumESH_iEEEE10hipError_tPvRmT1_T2_T3_mT4_P12ihipStream_tbEUlT_E0_NS1_11comp_targetILNS1_3genE3ELNS1_11target_archE908ELNS1_3gpuE7ELNS1_3repE0EEENS1_30default_config_static_selectorELNS0_4arch9wavefront6targetE0EEEvSQ_.has_indirect_call, 0
	.section	.AMDGPU.csdata,"",@progbits
; Kernel info:
; codeLenInByte = 0
; TotalNumSgprs: 0
; NumVgprs: 0
; ScratchSize: 0
; MemoryBound: 0
; FloatMode: 240
; IeeeMode: 1
; LDSByteSize: 0 bytes/workgroup (compile time only)
; SGPRBlocks: 0
; VGPRBlocks: 0
; NumSGPRsForWavesPerEU: 1
; NumVGPRsForWavesPerEU: 1
; Occupancy: 16
; WaveLimiterHint : 0
; COMPUTE_PGM_RSRC2:SCRATCH_EN: 0
; COMPUTE_PGM_RSRC2:USER_SGPR: 2
; COMPUTE_PGM_RSRC2:TRAP_HANDLER: 0
; COMPUTE_PGM_RSRC2:TGID_X_EN: 1
; COMPUTE_PGM_RSRC2:TGID_Y_EN: 0
; COMPUTE_PGM_RSRC2:TGID_Z_EN: 0
; COMPUTE_PGM_RSRC2:TIDIG_COMP_CNT: 0
	.section	.text._ZN7rocprim17ROCPRIM_400000_NS6detail17trampoline_kernelINS0_14default_configENS1_22reduce_config_selectorIbEEZNS1_11reduce_implILb1ES3_N6hipcub16HIPCUB_304000_NS22TransformInputIteratorIbN2at6native12_GLOBAL__N_19NonZeroOpIaEEPKalEEPiiNS8_6detail34convert_binary_result_type_wrapperINS8_3SumESH_iEEEE10hipError_tPvRmT1_T2_T3_mT4_P12ihipStream_tbEUlT_E0_NS1_11comp_targetILNS1_3genE2ELNS1_11target_archE906ELNS1_3gpuE6ELNS1_3repE0EEENS1_30default_config_static_selectorELNS0_4arch9wavefront6targetE0EEEvSQ_,"axG",@progbits,_ZN7rocprim17ROCPRIM_400000_NS6detail17trampoline_kernelINS0_14default_configENS1_22reduce_config_selectorIbEEZNS1_11reduce_implILb1ES3_N6hipcub16HIPCUB_304000_NS22TransformInputIteratorIbN2at6native12_GLOBAL__N_19NonZeroOpIaEEPKalEEPiiNS8_6detail34convert_binary_result_type_wrapperINS8_3SumESH_iEEEE10hipError_tPvRmT1_T2_T3_mT4_P12ihipStream_tbEUlT_E0_NS1_11comp_targetILNS1_3genE2ELNS1_11target_archE906ELNS1_3gpuE6ELNS1_3repE0EEENS1_30default_config_static_selectorELNS0_4arch9wavefront6targetE0EEEvSQ_,comdat
	.globl	_ZN7rocprim17ROCPRIM_400000_NS6detail17trampoline_kernelINS0_14default_configENS1_22reduce_config_selectorIbEEZNS1_11reduce_implILb1ES3_N6hipcub16HIPCUB_304000_NS22TransformInputIteratorIbN2at6native12_GLOBAL__N_19NonZeroOpIaEEPKalEEPiiNS8_6detail34convert_binary_result_type_wrapperINS8_3SumESH_iEEEE10hipError_tPvRmT1_T2_T3_mT4_P12ihipStream_tbEUlT_E0_NS1_11comp_targetILNS1_3genE2ELNS1_11target_archE906ELNS1_3gpuE6ELNS1_3repE0EEENS1_30default_config_static_selectorELNS0_4arch9wavefront6targetE0EEEvSQ_ ; -- Begin function _ZN7rocprim17ROCPRIM_400000_NS6detail17trampoline_kernelINS0_14default_configENS1_22reduce_config_selectorIbEEZNS1_11reduce_implILb1ES3_N6hipcub16HIPCUB_304000_NS22TransformInputIteratorIbN2at6native12_GLOBAL__N_19NonZeroOpIaEEPKalEEPiiNS8_6detail34convert_binary_result_type_wrapperINS8_3SumESH_iEEEE10hipError_tPvRmT1_T2_T3_mT4_P12ihipStream_tbEUlT_E0_NS1_11comp_targetILNS1_3genE2ELNS1_11target_archE906ELNS1_3gpuE6ELNS1_3repE0EEENS1_30default_config_static_selectorELNS0_4arch9wavefront6targetE0EEEvSQ_
	.p2align	8
	.type	_ZN7rocprim17ROCPRIM_400000_NS6detail17trampoline_kernelINS0_14default_configENS1_22reduce_config_selectorIbEEZNS1_11reduce_implILb1ES3_N6hipcub16HIPCUB_304000_NS22TransformInputIteratorIbN2at6native12_GLOBAL__N_19NonZeroOpIaEEPKalEEPiiNS8_6detail34convert_binary_result_type_wrapperINS8_3SumESH_iEEEE10hipError_tPvRmT1_T2_T3_mT4_P12ihipStream_tbEUlT_E0_NS1_11comp_targetILNS1_3genE2ELNS1_11target_archE906ELNS1_3gpuE6ELNS1_3repE0EEENS1_30default_config_static_selectorELNS0_4arch9wavefront6targetE0EEEvSQ_,@function
_ZN7rocprim17ROCPRIM_400000_NS6detail17trampoline_kernelINS0_14default_configENS1_22reduce_config_selectorIbEEZNS1_11reduce_implILb1ES3_N6hipcub16HIPCUB_304000_NS22TransformInputIteratorIbN2at6native12_GLOBAL__N_19NonZeroOpIaEEPKalEEPiiNS8_6detail34convert_binary_result_type_wrapperINS8_3SumESH_iEEEE10hipError_tPvRmT1_T2_T3_mT4_P12ihipStream_tbEUlT_E0_NS1_11comp_targetILNS1_3genE2ELNS1_11target_archE906ELNS1_3gpuE6ELNS1_3repE0EEENS1_30default_config_static_selectorELNS0_4arch9wavefront6targetE0EEEvSQ_: ; @_ZN7rocprim17ROCPRIM_400000_NS6detail17trampoline_kernelINS0_14default_configENS1_22reduce_config_selectorIbEEZNS1_11reduce_implILb1ES3_N6hipcub16HIPCUB_304000_NS22TransformInputIteratorIbN2at6native12_GLOBAL__N_19NonZeroOpIaEEPKalEEPiiNS8_6detail34convert_binary_result_type_wrapperINS8_3SumESH_iEEEE10hipError_tPvRmT1_T2_T3_mT4_P12ihipStream_tbEUlT_E0_NS1_11comp_targetILNS1_3genE2ELNS1_11target_archE906ELNS1_3gpuE6ELNS1_3repE0EEENS1_30default_config_static_selectorELNS0_4arch9wavefront6targetE0EEEvSQ_
; %bb.0:
	.section	.rodata,"a",@progbits
	.p2align	6, 0x0
	.amdhsa_kernel _ZN7rocprim17ROCPRIM_400000_NS6detail17trampoline_kernelINS0_14default_configENS1_22reduce_config_selectorIbEEZNS1_11reduce_implILb1ES3_N6hipcub16HIPCUB_304000_NS22TransformInputIteratorIbN2at6native12_GLOBAL__N_19NonZeroOpIaEEPKalEEPiiNS8_6detail34convert_binary_result_type_wrapperINS8_3SumESH_iEEEE10hipError_tPvRmT1_T2_T3_mT4_P12ihipStream_tbEUlT_E0_NS1_11comp_targetILNS1_3genE2ELNS1_11target_archE906ELNS1_3gpuE6ELNS1_3repE0EEENS1_30default_config_static_selectorELNS0_4arch9wavefront6targetE0EEEvSQ_
		.amdhsa_group_segment_fixed_size 0
		.amdhsa_private_segment_fixed_size 0
		.amdhsa_kernarg_size 64
		.amdhsa_user_sgpr_count 2
		.amdhsa_user_sgpr_dispatch_ptr 0
		.amdhsa_user_sgpr_queue_ptr 0
		.amdhsa_user_sgpr_kernarg_segment_ptr 1
		.amdhsa_user_sgpr_dispatch_id 0
		.amdhsa_user_sgpr_private_segment_size 0
		.amdhsa_wavefront_size32 1
		.amdhsa_uses_dynamic_stack 0
		.amdhsa_enable_private_segment 0
		.amdhsa_system_sgpr_workgroup_id_x 1
		.amdhsa_system_sgpr_workgroup_id_y 0
		.amdhsa_system_sgpr_workgroup_id_z 0
		.amdhsa_system_sgpr_workgroup_info 0
		.amdhsa_system_vgpr_workitem_id 0
		.amdhsa_next_free_vgpr 1
		.amdhsa_next_free_sgpr 1
		.amdhsa_reserve_vcc 0
		.amdhsa_float_round_mode_32 0
		.amdhsa_float_round_mode_16_64 0
		.amdhsa_float_denorm_mode_32 3
		.amdhsa_float_denorm_mode_16_64 3
		.amdhsa_fp16_overflow 0
		.amdhsa_workgroup_processor_mode 1
		.amdhsa_memory_ordered 1
		.amdhsa_forward_progress 1
		.amdhsa_inst_pref_size 0
		.amdhsa_round_robin_scheduling 0
		.amdhsa_exception_fp_ieee_invalid_op 0
		.amdhsa_exception_fp_denorm_src 0
		.amdhsa_exception_fp_ieee_div_zero 0
		.amdhsa_exception_fp_ieee_overflow 0
		.amdhsa_exception_fp_ieee_underflow 0
		.amdhsa_exception_fp_ieee_inexact 0
		.amdhsa_exception_int_div_zero 0
	.end_amdhsa_kernel
	.section	.text._ZN7rocprim17ROCPRIM_400000_NS6detail17trampoline_kernelINS0_14default_configENS1_22reduce_config_selectorIbEEZNS1_11reduce_implILb1ES3_N6hipcub16HIPCUB_304000_NS22TransformInputIteratorIbN2at6native12_GLOBAL__N_19NonZeroOpIaEEPKalEEPiiNS8_6detail34convert_binary_result_type_wrapperINS8_3SumESH_iEEEE10hipError_tPvRmT1_T2_T3_mT4_P12ihipStream_tbEUlT_E0_NS1_11comp_targetILNS1_3genE2ELNS1_11target_archE906ELNS1_3gpuE6ELNS1_3repE0EEENS1_30default_config_static_selectorELNS0_4arch9wavefront6targetE0EEEvSQ_,"axG",@progbits,_ZN7rocprim17ROCPRIM_400000_NS6detail17trampoline_kernelINS0_14default_configENS1_22reduce_config_selectorIbEEZNS1_11reduce_implILb1ES3_N6hipcub16HIPCUB_304000_NS22TransformInputIteratorIbN2at6native12_GLOBAL__N_19NonZeroOpIaEEPKalEEPiiNS8_6detail34convert_binary_result_type_wrapperINS8_3SumESH_iEEEE10hipError_tPvRmT1_T2_T3_mT4_P12ihipStream_tbEUlT_E0_NS1_11comp_targetILNS1_3genE2ELNS1_11target_archE906ELNS1_3gpuE6ELNS1_3repE0EEENS1_30default_config_static_selectorELNS0_4arch9wavefront6targetE0EEEvSQ_,comdat
.Lfunc_end104:
	.size	_ZN7rocprim17ROCPRIM_400000_NS6detail17trampoline_kernelINS0_14default_configENS1_22reduce_config_selectorIbEEZNS1_11reduce_implILb1ES3_N6hipcub16HIPCUB_304000_NS22TransformInputIteratorIbN2at6native12_GLOBAL__N_19NonZeroOpIaEEPKalEEPiiNS8_6detail34convert_binary_result_type_wrapperINS8_3SumESH_iEEEE10hipError_tPvRmT1_T2_T3_mT4_P12ihipStream_tbEUlT_E0_NS1_11comp_targetILNS1_3genE2ELNS1_11target_archE906ELNS1_3gpuE6ELNS1_3repE0EEENS1_30default_config_static_selectorELNS0_4arch9wavefront6targetE0EEEvSQ_, .Lfunc_end104-_ZN7rocprim17ROCPRIM_400000_NS6detail17trampoline_kernelINS0_14default_configENS1_22reduce_config_selectorIbEEZNS1_11reduce_implILb1ES3_N6hipcub16HIPCUB_304000_NS22TransformInputIteratorIbN2at6native12_GLOBAL__N_19NonZeroOpIaEEPKalEEPiiNS8_6detail34convert_binary_result_type_wrapperINS8_3SumESH_iEEEE10hipError_tPvRmT1_T2_T3_mT4_P12ihipStream_tbEUlT_E0_NS1_11comp_targetILNS1_3genE2ELNS1_11target_archE906ELNS1_3gpuE6ELNS1_3repE0EEENS1_30default_config_static_selectorELNS0_4arch9wavefront6targetE0EEEvSQ_
                                        ; -- End function
	.set _ZN7rocprim17ROCPRIM_400000_NS6detail17trampoline_kernelINS0_14default_configENS1_22reduce_config_selectorIbEEZNS1_11reduce_implILb1ES3_N6hipcub16HIPCUB_304000_NS22TransformInputIteratorIbN2at6native12_GLOBAL__N_19NonZeroOpIaEEPKalEEPiiNS8_6detail34convert_binary_result_type_wrapperINS8_3SumESH_iEEEE10hipError_tPvRmT1_T2_T3_mT4_P12ihipStream_tbEUlT_E0_NS1_11comp_targetILNS1_3genE2ELNS1_11target_archE906ELNS1_3gpuE6ELNS1_3repE0EEENS1_30default_config_static_selectorELNS0_4arch9wavefront6targetE0EEEvSQ_.num_vgpr, 0
	.set _ZN7rocprim17ROCPRIM_400000_NS6detail17trampoline_kernelINS0_14default_configENS1_22reduce_config_selectorIbEEZNS1_11reduce_implILb1ES3_N6hipcub16HIPCUB_304000_NS22TransformInputIteratorIbN2at6native12_GLOBAL__N_19NonZeroOpIaEEPKalEEPiiNS8_6detail34convert_binary_result_type_wrapperINS8_3SumESH_iEEEE10hipError_tPvRmT1_T2_T3_mT4_P12ihipStream_tbEUlT_E0_NS1_11comp_targetILNS1_3genE2ELNS1_11target_archE906ELNS1_3gpuE6ELNS1_3repE0EEENS1_30default_config_static_selectorELNS0_4arch9wavefront6targetE0EEEvSQ_.num_agpr, 0
	.set _ZN7rocprim17ROCPRIM_400000_NS6detail17trampoline_kernelINS0_14default_configENS1_22reduce_config_selectorIbEEZNS1_11reduce_implILb1ES3_N6hipcub16HIPCUB_304000_NS22TransformInputIteratorIbN2at6native12_GLOBAL__N_19NonZeroOpIaEEPKalEEPiiNS8_6detail34convert_binary_result_type_wrapperINS8_3SumESH_iEEEE10hipError_tPvRmT1_T2_T3_mT4_P12ihipStream_tbEUlT_E0_NS1_11comp_targetILNS1_3genE2ELNS1_11target_archE906ELNS1_3gpuE6ELNS1_3repE0EEENS1_30default_config_static_selectorELNS0_4arch9wavefront6targetE0EEEvSQ_.numbered_sgpr, 0
	.set _ZN7rocprim17ROCPRIM_400000_NS6detail17trampoline_kernelINS0_14default_configENS1_22reduce_config_selectorIbEEZNS1_11reduce_implILb1ES3_N6hipcub16HIPCUB_304000_NS22TransformInputIteratorIbN2at6native12_GLOBAL__N_19NonZeroOpIaEEPKalEEPiiNS8_6detail34convert_binary_result_type_wrapperINS8_3SumESH_iEEEE10hipError_tPvRmT1_T2_T3_mT4_P12ihipStream_tbEUlT_E0_NS1_11comp_targetILNS1_3genE2ELNS1_11target_archE906ELNS1_3gpuE6ELNS1_3repE0EEENS1_30default_config_static_selectorELNS0_4arch9wavefront6targetE0EEEvSQ_.num_named_barrier, 0
	.set _ZN7rocprim17ROCPRIM_400000_NS6detail17trampoline_kernelINS0_14default_configENS1_22reduce_config_selectorIbEEZNS1_11reduce_implILb1ES3_N6hipcub16HIPCUB_304000_NS22TransformInputIteratorIbN2at6native12_GLOBAL__N_19NonZeroOpIaEEPKalEEPiiNS8_6detail34convert_binary_result_type_wrapperINS8_3SumESH_iEEEE10hipError_tPvRmT1_T2_T3_mT4_P12ihipStream_tbEUlT_E0_NS1_11comp_targetILNS1_3genE2ELNS1_11target_archE906ELNS1_3gpuE6ELNS1_3repE0EEENS1_30default_config_static_selectorELNS0_4arch9wavefront6targetE0EEEvSQ_.private_seg_size, 0
	.set _ZN7rocprim17ROCPRIM_400000_NS6detail17trampoline_kernelINS0_14default_configENS1_22reduce_config_selectorIbEEZNS1_11reduce_implILb1ES3_N6hipcub16HIPCUB_304000_NS22TransformInputIteratorIbN2at6native12_GLOBAL__N_19NonZeroOpIaEEPKalEEPiiNS8_6detail34convert_binary_result_type_wrapperINS8_3SumESH_iEEEE10hipError_tPvRmT1_T2_T3_mT4_P12ihipStream_tbEUlT_E0_NS1_11comp_targetILNS1_3genE2ELNS1_11target_archE906ELNS1_3gpuE6ELNS1_3repE0EEENS1_30default_config_static_selectorELNS0_4arch9wavefront6targetE0EEEvSQ_.uses_vcc, 0
	.set _ZN7rocprim17ROCPRIM_400000_NS6detail17trampoline_kernelINS0_14default_configENS1_22reduce_config_selectorIbEEZNS1_11reduce_implILb1ES3_N6hipcub16HIPCUB_304000_NS22TransformInputIteratorIbN2at6native12_GLOBAL__N_19NonZeroOpIaEEPKalEEPiiNS8_6detail34convert_binary_result_type_wrapperINS8_3SumESH_iEEEE10hipError_tPvRmT1_T2_T3_mT4_P12ihipStream_tbEUlT_E0_NS1_11comp_targetILNS1_3genE2ELNS1_11target_archE906ELNS1_3gpuE6ELNS1_3repE0EEENS1_30default_config_static_selectorELNS0_4arch9wavefront6targetE0EEEvSQ_.uses_flat_scratch, 0
	.set _ZN7rocprim17ROCPRIM_400000_NS6detail17trampoline_kernelINS0_14default_configENS1_22reduce_config_selectorIbEEZNS1_11reduce_implILb1ES3_N6hipcub16HIPCUB_304000_NS22TransformInputIteratorIbN2at6native12_GLOBAL__N_19NonZeroOpIaEEPKalEEPiiNS8_6detail34convert_binary_result_type_wrapperINS8_3SumESH_iEEEE10hipError_tPvRmT1_T2_T3_mT4_P12ihipStream_tbEUlT_E0_NS1_11comp_targetILNS1_3genE2ELNS1_11target_archE906ELNS1_3gpuE6ELNS1_3repE0EEENS1_30default_config_static_selectorELNS0_4arch9wavefront6targetE0EEEvSQ_.has_dyn_sized_stack, 0
	.set _ZN7rocprim17ROCPRIM_400000_NS6detail17trampoline_kernelINS0_14default_configENS1_22reduce_config_selectorIbEEZNS1_11reduce_implILb1ES3_N6hipcub16HIPCUB_304000_NS22TransformInputIteratorIbN2at6native12_GLOBAL__N_19NonZeroOpIaEEPKalEEPiiNS8_6detail34convert_binary_result_type_wrapperINS8_3SumESH_iEEEE10hipError_tPvRmT1_T2_T3_mT4_P12ihipStream_tbEUlT_E0_NS1_11comp_targetILNS1_3genE2ELNS1_11target_archE906ELNS1_3gpuE6ELNS1_3repE0EEENS1_30default_config_static_selectorELNS0_4arch9wavefront6targetE0EEEvSQ_.has_recursion, 0
	.set _ZN7rocprim17ROCPRIM_400000_NS6detail17trampoline_kernelINS0_14default_configENS1_22reduce_config_selectorIbEEZNS1_11reduce_implILb1ES3_N6hipcub16HIPCUB_304000_NS22TransformInputIteratorIbN2at6native12_GLOBAL__N_19NonZeroOpIaEEPKalEEPiiNS8_6detail34convert_binary_result_type_wrapperINS8_3SumESH_iEEEE10hipError_tPvRmT1_T2_T3_mT4_P12ihipStream_tbEUlT_E0_NS1_11comp_targetILNS1_3genE2ELNS1_11target_archE906ELNS1_3gpuE6ELNS1_3repE0EEENS1_30default_config_static_selectorELNS0_4arch9wavefront6targetE0EEEvSQ_.has_indirect_call, 0
	.section	.AMDGPU.csdata,"",@progbits
; Kernel info:
; codeLenInByte = 0
; TotalNumSgprs: 0
; NumVgprs: 0
; ScratchSize: 0
; MemoryBound: 0
; FloatMode: 240
; IeeeMode: 1
; LDSByteSize: 0 bytes/workgroup (compile time only)
; SGPRBlocks: 0
; VGPRBlocks: 0
; NumSGPRsForWavesPerEU: 1
; NumVGPRsForWavesPerEU: 1
; Occupancy: 16
; WaveLimiterHint : 0
; COMPUTE_PGM_RSRC2:SCRATCH_EN: 0
; COMPUTE_PGM_RSRC2:USER_SGPR: 2
; COMPUTE_PGM_RSRC2:TRAP_HANDLER: 0
; COMPUTE_PGM_RSRC2:TGID_X_EN: 1
; COMPUTE_PGM_RSRC2:TGID_Y_EN: 0
; COMPUTE_PGM_RSRC2:TGID_Z_EN: 0
; COMPUTE_PGM_RSRC2:TIDIG_COMP_CNT: 0
	.section	.text._ZN7rocprim17ROCPRIM_400000_NS6detail17trampoline_kernelINS0_14default_configENS1_22reduce_config_selectorIbEEZNS1_11reduce_implILb1ES3_N6hipcub16HIPCUB_304000_NS22TransformInputIteratorIbN2at6native12_GLOBAL__N_19NonZeroOpIaEEPKalEEPiiNS8_6detail34convert_binary_result_type_wrapperINS8_3SumESH_iEEEE10hipError_tPvRmT1_T2_T3_mT4_P12ihipStream_tbEUlT_E0_NS1_11comp_targetILNS1_3genE10ELNS1_11target_archE1201ELNS1_3gpuE5ELNS1_3repE0EEENS1_30default_config_static_selectorELNS0_4arch9wavefront6targetE0EEEvSQ_,"axG",@progbits,_ZN7rocprim17ROCPRIM_400000_NS6detail17trampoline_kernelINS0_14default_configENS1_22reduce_config_selectorIbEEZNS1_11reduce_implILb1ES3_N6hipcub16HIPCUB_304000_NS22TransformInputIteratorIbN2at6native12_GLOBAL__N_19NonZeroOpIaEEPKalEEPiiNS8_6detail34convert_binary_result_type_wrapperINS8_3SumESH_iEEEE10hipError_tPvRmT1_T2_T3_mT4_P12ihipStream_tbEUlT_E0_NS1_11comp_targetILNS1_3genE10ELNS1_11target_archE1201ELNS1_3gpuE5ELNS1_3repE0EEENS1_30default_config_static_selectorELNS0_4arch9wavefront6targetE0EEEvSQ_,comdat
	.globl	_ZN7rocprim17ROCPRIM_400000_NS6detail17trampoline_kernelINS0_14default_configENS1_22reduce_config_selectorIbEEZNS1_11reduce_implILb1ES3_N6hipcub16HIPCUB_304000_NS22TransformInputIteratorIbN2at6native12_GLOBAL__N_19NonZeroOpIaEEPKalEEPiiNS8_6detail34convert_binary_result_type_wrapperINS8_3SumESH_iEEEE10hipError_tPvRmT1_T2_T3_mT4_P12ihipStream_tbEUlT_E0_NS1_11comp_targetILNS1_3genE10ELNS1_11target_archE1201ELNS1_3gpuE5ELNS1_3repE0EEENS1_30default_config_static_selectorELNS0_4arch9wavefront6targetE0EEEvSQ_ ; -- Begin function _ZN7rocprim17ROCPRIM_400000_NS6detail17trampoline_kernelINS0_14default_configENS1_22reduce_config_selectorIbEEZNS1_11reduce_implILb1ES3_N6hipcub16HIPCUB_304000_NS22TransformInputIteratorIbN2at6native12_GLOBAL__N_19NonZeroOpIaEEPKalEEPiiNS8_6detail34convert_binary_result_type_wrapperINS8_3SumESH_iEEEE10hipError_tPvRmT1_T2_T3_mT4_P12ihipStream_tbEUlT_E0_NS1_11comp_targetILNS1_3genE10ELNS1_11target_archE1201ELNS1_3gpuE5ELNS1_3repE0EEENS1_30default_config_static_selectorELNS0_4arch9wavefront6targetE0EEEvSQ_
	.p2align	8
	.type	_ZN7rocprim17ROCPRIM_400000_NS6detail17trampoline_kernelINS0_14default_configENS1_22reduce_config_selectorIbEEZNS1_11reduce_implILb1ES3_N6hipcub16HIPCUB_304000_NS22TransformInputIteratorIbN2at6native12_GLOBAL__N_19NonZeroOpIaEEPKalEEPiiNS8_6detail34convert_binary_result_type_wrapperINS8_3SumESH_iEEEE10hipError_tPvRmT1_T2_T3_mT4_P12ihipStream_tbEUlT_E0_NS1_11comp_targetILNS1_3genE10ELNS1_11target_archE1201ELNS1_3gpuE5ELNS1_3repE0EEENS1_30default_config_static_selectorELNS0_4arch9wavefront6targetE0EEEvSQ_,@function
_ZN7rocprim17ROCPRIM_400000_NS6detail17trampoline_kernelINS0_14default_configENS1_22reduce_config_selectorIbEEZNS1_11reduce_implILb1ES3_N6hipcub16HIPCUB_304000_NS22TransformInputIteratorIbN2at6native12_GLOBAL__N_19NonZeroOpIaEEPKalEEPiiNS8_6detail34convert_binary_result_type_wrapperINS8_3SumESH_iEEEE10hipError_tPvRmT1_T2_T3_mT4_P12ihipStream_tbEUlT_E0_NS1_11comp_targetILNS1_3genE10ELNS1_11target_archE1201ELNS1_3gpuE5ELNS1_3repE0EEENS1_30default_config_static_selectorELNS0_4arch9wavefront6targetE0EEEvSQ_: ; @_ZN7rocprim17ROCPRIM_400000_NS6detail17trampoline_kernelINS0_14default_configENS1_22reduce_config_selectorIbEEZNS1_11reduce_implILb1ES3_N6hipcub16HIPCUB_304000_NS22TransformInputIteratorIbN2at6native12_GLOBAL__N_19NonZeroOpIaEEPKalEEPiiNS8_6detail34convert_binary_result_type_wrapperINS8_3SumESH_iEEEE10hipError_tPvRmT1_T2_T3_mT4_P12ihipStream_tbEUlT_E0_NS1_11comp_targetILNS1_3genE10ELNS1_11target_archE1201ELNS1_3gpuE5ELNS1_3repE0EEENS1_30default_config_static_selectorELNS0_4arch9wavefront6targetE0EEEvSQ_
; %bb.0:
	s_clause 0x2
	s_load_b256 s[16:23], s[0:1], 0x10
	s_load_b64 s[4:5], s[0:1], 0x0
	s_load_b64 s[26:27], s[0:1], 0x30
	s_mov_b32 s3, 0
	v_mbcnt_lo_u32_b32 v18, -1, 0
	s_mov_b32 s24, ttmp9
	s_mov_b32 s25, s3
	s_lshl_b32 s2, ttmp9, 12
	s_wait_kmcnt 0x0
	s_lshr_b64 s[6:7], s[18:19], 12
	s_add_nc_u64 s[4:5], s[4:5], s[16:17]
	s_cmp_lg_u64 s[6:7], s[24:25]
	s_add_nc_u64 s[16:17], s[4:5], s[2:3]
	s_cbranch_scc0 .LBB105_6
; %bb.1:
	s_clause 0xf
	global_load_u8 v1, v0, s[16:17]
	global_load_u8 v2, v0, s[16:17] offset:512
	global_load_u8 v3, v0, s[16:17] offset:256
	;; [unrolled: 1-line block ×15, first 2 shown]
	s_mov_b32 s3, exec_lo
	s_wait_loadcnt 0xf
	v_cmp_ne_u16_e32 vcc_lo, 0, v1
	v_cndmask_b32_e64 v1, 0, 1, vcc_lo
	s_wait_loadcnt 0xe
	v_cmp_ne_u16_e32 vcc_lo, 0, v2
	s_wait_alu 0xfffd
	v_cndmask_b32_e64 v2, 0, 1, vcc_lo
	s_wait_loadcnt 0xd
	v_cmp_ne_u16_e32 vcc_lo, 0, v3
	s_wait_alu 0xfffd
	v_add_co_ci_u32_e64 v1, null, 0, v1, vcc_lo
	s_wait_loadcnt 0xc
	v_cmp_ne_u16_e32 vcc_lo, 0, v4
	s_wait_alu 0xfffd
	v_cndmask_b32_e64 v3, 0, 1, vcc_lo
	s_wait_loadcnt 0xb
	v_cmp_ne_u16_e32 vcc_lo, 0, v5
	s_wait_alu 0xfffd
	v_add_co_ci_u32_e64 v1, null, v1, v2, vcc_lo
	;; [unrolled: 8-line block ×7, first 2 shown]
	s_wait_loadcnt 0x0
	v_cmp_ne_u16_e32 vcc_lo, 0, v16
	s_wait_alu 0xfffd
	s_delay_alu instid0(VALU_DEP_2) | instskip(NEXT) | instid1(VALU_DEP_1)
	v_add_co_ci_u32_e64 v1, null, v1, v2, vcc_lo
	v_mov_b32_dpp v2, v1 quad_perm:[1,0,3,2] row_mask:0xf bank_mask:0xf
	s_delay_alu instid0(VALU_DEP_1) | instskip(NEXT) | instid1(VALU_DEP_1)
	v_add_nc_u32_e32 v1, v1, v2
	v_mov_b32_dpp v2, v1 quad_perm:[2,3,0,1] row_mask:0xf bank_mask:0xf
	s_delay_alu instid0(VALU_DEP_1) | instskip(NEXT) | instid1(VALU_DEP_1)
	v_add_nc_u32_e32 v1, v1, v2
	v_mov_b32_dpp v2, v1 row_ror:4 row_mask:0xf bank_mask:0xf
	s_delay_alu instid0(VALU_DEP_1) | instskip(NEXT) | instid1(VALU_DEP_1)
	v_add_nc_u32_e32 v1, v1, v2
	v_mov_b32_dpp v2, v1 row_ror:8 row_mask:0xf bank_mask:0xf
	s_delay_alu instid0(VALU_DEP_1)
	v_add_nc_u32_e32 v1, v1, v2
	ds_swizzle_b32 v2, v1 offset:swizzle(BROADCAST,32,15)
	s_wait_dscnt 0x0
	v_dual_mov_b32 v2, 0 :: v_dual_add_nc_u32 v1, v1, v2
	ds_bpermute_b32 v1, v2, v1 offset:124
	v_cmpx_eq_u32_e32 0, v18
	s_cbranch_execz .LBB105_3
; %bb.2:
	v_lshrrev_b32_e32 v2, 3, v0
	s_delay_alu instid0(VALU_DEP_1)
	v_and_b32_e32 v2, 28, v2
	s_wait_dscnt 0x0
	ds_store_b32 v2, v1
.LBB105_3:
	s_or_b32 exec_lo, exec_lo, s3
	s_delay_alu instid0(SALU_CYCLE_1)
	s_mov_b32 s3, exec_lo
	s_wait_dscnt 0x0
	s_barrier_signal -1
	s_barrier_wait -1
	global_inv scope:SCOPE_SE
	v_cmpx_gt_u32_e32 32, v0
	s_cbranch_execz .LBB105_5
; %bb.4:
	v_and_b32_e32 v1, 7, v18
	s_delay_alu instid0(VALU_DEP_1)
	v_lshlrev_b32_e32 v2, 2, v1
	v_cmp_ne_u32_e32 vcc_lo, 7, v1
	ds_load_b32 v2, v2
	s_wait_alu 0xfffd
	v_add_co_ci_u32_e64 v3, null, 0, v18, vcc_lo
	v_cmp_gt_u32_e32 vcc_lo, 6, v1
	s_delay_alu instid0(VALU_DEP_2) | instskip(SKIP_2) | instid1(VALU_DEP_1)
	v_lshlrev_b32_e32 v3, 2, v3
	s_wait_alu 0xfffd
	v_cndmask_b32_e64 v1, 0, 2, vcc_lo
	v_add_lshl_u32 v1, v1, v18, 2
	s_wait_dscnt 0x0
	ds_bpermute_b32 v3, v3, v2
	s_wait_dscnt 0x0
	v_add_nc_u32_e32 v2, v3, v2
	v_lshlrev_b32_e32 v3, 2, v18
	ds_bpermute_b32 v1, v1, v2
	s_wait_dscnt 0x0
	v_add_nc_u32_e32 v1, v1, v2
	v_or_b32_e32 v2, 16, v3
	ds_bpermute_b32 v2, v2, v1
	s_wait_dscnt 0x0
	v_add_nc_u32_e32 v1, v2, v1
.LBB105_5:
	s_or_b32 exec_lo, exec_lo, s3
	s_branch .LBB105_44
.LBB105_6:
                                        ; implicit-def: $vgpr1
	s_cbranch_execz .LBB105_44
; %bb.7:
	v_mov_b32_e32 v1, 0
	s_sub_co_i32 s28, s18, s2
	s_mov_b32 s2, exec_lo
	s_delay_alu instid0(VALU_DEP_1)
	v_dual_mov_b32 v2, v1 :: v_dual_mov_b32 v3, v1
	v_dual_mov_b32 v4, v1 :: v_dual_mov_b32 v5, v1
	;; [unrolled: 1-line block ×7, first 2 shown]
	v_mov_b32_e32 v16, v1
	v_cmpx_gt_u32_e64 s28, v0
	s_cbranch_execz .LBB105_9
; %bb.8:
	global_load_u8 v2, v0, s[16:17]
	v_dual_mov_b32 v3, v1 :: v_dual_mov_b32 v4, v1
	v_dual_mov_b32 v5, v1 :: v_dual_mov_b32 v6, v1
	;; [unrolled: 1-line block ×7, first 2 shown]
	v_mov_b32_e32 v17, v1
	s_wait_loadcnt 0x0
	v_cmp_ne_u16_e32 vcc_lo, 0, v2
	v_cndmask_b32_e64 v2, 0, 1, vcc_lo
	s_delay_alu instid0(VALU_DEP_1) | instskip(NEXT) | instid1(VALU_DEP_1)
	v_and_b32_e32 v2, 0xffff, v2
	v_mov_b32_e32 v1, v2
	v_mov_b32_e32 v2, v3
	;; [unrolled: 1-line block ×16, first 2 shown]
.LBB105_9:
	s_or_b32 exec_lo, exec_lo, s2
	v_or_b32_e32 v17, 0x100, v0
	s_delay_alu instid0(VALU_DEP_1)
	v_cmp_gt_u32_e32 vcc_lo, s28, v17
	s_and_saveexec_b32 s3, vcc_lo
	s_cbranch_execz .LBB105_11
; %bb.10:
	global_load_u8 v2, v0, s[16:17] offset:256
	s_wait_loadcnt 0x0
	v_cmp_ne_u16_e64 s2, 0, v2
	s_delay_alu instid0(VALU_DEP_1)
	v_cndmask_b32_e64 v2, 0, 1, s2
.LBB105_11:
	s_or_b32 exec_lo, exec_lo, s3
	v_or_b32_e32 v17, 0x200, v0
	s_delay_alu instid0(VALU_DEP_1)
	v_cmp_gt_u32_e64 s2, s28, v17
	s_and_saveexec_b32 s4, s2
	s_cbranch_execz .LBB105_13
; %bb.12:
	global_load_u8 v3, v0, s[16:17] offset:512
	s_wait_loadcnt 0x0
	v_cmp_ne_u16_e64 s3, 0, v3
	s_wait_alu 0xf1ff
	s_delay_alu instid0(VALU_DEP_1)
	v_cndmask_b32_e64 v3, 0, 1, s3
.LBB105_13:
	s_or_b32 exec_lo, exec_lo, s4
	v_or_b32_e32 v17, 0x300, v0
	s_delay_alu instid0(VALU_DEP_1)
	v_cmp_gt_u32_e64 s3, s28, v17
	s_and_saveexec_b32 s5, s3
	s_cbranch_execz .LBB105_15
; %bb.14:
	global_load_u8 v4, v0, s[16:17] offset:768
	s_wait_loadcnt 0x0
	v_cmp_ne_u16_e64 s4, 0, v4
	s_delay_alu instid0(VALU_DEP_1)
	v_cndmask_b32_e64 v4, 0, 1, s4
.LBB105_15:
	s_or_b32 exec_lo, exec_lo, s5
	v_or_b32_e32 v17, 0x400, v0
	s_delay_alu instid0(VALU_DEP_1)
	v_cmp_gt_u32_e64 s4, s28, v17
	s_and_saveexec_b32 s6, s4
	s_cbranch_execz .LBB105_17
; %bb.16:
	global_load_u8 v5, v0, s[16:17] offset:1024
	s_wait_loadcnt 0x0
	v_cmp_ne_u16_e64 s5, 0, v5
	s_wait_alu 0xf1ff
	s_delay_alu instid0(VALU_DEP_1)
	v_cndmask_b32_e64 v5, 0, 1, s5
.LBB105_17:
	s_or_b32 exec_lo, exec_lo, s6
	v_or_b32_e32 v17, 0x500, v0
	s_delay_alu instid0(VALU_DEP_1)
	v_cmp_gt_u32_e64 s5, s28, v17
	s_and_saveexec_b32 s7, s5
	s_cbranch_execz .LBB105_19
; %bb.18:
	global_load_u8 v6, v0, s[16:17] offset:1280
	s_wait_loadcnt 0x0
	v_cmp_ne_u16_e64 s6, 0, v6
	s_delay_alu instid0(VALU_DEP_1)
	v_cndmask_b32_e64 v6, 0, 1, s6
.LBB105_19:
	s_or_b32 exec_lo, exec_lo, s7
	v_or_b32_e32 v17, 0x600, v0
	s_delay_alu instid0(VALU_DEP_1)
	v_cmp_gt_u32_e64 s6, s28, v17
	s_and_saveexec_b32 s8, s6
	s_cbranch_execz .LBB105_21
; %bb.20:
	global_load_u8 v7, v0, s[16:17] offset:1536
	s_wait_loadcnt 0x0
	v_cmp_ne_u16_e64 s7, 0, v7
	s_wait_alu 0xf1ff
	s_delay_alu instid0(VALU_DEP_1)
	v_cndmask_b32_e64 v7, 0, 1, s7
.LBB105_21:
	s_or_b32 exec_lo, exec_lo, s8
	v_or_b32_e32 v17, 0x700, v0
	s_delay_alu instid0(VALU_DEP_1)
	v_cmp_gt_u32_e64 s7, s28, v17
	s_and_saveexec_b32 s9, s7
	s_cbranch_execz .LBB105_23
; %bb.22:
	global_load_u8 v8, v0, s[16:17] offset:1792
	s_wait_loadcnt 0x0
	v_cmp_ne_u16_e64 s8, 0, v8
	s_delay_alu instid0(VALU_DEP_1)
	v_cndmask_b32_e64 v8, 0, 1, s8
.LBB105_23:
	s_or_b32 exec_lo, exec_lo, s9
	v_or_b32_e32 v17, 0x800, v0
	s_delay_alu instid0(VALU_DEP_1)
	v_cmp_gt_u32_e64 s8, s28, v17
	s_and_saveexec_b32 s10, s8
	s_cbranch_execz .LBB105_25
; %bb.24:
	global_load_u8 v9, v0, s[16:17] offset:2048
	s_wait_loadcnt 0x0
	v_cmp_ne_u16_e64 s9, 0, v9
	s_wait_alu 0xf1ff
	s_delay_alu instid0(VALU_DEP_1)
	v_cndmask_b32_e64 v9, 0, 1, s9
.LBB105_25:
	s_or_b32 exec_lo, exec_lo, s10
	v_or_b32_e32 v17, 0x900, v0
	s_delay_alu instid0(VALU_DEP_1)
	v_cmp_gt_u32_e64 s9, s28, v17
	s_and_saveexec_b32 s11, s9
	s_cbranch_execz .LBB105_27
; %bb.26:
	global_load_u8 v10, v0, s[16:17] offset:2304
	s_wait_loadcnt 0x0
	v_cmp_ne_u16_e64 s10, 0, v10
	s_delay_alu instid0(VALU_DEP_1)
	v_cndmask_b32_e64 v10, 0, 1, s10
.LBB105_27:
	s_or_b32 exec_lo, exec_lo, s11
	v_or_b32_e32 v17, 0xa00, v0
	s_delay_alu instid0(VALU_DEP_1)
	v_cmp_gt_u32_e64 s10, s28, v17
	s_and_saveexec_b32 s12, s10
	s_cbranch_execz .LBB105_29
; %bb.28:
	global_load_u8 v11, v0, s[16:17] offset:2560
	s_wait_loadcnt 0x0
	v_cmp_ne_u16_e64 s11, 0, v11
	s_wait_alu 0xf1ff
	s_delay_alu instid0(VALU_DEP_1)
	v_cndmask_b32_e64 v11, 0, 1, s11
.LBB105_29:
	s_or_b32 exec_lo, exec_lo, s12
	v_or_b32_e32 v17, 0xb00, v0
	s_delay_alu instid0(VALU_DEP_1)
	v_cmp_gt_u32_e64 s11, s28, v17
	s_and_saveexec_b32 s13, s11
	s_cbranch_execz .LBB105_31
; %bb.30:
	global_load_u8 v12, v0, s[16:17] offset:2816
	s_wait_loadcnt 0x0
	v_cmp_ne_u16_e64 s12, 0, v12
	s_delay_alu instid0(VALU_DEP_1)
	v_cndmask_b32_e64 v12, 0, 1, s12
.LBB105_31:
	s_or_b32 exec_lo, exec_lo, s13
	v_or_b32_e32 v17, 0xc00, v0
	s_delay_alu instid0(VALU_DEP_1)
	v_cmp_gt_u32_e64 s12, s28, v17
	s_and_saveexec_b32 s14, s12
	s_cbranch_execz .LBB105_33
; %bb.32:
	global_load_u8 v13, v0, s[16:17] offset:3072
	s_wait_loadcnt 0x0
	v_cmp_ne_u16_e64 s13, 0, v13
	s_wait_alu 0xf1ff
	s_delay_alu instid0(VALU_DEP_1)
	v_cndmask_b32_e64 v13, 0, 1, s13
.LBB105_33:
	s_or_b32 exec_lo, exec_lo, s14
	v_or_b32_e32 v17, 0xd00, v0
	s_delay_alu instid0(VALU_DEP_1)
	v_cmp_gt_u32_e64 s13, s28, v17
	s_and_saveexec_b32 s15, s13
	s_cbranch_execz .LBB105_35
; %bb.34:
	global_load_u8 v14, v0, s[16:17] offset:3328
	s_wait_loadcnt 0x0
	v_cmp_ne_u16_e64 s14, 0, v14
	s_delay_alu instid0(VALU_DEP_1)
	v_cndmask_b32_e64 v14, 0, 1, s14
.LBB105_35:
	s_or_b32 exec_lo, exec_lo, s15
	v_or_b32_e32 v17, 0xe00, v0
	s_delay_alu instid0(VALU_DEP_1)
	v_cmp_gt_u32_e64 s14, s28, v17
	s_and_saveexec_b32 s29, s14
	s_cbranch_execz .LBB105_37
; %bb.36:
	global_load_u8 v15, v0, s[16:17] offset:3584
	s_wait_loadcnt 0x0
	v_cmp_ne_u16_e64 s15, 0, v15
	s_wait_alu 0xf1ff
	s_delay_alu instid0(VALU_DEP_1)
	v_cndmask_b32_e64 v15, 0, 1, s15
.LBB105_37:
	s_wait_alu 0xfffe
	s_or_b32 exec_lo, exec_lo, s29
	v_or_b32_e32 v17, 0xf00, v0
	s_delay_alu instid0(VALU_DEP_1)
	v_cmp_gt_u32_e64 s15, s28, v17
	s_and_saveexec_b32 s29, s15
	s_cbranch_execz .LBB105_39
; %bb.38:
	global_load_u8 v16, v0, s[16:17] offset:3840
	s_wait_loadcnt 0x0
	v_cmp_ne_u16_e64 s16, 0, v16
	s_delay_alu instid0(VALU_DEP_1)
	v_cndmask_b32_e64 v16, 0, 1, s16
.LBB105_39:
	s_wait_alu 0xfffe
	s_or_b32 exec_lo, exec_lo, s29
	v_cndmask_b32_e32 v2, 0, v2, vcc_lo
	v_cndmask_b32_e64 v3, 0, v3, s2
	v_cndmask_b32_e64 v4, 0, v4, s3
	v_cmp_ne_u32_e32 vcc_lo, 31, v18
	s_min_u32 s2, s28, 0x100
	v_add_nc_u32_e32 v1, v2, v1
	v_cndmask_b32_e64 v2, 0, v5, s4
	v_cndmask_b32_e64 v5, 0, v6, s5
	;; [unrolled: 1-line block ×3, first 2 shown]
	s_mov_b32 s3, exec_lo
	v_add3_u32 v1, v1, v3, v4
	v_cndmask_b32_e64 v3, 0, v7, s6
	v_cndmask_b32_e64 v4, 0, v8, s7
	s_delay_alu instid0(VALU_DEP_3) | instskip(SKIP_2) | instid1(VALU_DEP_3)
	v_add3_u32 v1, v1, v2, v5
	v_cndmask_b32_e64 v2, 0, v9, s8
	v_cndmask_b32_e64 v5, 0, v10, s9
	v_add3_u32 v1, v1, v3, v4
	v_cndmask_b32_e64 v3, 0, v11, s10
	v_cndmask_b32_e64 v4, 0, v12, s11
	s_delay_alu instid0(VALU_DEP_3) | instskip(SKIP_2) | instid1(VALU_DEP_3)
	v_add3_u32 v1, v1, v2, v5
	v_cndmask_b32_e64 v2, 0, v13, s12
	v_cndmask_b32_e64 v5, 0, v14, s13
	v_add3_u32 v1, v1, v3, v4
	v_cndmask_b32_e64 v3, 0, v16, s15
	s_wait_alu 0xfffd
	v_add_co_ci_u32_e64 v4, null, 0, v18, vcc_lo
	v_cmp_gt_u32_e32 vcc_lo, 30, v18
	v_add3_u32 v1, v1, v2, v5
	s_delay_alu instid0(VALU_DEP_3)
	v_lshlrev_b32_e32 v2, 2, v4
	v_add_nc_u32_e32 v4, 1, v18
	s_wait_alu 0xfffd
	v_cndmask_b32_e64 v5, 0, 2, vcc_lo
	v_add3_u32 v1, v1, v6, v3
	v_and_b32_e32 v3, 0xe0, v0
	ds_bpermute_b32 v2, v2, v1
	s_wait_alu 0xfffe
	v_sub_nc_u32_e64 v3, s2, v3 clamp
	s_delay_alu instid0(VALU_DEP_1)
	v_cmp_lt_u32_e32 vcc_lo, v4, v3
	v_add_lshl_u32 v4, v5, v18, 2
	s_wait_dscnt 0x0
	s_wait_alu 0xfffd
	v_cndmask_b32_e32 v2, 0, v2, vcc_lo
	v_cmp_gt_u32_e32 vcc_lo, 28, v18
	s_delay_alu instid0(VALU_DEP_2) | instskip(SKIP_4) | instid1(VALU_DEP_1)
	v_add_nc_u32_e32 v1, v1, v2
	s_wait_alu 0xfffd
	v_cndmask_b32_e64 v5, 0, 4, vcc_lo
	ds_bpermute_b32 v2, v4, v1
	v_add_nc_u32_e32 v4, 2, v18
	v_cmp_lt_u32_e32 vcc_lo, v4, v3
	v_add_lshl_u32 v4, v5, v18, 2
	s_wait_dscnt 0x0
	s_wait_alu 0xfffd
	v_cndmask_b32_e32 v2, 0, v2, vcc_lo
	v_cmp_gt_u32_e32 vcc_lo, 24, v18
	s_delay_alu instid0(VALU_DEP_2) | instskip(SKIP_4) | instid1(VALU_DEP_1)
	v_add_nc_u32_e32 v1, v1, v2
	s_wait_alu 0xfffd
	v_cndmask_b32_e64 v5, 0, 8, vcc_lo
	ds_bpermute_b32 v2, v4, v1
	v_add_nc_u32_e32 v4, 4, v18
	v_cmp_lt_u32_e32 vcc_lo, v4, v3
	v_add_lshl_u32 v4, v5, v18, 2
	v_add_nc_u32_e32 v5, 8, v18
	s_wait_dscnt 0x0
	s_wait_alu 0xfffd
	v_cndmask_b32_e32 v2, 0, v2, vcc_lo
	s_delay_alu instid0(VALU_DEP_2) | instskip(NEXT) | instid1(VALU_DEP_2)
	v_cmp_lt_u32_e32 vcc_lo, v5, v3
	v_add_nc_u32_e32 v1, v1, v2
	v_lshlrev_b32_e32 v2, 2, v18
	ds_bpermute_b32 v4, v4, v1
	v_or_b32_e32 v5, 64, v2
	s_wait_dscnt 0x0
	s_wait_alu 0xfffd
	v_cndmask_b32_e32 v4, 0, v4, vcc_lo
	s_delay_alu instid0(VALU_DEP_1) | instskip(SKIP_2) | instid1(VALU_DEP_1)
	v_add_nc_u32_e32 v1, v1, v4
	ds_bpermute_b32 v4, v5, v1
	v_add_nc_u32_e32 v5, 16, v18
	v_cmp_lt_u32_e32 vcc_lo, v5, v3
	s_wait_dscnt 0x0
	s_wait_alu 0xfffd
	v_cndmask_b32_e32 v3, 0, v4, vcc_lo
	s_delay_alu instid0(VALU_DEP_1)
	v_add_nc_u32_e32 v1, v1, v3
	v_cmpx_eq_u32_e32 0, v18
; %bb.40:
	v_lshrrev_b32_e32 v3, 3, v0
	s_delay_alu instid0(VALU_DEP_1)
	v_and_b32_e32 v3, 28, v3
	ds_store_b32 v3, v1 offset:32
; %bb.41:
	s_or_b32 exec_lo, exec_lo, s3
	s_delay_alu instid0(SALU_CYCLE_1)
	s_mov_b32 s3, exec_lo
	s_wait_loadcnt_dscnt 0x0
	s_barrier_signal -1
	s_barrier_wait -1
	global_inv scope:SCOPE_SE
	v_cmpx_gt_u32_e32 8, v0
	s_cbranch_execz .LBB105_43
; %bb.42:
	ds_load_b32 v1, v2 offset:32
	v_and_b32_e32 v3, 7, v18
	s_add_co_i32 s2, s2, 31
	v_or_b32_e32 v2, 16, v2
	s_wait_alu 0xfffe
	s_lshr_b32 s2, s2, 5
	v_cmp_ne_u32_e32 vcc_lo, 7, v3
	v_add_nc_u32_e32 v5, 1, v3
	s_wait_alu 0xfffd
	v_add_co_ci_u32_e64 v4, null, 0, v18, vcc_lo
	v_cmp_gt_u32_e32 vcc_lo, 6, v3
	s_delay_alu instid0(VALU_DEP_2)
	v_lshlrev_b32_e32 v4, 2, v4
	s_wait_alu 0xfffd
	v_cndmask_b32_e64 v6, 0, 2, vcc_lo
	s_wait_alu 0xfffe
	v_cmp_gt_u32_e32 vcc_lo, s2, v5
	s_wait_dscnt 0x0
	ds_bpermute_b32 v4, v4, v1
	v_add_lshl_u32 v5, v6, v18, 2
	s_wait_dscnt 0x0
	s_wait_alu 0xfffd
	v_cndmask_b32_e32 v4, 0, v4, vcc_lo
	s_delay_alu instid0(VALU_DEP_1) | instskip(SKIP_3) | instid1(VALU_DEP_2)
	v_add_nc_u32_e32 v1, v4, v1
	ds_bpermute_b32 v4, v5, v1
	v_add_nc_u32_e32 v5, 2, v3
	v_add_nc_u32_e32 v3, 4, v3
	v_cmp_gt_u32_e32 vcc_lo, s2, v5
	s_wait_dscnt 0x0
	s_wait_alu 0xfffd
	v_cndmask_b32_e32 v4, 0, v4, vcc_lo
	v_cmp_gt_u32_e32 vcc_lo, s2, v3
	s_delay_alu instid0(VALU_DEP_2) | instskip(SKIP_4) | instid1(VALU_DEP_1)
	v_add_nc_u32_e32 v1, v1, v4
	ds_bpermute_b32 v2, v2, v1
	s_wait_dscnt 0x0
	s_wait_alu 0xfffd
	v_cndmask_b32_e32 v2, 0, v2, vcc_lo
	v_add_nc_u32_e32 v1, v1, v2
.LBB105_43:
	s_wait_alu 0xfffe
	s_or_b32 exec_lo, exec_lo, s3
.LBB105_44:
	s_load_b32 s0, s[0:1], 0x38
	s_mov_b32 s1, exec_lo
	v_cmpx_eq_u32_e32 0, v0
	s_cbranch_execz .LBB105_46
; %bb.45:
	s_mul_u64 s[2:3], s[26:27], s[22:23]
	s_wait_alu 0xfffe
	s_lshl_b64 s[2:3], s[2:3], 2
	s_cmp_eq_u64 s[18:19], 0
	s_wait_alu 0xfffe
	s_add_nc_u64 s[2:3], s[20:21], s[2:3]
	s_cselect_b32 s1, -1, 0
	s_wait_kmcnt 0x0
	v_cndmask_b32_e64 v0, v1, s0, s1
	v_mov_b32_e32 v1, 0
	s_lshl_b64 s[0:1], s[24:25], 2
	s_wait_alu 0xfffe
	s_add_nc_u64 s[0:1], s[2:3], s[0:1]
	global_store_b32 v1, v0, s[0:1]
.LBB105_46:
	s_endpgm
	.section	.rodata,"a",@progbits
	.p2align	6, 0x0
	.amdhsa_kernel _ZN7rocprim17ROCPRIM_400000_NS6detail17trampoline_kernelINS0_14default_configENS1_22reduce_config_selectorIbEEZNS1_11reduce_implILb1ES3_N6hipcub16HIPCUB_304000_NS22TransformInputIteratorIbN2at6native12_GLOBAL__N_19NonZeroOpIaEEPKalEEPiiNS8_6detail34convert_binary_result_type_wrapperINS8_3SumESH_iEEEE10hipError_tPvRmT1_T2_T3_mT4_P12ihipStream_tbEUlT_E0_NS1_11comp_targetILNS1_3genE10ELNS1_11target_archE1201ELNS1_3gpuE5ELNS1_3repE0EEENS1_30default_config_static_selectorELNS0_4arch9wavefront6targetE0EEEvSQ_
		.amdhsa_group_segment_fixed_size 64
		.amdhsa_private_segment_fixed_size 0
		.amdhsa_kernarg_size 64
		.amdhsa_user_sgpr_count 2
		.amdhsa_user_sgpr_dispatch_ptr 0
		.amdhsa_user_sgpr_queue_ptr 0
		.amdhsa_user_sgpr_kernarg_segment_ptr 1
		.amdhsa_user_sgpr_dispatch_id 0
		.amdhsa_user_sgpr_private_segment_size 0
		.amdhsa_wavefront_size32 1
		.amdhsa_uses_dynamic_stack 0
		.amdhsa_enable_private_segment 0
		.amdhsa_system_sgpr_workgroup_id_x 1
		.amdhsa_system_sgpr_workgroup_id_y 0
		.amdhsa_system_sgpr_workgroup_id_z 0
		.amdhsa_system_sgpr_workgroup_info 0
		.amdhsa_system_vgpr_workitem_id 0
		.amdhsa_next_free_vgpr 19
		.amdhsa_next_free_sgpr 30
		.amdhsa_reserve_vcc 1
		.amdhsa_float_round_mode_32 0
		.amdhsa_float_round_mode_16_64 0
		.amdhsa_float_denorm_mode_32 3
		.amdhsa_float_denorm_mode_16_64 3
		.amdhsa_fp16_overflow 0
		.amdhsa_workgroup_processor_mode 1
		.amdhsa_memory_ordered 1
		.amdhsa_forward_progress 1
		.amdhsa_inst_pref_size 24
		.amdhsa_round_robin_scheduling 0
		.amdhsa_exception_fp_ieee_invalid_op 0
		.amdhsa_exception_fp_denorm_src 0
		.amdhsa_exception_fp_ieee_div_zero 0
		.amdhsa_exception_fp_ieee_overflow 0
		.amdhsa_exception_fp_ieee_underflow 0
		.amdhsa_exception_fp_ieee_inexact 0
		.amdhsa_exception_int_div_zero 0
	.end_amdhsa_kernel
	.section	.text._ZN7rocprim17ROCPRIM_400000_NS6detail17trampoline_kernelINS0_14default_configENS1_22reduce_config_selectorIbEEZNS1_11reduce_implILb1ES3_N6hipcub16HIPCUB_304000_NS22TransformInputIteratorIbN2at6native12_GLOBAL__N_19NonZeroOpIaEEPKalEEPiiNS8_6detail34convert_binary_result_type_wrapperINS8_3SumESH_iEEEE10hipError_tPvRmT1_T2_T3_mT4_P12ihipStream_tbEUlT_E0_NS1_11comp_targetILNS1_3genE10ELNS1_11target_archE1201ELNS1_3gpuE5ELNS1_3repE0EEENS1_30default_config_static_selectorELNS0_4arch9wavefront6targetE0EEEvSQ_,"axG",@progbits,_ZN7rocprim17ROCPRIM_400000_NS6detail17trampoline_kernelINS0_14default_configENS1_22reduce_config_selectorIbEEZNS1_11reduce_implILb1ES3_N6hipcub16HIPCUB_304000_NS22TransformInputIteratorIbN2at6native12_GLOBAL__N_19NonZeroOpIaEEPKalEEPiiNS8_6detail34convert_binary_result_type_wrapperINS8_3SumESH_iEEEE10hipError_tPvRmT1_T2_T3_mT4_P12ihipStream_tbEUlT_E0_NS1_11comp_targetILNS1_3genE10ELNS1_11target_archE1201ELNS1_3gpuE5ELNS1_3repE0EEENS1_30default_config_static_selectorELNS0_4arch9wavefront6targetE0EEEvSQ_,comdat
.Lfunc_end105:
	.size	_ZN7rocprim17ROCPRIM_400000_NS6detail17trampoline_kernelINS0_14default_configENS1_22reduce_config_selectorIbEEZNS1_11reduce_implILb1ES3_N6hipcub16HIPCUB_304000_NS22TransformInputIteratorIbN2at6native12_GLOBAL__N_19NonZeroOpIaEEPKalEEPiiNS8_6detail34convert_binary_result_type_wrapperINS8_3SumESH_iEEEE10hipError_tPvRmT1_T2_T3_mT4_P12ihipStream_tbEUlT_E0_NS1_11comp_targetILNS1_3genE10ELNS1_11target_archE1201ELNS1_3gpuE5ELNS1_3repE0EEENS1_30default_config_static_selectorELNS0_4arch9wavefront6targetE0EEEvSQ_, .Lfunc_end105-_ZN7rocprim17ROCPRIM_400000_NS6detail17trampoline_kernelINS0_14default_configENS1_22reduce_config_selectorIbEEZNS1_11reduce_implILb1ES3_N6hipcub16HIPCUB_304000_NS22TransformInputIteratorIbN2at6native12_GLOBAL__N_19NonZeroOpIaEEPKalEEPiiNS8_6detail34convert_binary_result_type_wrapperINS8_3SumESH_iEEEE10hipError_tPvRmT1_T2_T3_mT4_P12ihipStream_tbEUlT_E0_NS1_11comp_targetILNS1_3genE10ELNS1_11target_archE1201ELNS1_3gpuE5ELNS1_3repE0EEENS1_30default_config_static_selectorELNS0_4arch9wavefront6targetE0EEEvSQ_
                                        ; -- End function
	.set _ZN7rocprim17ROCPRIM_400000_NS6detail17trampoline_kernelINS0_14default_configENS1_22reduce_config_selectorIbEEZNS1_11reduce_implILb1ES3_N6hipcub16HIPCUB_304000_NS22TransformInputIteratorIbN2at6native12_GLOBAL__N_19NonZeroOpIaEEPKalEEPiiNS8_6detail34convert_binary_result_type_wrapperINS8_3SumESH_iEEEE10hipError_tPvRmT1_T2_T3_mT4_P12ihipStream_tbEUlT_E0_NS1_11comp_targetILNS1_3genE10ELNS1_11target_archE1201ELNS1_3gpuE5ELNS1_3repE0EEENS1_30default_config_static_selectorELNS0_4arch9wavefront6targetE0EEEvSQ_.num_vgpr, 19
	.set _ZN7rocprim17ROCPRIM_400000_NS6detail17trampoline_kernelINS0_14default_configENS1_22reduce_config_selectorIbEEZNS1_11reduce_implILb1ES3_N6hipcub16HIPCUB_304000_NS22TransformInputIteratorIbN2at6native12_GLOBAL__N_19NonZeroOpIaEEPKalEEPiiNS8_6detail34convert_binary_result_type_wrapperINS8_3SumESH_iEEEE10hipError_tPvRmT1_T2_T3_mT4_P12ihipStream_tbEUlT_E0_NS1_11comp_targetILNS1_3genE10ELNS1_11target_archE1201ELNS1_3gpuE5ELNS1_3repE0EEENS1_30default_config_static_selectorELNS0_4arch9wavefront6targetE0EEEvSQ_.num_agpr, 0
	.set _ZN7rocprim17ROCPRIM_400000_NS6detail17trampoline_kernelINS0_14default_configENS1_22reduce_config_selectorIbEEZNS1_11reduce_implILb1ES3_N6hipcub16HIPCUB_304000_NS22TransformInputIteratorIbN2at6native12_GLOBAL__N_19NonZeroOpIaEEPKalEEPiiNS8_6detail34convert_binary_result_type_wrapperINS8_3SumESH_iEEEE10hipError_tPvRmT1_T2_T3_mT4_P12ihipStream_tbEUlT_E0_NS1_11comp_targetILNS1_3genE10ELNS1_11target_archE1201ELNS1_3gpuE5ELNS1_3repE0EEENS1_30default_config_static_selectorELNS0_4arch9wavefront6targetE0EEEvSQ_.numbered_sgpr, 30
	.set _ZN7rocprim17ROCPRIM_400000_NS6detail17trampoline_kernelINS0_14default_configENS1_22reduce_config_selectorIbEEZNS1_11reduce_implILb1ES3_N6hipcub16HIPCUB_304000_NS22TransformInputIteratorIbN2at6native12_GLOBAL__N_19NonZeroOpIaEEPKalEEPiiNS8_6detail34convert_binary_result_type_wrapperINS8_3SumESH_iEEEE10hipError_tPvRmT1_T2_T3_mT4_P12ihipStream_tbEUlT_E0_NS1_11comp_targetILNS1_3genE10ELNS1_11target_archE1201ELNS1_3gpuE5ELNS1_3repE0EEENS1_30default_config_static_selectorELNS0_4arch9wavefront6targetE0EEEvSQ_.num_named_barrier, 0
	.set _ZN7rocprim17ROCPRIM_400000_NS6detail17trampoline_kernelINS0_14default_configENS1_22reduce_config_selectorIbEEZNS1_11reduce_implILb1ES3_N6hipcub16HIPCUB_304000_NS22TransformInputIteratorIbN2at6native12_GLOBAL__N_19NonZeroOpIaEEPKalEEPiiNS8_6detail34convert_binary_result_type_wrapperINS8_3SumESH_iEEEE10hipError_tPvRmT1_T2_T3_mT4_P12ihipStream_tbEUlT_E0_NS1_11comp_targetILNS1_3genE10ELNS1_11target_archE1201ELNS1_3gpuE5ELNS1_3repE0EEENS1_30default_config_static_selectorELNS0_4arch9wavefront6targetE0EEEvSQ_.private_seg_size, 0
	.set _ZN7rocprim17ROCPRIM_400000_NS6detail17trampoline_kernelINS0_14default_configENS1_22reduce_config_selectorIbEEZNS1_11reduce_implILb1ES3_N6hipcub16HIPCUB_304000_NS22TransformInputIteratorIbN2at6native12_GLOBAL__N_19NonZeroOpIaEEPKalEEPiiNS8_6detail34convert_binary_result_type_wrapperINS8_3SumESH_iEEEE10hipError_tPvRmT1_T2_T3_mT4_P12ihipStream_tbEUlT_E0_NS1_11comp_targetILNS1_3genE10ELNS1_11target_archE1201ELNS1_3gpuE5ELNS1_3repE0EEENS1_30default_config_static_selectorELNS0_4arch9wavefront6targetE0EEEvSQ_.uses_vcc, 1
	.set _ZN7rocprim17ROCPRIM_400000_NS6detail17trampoline_kernelINS0_14default_configENS1_22reduce_config_selectorIbEEZNS1_11reduce_implILb1ES3_N6hipcub16HIPCUB_304000_NS22TransformInputIteratorIbN2at6native12_GLOBAL__N_19NonZeroOpIaEEPKalEEPiiNS8_6detail34convert_binary_result_type_wrapperINS8_3SumESH_iEEEE10hipError_tPvRmT1_T2_T3_mT4_P12ihipStream_tbEUlT_E0_NS1_11comp_targetILNS1_3genE10ELNS1_11target_archE1201ELNS1_3gpuE5ELNS1_3repE0EEENS1_30default_config_static_selectorELNS0_4arch9wavefront6targetE0EEEvSQ_.uses_flat_scratch, 0
	.set _ZN7rocprim17ROCPRIM_400000_NS6detail17trampoline_kernelINS0_14default_configENS1_22reduce_config_selectorIbEEZNS1_11reduce_implILb1ES3_N6hipcub16HIPCUB_304000_NS22TransformInputIteratorIbN2at6native12_GLOBAL__N_19NonZeroOpIaEEPKalEEPiiNS8_6detail34convert_binary_result_type_wrapperINS8_3SumESH_iEEEE10hipError_tPvRmT1_T2_T3_mT4_P12ihipStream_tbEUlT_E0_NS1_11comp_targetILNS1_3genE10ELNS1_11target_archE1201ELNS1_3gpuE5ELNS1_3repE0EEENS1_30default_config_static_selectorELNS0_4arch9wavefront6targetE0EEEvSQ_.has_dyn_sized_stack, 0
	.set _ZN7rocprim17ROCPRIM_400000_NS6detail17trampoline_kernelINS0_14default_configENS1_22reduce_config_selectorIbEEZNS1_11reduce_implILb1ES3_N6hipcub16HIPCUB_304000_NS22TransformInputIteratorIbN2at6native12_GLOBAL__N_19NonZeroOpIaEEPKalEEPiiNS8_6detail34convert_binary_result_type_wrapperINS8_3SumESH_iEEEE10hipError_tPvRmT1_T2_T3_mT4_P12ihipStream_tbEUlT_E0_NS1_11comp_targetILNS1_3genE10ELNS1_11target_archE1201ELNS1_3gpuE5ELNS1_3repE0EEENS1_30default_config_static_selectorELNS0_4arch9wavefront6targetE0EEEvSQ_.has_recursion, 0
	.set _ZN7rocprim17ROCPRIM_400000_NS6detail17trampoline_kernelINS0_14default_configENS1_22reduce_config_selectorIbEEZNS1_11reduce_implILb1ES3_N6hipcub16HIPCUB_304000_NS22TransformInputIteratorIbN2at6native12_GLOBAL__N_19NonZeroOpIaEEPKalEEPiiNS8_6detail34convert_binary_result_type_wrapperINS8_3SumESH_iEEEE10hipError_tPvRmT1_T2_T3_mT4_P12ihipStream_tbEUlT_E0_NS1_11comp_targetILNS1_3genE10ELNS1_11target_archE1201ELNS1_3gpuE5ELNS1_3repE0EEENS1_30default_config_static_selectorELNS0_4arch9wavefront6targetE0EEEvSQ_.has_indirect_call, 0
	.section	.AMDGPU.csdata,"",@progbits
; Kernel info:
; codeLenInByte = 3072
; TotalNumSgprs: 32
; NumVgprs: 19
; ScratchSize: 0
; MemoryBound: 0
; FloatMode: 240
; IeeeMode: 1
; LDSByteSize: 64 bytes/workgroup (compile time only)
; SGPRBlocks: 0
; VGPRBlocks: 2
; NumSGPRsForWavesPerEU: 32
; NumVGPRsForWavesPerEU: 19
; Occupancy: 16
; WaveLimiterHint : 1
; COMPUTE_PGM_RSRC2:SCRATCH_EN: 0
; COMPUTE_PGM_RSRC2:USER_SGPR: 2
; COMPUTE_PGM_RSRC2:TRAP_HANDLER: 0
; COMPUTE_PGM_RSRC2:TGID_X_EN: 1
; COMPUTE_PGM_RSRC2:TGID_Y_EN: 0
; COMPUTE_PGM_RSRC2:TGID_Z_EN: 0
; COMPUTE_PGM_RSRC2:TIDIG_COMP_CNT: 0
	.section	.text._ZN7rocprim17ROCPRIM_400000_NS6detail17trampoline_kernelINS0_14default_configENS1_22reduce_config_selectorIbEEZNS1_11reduce_implILb1ES3_N6hipcub16HIPCUB_304000_NS22TransformInputIteratorIbN2at6native12_GLOBAL__N_19NonZeroOpIaEEPKalEEPiiNS8_6detail34convert_binary_result_type_wrapperINS8_3SumESH_iEEEE10hipError_tPvRmT1_T2_T3_mT4_P12ihipStream_tbEUlT_E0_NS1_11comp_targetILNS1_3genE10ELNS1_11target_archE1200ELNS1_3gpuE4ELNS1_3repE0EEENS1_30default_config_static_selectorELNS0_4arch9wavefront6targetE0EEEvSQ_,"axG",@progbits,_ZN7rocprim17ROCPRIM_400000_NS6detail17trampoline_kernelINS0_14default_configENS1_22reduce_config_selectorIbEEZNS1_11reduce_implILb1ES3_N6hipcub16HIPCUB_304000_NS22TransformInputIteratorIbN2at6native12_GLOBAL__N_19NonZeroOpIaEEPKalEEPiiNS8_6detail34convert_binary_result_type_wrapperINS8_3SumESH_iEEEE10hipError_tPvRmT1_T2_T3_mT4_P12ihipStream_tbEUlT_E0_NS1_11comp_targetILNS1_3genE10ELNS1_11target_archE1200ELNS1_3gpuE4ELNS1_3repE0EEENS1_30default_config_static_selectorELNS0_4arch9wavefront6targetE0EEEvSQ_,comdat
	.globl	_ZN7rocprim17ROCPRIM_400000_NS6detail17trampoline_kernelINS0_14default_configENS1_22reduce_config_selectorIbEEZNS1_11reduce_implILb1ES3_N6hipcub16HIPCUB_304000_NS22TransformInputIteratorIbN2at6native12_GLOBAL__N_19NonZeroOpIaEEPKalEEPiiNS8_6detail34convert_binary_result_type_wrapperINS8_3SumESH_iEEEE10hipError_tPvRmT1_T2_T3_mT4_P12ihipStream_tbEUlT_E0_NS1_11comp_targetILNS1_3genE10ELNS1_11target_archE1200ELNS1_3gpuE4ELNS1_3repE0EEENS1_30default_config_static_selectorELNS0_4arch9wavefront6targetE0EEEvSQ_ ; -- Begin function _ZN7rocprim17ROCPRIM_400000_NS6detail17trampoline_kernelINS0_14default_configENS1_22reduce_config_selectorIbEEZNS1_11reduce_implILb1ES3_N6hipcub16HIPCUB_304000_NS22TransformInputIteratorIbN2at6native12_GLOBAL__N_19NonZeroOpIaEEPKalEEPiiNS8_6detail34convert_binary_result_type_wrapperINS8_3SumESH_iEEEE10hipError_tPvRmT1_T2_T3_mT4_P12ihipStream_tbEUlT_E0_NS1_11comp_targetILNS1_3genE10ELNS1_11target_archE1200ELNS1_3gpuE4ELNS1_3repE0EEENS1_30default_config_static_selectorELNS0_4arch9wavefront6targetE0EEEvSQ_
	.p2align	8
	.type	_ZN7rocprim17ROCPRIM_400000_NS6detail17trampoline_kernelINS0_14default_configENS1_22reduce_config_selectorIbEEZNS1_11reduce_implILb1ES3_N6hipcub16HIPCUB_304000_NS22TransformInputIteratorIbN2at6native12_GLOBAL__N_19NonZeroOpIaEEPKalEEPiiNS8_6detail34convert_binary_result_type_wrapperINS8_3SumESH_iEEEE10hipError_tPvRmT1_T2_T3_mT4_P12ihipStream_tbEUlT_E0_NS1_11comp_targetILNS1_3genE10ELNS1_11target_archE1200ELNS1_3gpuE4ELNS1_3repE0EEENS1_30default_config_static_selectorELNS0_4arch9wavefront6targetE0EEEvSQ_,@function
_ZN7rocprim17ROCPRIM_400000_NS6detail17trampoline_kernelINS0_14default_configENS1_22reduce_config_selectorIbEEZNS1_11reduce_implILb1ES3_N6hipcub16HIPCUB_304000_NS22TransformInputIteratorIbN2at6native12_GLOBAL__N_19NonZeroOpIaEEPKalEEPiiNS8_6detail34convert_binary_result_type_wrapperINS8_3SumESH_iEEEE10hipError_tPvRmT1_T2_T3_mT4_P12ihipStream_tbEUlT_E0_NS1_11comp_targetILNS1_3genE10ELNS1_11target_archE1200ELNS1_3gpuE4ELNS1_3repE0EEENS1_30default_config_static_selectorELNS0_4arch9wavefront6targetE0EEEvSQ_: ; @_ZN7rocprim17ROCPRIM_400000_NS6detail17trampoline_kernelINS0_14default_configENS1_22reduce_config_selectorIbEEZNS1_11reduce_implILb1ES3_N6hipcub16HIPCUB_304000_NS22TransformInputIteratorIbN2at6native12_GLOBAL__N_19NonZeroOpIaEEPKalEEPiiNS8_6detail34convert_binary_result_type_wrapperINS8_3SumESH_iEEEE10hipError_tPvRmT1_T2_T3_mT4_P12ihipStream_tbEUlT_E0_NS1_11comp_targetILNS1_3genE10ELNS1_11target_archE1200ELNS1_3gpuE4ELNS1_3repE0EEENS1_30default_config_static_selectorELNS0_4arch9wavefront6targetE0EEEvSQ_
; %bb.0:
	.section	.rodata,"a",@progbits
	.p2align	6, 0x0
	.amdhsa_kernel _ZN7rocprim17ROCPRIM_400000_NS6detail17trampoline_kernelINS0_14default_configENS1_22reduce_config_selectorIbEEZNS1_11reduce_implILb1ES3_N6hipcub16HIPCUB_304000_NS22TransformInputIteratorIbN2at6native12_GLOBAL__N_19NonZeroOpIaEEPKalEEPiiNS8_6detail34convert_binary_result_type_wrapperINS8_3SumESH_iEEEE10hipError_tPvRmT1_T2_T3_mT4_P12ihipStream_tbEUlT_E0_NS1_11comp_targetILNS1_3genE10ELNS1_11target_archE1200ELNS1_3gpuE4ELNS1_3repE0EEENS1_30default_config_static_selectorELNS0_4arch9wavefront6targetE0EEEvSQ_
		.amdhsa_group_segment_fixed_size 0
		.amdhsa_private_segment_fixed_size 0
		.amdhsa_kernarg_size 64
		.amdhsa_user_sgpr_count 2
		.amdhsa_user_sgpr_dispatch_ptr 0
		.amdhsa_user_sgpr_queue_ptr 0
		.amdhsa_user_sgpr_kernarg_segment_ptr 1
		.amdhsa_user_sgpr_dispatch_id 0
		.amdhsa_user_sgpr_private_segment_size 0
		.amdhsa_wavefront_size32 1
		.amdhsa_uses_dynamic_stack 0
		.amdhsa_enable_private_segment 0
		.amdhsa_system_sgpr_workgroup_id_x 1
		.amdhsa_system_sgpr_workgroup_id_y 0
		.amdhsa_system_sgpr_workgroup_id_z 0
		.amdhsa_system_sgpr_workgroup_info 0
		.amdhsa_system_vgpr_workitem_id 0
		.amdhsa_next_free_vgpr 1
		.amdhsa_next_free_sgpr 1
		.amdhsa_reserve_vcc 0
		.amdhsa_float_round_mode_32 0
		.amdhsa_float_round_mode_16_64 0
		.amdhsa_float_denorm_mode_32 3
		.amdhsa_float_denorm_mode_16_64 3
		.amdhsa_fp16_overflow 0
		.amdhsa_workgroup_processor_mode 1
		.amdhsa_memory_ordered 1
		.amdhsa_forward_progress 1
		.amdhsa_inst_pref_size 0
		.amdhsa_round_robin_scheduling 0
		.amdhsa_exception_fp_ieee_invalid_op 0
		.amdhsa_exception_fp_denorm_src 0
		.amdhsa_exception_fp_ieee_div_zero 0
		.amdhsa_exception_fp_ieee_overflow 0
		.amdhsa_exception_fp_ieee_underflow 0
		.amdhsa_exception_fp_ieee_inexact 0
		.amdhsa_exception_int_div_zero 0
	.end_amdhsa_kernel
	.section	.text._ZN7rocprim17ROCPRIM_400000_NS6detail17trampoline_kernelINS0_14default_configENS1_22reduce_config_selectorIbEEZNS1_11reduce_implILb1ES3_N6hipcub16HIPCUB_304000_NS22TransformInputIteratorIbN2at6native12_GLOBAL__N_19NonZeroOpIaEEPKalEEPiiNS8_6detail34convert_binary_result_type_wrapperINS8_3SumESH_iEEEE10hipError_tPvRmT1_T2_T3_mT4_P12ihipStream_tbEUlT_E0_NS1_11comp_targetILNS1_3genE10ELNS1_11target_archE1200ELNS1_3gpuE4ELNS1_3repE0EEENS1_30default_config_static_selectorELNS0_4arch9wavefront6targetE0EEEvSQ_,"axG",@progbits,_ZN7rocprim17ROCPRIM_400000_NS6detail17trampoline_kernelINS0_14default_configENS1_22reduce_config_selectorIbEEZNS1_11reduce_implILb1ES3_N6hipcub16HIPCUB_304000_NS22TransformInputIteratorIbN2at6native12_GLOBAL__N_19NonZeroOpIaEEPKalEEPiiNS8_6detail34convert_binary_result_type_wrapperINS8_3SumESH_iEEEE10hipError_tPvRmT1_T2_T3_mT4_P12ihipStream_tbEUlT_E0_NS1_11comp_targetILNS1_3genE10ELNS1_11target_archE1200ELNS1_3gpuE4ELNS1_3repE0EEENS1_30default_config_static_selectorELNS0_4arch9wavefront6targetE0EEEvSQ_,comdat
.Lfunc_end106:
	.size	_ZN7rocprim17ROCPRIM_400000_NS6detail17trampoline_kernelINS0_14default_configENS1_22reduce_config_selectorIbEEZNS1_11reduce_implILb1ES3_N6hipcub16HIPCUB_304000_NS22TransformInputIteratorIbN2at6native12_GLOBAL__N_19NonZeroOpIaEEPKalEEPiiNS8_6detail34convert_binary_result_type_wrapperINS8_3SumESH_iEEEE10hipError_tPvRmT1_T2_T3_mT4_P12ihipStream_tbEUlT_E0_NS1_11comp_targetILNS1_3genE10ELNS1_11target_archE1200ELNS1_3gpuE4ELNS1_3repE0EEENS1_30default_config_static_selectorELNS0_4arch9wavefront6targetE0EEEvSQ_, .Lfunc_end106-_ZN7rocprim17ROCPRIM_400000_NS6detail17trampoline_kernelINS0_14default_configENS1_22reduce_config_selectorIbEEZNS1_11reduce_implILb1ES3_N6hipcub16HIPCUB_304000_NS22TransformInputIteratorIbN2at6native12_GLOBAL__N_19NonZeroOpIaEEPKalEEPiiNS8_6detail34convert_binary_result_type_wrapperINS8_3SumESH_iEEEE10hipError_tPvRmT1_T2_T3_mT4_P12ihipStream_tbEUlT_E0_NS1_11comp_targetILNS1_3genE10ELNS1_11target_archE1200ELNS1_3gpuE4ELNS1_3repE0EEENS1_30default_config_static_selectorELNS0_4arch9wavefront6targetE0EEEvSQ_
                                        ; -- End function
	.set _ZN7rocprim17ROCPRIM_400000_NS6detail17trampoline_kernelINS0_14default_configENS1_22reduce_config_selectorIbEEZNS1_11reduce_implILb1ES3_N6hipcub16HIPCUB_304000_NS22TransformInputIteratorIbN2at6native12_GLOBAL__N_19NonZeroOpIaEEPKalEEPiiNS8_6detail34convert_binary_result_type_wrapperINS8_3SumESH_iEEEE10hipError_tPvRmT1_T2_T3_mT4_P12ihipStream_tbEUlT_E0_NS1_11comp_targetILNS1_3genE10ELNS1_11target_archE1200ELNS1_3gpuE4ELNS1_3repE0EEENS1_30default_config_static_selectorELNS0_4arch9wavefront6targetE0EEEvSQ_.num_vgpr, 0
	.set _ZN7rocprim17ROCPRIM_400000_NS6detail17trampoline_kernelINS0_14default_configENS1_22reduce_config_selectorIbEEZNS1_11reduce_implILb1ES3_N6hipcub16HIPCUB_304000_NS22TransformInputIteratorIbN2at6native12_GLOBAL__N_19NonZeroOpIaEEPKalEEPiiNS8_6detail34convert_binary_result_type_wrapperINS8_3SumESH_iEEEE10hipError_tPvRmT1_T2_T3_mT4_P12ihipStream_tbEUlT_E0_NS1_11comp_targetILNS1_3genE10ELNS1_11target_archE1200ELNS1_3gpuE4ELNS1_3repE0EEENS1_30default_config_static_selectorELNS0_4arch9wavefront6targetE0EEEvSQ_.num_agpr, 0
	.set _ZN7rocprim17ROCPRIM_400000_NS6detail17trampoline_kernelINS0_14default_configENS1_22reduce_config_selectorIbEEZNS1_11reduce_implILb1ES3_N6hipcub16HIPCUB_304000_NS22TransformInputIteratorIbN2at6native12_GLOBAL__N_19NonZeroOpIaEEPKalEEPiiNS8_6detail34convert_binary_result_type_wrapperINS8_3SumESH_iEEEE10hipError_tPvRmT1_T2_T3_mT4_P12ihipStream_tbEUlT_E0_NS1_11comp_targetILNS1_3genE10ELNS1_11target_archE1200ELNS1_3gpuE4ELNS1_3repE0EEENS1_30default_config_static_selectorELNS0_4arch9wavefront6targetE0EEEvSQ_.numbered_sgpr, 0
	.set _ZN7rocprim17ROCPRIM_400000_NS6detail17trampoline_kernelINS0_14default_configENS1_22reduce_config_selectorIbEEZNS1_11reduce_implILb1ES3_N6hipcub16HIPCUB_304000_NS22TransformInputIteratorIbN2at6native12_GLOBAL__N_19NonZeroOpIaEEPKalEEPiiNS8_6detail34convert_binary_result_type_wrapperINS8_3SumESH_iEEEE10hipError_tPvRmT1_T2_T3_mT4_P12ihipStream_tbEUlT_E0_NS1_11comp_targetILNS1_3genE10ELNS1_11target_archE1200ELNS1_3gpuE4ELNS1_3repE0EEENS1_30default_config_static_selectorELNS0_4arch9wavefront6targetE0EEEvSQ_.num_named_barrier, 0
	.set _ZN7rocprim17ROCPRIM_400000_NS6detail17trampoline_kernelINS0_14default_configENS1_22reduce_config_selectorIbEEZNS1_11reduce_implILb1ES3_N6hipcub16HIPCUB_304000_NS22TransformInputIteratorIbN2at6native12_GLOBAL__N_19NonZeroOpIaEEPKalEEPiiNS8_6detail34convert_binary_result_type_wrapperINS8_3SumESH_iEEEE10hipError_tPvRmT1_T2_T3_mT4_P12ihipStream_tbEUlT_E0_NS1_11comp_targetILNS1_3genE10ELNS1_11target_archE1200ELNS1_3gpuE4ELNS1_3repE0EEENS1_30default_config_static_selectorELNS0_4arch9wavefront6targetE0EEEvSQ_.private_seg_size, 0
	.set _ZN7rocprim17ROCPRIM_400000_NS6detail17trampoline_kernelINS0_14default_configENS1_22reduce_config_selectorIbEEZNS1_11reduce_implILb1ES3_N6hipcub16HIPCUB_304000_NS22TransformInputIteratorIbN2at6native12_GLOBAL__N_19NonZeroOpIaEEPKalEEPiiNS8_6detail34convert_binary_result_type_wrapperINS8_3SumESH_iEEEE10hipError_tPvRmT1_T2_T3_mT4_P12ihipStream_tbEUlT_E0_NS1_11comp_targetILNS1_3genE10ELNS1_11target_archE1200ELNS1_3gpuE4ELNS1_3repE0EEENS1_30default_config_static_selectorELNS0_4arch9wavefront6targetE0EEEvSQ_.uses_vcc, 0
	.set _ZN7rocprim17ROCPRIM_400000_NS6detail17trampoline_kernelINS0_14default_configENS1_22reduce_config_selectorIbEEZNS1_11reduce_implILb1ES3_N6hipcub16HIPCUB_304000_NS22TransformInputIteratorIbN2at6native12_GLOBAL__N_19NonZeroOpIaEEPKalEEPiiNS8_6detail34convert_binary_result_type_wrapperINS8_3SumESH_iEEEE10hipError_tPvRmT1_T2_T3_mT4_P12ihipStream_tbEUlT_E0_NS1_11comp_targetILNS1_3genE10ELNS1_11target_archE1200ELNS1_3gpuE4ELNS1_3repE0EEENS1_30default_config_static_selectorELNS0_4arch9wavefront6targetE0EEEvSQ_.uses_flat_scratch, 0
	.set _ZN7rocprim17ROCPRIM_400000_NS6detail17trampoline_kernelINS0_14default_configENS1_22reduce_config_selectorIbEEZNS1_11reduce_implILb1ES3_N6hipcub16HIPCUB_304000_NS22TransformInputIteratorIbN2at6native12_GLOBAL__N_19NonZeroOpIaEEPKalEEPiiNS8_6detail34convert_binary_result_type_wrapperINS8_3SumESH_iEEEE10hipError_tPvRmT1_T2_T3_mT4_P12ihipStream_tbEUlT_E0_NS1_11comp_targetILNS1_3genE10ELNS1_11target_archE1200ELNS1_3gpuE4ELNS1_3repE0EEENS1_30default_config_static_selectorELNS0_4arch9wavefront6targetE0EEEvSQ_.has_dyn_sized_stack, 0
	.set _ZN7rocprim17ROCPRIM_400000_NS6detail17trampoline_kernelINS0_14default_configENS1_22reduce_config_selectorIbEEZNS1_11reduce_implILb1ES3_N6hipcub16HIPCUB_304000_NS22TransformInputIteratorIbN2at6native12_GLOBAL__N_19NonZeroOpIaEEPKalEEPiiNS8_6detail34convert_binary_result_type_wrapperINS8_3SumESH_iEEEE10hipError_tPvRmT1_T2_T3_mT4_P12ihipStream_tbEUlT_E0_NS1_11comp_targetILNS1_3genE10ELNS1_11target_archE1200ELNS1_3gpuE4ELNS1_3repE0EEENS1_30default_config_static_selectorELNS0_4arch9wavefront6targetE0EEEvSQ_.has_recursion, 0
	.set _ZN7rocprim17ROCPRIM_400000_NS6detail17trampoline_kernelINS0_14default_configENS1_22reduce_config_selectorIbEEZNS1_11reduce_implILb1ES3_N6hipcub16HIPCUB_304000_NS22TransformInputIteratorIbN2at6native12_GLOBAL__N_19NonZeroOpIaEEPKalEEPiiNS8_6detail34convert_binary_result_type_wrapperINS8_3SumESH_iEEEE10hipError_tPvRmT1_T2_T3_mT4_P12ihipStream_tbEUlT_E0_NS1_11comp_targetILNS1_3genE10ELNS1_11target_archE1200ELNS1_3gpuE4ELNS1_3repE0EEENS1_30default_config_static_selectorELNS0_4arch9wavefront6targetE0EEEvSQ_.has_indirect_call, 0
	.section	.AMDGPU.csdata,"",@progbits
; Kernel info:
; codeLenInByte = 0
; TotalNumSgprs: 0
; NumVgprs: 0
; ScratchSize: 0
; MemoryBound: 0
; FloatMode: 240
; IeeeMode: 1
; LDSByteSize: 0 bytes/workgroup (compile time only)
; SGPRBlocks: 0
; VGPRBlocks: 0
; NumSGPRsForWavesPerEU: 1
; NumVGPRsForWavesPerEU: 1
; Occupancy: 16
; WaveLimiterHint : 0
; COMPUTE_PGM_RSRC2:SCRATCH_EN: 0
; COMPUTE_PGM_RSRC2:USER_SGPR: 2
; COMPUTE_PGM_RSRC2:TRAP_HANDLER: 0
; COMPUTE_PGM_RSRC2:TGID_X_EN: 1
; COMPUTE_PGM_RSRC2:TGID_Y_EN: 0
; COMPUTE_PGM_RSRC2:TGID_Z_EN: 0
; COMPUTE_PGM_RSRC2:TIDIG_COMP_CNT: 0
	.section	.text._ZN7rocprim17ROCPRIM_400000_NS6detail17trampoline_kernelINS0_14default_configENS1_22reduce_config_selectorIbEEZNS1_11reduce_implILb1ES3_N6hipcub16HIPCUB_304000_NS22TransformInputIteratorIbN2at6native12_GLOBAL__N_19NonZeroOpIaEEPKalEEPiiNS8_6detail34convert_binary_result_type_wrapperINS8_3SumESH_iEEEE10hipError_tPvRmT1_T2_T3_mT4_P12ihipStream_tbEUlT_E0_NS1_11comp_targetILNS1_3genE9ELNS1_11target_archE1100ELNS1_3gpuE3ELNS1_3repE0EEENS1_30default_config_static_selectorELNS0_4arch9wavefront6targetE0EEEvSQ_,"axG",@progbits,_ZN7rocprim17ROCPRIM_400000_NS6detail17trampoline_kernelINS0_14default_configENS1_22reduce_config_selectorIbEEZNS1_11reduce_implILb1ES3_N6hipcub16HIPCUB_304000_NS22TransformInputIteratorIbN2at6native12_GLOBAL__N_19NonZeroOpIaEEPKalEEPiiNS8_6detail34convert_binary_result_type_wrapperINS8_3SumESH_iEEEE10hipError_tPvRmT1_T2_T3_mT4_P12ihipStream_tbEUlT_E0_NS1_11comp_targetILNS1_3genE9ELNS1_11target_archE1100ELNS1_3gpuE3ELNS1_3repE0EEENS1_30default_config_static_selectorELNS0_4arch9wavefront6targetE0EEEvSQ_,comdat
	.globl	_ZN7rocprim17ROCPRIM_400000_NS6detail17trampoline_kernelINS0_14default_configENS1_22reduce_config_selectorIbEEZNS1_11reduce_implILb1ES3_N6hipcub16HIPCUB_304000_NS22TransformInputIteratorIbN2at6native12_GLOBAL__N_19NonZeroOpIaEEPKalEEPiiNS8_6detail34convert_binary_result_type_wrapperINS8_3SumESH_iEEEE10hipError_tPvRmT1_T2_T3_mT4_P12ihipStream_tbEUlT_E0_NS1_11comp_targetILNS1_3genE9ELNS1_11target_archE1100ELNS1_3gpuE3ELNS1_3repE0EEENS1_30default_config_static_selectorELNS0_4arch9wavefront6targetE0EEEvSQ_ ; -- Begin function _ZN7rocprim17ROCPRIM_400000_NS6detail17trampoline_kernelINS0_14default_configENS1_22reduce_config_selectorIbEEZNS1_11reduce_implILb1ES3_N6hipcub16HIPCUB_304000_NS22TransformInputIteratorIbN2at6native12_GLOBAL__N_19NonZeroOpIaEEPKalEEPiiNS8_6detail34convert_binary_result_type_wrapperINS8_3SumESH_iEEEE10hipError_tPvRmT1_T2_T3_mT4_P12ihipStream_tbEUlT_E0_NS1_11comp_targetILNS1_3genE9ELNS1_11target_archE1100ELNS1_3gpuE3ELNS1_3repE0EEENS1_30default_config_static_selectorELNS0_4arch9wavefront6targetE0EEEvSQ_
	.p2align	8
	.type	_ZN7rocprim17ROCPRIM_400000_NS6detail17trampoline_kernelINS0_14default_configENS1_22reduce_config_selectorIbEEZNS1_11reduce_implILb1ES3_N6hipcub16HIPCUB_304000_NS22TransformInputIteratorIbN2at6native12_GLOBAL__N_19NonZeroOpIaEEPKalEEPiiNS8_6detail34convert_binary_result_type_wrapperINS8_3SumESH_iEEEE10hipError_tPvRmT1_T2_T3_mT4_P12ihipStream_tbEUlT_E0_NS1_11comp_targetILNS1_3genE9ELNS1_11target_archE1100ELNS1_3gpuE3ELNS1_3repE0EEENS1_30default_config_static_selectorELNS0_4arch9wavefront6targetE0EEEvSQ_,@function
_ZN7rocprim17ROCPRIM_400000_NS6detail17trampoline_kernelINS0_14default_configENS1_22reduce_config_selectorIbEEZNS1_11reduce_implILb1ES3_N6hipcub16HIPCUB_304000_NS22TransformInputIteratorIbN2at6native12_GLOBAL__N_19NonZeroOpIaEEPKalEEPiiNS8_6detail34convert_binary_result_type_wrapperINS8_3SumESH_iEEEE10hipError_tPvRmT1_T2_T3_mT4_P12ihipStream_tbEUlT_E0_NS1_11comp_targetILNS1_3genE9ELNS1_11target_archE1100ELNS1_3gpuE3ELNS1_3repE0EEENS1_30default_config_static_selectorELNS0_4arch9wavefront6targetE0EEEvSQ_: ; @_ZN7rocprim17ROCPRIM_400000_NS6detail17trampoline_kernelINS0_14default_configENS1_22reduce_config_selectorIbEEZNS1_11reduce_implILb1ES3_N6hipcub16HIPCUB_304000_NS22TransformInputIteratorIbN2at6native12_GLOBAL__N_19NonZeroOpIaEEPKalEEPiiNS8_6detail34convert_binary_result_type_wrapperINS8_3SumESH_iEEEE10hipError_tPvRmT1_T2_T3_mT4_P12ihipStream_tbEUlT_E0_NS1_11comp_targetILNS1_3genE9ELNS1_11target_archE1100ELNS1_3gpuE3ELNS1_3repE0EEENS1_30default_config_static_selectorELNS0_4arch9wavefront6targetE0EEEvSQ_
; %bb.0:
	.section	.rodata,"a",@progbits
	.p2align	6, 0x0
	.amdhsa_kernel _ZN7rocprim17ROCPRIM_400000_NS6detail17trampoline_kernelINS0_14default_configENS1_22reduce_config_selectorIbEEZNS1_11reduce_implILb1ES3_N6hipcub16HIPCUB_304000_NS22TransformInputIteratorIbN2at6native12_GLOBAL__N_19NonZeroOpIaEEPKalEEPiiNS8_6detail34convert_binary_result_type_wrapperINS8_3SumESH_iEEEE10hipError_tPvRmT1_T2_T3_mT4_P12ihipStream_tbEUlT_E0_NS1_11comp_targetILNS1_3genE9ELNS1_11target_archE1100ELNS1_3gpuE3ELNS1_3repE0EEENS1_30default_config_static_selectorELNS0_4arch9wavefront6targetE0EEEvSQ_
		.amdhsa_group_segment_fixed_size 0
		.amdhsa_private_segment_fixed_size 0
		.amdhsa_kernarg_size 64
		.amdhsa_user_sgpr_count 2
		.amdhsa_user_sgpr_dispatch_ptr 0
		.amdhsa_user_sgpr_queue_ptr 0
		.amdhsa_user_sgpr_kernarg_segment_ptr 1
		.amdhsa_user_sgpr_dispatch_id 0
		.amdhsa_user_sgpr_private_segment_size 0
		.amdhsa_wavefront_size32 1
		.amdhsa_uses_dynamic_stack 0
		.amdhsa_enable_private_segment 0
		.amdhsa_system_sgpr_workgroup_id_x 1
		.amdhsa_system_sgpr_workgroup_id_y 0
		.amdhsa_system_sgpr_workgroup_id_z 0
		.amdhsa_system_sgpr_workgroup_info 0
		.amdhsa_system_vgpr_workitem_id 0
		.amdhsa_next_free_vgpr 1
		.amdhsa_next_free_sgpr 1
		.amdhsa_reserve_vcc 0
		.amdhsa_float_round_mode_32 0
		.amdhsa_float_round_mode_16_64 0
		.amdhsa_float_denorm_mode_32 3
		.amdhsa_float_denorm_mode_16_64 3
		.amdhsa_fp16_overflow 0
		.amdhsa_workgroup_processor_mode 1
		.amdhsa_memory_ordered 1
		.amdhsa_forward_progress 1
		.amdhsa_inst_pref_size 0
		.amdhsa_round_robin_scheduling 0
		.amdhsa_exception_fp_ieee_invalid_op 0
		.amdhsa_exception_fp_denorm_src 0
		.amdhsa_exception_fp_ieee_div_zero 0
		.amdhsa_exception_fp_ieee_overflow 0
		.amdhsa_exception_fp_ieee_underflow 0
		.amdhsa_exception_fp_ieee_inexact 0
		.amdhsa_exception_int_div_zero 0
	.end_amdhsa_kernel
	.section	.text._ZN7rocprim17ROCPRIM_400000_NS6detail17trampoline_kernelINS0_14default_configENS1_22reduce_config_selectorIbEEZNS1_11reduce_implILb1ES3_N6hipcub16HIPCUB_304000_NS22TransformInputIteratorIbN2at6native12_GLOBAL__N_19NonZeroOpIaEEPKalEEPiiNS8_6detail34convert_binary_result_type_wrapperINS8_3SumESH_iEEEE10hipError_tPvRmT1_T2_T3_mT4_P12ihipStream_tbEUlT_E0_NS1_11comp_targetILNS1_3genE9ELNS1_11target_archE1100ELNS1_3gpuE3ELNS1_3repE0EEENS1_30default_config_static_selectorELNS0_4arch9wavefront6targetE0EEEvSQ_,"axG",@progbits,_ZN7rocprim17ROCPRIM_400000_NS6detail17trampoline_kernelINS0_14default_configENS1_22reduce_config_selectorIbEEZNS1_11reduce_implILb1ES3_N6hipcub16HIPCUB_304000_NS22TransformInputIteratorIbN2at6native12_GLOBAL__N_19NonZeroOpIaEEPKalEEPiiNS8_6detail34convert_binary_result_type_wrapperINS8_3SumESH_iEEEE10hipError_tPvRmT1_T2_T3_mT4_P12ihipStream_tbEUlT_E0_NS1_11comp_targetILNS1_3genE9ELNS1_11target_archE1100ELNS1_3gpuE3ELNS1_3repE0EEENS1_30default_config_static_selectorELNS0_4arch9wavefront6targetE0EEEvSQ_,comdat
.Lfunc_end107:
	.size	_ZN7rocprim17ROCPRIM_400000_NS6detail17trampoline_kernelINS0_14default_configENS1_22reduce_config_selectorIbEEZNS1_11reduce_implILb1ES3_N6hipcub16HIPCUB_304000_NS22TransformInputIteratorIbN2at6native12_GLOBAL__N_19NonZeroOpIaEEPKalEEPiiNS8_6detail34convert_binary_result_type_wrapperINS8_3SumESH_iEEEE10hipError_tPvRmT1_T2_T3_mT4_P12ihipStream_tbEUlT_E0_NS1_11comp_targetILNS1_3genE9ELNS1_11target_archE1100ELNS1_3gpuE3ELNS1_3repE0EEENS1_30default_config_static_selectorELNS0_4arch9wavefront6targetE0EEEvSQ_, .Lfunc_end107-_ZN7rocprim17ROCPRIM_400000_NS6detail17trampoline_kernelINS0_14default_configENS1_22reduce_config_selectorIbEEZNS1_11reduce_implILb1ES3_N6hipcub16HIPCUB_304000_NS22TransformInputIteratorIbN2at6native12_GLOBAL__N_19NonZeroOpIaEEPKalEEPiiNS8_6detail34convert_binary_result_type_wrapperINS8_3SumESH_iEEEE10hipError_tPvRmT1_T2_T3_mT4_P12ihipStream_tbEUlT_E0_NS1_11comp_targetILNS1_3genE9ELNS1_11target_archE1100ELNS1_3gpuE3ELNS1_3repE0EEENS1_30default_config_static_selectorELNS0_4arch9wavefront6targetE0EEEvSQ_
                                        ; -- End function
	.set _ZN7rocprim17ROCPRIM_400000_NS6detail17trampoline_kernelINS0_14default_configENS1_22reduce_config_selectorIbEEZNS1_11reduce_implILb1ES3_N6hipcub16HIPCUB_304000_NS22TransformInputIteratorIbN2at6native12_GLOBAL__N_19NonZeroOpIaEEPKalEEPiiNS8_6detail34convert_binary_result_type_wrapperINS8_3SumESH_iEEEE10hipError_tPvRmT1_T2_T3_mT4_P12ihipStream_tbEUlT_E0_NS1_11comp_targetILNS1_3genE9ELNS1_11target_archE1100ELNS1_3gpuE3ELNS1_3repE0EEENS1_30default_config_static_selectorELNS0_4arch9wavefront6targetE0EEEvSQ_.num_vgpr, 0
	.set _ZN7rocprim17ROCPRIM_400000_NS6detail17trampoline_kernelINS0_14default_configENS1_22reduce_config_selectorIbEEZNS1_11reduce_implILb1ES3_N6hipcub16HIPCUB_304000_NS22TransformInputIteratorIbN2at6native12_GLOBAL__N_19NonZeroOpIaEEPKalEEPiiNS8_6detail34convert_binary_result_type_wrapperINS8_3SumESH_iEEEE10hipError_tPvRmT1_T2_T3_mT4_P12ihipStream_tbEUlT_E0_NS1_11comp_targetILNS1_3genE9ELNS1_11target_archE1100ELNS1_3gpuE3ELNS1_3repE0EEENS1_30default_config_static_selectorELNS0_4arch9wavefront6targetE0EEEvSQ_.num_agpr, 0
	.set _ZN7rocprim17ROCPRIM_400000_NS6detail17trampoline_kernelINS0_14default_configENS1_22reduce_config_selectorIbEEZNS1_11reduce_implILb1ES3_N6hipcub16HIPCUB_304000_NS22TransformInputIteratorIbN2at6native12_GLOBAL__N_19NonZeroOpIaEEPKalEEPiiNS8_6detail34convert_binary_result_type_wrapperINS8_3SumESH_iEEEE10hipError_tPvRmT1_T2_T3_mT4_P12ihipStream_tbEUlT_E0_NS1_11comp_targetILNS1_3genE9ELNS1_11target_archE1100ELNS1_3gpuE3ELNS1_3repE0EEENS1_30default_config_static_selectorELNS0_4arch9wavefront6targetE0EEEvSQ_.numbered_sgpr, 0
	.set _ZN7rocprim17ROCPRIM_400000_NS6detail17trampoline_kernelINS0_14default_configENS1_22reduce_config_selectorIbEEZNS1_11reduce_implILb1ES3_N6hipcub16HIPCUB_304000_NS22TransformInputIteratorIbN2at6native12_GLOBAL__N_19NonZeroOpIaEEPKalEEPiiNS8_6detail34convert_binary_result_type_wrapperINS8_3SumESH_iEEEE10hipError_tPvRmT1_T2_T3_mT4_P12ihipStream_tbEUlT_E0_NS1_11comp_targetILNS1_3genE9ELNS1_11target_archE1100ELNS1_3gpuE3ELNS1_3repE0EEENS1_30default_config_static_selectorELNS0_4arch9wavefront6targetE0EEEvSQ_.num_named_barrier, 0
	.set _ZN7rocprim17ROCPRIM_400000_NS6detail17trampoline_kernelINS0_14default_configENS1_22reduce_config_selectorIbEEZNS1_11reduce_implILb1ES3_N6hipcub16HIPCUB_304000_NS22TransformInputIteratorIbN2at6native12_GLOBAL__N_19NonZeroOpIaEEPKalEEPiiNS8_6detail34convert_binary_result_type_wrapperINS8_3SumESH_iEEEE10hipError_tPvRmT1_T2_T3_mT4_P12ihipStream_tbEUlT_E0_NS1_11comp_targetILNS1_3genE9ELNS1_11target_archE1100ELNS1_3gpuE3ELNS1_3repE0EEENS1_30default_config_static_selectorELNS0_4arch9wavefront6targetE0EEEvSQ_.private_seg_size, 0
	.set _ZN7rocprim17ROCPRIM_400000_NS6detail17trampoline_kernelINS0_14default_configENS1_22reduce_config_selectorIbEEZNS1_11reduce_implILb1ES3_N6hipcub16HIPCUB_304000_NS22TransformInputIteratorIbN2at6native12_GLOBAL__N_19NonZeroOpIaEEPKalEEPiiNS8_6detail34convert_binary_result_type_wrapperINS8_3SumESH_iEEEE10hipError_tPvRmT1_T2_T3_mT4_P12ihipStream_tbEUlT_E0_NS1_11comp_targetILNS1_3genE9ELNS1_11target_archE1100ELNS1_3gpuE3ELNS1_3repE0EEENS1_30default_config_static_selectorELNS0_4arch9wavefront6targetE0EEEvSQ_.uses_vcc, 0
	.set _ZN7rocprim17ROCPRIM_400000_NS6detail17trampoline_kernelINS0_14default_configENS1_22reduce_config_selectorIbEEZNS1_11reduce_implILb1ES3_N6hipcub16HIPCUB_304000_NS22TransformInputIteratorIbN2at6native12_GLOBAL__N_19NonZeroOpIaEEPKalEEPiiNS8_6detail34convert_binary_result_type_wrapperINS8_3SumESH_iEEEE10hipError_tPvRmT1_T2_T3_mT4_P12ihipStream_tbEUlT_E0_NS1_11comp_targetILNS1_3genE9ELNS1_11target_archE1100ELNS1_3gpuE3ELNS1_3repE0EEENS1_30default_config_static_selectorELNS0_4arch9wavefront6targetE0EEEvSQ_.uses_flat_scratch, 0
	.set _ZN7rocprim17ROCPRIM_400000_NS6detail17trampoline_kernelINS0_14default_configENS1_22reduce_config_selectorIbEEZNS1_11reduce_implILb1ES3_N6hipcub16HIPCUB_304000_NS22TransformInputIteratorIbN2at6native12_GLOBAL__N_19NonZeroOpIaEEPKalEEPiiNS8_6detail34convert_binary_result_type_wrapperINS8_3SumESH_iEEEE10hipError_tPvRmT1_T2_T3_mT4_P12ihipStream_tbEUlT_E0_NS1_11comp_targetILNS1_3genE9ELNS1_11target_archE1100ELNS1_3gpuE3ELNS1_3repE0EEENS1_30default_config_static_selectorELNS0_4arch9wavefront6targetE0EEEvSQ_.has_dyn_sized_stack, 0
	.set _ZN7rocprim17ROCPRIM_400000_NS6detail17trampoline_kernelINS0_14default_configENS1_22reduce_config_selectorIbEEZNS1_11reduce_implILb1ES3_N6hipcub16HIPCUB_304000_NS22TransformInputIteratorIbN2at6native12_GLOBAL__N_19NonZeroOpIaEEPKalEEPiiNS8_6detail34convert_binary_result_type_wrapperINS8_3SumESH_iEEEE10hipError_tPvRmT1_T2_T3_mT4_P12ihipStream_tbEUlT_E0_NS1_11comp_targetILNS1_3genE9ELNS1_11target_archE1100ELNS1_3gpuE3ELNS1_3repE0EEENS1_30default_config_static_selectorELNS0_4arch9wavefront6targetE0EEEvSQ_.has_recursion, 0
	.set _ZN7rocprim17ROCPRIM_400000_NS6detail17trampoline_kernelINS0_14default_configENS1_22reduce_config_selectorIbEEZNS1_11reduce_implILb1ES3_N6hipcub16HIPCUB_304000_NS22TransformInputIteratorIbN2at6native12_GLOBAL__N_19NonZeroOpIaEEPKalEEPiiNS8_6detail34convert_binary_result_type_wrapperINS8_3SumESH_iEEEE10hipError_tPvRmT1_T2_T3_mT4_P12ihipStream_tbEUlT_E0_NS1_11comp_targetILNS1_3genE9ELNS1_11target_archE1100ELNS1_3gpuE3ELNS1_3repE0EEENS1_30default_config_static_selectorELNS0_4arch9wavefront6targetE0EEEvSQ_.has_indirect_call, 0
	.section	.AMDGPU.csdata,"",@progbits
; Kernel info:
; codeLenInByte = 0
; TotalNumSgprs: 0
; NumVgprs: 0
; ScratchSize: 0
; MemoryBound: 0
; FloatMode: 240
; IeeeMode: 1
; LDSByteSize: 0 bytes/workgroup (compile time only)
; SGPRBlocks: 0
; VGPRBlocks: 0
; NumSGPRsForWavesPerEU: 1
; NumVGPRsForWavesPerEU: 1
; Occupancy: 16
; WaveLimiterHint : 0
; COMPUTE_PGM_RSRC2:SCRATCH_EN: 0
; COMPUTE_PGM_RSRC2:USER_SGPR: 2
; COMPUTE_PGM_RSRC2:TRAP_HANDLER: 0
; COMPUTE_PGM_RSRC2:TGID_X_EN: 1
; COMPUTE_PGM_RSRC2:TGID_Y_EN: 0
; COMPUTE_PGM_RSRC2:TGID_Z_EN: 0
; COMPUTE_PGM_RSRC2:TIDIG_COMP_CNT: 0
	.section	.text._ZN7rocprim17ROCPRIM_400000_NS6detail17trampoline_kernelINS0_14default_configENS1_22reduce_config_selectorIbEEZNS1_11reduce_implILb1ES3_N6hipcub16HIPCUB_304000_NS22TransformInputIteratorIbN2at6native12_GLOBAL__N_19NonZeroOpIaEEPKalEEPiiNS8_6detail34convert_binary_result_type_wrapperINS8_3SumESH_iEEEE10hipError_tPvRmT1_T2_T3_mT4_P12ihipStream_tbEUlT_E0_NS1_11comp_targetILNS1_3genE8ELNS1_11target_archE1030ELNS1_3gpuE2ELNS1_3repE0EEENS1_30default_config_static_selectorELNS0_4arch9wavefront6targetE0EEEvSQ_,"axG",@progbits,_ZN7rocprim17ROCPRIM_400000_NS6detail17trampoline_kernelINS0_14default_configENS1_22reduce_config_selectorIbEEZNS1_11reduce_implILb1ES3_N6hipcub16HIPCUB_304000_NS22TransformInputIteratorIbN2at6native12_GLOBAL__N_19NonZeroOpIaEEPKalEEPiiNS8_6detail34convert_binary_result_type_wrapperINS8_3SumESH_iEEEE10hipError_tPvRmT1_T2_T3_mT4_P12ihipStream_tbEUlT_E0_NS1_11comp_targetILNS1_3genE8ELNS1_11target_archE1030ELNS1_3gpuE2ELNS1_3repE0EEENS1_30default_config_static_selectorELNS0_4arch9wavefront6targetE0EEEvSQ_,comdat
	.globl	_ZN7rocprim17ROCPRIM_400000_NS6detail17trampoline_kernelINS0_14default_configENS1_22reduce_config_selectorIbEEZNS1_11reduce_implILb1ES3_N6hipcub16HIPCUB_304000_NS22TransformInputIteratorIbN2at6native12_GLOBAL__N_19NonZeroOpIaEEPKalEEPiiNS8_6detail34convert_binary_result_type_wrapperINS8_3SumESH_iEEEE10hipError_tPvRmT1_T2_T3_mT4_P12ihipStream_tbEUlT_E0_NS1_11comp_targetILNS1_3genE8ELNS1_11target_archE1030ELNS1_3gpuE2ELNS1_3repE0EEENS1_30default_config_static_selectorELNS0_4arch9wavefront6targetE0EEEvSQ_ ; -- Begin function _ZN7rocprim17ROCPRIM_400000_NS6detail17trampoline_kernelINS0_14default_configENS1_22reduce_config_selectorIbEEZNS1_11reduce_implILb1ES3_N6hipcub16HIPCUB_304000_NS22TransformInputIteratorIbN2at6native12_GLOBAL__N_19NonZeroOpIaEEPKalEEPiiNS8_6detail34convert_binary_result_type_wrapperINS8_3SumESH_iEEEE10hipError_tPvRmT1_T2_T3_mT4_P12ihipStream_tbEUlT_E0_NS1_11comp_targetILNS1_3genE8ELNS1_11target_archE1030ELNS1_3gpuE2ELNS1_3repE0EEENS1_30default_config_static_selectorELNS0_4arch9wavefront6targetE0EEEvSQ_
	.p2align	8
	.type	_ZN7rocprim17ROCPRIM_400000_NS6detail17trampoline_kernelINS0_14default_configENS1_22reduce_config_selectorIbEEZNS1_11reduce_implILb1ES3_N6hipcub16HIPCUB_304000_NS22TransformInputIteratorIbN2at6native12_GLOBAL__N_19NonZeroOpIaEEPKalEEPiiNS8_6detail34convert_binary_result_type_wrapperINS8_3SumESH_iEEEE10hipError_tPvRmT1_T2_T3_mT4_P12ihipStream_tbEUlT_E0_NS1_11comp_targetILNS1_3genE8ELNS1_11target_archE1030ELNS1_3gpuE2ELNS1_3repE0EEENS1_30default_config_static_selectorELNS0_4arch9wavefront6targetE0EEEvSQ_,@function
_ZN7rocprim17ROCPRIM_400000_NS6detail17trampoline_kernelINS0_14default_configENS1_22reduce_config_selectorIbEEZNS1_11reduce_implILb1ES3_N6hipcub16HIPCUB_304000_NS22TransformInputIteratorIbN2at6native12_GLOBAL__N_19NonZeroOpIaEEPKalEEPiiNS8_6detail34convert_binary_result_type_wrapperINS8_3SumESH_iEEEE10hipError_tPvRmT1_T2_T3_mT4_P12ihipStream_tbEUlT_E0_NS1_11comp_targetILNS1_3genE8ELNS1_11target_archE1030ELNS1_3gpuE2ELNS1_3repE0EEENS1_30default_config_static_selectorELNS0_4arch9wavefront6targetE0EEEvSQ_: ; @_ZN7rocprim17ROCPRIM_400000_NS6detail17trampoline_kernelINS0_14default_configENS1_22reduce_config_selectorIbEEZNS1_11reduce_implILb1ES3_N6hipcub16HIPCUB_304000_NS22TransformInputIteratorIbN2at6native12_GLOBAL__N_19NonZeroOpIaEEPKalEEPiiNS8_6detail34convert_binary_result_type_wrapperINS8_3SumESH_iEEEE10hipError_tPvRmT1_T2_T3_mT4_P12ihipStream_tbEUlT_E0_NS1_11comp_targetILNS1_3genE8ELNS1_11target_archE1030ELNS1_3gpuE2ELNS1_3repE0EEENS1_30default_config_static_selectorELNS0_4arch9wavefront6targetE0EEEvSQ_
; %bb.0:
	.section	.rodata,"a",@progbits
	.p2align	6, 0x0
	.amdhsa_kernel _ZN7rocprim17ROCPRIM_400000_NS6detail17trampoline_kernelINS0_14default_configENS1_22reduce_config_selectorIbEEZNS1_11reduce_implILb1ES3_N6hipcub16HIPCUB_304000_NS22TransformInputIteratorIbN2at6native12_GLOBAL__N_19NonZeroOpIaEEPKalEEPiiNS8_6detail34convert_binary_result_type_wrapperINS8_3SumESH_iEEEE10hipError_tPvRmT1_T2_T3_mT4_P12ihipStream_tbEUlT_E0_NS1_11comp_targetILNS1_3genE8ELNS1_11target_archE1030ELNS1_3gpuE2ELNS1_3repE0EEENS1_30default_config_static_selectorELNS0_4arch9wavefront6targetE0EEEvSQ_
		.amdhsa_group_segment_fixed_size 0
		.amdhsa_private_segment_fixed_size 0
		.amdhsa_kernarg_size 64
		.amdhsa_user_sgpr_count 2
		.amdhsa_user_sgpr_dispatch_ptr 0
		.amdhsa_user_sgpr_queue_ptr 0
		.amdhsa_user_sgpr_kernarg_segment_ptr 1
		.amdhsa_user_sgpr_dispatch_id 0
		.amdhsa_user_sgpr_private_segment_size 0
		.amdhsa_wavefront_size32 1
		.amdhsa_uses_dynamic_stack 0
		.amdhsa_enable_private_segment 0
		.amdhsa_system_sgpr_workgroup_id_x 1
		.amdhsa_system_sgpr_workgroup_id_y 0
		.amdhsa_system_sgpr_workgroup_id_z 0
		.amdhsa_system_sgpr_workgroup_info 0
		.amdhsa_system_vgpr_workitem_id 0
		.amdhsa_next_free_vgpr 1
		.amdhsa_next_free_sgpr 1
		.amdhsa_reserve_vcc 0
		.amdhsa_float_round_mode_32 0
		.amdhsa_float_round_mode_16_64 0
		.amdhsa_float_denorm_mode_32 3
		.amdhsa_float_denorm_mode_16_64 3
		.amdhsa_fp16_overflow 0
		.amdhsa_workgroup_processor_mode 1
		.amdhsa_memory_ordered 1
		.amdhsa_forward_progress 1
		.amdhsa_inst_pref_size 0
		.amdhsa_round_robin_scheduling 0
		.amdhsa_exception_fp_ieee_invalid_op 0
		.amdhsa_exception_fp_denorm_src 0
		.amdhsa_exception_fp_ieee_div_zero 0
		.amdhsa_exception_fp_ieee_overflow 0
		.amdhsa_exception_fp_ieee_underflow 0
		.amdhsa_exception_fp_ieee_inexact 0
		.amdhsa_exception_int_div_zero 0
	.end_amdhsa_kernel
	.section	.text._ZN7rocprim17ROCPRIM_400000_NS6detail17trampoline_kernelINS0_14default_configENS1_22reduce_config_selectorIbEEZNS1_11reduce_implILb1ES3_N6hipcub16HIPCUB_304000_NS22TransformInputIteratorIbN2at6native12_GLOBAL__N_19NonZeroOpIaEEPKalEEPiiNS8_6detail34convert_binary_result_type_wrapperINS8_3SumESH_iEEEE10hipError_tPvRmT1_T2_T3_mT4_P12ihipStream_tbEUlT_E0_NS1_11comp_targetILNS1_3genE8ELNS1_11target_archE1030ELNS1_3gpuE2ELNS1_3repE0EEENS1_30default_config_static_selectorELNS0_4arch9wavefront6targetE0EEEvSQ_,"axG",@progbits,_ZN7rocprim17ROCPRIM_400000_NS6detail17trampoline_kernelINS0_14default_configENS1_22reduce_config_selectorIbEEZNS1_11reduce_implILb1ES3_N6hipcub16HIPCUB_304000_NS22TransformInputIteratorIbN2at6native12_GLOBAL__N_19NonZeroOpIaEEPKalEEPiiNS8_6detail34convert_binary_result_type_wrapperINS8_3SumESH_iEEEE10hipError_tPvRmT1_T2_T3_mT4_P12ihipStream_tbEUlT_E0_NS1_11comp_targetILNS1_3genE8ELNS1_11target_archE1030ELNS1_3gpuE2ELNS1_3repE0EEENS1_30default_config_static_selectorELNS0_4arch9wavefront6targetE0EEEvSQ_,comdat
.Lfunc_end108:
	.size	_ZN7rocprim17ROCPRIM_400000_NS6detail17trampoline_kernelINS0_14default_configENS1_22reduce_config_selectorIbEEZNS1_11reduce_implILb1ES3_N6hipcub16HIPCUB_304000_NS22TransformInputIteratorIbN2at6native12_GLOBAL__N_19NonZeroOpIaEEPKalEEPiiNS8_6detail34convert_binary_result_type_wrapperINS8_3SumESH_iEEEE10hipError_tPvRmT1_T2_T3_mT4_P12ihipStream_tbEUlT_E0_NS1_11comp_targetILNS1_3genE8ELNS1_11target_archE1030ELNS1_3gpuE2ELNS1_3repE0EEENS1_30default_config_static_selectorELNS0_4arch9wavefront6targetE0EEEvSQ_, .Lfunc_end108-_ZN7rocprim17ROCPRIM_400000_NS6detail17trampoline_kernelINS0_14default_configENS1_22reduce_config_selectorIbEEZNS1_11reduce_implILb1ES3_N6hipcub16HIPCUB_304000_NS22TransformInputIteratorIbN2at6native12_GLOBAL__N_19NonZeroOpIaEEPKalEEPiiNS8_6detail34convert_binary_result_type_wrapperINS8_3SumESH_iEEEE10hipError_tPvRmT1_T2_T3_mT4_P12ihipStream_tbEUlT_E0_NS1_11comp_targetILNS1_3genE8ELNS1_11target_archE1030ELNS1_3gpuE2ELNS1_3repE0EEENS1_30default_config_static_selectorELNS0_4arch9wavefront6targetE0EEEvSQ_
                                        ; -- End function
	.set _ZN7rocprim17ROCPRIM_400000_NS6detail17trampoline_kernelINS0_14default_configENS1_22reduce_config_selectorIbEEZNS1_11reduce_implILb1ES3_N6hipcub16HIPCUB_304000_NS22TransformInputIteratorIbN2at6native12_GLOBAL__N_19NonZeroOpIaEEPKalEEPiiNS8_6detail34convert_binary_result_type_wrapperINS8_3SumESH_iEEEE10hipError_tPvRmT1_T2_T3_mT4_P12ihipStream_tbEUlT_E0_NS1_11comp_targetILNS1_3genE8ELNS1_11target_archE1030ELNS1_3gpuE2ELNS1_3repE0EEENS1_30default_config_static_selectorELNS0_4arch9wavefront6targetE0EEEvSQ_.num_vgpr, 0
	.set _ZN7rocprim17ROCPRIM_400000_NS6detail17trampoline_kernelINS0_14default_configENS1_22reduce_config_selectorIbEEZNS1_11reduce_implILb1ES3_N6hipcub16HIPCUB_304000_NS22TransformInputIteratorIbN2at6native12_GLOBAL__N_19NonZeroOpIaEEPKalEEPiiNS8_6detail34convert_binary_result_type_wrapperINS8_3SumESH_iEEEE10hipError_tPvRmT1_T2_T3_mT4_P12ihipStream_tbEUlT_E0_NS1_11comp_targetILNS1_3genE8ELNS1_11target_archE1030ELNS1_3gpuE2ELNS1_3repE0EEENS1_30default_config_static_selectorELNS0_4arch9wavefront6targetE0EEEvSQ_.num_agpr, 0
	.set _ZN7rocprim17ROCPRIM_400000_NS6detail17trampoline_kernelINS0_14default_configENS1_22reduce_config_selectorIbEEZNS1_11reduce_implILb1ES3_N6hipcub16HIPCUB_304000_NS22TransformInputIteratorIbN2at6native12_GLOBAL__N_19NonZeroOpIaEEPKalEEPiiNS8_6detail34convert_binary_result_type_wrapperINS8_3SumESH_iEEEE10hipError_tPvRmT1_T2_T3_mT4_P12ihipStream_tbEUlT_E0_NS1_11comp_targetILNS1_3genE8ELNS1_11target_archE1030ELNS1_3gpuE2ELNS1_3repE0EEENS1_30default_config_static_selectorELNS0_4arch9wavefront6targetE0EEEvSQ_.numbered_sgpr, 0
	.set _ZN7rocprim17ROCPRIM_400000_NS6detail17trampoline_kernelINS0_14default_configENS1_22reduce_config_selectorIbEEZNS1_11reduce_implILb1ES3_N6hipcub16HIPCUB_304000_NS22TransformInputIteratorIbN2at6native12_GLOBAL__N_19NonZeroOpIaEEPKalEEPiiNS8_6detail34convert_binary_result_type_wrapperINS8_3SumESH_iEEEE10hipError_tPvRmT1_T2_T3_mT4_P12ihipStream_tbEUlT_E0_NS1_11comp_targetILNS1_3genE8ELNS1_11target_archE1030ELNS1_3gpuE2ELNS1_3repE0EEENS1_30default_config_static_selectorELNS0_4arch9wavefront6targetE0EEEvSQ_.num_named_barrier, 0
	.set _ZN7rocprim17ROCPRIM_400000_NS6detail17trampoline_kernelINS0_14default_configENS1_22reduce_config_selectorIbEEZNS1_11reduce_implILb1ES3_N6hipcub16HIPCUB_304000_NS22TransformInputIteratorIbN2at6native12_GLOBAL__N_19NonZeroOpIaEEPKalEEPiiNS8_6detail34convert_binary_result_type_wrapperINS8_3SumESH_iEEEE10hipError_tPvRmT1_T2_T3_mT4_P12ihipStream_tbEUlT_E0_NS1_11comp_targetILNS1_3genE8ELNS1_11target_archE1030ELNS1_3gpuE2ELNS1_3repE0EEENS1_30default_config_static_selectorELNS0_4arch9wavefront6targetE0EEEvSQ_.private_seg_size, 0
	.set _ZN7rocprim17ROCPRIM_400000_NS6detail17trampoline_kernelINS0_14default_configENS1_22reduce_config_selectorIbEEZNS1_11reduce_implILb1ES3_N6hipcub16HIPCUB_304000_NS22TransformInputIteratorIbN2at6native12_GLOBAL__N_19NonZeroOpIaEEPKalEEPiiNS8_6detail34convert_binary_result_type_wrapperINS8_3SumESH_iEEEE10hipError_tPvRmT1_T2_T3_mT4_P12ihipStream_tbEUlT_E0_NS1_11comp_targetILNS1_3genE8ELNS1_11target_archE1030ELNS1_3gpuE2ELNS1_3repE0EEENS1_30default_config_static_selectorELNS0_4arch9wavefront6targetE0EEEvSQ_.uses_vcc, 0
	.set _ZN7rocprim17ROCPRIM_400000_NS6detail17trampoline_kernelINS0_14default_configENS1_22reduce_config_selectorIbEEZNS1_11reduce_implILb1ES3_N6hipcub16HIPCUB_304000_NS22TransformInputIteratorIbN2at6native12_GLOBAL__N_19NonZeroOpIaEEPKalEEPiiNS8_6detail34convert_binary_result_type_wrapperINS8_3SumESH_iEEEE10hipError_tPvRmT1_T2_T3_mT4_P12ihipStream_tbEUlT_E0_NS1_11comp_targetILNS1_3genE8ELNS1_11target_archE1030ELNS1_3gpuE2ELNS1_3repE0EEENS1_30default_config_static_selectorELNS0_4arch9wavefront6targetE0EEEvSQ_.uses_flat_scratch, 0
	.set _ZN7rocprim17ROCPRIM_400000_NS6detail17trampoline_kernelINS0_14default_configENS1_22reduce_config_selectorIbEEZNS1_11reduce_implILb1ES3_N6hipcub16HIPCUB_304000_NS22TransformInputIteratorIbN2at6native12_GLOBAL__N_19NonZeroOpIaEEPKalEEPiiNS8_6detail34convert_binary_result_type_wrapperINS8_3SumESH_iEEEE10hipError_tPvRmT1_T2_T3_mT4_P12ihipStream_tbEUlT_E0_NS1_11comp_targetILNS1_3genE8ELNS1_11target_archE1030ELNS1_3gpuE2ELNS1_3repE0EEENS1_30default_config_static_selectorELNS0_4arch9wavefront6targetE0EEEvSQ_.has_dyn_sized_stack, 0
	.set _ZN7rocprim17ROCPRIM_400000_NS6detail17trampoline_kernelINS0_14default_configENS1_22reduce_config_selectorIbEEZNS1_11reduce_implILb1ES3_N6hipcub16HIPCUB_304000_NS22TransformInputIteratorIbN2at6native12_GLOBAL__N_19NonZeroOpIaEEPKalEEPiiNS8_6detail34convert_binary_result_type_wrapperINS8_3SumESH_iEEEE10hipError_tPvRmT1_T2_T3_mT4_P12ihipStream_tbEUlT_E0_NS1_11comp_targetILNS1_3genE8ELNS1_11target_archE1030ELNS1_3gpuE2ELNS1_3repE0EEENS1_30default_config_static_selectorELNS0_4arch9wavefront6targetE0EEEvSQ_.has_recursion, 0
	.set _ZN7rocprim17ROCPRIM_400000_NS6detail17trampoline_kernelINS0_14default_configENS1_22reduce_config_selectorIbEEZNS1_11reduce_implILb1ES3_N6hipcub16HIPCUB_304000_NS22TransformInputIteratorIbN2at6native12_GLOBAL__N_19NonZeroOpIaEEPKalEEPiiNS8_6detail34convert_binary_result_type_wrapperINS8_3SumESH_iEEEE10hipError_tPvRmT1_T2_T3_mT4_P12ihipStream_tbEUlT_E0_NS1_11comp_targetILNS1_3genE8ELNS1_11target_archE1030ELNS1_3gpuE2ELNS1_3repE0EEENS1_30default_config_static_selectorELNS0_4arch9wavefront6targetE0EEEvSQ_.has_indirect_call, 0
	.section	.AMDGPU.csdata,"",@progbits
; Kernel info:
; codeLenInByte = 0
; TotalNumSgprs: 0
; NumVgprs: 0
; ScratchSize: 0
; MemoryBound: 0
; FloatMode: 240
; IeeeMode: 1
; LDSByteSize: 0 bytes/workgroup (compile time only)
; SGPRBlocks: 0
; VGPRBlocks: 0
; NumSGPRsForWavesPerEU: 1
; NumVGPRsForWavesPerEU: 1
; Occupancy: 16
; WaveLimiterHint : 0
; COMPUTE_PGM_RSRC2:SCRATCH_EN: 0
; COMPUTE_PGM_RSRC2:USER_SGPR: 2
; COMPUTE_PGM_RSRC2:TRAP_HANDLER: 0
; COMPUTE_PGM_RSRC2:TGID_X_EN: 1
; COMPUTE_PGM_RSRC2:TGID_Y_EN: 0
; COMPUTE_PGM_RSRC2:TGID_Z_EN: 0
; COMPUTE_PGM_RSRC2:TIDIG_COMP_CNT: 0
	.section	.text._ZN7rocprim17ROCPRIM_400000_NS6detail17trampoline_kernelINS0_14default_configENS1_22reduce_config_selectorIbEEZNS1_11reduce_implILb1ES3_N6hipcub16HIPCUB_304000_NS22TransformInputIteratorIbN2at6native12_GLOBAL__N_19NonZeroOpIaEEPKalEEPiiNS8_6detail34convert_binary_result_type_wrapperINS8_3SumESH_iEEEE10hipError_tPvRmT1_T2_T3_mT4_P12ihipStream_tbEUlT_E1_NS1_11comp_targetILNS1_3genE0ELNS1_11target_archE4294967295ELNS1_3gpuE0ELNS1_3repE0EEENS1_30default_config_static_selectorELNS0_4arch9wavefront6targetE0EEEvSQ_,"axG",@progbits,_ZN7rocprim17ROCPRIM_400000_NS6detail17trampoline_kernelINS0_14default_configENS1_22reduce_config_selectorIbEEZNS1_11reduce_implILb1ES3_N6hipcub16HIPCUB_304000_NS22TransformInputIteratorIbN2at6native12_GLOBAL__N_19NonZeroOpIaEEPKalEEPiiNS8_6detail34convert_binary_result_type_wrapperINS8_3SumESH_iEEEE10hipError_tPvRmT1_T2_T3_mT4_P12ihipStream_tbEUlT_E1_NS1_11comp_targetILNS1_3genE0ELNS1_11target_archE4294967295ELNS1_3gpuE0ELNS1_3repE0EEENS1_30default_config_static_selectorELNS0_4arch9wavefront6targetE0EEEvSQ_,comdat
	.globl	_ZN7rocprim17ROCPRIM_400000_NS6detail17trampoline_kernelINS0_14default_configENS1_22reduce_config_selectorIbEEZNS1_11reduce_implILb1ES3_N6hipcub16HIPCUB_304000_NS22TransformInputIteratorIbN2at6native12_GLOBAL__N_19NonZeroOpIaEEPKalEEPiiNS8_6detail34convert_binary_result_type_wrapperINS8_3SumESH_iEEEE10hipError_tPvRmT1_T2_T3_mT4_P12ihipStream_tbEUlT_E1_NS1_11comp_targetILNS1_3genE0ELNS1_11target_archE4294967295ELNS1_3gpuE0ELNS1_3repE0EEENS1_30default_config_static_selectorELNS0_4arch9wavefront6targetE0EEEvSQ_ ; -- Begin function _ZN7rocprim17ROCPRIM_400000_NS6detail17trampoline_kernelINS0_14default_configENS1_22reduce_config_selectorIbEEZNS1_11reduce_implILb1ES3_N6hipcub16HIPCUB_304000_NS22TransformInputIteratorIbN2at6native12_GLOBAL__N_19NonZeroOpIaEEPKalEEPiiNS8_6detail34convert_binary_result_type_wrapperINS8_3SumESH_iEEEE10hipError_tPvRmT1_T2_T3_mT4_P12ihipStream_tbEUlT_E1_NS1_11comp_targetILNS1_3genE0ELNS1_11target_archE4294967295ELNS1_3gpuE0ELNS1_3repE0EEENS1_30default_config_static_selectorELNS0_4arch9wavefront6targetE0EEEvSQ_
	.p2align	8
	.type	_ZN7rocprim17ROCPRIM_400000_NS6detail17trampoline_kernelINS0_14default_configENS1_22reduce_config_selectorIbEEZNS1_11reduce_implILb1ES3_N6hipcub16HIPCUB_304000_NS22TransformInputIteratorIbN2at6native12_GLOBAL__N_19NonZeroOpIaEEPKalEEPiiNS8_6detail34convert_binary_result_type_wrapperINS8_3SumESH_iEEEE10hipError_tPvRmT1_T2_T3_mT4_P12ihipStream_tbEUlT_E1_NS1_11comp_targetILNS1_3genE0ELNS1_11target_archE4294967295ELNS1_3gpuE0ELNS1_3repE0EEENS1_30default_config_static_selectorELNS0_4arch9wavefront6targetE0EEEvSQ_,@function
_ZN7rocprim17ROCPRIM_400000_NS6detail17trampoline_kernelINS0_14default_configENS1_22reduce_config_selectorIbEEZNS1_11reduce_implILb1ES3_N6hipcub16HIPCUB_304000_NS22TransformInputIteratorIbN2at6native12_GLOBAL__N_19NonZeroOpIaEEPKalEEPiiNS8_6detail34convert_binary_result_type_wrapperINS8_3SumESH_iEEEE10hipError_tPvRmT1_T2_T3_mT4_P12ihipStream_tbEUlT_E1_NS1_11comp_targetILNS1_3genE0ELNS1_11target_archE4294967295ELNS1_3gpuE0ELNS1_3repE0EEENS1_30default_config_static_selectorELNS0_4arch9wavefront6targetE0EEEvSQ_: ; @_ZN7rocprim17ROCPRIM_400000_NS6detail17trampoline_kernelINS0_14default_configENS1_22reduce_config_selectorIbEEZNS1_11reduce_implILb1ES3_N6hipcub16HIPCUB_304000_NS22TransformInputIteratorIbN2at6native12_GLOBAL__N_19NonZeroOpIaEEPKalEEPiiNS8_6detail34convert_binary_result_type_wrapperINS8_3SumESH_iEEEE10hipError_tPvRmT1_T2_T3_mT4_P12ihipStream_tbEUlT_E1_NS1_11comp_targetILNS1_3genE0ELNS1_11target_archE4294967295ELNS1_3gpuE0ELNS1_3repE0EEENS1_30default_config_static_selectorELNS0_4arch9wavefront6targetE0EEEvSQ_
; %bb.0:
	.section	.rodata,"a",@progbits
	.p2align	6, 0x0
	.amdhsa_kernel _ZN7rocprim17ROCPRIM_400000_NS6detail17trampoline_kernelINS0_14default_configENS1_22reduce_config_selectorIbEEZNS1_11reduce_implILb1ES3_N6hipcub16HIPCUB_304000_NS22TransformInputIteratorIbN2at6native12_GLOBAL__N_19NonZeroOpIaEEPKalEEPiiNS8_6detail34convert_binary_result_type_wrapperINS8_3SumESH_iEEEE10hipError_tPvRmT1_T2_T3_mT4_P12ihipStream_tbEUlT_E1_NS1_11comp_targetILNS1_3genE0ELNS1_11target_archE4294967295ELNS1_3gpuE0ELNS1_3repE0EEENS1_30default_config_static_selectorELNS0_4arch9wavefront6targetE0EEEvSQ_
		.amdhsa_group_segment_fixed_size 0
		.amdhsa_private_segment_fixed_size 0
		.amdhsa_kernarg_size 48
		.amdhsa_user_sgpr_count 2
		.amdhsa_user_sgpr_dispatch_ptr 0
		.amdhsa_user_sgpr_queue_ptr 0
		.amdhsa_user_sgpr_kernarg_segment_ptr 1
		.amdhsa_user_sgpr_dispatch_id 0
		.amdhsa_user_sgpr_private_segment_size 0
		.amdhsa_wavefront_size32 1
		.amdhsa_uses_dynamic_stack 0
		.amdhsa_enable_private_segment 0
		.amdhsa_system_sgpr_workgroup_id_x 1
		.amdhsa_system_sgpr_workgroup_id_y 0
		.amdhsa_system_sgpr_workgroup_id_z 0
		.amdhsa_system_sgpr_workgroup_info 0
		.amdhsa_system_vgpr_workitem_id 0
		.amdhsa_next_free_vgpr 1
		.amdhsa_next_free_sgpr 1
		.amdhsa_reserve_vcc 0
		.amdhsa_float_round_mode_32 0
		.amdhsa_float_round_mode_16_64 0
		.amdhsa_float_denorm_mode_32 3
		.amdhsa_float_denorm_mode_16_64 3
		.amdhsa_fp16_overflow 0
		.amdhsa_workgroup_processor_mode 1
		.amdhsa_memory_ordered 1
		.amdhsa_forward_progress 1
		.amdhsa_inst_pref_size 0
		.amdhsa_round_robin_scheduling 0
		.amdhsa_exception_fp_ieee_invalid_op 0
		.amdhsa_exception_fp_denorm_src 0
		.amdhsa_exception_fp_ieee_div_zero 0
		.amdhsa_exception_fp_ieee_overflow 0
		.amdhsa_exception_fp_ieee_underflow 0
		.amdhsa_exception_fp_ieee_inexact 0
		.amdhsa_exception_int_div_zero 0
	.end_amdhsa_kernel
	.section	.text._ZN7rocprim17ROCPRIM_400000_NS6detail17trampoline_kernelINS0_14default_configENS1_22reduce_config_selectorIbEEZNS1_11reduce_implILb1ES3_N6hipcub16HIPCUB_304000_NS22TransformInputIteratorIbN2at6native12_GLOBAL__N_19NonZeroOpIaEEPKalEEPiiNS8_6detail34convert_binary_result_type_wrapperINS8_3SumESH_iEEEE10hipError_tPvRmT1_T2_T3_mT4_P12ihipStream_tbEUlT_E1_NS1_11comp_targetILNS1_3genE0ELNS1_11target_archE4294967295ELNS1_3gpuE0ELNS1_3repE0EEENS1_30default_config_static_selectorELNS0_4arch9wavefront6targetE0EEEvSQ_,"axG",@progbits,_ZN7rocprim17ROCPRIM_400000_NS6detail17trampoline_kernelINS0_14default_configENS1_22reduce_config_selectorIbEEZNS1_11reduce_implILb1ES3_N6hipcub16HIPCUB_304000_NS22TransformInputIteratorIbN2at6native12_GLOBAL__N_19NonZeroOpIaEEPKalEEPiiNS8_6detail34convert_binary_result_type_wrapperINS8_3SumESH_iEEEE10hipError_tPvRmT1_T2_T3_mT4_P12ihipStream_tbEUlT_E1_NS1_11comp_targetILNS1_3genE0ELNS1_11target_archE4294967295ELNS1_3gpuE0ELNS1_3repE0EEENS1_30default_config_static_selectorELNS0_4arch9wavefront6targetE0EEEvSQ_,comdat
.Lfunc_end109:
	.size	_ZN7rocprim17ROCPRIM_400000_NS6detail17trampoline_kernelINS0_14default_configENS1_22reduce_config_selectorIbEEZNS1_11reduce_implILb1ES3_N6hipcub16HIPCUB_304000_NS22TransformInputIteratorIbN2at6native12_GLOBAL__N_19NonZeroOpIaEEPKalEEPiiNS8_6detail34convert_binary_result_type_wrapperINS8_3SumESH_iEEEE10hipError_tPvRmT1_T2_T3_mT4_P12ihipStream_tbEUlT_E1_NS1_11comp_targetILNS1_3genE0ELNS1_11target_archE4294967295ELNS1_3gpuE0ELNS1_3repE0EEENS1_30default_config_static_selectorELNS0_4arch9wavefront6targetE0EEEvSQ_, .Lfunc_end109-_ZN7rocprim17ROCPRIM_400000_NS6detail17trampoline_kernelINS0_14default_configENS1_22reduce_config_selectorIbEEZNS1_11reduce_implILb1ES3_N6hipcub16HIPCUB_304000_NS22TransformInputIteratorIbN2at6native12_GLOBAL__N_19NonZeroOpIaEEPKalEEPiiNS8_6detail34convert_binary_result_type_wrapperINS8_3SumESH_iEEEE10hipError_tPvRmT1_T2_T3_mT4_P12ihipStream_tbEUlT_E1_NS1_11comp_targetILNS1_3genE0ELNS1_11target_archE4294967295ELNS1_3gpuE0ELNS1_3repE0EEENS1_30default_config_static_selectorELNS0_4arch9wavefront6targetE0EEEvSQ_
                                        ; -- End function
	.set _ZN7rocprim17ROCPRIM_400000_NS6detail17trampoline_kernelINS0_14default_configENS1_22reduce_config_selectorIbEEZNS1_11reduce_implILb1ES3_N6hipcub16HIPCUB_304000_NS22TransformInputIteratorIbN2at6native12_GLOBAL__N_19NonZeroOpIaEEPKalEEPiiNS8_6detail34convert_binary_result_type_wrapperINS8_3SumESH_iEEEE10hipError_tPvRmT1_T2_T3_mT4_P12ihipStream_tbEUlT_E1_NS1_11comp_targetILNS1_3genE0ELNS1_11target_archE4294967295ELNS1_3gpuE0ELNS1_3repE0EEENS1_30default_config_static_selectorELNS0_4arch9wavefront6targetE0EEEvSQ_.num_vgpr, 0
	.set _ZN7rocprim17ROCPRIM_400000_NS6detail17trampoline_kernelINS0_14default_configENS1_22reduce_config_selectorIbEEZNS1_11reduce_implILb1ES3_N6hipcub16HIPCUB_304000_NS22TransformInputIteratorIbN2at6native12_GLOBAL__N_19NonZeroOpIaEEPKalEEPiiNS8_6detail34convert_binary_result_type_wrapperINS8_3SumESH_iEEEE10hipError_tPvRmT1_T2_T3_mT4_P12ihipStream_tbEUlT_E1_NS1_11comp_targetILNS1_3genE0ELNS1_11target_archE4294967295ELNS1_3gpuE0ELNS1_3repE0EEENS1_30default_config_static_selectorELNS0_4arch9wavefront6targetE0EEEvSQ_.num_agpr, 0
	.set _ZN7rocprim17ROCPRIM_400000_NS6detail17trampoline_kernelINS0_14default_configENS1_22reduce_config_selectorIbEEZNS1_11reduce_implILb1ES3_N6hipcub16HIPCUB_304000_NS22TransformInputIteratorIbN2at6native12_GLOBAL__N_19NonZeroOpIaEEPKalEEPiiNS8_6detail34convert_binary_result_type_wrapperINS8_3SumESH_iEEEE10hipError_tPvRmT1_T2_T3_mT4_P12ihipStream_tbEUlT_E1_NS1_11comp_targetILNS1_3genE0ELNS1_11target_archE4294967295ELNS1_3gpuE0ELNS1_3repE0EEENS1_30default_config_static_selectorELNS0_4arch9wavefront6targetE0EEEvSQ_.numbered_sgpr, 0
	.set _ZN7rocprim17ROCPRIM_400000_NS6detail17trampoline_kernelINS0_14default_configENS1_22reduce_config_selectorIbEEZNS1_11reduce_implILb1ES3_N6hipcub16HIPCUB_304000_NS22TransformInputIteratorIbN2at6native12_GLOBAL__N_19NonZeroOpIaEEPKalEEPiiNS8_6detail34convert_binary_result_type_wrapperINS8_3SumESH_iEEEE10hipError_tPvRmT1_T2_T3_mT4_P12ihipStream_tbEUlT_E1_NS1_11comp_targetILNS1_3genE0ELNS1_11target_archE4294967295ELNS1_3gpuE0ELNS1_3repE0EEENS1_30default_config_static_selectorELNS0_4arch9wavefront6targetE0EEEvSQ_.num_named_barrier, 0
	.set _ZN7rocprim17ROCPRIM_400000_NS6detail17trampoline_kernelINS0_14default_configENS1_22reduce_config_selectorIbEEZNS1_11reduce_implILb1ES3_N6hipcub16HIPCUB_304000_NS22TransformInputIteratorIbN2at6native12_GLOBAL__N_19NonZeroOpIaEEPKalEEPiiNS8_6detail34convert_binary_result_type_wrapperINS8_3SumESH_iEEEE10hipError_tPvRmT1_T2_T3_mT4_P12ihipStream_tbEUlT_E1_NS1_11comp_targetILNS1_3genE0ELNS1_11target_archE4294967295ELNS1_3gpuE0ELNS1_3repE0EEENS1_30default_config_static_selectorELNS0_4arch9wavefront6targetE0EEEvSQ_.private_seg_size, 0
	.set _ZN7rocprim17ROCPRIM_400000_NS6detail17trampoline_kernelINS0_14default_configENS1_22reduce_config_selectorIbEEZNS1_11reduce_implILb1ES3_N6hipcub16HIPCUB_304000_NS22TransformInputIteratorIbN2at6native12_GLOBAL__N_19NonZeroOpIaEEPKalEEPiiNS8_6detail34convert_binary_result_type_wrapperINS8_3SumESH_iEEEE10hipError_tPvRmT1_T2_T3_mT4_P12ihipStream_tbEUlT_E1_NS1_11comp_targetILNS1_3genE0ELNS1_11target_archE4294967295ELNS1_3gpuE0ELNS1_3repE0EEENS1_30default_config_static_selectorELNS0_4arch9wavefront6targetE0EEEvSQ_.uses_vcc, 0
	.set _ZN7rocprim17ROCPRIM_400000_NS6detail17trampoline_kernelINS0_14default_configENS1_22reduce_config_selectorIbEEZNS1_11reduce_implILb1ES3_N6hipcub16HIPCUB_304000_NS22TransformInputIteratorIbN2at6native12_GLOBAL__N_19NonZeroOpIaEEPKalEEPiiNS8_6detail34convert_binary_result_type_wrapperINS8_3SumESH_iEEEE10hipError_tPvRmT1_T2_T3_mT4_P12ihipStream_tbEUlT_E1_NS1_11comp_targetILNS1_3genE0ELNS1_11target_archE4294967295ELNS1_3gpuE0ELNS1_3repE0EEENS1_30default_config_static_selectorELNS0_4arch9wavefront6targetE0EEEvSQ_.uses_flat_scratch, 0
	.set _ZN7rocprim17ROCPRIM_400000_NS6detail17trampoline_kernelINS0_14default_configENS1_22reduce_config_selectorIbEEZNS1_11reduce_implILb1ES3_N6hipcub16HIPCUB_304000_NS22TransformInputIteratorIbN2at6native12_GLOBAL__N_19NonZeroOpIaEEPKalEEPiiNS8_6detail34convert_binary_result_type_wrapperINS8_3SumESH_iEEEE10hipError_tPvRmT1_T2_T3_mT4_P12ihipStream_tbEUlT_E1_NS1_11comp_targetILNS1_3genE0ELNS1_11target_archE4294967295ELNS1_3gpuE0ELNS1_3repE0EEENS1_30default_config_static_selectorELNS0_4arch9wavefront6targetE0EEEvSQ_.has_dyn_sized_stack, 0
	.set _ZN7rocprim17ROCPRIM_400000_NS6detail17trampoline_kernelINS0_14default_configENS1_22reduce_config_selectorIbEEZNS1_11reduce_implILb1ES3_N6hipcub16HIPCUB_304000_NS22TransformInputIteratorIbN2at6native12_GLOBAL__N_19NonZeroOpIaEEPKalEEPiiNS8_6detail34convert_binary_result_type_wrapperINS8_3SumESH_iEEEE10hipError_tPvRmT1_T2_T3_mT4_P12ihipStream_tbEUlT_E1_NS1_11comp_targetILNS1_3genE0ELNS1_11target_archE4294967295ELNS1_3gpuE0ELNS1_3repE0EEENS1_30default_config_static_selectorELNS0_4arch9wavefront6targetE0EEEvSQ_.has_recursion, 0
	.set _ZN7rocprim17ROCPRIM_400000_NS6detail17trampoline_kernelINS0_14default_configENS1_22reduce_config_selectorIbEEZNS1_11reduce_implILb1ES3_N6hipcub16HIPCUB_304000_NS22TransformInputIteratorIbN2at6native12_GLOBAL__N_19NonZeroOpIaEEPKalEEPiiNS8_6detail34convert_binary_result_type_wrapperINS8_3SumESH_iEEEE10hipError_tPvRmT1_T2_T3_mT4_P12ihipStream_tbEUlT_E1_NS1_11comp_targetILNS1_3genE0ELNS1_11target_archE4294967295ELNS1_3gpuE0ELNS1_3repE0EEENS1_30default_config_static_selectorELNS0_4arch9wavefront6targetE0EEEvSQ_.has_indirect_call, 0
	.section	.AMDGPU.csdata,"",@progbits
; Kernel info:
; codeLenInByte = 0
; TotalNumSgprs: 0
; NumVgprs: 0
; ScratchSize: 0
; MemoryBound: 0
; FloatMode: 240
; IeeeMode: 1
; LDSByteSize: 0 bytes/workgroup (compile time only)
; SGPRBlocks: 0
; VGPRBlocks: 0
; NumSGPRsForWavesPerEU: 1
; NumVGPRsForWavesPerEU: 1
; Occupancy: 16
; WaveLimiterHint : 0
; COMPUTE_PGM_RSRC2:SCRATCH_EN: 0
; COMPUTE_PGM_RSRC2:USER_SGPR: 2
; COMPUTE_PGM_RSRC2:TRAP_HANDLER: 0
; COMPUTE_PGM_RSRC2:TGID_X_EN: 1
; COMPUTE_PGM_RSRC2:TGID_Y_EN: 0
; COMPUTE_PGM_RSRC2:TGID_Z_EN: 0
; COMPUTE_PGM_RSRC2:TIDIG_COMP_CNT: 0
	.section	.text._ZN7rocprim17ROCPRIM_400000_NS6detail17trampoline_kernelINS0_14default_configENS1_22reduce_config_selectorIbEEZNS1_11reduce_implILb1ES3_N6hipcub16HIPCUB_304000_NS22TransformInputIteratorIbN2at6native12_GLOBAL__N_19NonZeroOpIaEEPKalEEPiiNS8_6detail34convert_binary_result_type_wrapperINS8_3SumESH_iEEEE10hipError_tPvRmT1_T2_T3_mT4_P12ihipStream_tbEUlT_E1_NS1_11comp_targetILNS1_3genE5ELNS1_11target_archE942ELNS1_3gpuE9ELNS1_3repE0EEENS1_30default_config_static_selectorELNS0_4arch9wavefront6targetE0EEEvSQ_,"axG",@progbits,_ZN7rocprim17ROCPRIM_400000_NS6detail17trampoline_kernelINS0_14default_configENS1_22reduce_config_selectorIbEEZNS1_11reduce_implILb1ES3_N6hipcub16HIPCUB_304000_NS22TransformInputIteratorIbN2at6native12_GLOBAL__N_19NonZeroOpIaEEPKalEEPiiNS8_6detail34convert_binary_result_type_wrapperINS8_3SumESH_iEEEE10hipError_tPvRmT1_T2_T3_mT4_P12ihipStream_tbEUlT_E1_NS1_11comp_targetILNS1_3genE5ELNS1_11target_archE942ELNS1_3gpuE9ELNS1_3repE0EEENS1_30default_config_static_selectorELNS0_4arch9wavefront6targetE0EEEvSQ_,comdat
	.globl	_ZN7rocprim17ROCPRIM_400000_NS6detail17trampoline_kernelINS0_14default_configENS1_22reduce_config_selectorIbEEZNS1_11reduce_implILb1ES3_N6hipcub16HIPCUB_304000_NS22TransformInputIteratorIbN2at6native12_GLOBAL__N_19NonZeroOpIaEEPKalEEPiiNS8_6detail34convert_binary_result_type_wrapperINS8_3SumESH_iEEEE10hipError_tPvRmT1_T2_T3_mT4_P12ihipStream_tbEUlT_E1_NS1_11comp_targetILNS1_3genE5ELNS1_11target_archE942ELNS1_3gpuE9ELNS1_3repE0EEENS1_30default_config_static_selectorELNS0_4arch9wavefront6targetE0EEEvSQ_ ; -- Begin function _ZN7rocprim17ROCPRIM_400000_NS6detail17trampoline_kernelINS0_14default_configENS1_22reduce_config_selectorIbEEZNS1_11reduce_implILb1ES3_N6hipcub16HIPCUB_304000_NS22TransformInputIteratorIbN2at6native12_GLOBAL__N_19NonZeroOpIaEEPKalEEPiiNS8_6detail34convert_binary_result_type_wrapperINS8_3SumESH_iEEEE10hipError_tPvRmT1_T2_T3_mT4_P12ihipStream_tbEUlT_E1_NS1_11comp_targetILNS1_3genE5ELNS1_11target_archE942ELNS1_3gpuE9ELNS1_3repE0EEENS1_30default_config_static_selectorELNS0_4arch9wavefront6targetE0EEEvSQ_
	.p2align	8
	.type	_ZN7rocprim17ROCPRIM_400000_NS6detail17trampoline_kernelINS0_14default_configENS1_22reduce_config_selectorIbEEZNS1_11reduce_implILb1ES3_N6hipcub16HIPCUB_304000_NS22TransformInputIteratorIbN2at6native12_GLOBAL__N_19NonZeroOpIaEEPKalEEPiiNS8_6detail34convert_binary_result_type_wrapperINS8_3SumESH_iEEEE10hipError_tPvRmT1_T2_T3_mT4_P12ihipStream_tbEUlT_E1_NS1_11comp_targetILNS1_3genE5ELNS1_11target_archE942ELNS1_3gpuE9ELNS1_3repE0EEENS1_30default_config_static_selectorELNS0_4arch9wavefront6targetE0EEEvSQ_,@function
_ZN7rocprim17ROCPRIM_400000_NS6detail17trampoline_kernelINS0_14default_configENS1_22reduce_config_selectorIbEEZNS1_11reduce_implILb1ES3_N6hipcub16HIPCUB_304000_NS22TransformInputIteratorIbN2at6native12_GLOBAL__N_19NonZeroOpIaEEPKalEEPiiNS8_6detail34convert_binary_result_type_wrapperINS8_3SumESH_iEEEE10hipError_tPvRmT1_T2_T3_mT4_P12ihipStream_tbEUlT_E1_NS1_11comp_targetILNS1_3genE5ELNS1_11target_archE942ELNS1_3gpuE9ELNS1_3repE0EEENS1_30default_config_static_selectorELNS0_4arch9wavefront6targetE0EEEvSQ_: ; @_ZN7rocprim17ROCPRIM_400000_NS6detail17trampoline_kernelINS0_14default_configENS1_22reduce_config_selectorIbEEZNS1_11reduce_implILb1ES3_N6hipcub16HIPCUB_304000_NS22TransformInputIteratorIbN2at6native12_GLOBAL__N_19NonZeroOpIaEEPKalEEPiiNS8_6detail34convert_binary_result_type_wrapperINS8_3SumESH_iEEEE10hipError_tPvRmT1_T2_T3_mT4_P12ihipStream_tbEUlT_E1_NS1_11comp_targetILNS1_3genE5ELNS1_11target_archE942ELNS1_3gpuE9ELNS1_3repE0EEENS1_30default_config_static_selectorELNS0_4arch9wavefront6targetE0EEEvSQ_
; %bb.0:
	.section	.rodata,"a",@progbits
	.p2align	6, 0x0
	.amdhsa_kernel _ZN7rocprim17ROCPRIM_400000_NS6detail17trampoline_kernelINS0_14default_configENS1_22reduce_config_selectorIbEEZNS1_11reduce_implILb1ES3_N6hipcub16HIPCUB_304000_NS22TransformInputIteratorIbN2at6native12_GLOBAL__N_19NonZeroOpIaEEPKalEEPiiNS8_6detail34convert_binary_result_type_wrapperINS8_3SumESH_iEEEE10hipError_tPvRmT1_T2_T3_mT4_P12ihipStream_tbEUlT_E1_NS1_11comp_targetILNS1_3genE5ELNS1_11target_archE942ELNS1_3gpuE9ELNS1_3repE0EEENS1_30default_config_static_selectorELNS0_4arch9wavefront6targetE0EEEvSQ_
		.amdhsa_group_segment_fixed_size 0
		.amdhsa_private_segment_fixed_size 0
		.amdhsa_kernarg_size 48
		.amdhsa_user_sgpr_count 2
		.amdhsa_user_sgpr_dispatch_ptr 0
		.amdhsa_user_sgpr_queue_ptr 0
		.amdhsa_user_sgpr_kernarg_segment_ptr 1
		.amdhsa_user_sgpr_dispatch_id 0
		.amdhsa_user_sgpr_private_segment_size 0
		.amdhsa_wavefront_size32 1
		.amdhsa_uses_dynamic_stack 0
		.amdhsa_enable_private_segment 0
		.amdhsa_system_sgpr_workgroup_id_x 1
		.amdhsa_system_sgpr_workgroup_id_y 0
		.amdhsa_system_sgpr_workgroup_id_z 0
		.amdhsa_system_sgpr_workgroup_info 0
		.amdhsa_system_vgpr_workitem_id 0
		.amdhsa_next_free_vgpr 1
		.amdhsa_next_free_sgpr 1
		.amdhsa_reserve_vcc 0
		.amdhsa_float_round_mode_32 0
		.amdhsa_float_round_mode_16_64 0
		.amdhsa_float_denorm_mode_32 3
		.amdhsa_float_denorm_mode_16_64 3
		.amdhsa_fp16_overflow 0
		.amdhsa_workgroup_processor_mode 1
		.amdhsa_memory_ordered 1
		.amdhsa_forward_progress 1
		.amdhsa_inst_pref_size 0
		.amdhsa_round_robin_scheduling 0
		.amdhsa_exception_fp_ieee_invalid_op 0
		.amdhsa_exception_fp_denorm_src 0
		.amdhsa_exception_fp_ieee_div_zero 0
		.amdhsa_exception_fp_ieee_overflow 0
		.amdhsa_exception_fp_ieee_underflow 0
		.amdhsa_exception_fp_ieee_inexact 0
		.amdhsa_exception_int_div_zero 0
	.end_amdhsa_kernel
	.section	.text._ZN7rocprim17ROCPRIM_400000_NS6detail17trampoline_kernelINS0_14default_configENS1_22reduce_config_selectorIbEEZNS1_11reduce_implILb1ES3_N6hipcub16HIPCUB_304000_NS22TransformInputIteratorIbN2at6native12_GLOBAL__N_19NonZeroOpIaEEPKalEEPiiNS8_6detail34convert_binary_result_type_wrapperINS8_3SumESH_iEEEE10hipError_tPvRmT1_T2_T3_mT4_P12ihipStream_tbEUlT_E1_NS1_11comp_targetILNS1_3genE5ELNS1_11target_archE942ELNS1_3gpuE9ELNS1_3repE0EEENS1_30default_config_static_selectorELNS0_4arch9wavefront6targetE0EEEvSQ_,"axG",@progbits,_ZN7rocprim17ROCPRIM_400000_NS6detail17trampoline_kernelINS0_14default_configENS1_22reduce_config_selectorIbEEZNS1_11reduce_implILb1ES3_N6hipcub16HIPCUB_304000_NS22TransformInputIteratorIbN2at6native12_GLOBAL__N_19NonZeroOpIaEEPKalEEPiiNS8_6detail34convert_binary_result_type_wrapperINS8_3SumESH_iEEEE10hipError_tPvRmT1_T2_T3_mT4_P12ihipStream_tbEUlT_E1_NS1_11comp_targetILNS1_3genE5ELNS1_11target_archE942ELNS1_3gpuE9ELNS1_3repE0EEENS1_30default_config_static_selectorELNS0_4arch9wavefront6targetE0EEEvSQ_,comdat
.Lfunc_end110:
	.size	_ZN7rocprim17ROCPRIM_400000_NS6detail17trampoline_kernelINS0_14default_configENS1_22reduce_config_selectorIbEEZNS1_11reduce_implILb1ES3_N6hipcub16HIPCUB_304000_NS22TransformInputIteratorIbN2at6native12_GLOBAL__N_19NonZeroOpIaEEPKalEEPiiNS8_6detail34convert_binary_result_type_wrapperINS8_3SumESH_iEEEE10hipError_tPvRmT1_T2_T3_mT4_P12ihipStream_tbEUlT_E1_NS1_11comp_targetILNS1_3genE5ELNS1_11target_archE942ELNS1_3gpuE9ELNS1_3repE0EEENS1_30default_config_static_selectorELNS0_4arch9wavefront6targetE0EEEvSQ_, .Lfunc_end110-_ZN7rocprim17ROCPRIM_400000_NS6detail17trampoline_kernelINS0_14default_configENS1_22reduce_config_selectorIbEEZNS1_11reduce_implILb1ES3_N6hipcub16HIPCUB_304000_NS22TransformInputIteratorIbN2at6native12_GLOBAL__N_19NonZeroOpIaEEPKalEEPiiNS8_6detail34convert_binary_result_type_wrapperINS8_3SumESH_iEEEE10hipError_tPvRmT1_T2_T3_mT4_P12ihipStream_tbEUlT_E1_NS1_11comp_targetILNS1_3genE5ELNS1_11target_archE942ELNS1_3gpuE9ELNS1_3repE0EEENS1_30default_config_static_selectorELNS0_4arch9wavefront6targetE0EEEvSQ_
                                        ; -- End function
	.set _ZN7rocprim17ROCPRIM_400000_NS6detail17trampoline_kernelINS0_14default_configENS1_22reduce_config_selectorIbEEZNS1_11reduce_implILb1ES3_N6hipcub16HIPCUB_304000_NS22TransformInputIteratorIbN2at6native12_GLOBAL__N_19NonZeroOpIaEEPKalEEPiiNS8_6detail34convert_binary_result_type_wrapperINS8_3SumESH_iEEEE10hipError_tPvRmT1_T2_T3_mT4_P12ihipStream_tbEUlT_E1_NS1_11comp_targetILNS1_3genE5ELNS1_11target_archE942ELNS1_3gpuE9ELNS1_3repE0EEENS1_30default_config_static_selectorELNS0_4arch9wavefront6targetE0EEEvSQ_.num_vgpr, 0
	.set _ZN7rocprim17ROCPRIM_400000_NS6detail17trampoline_kernelINS0_14default_configENS1_22reduce_config_selectorIbEEZNS1_11reduce_implILb1ES3_N6hipcub16HIPCUB_304000_NS22TransformInputIteratorIbN2at6native12_GLOBAL__N_19NonZeroOpIaEEPKalEEPiiNS8_6detail34convert_binary_result_type_wrapperINS8_3SumESH_iEEEE10hipError_tPvRmT1_T2_T3_mT4_P12ihipStream_tbEUlT_E1_NS1_11comp_targetILNS1_3genE5ELNS1_11target_archE942ELNS1_3gpuE9ELNS1_3repE0EEENS1_30default_config_static_selectorELNS0_4arch9wavefront6targetE0EEEvSQ_.num_agpr, 0
	.set _ZN7rocprim17ROCPRIM_400000_NS6detail17trampoline_kernelINS0_14default_configENS1_22reduce_config_selectorIbEEZNS1_11reduce_implILb1ES3_N6hipcub16HIPCUB_304000_NS22TransformInputIteratorIbN2at6native12_GLOBAL__N_19NonZeroOpIaEEPKalEEPiiNS8_6detail34convert_binary_result_type_wrapperINS8_3SumESH_iEEEE10hipError_tPvRmT1_T2_T3_mT4_P12ihipStream_tbEUlT_E1_NS1_11comp_targetILNS1_3genE5ELNS1_11target_archE942ELNS1_3gpuE9ELNS1_3repE0EEENS1_30default_config_static_selectorELNS0_4arch9wavefront6targetE0EEEvSQ_.numbered_sgpr, 0
	.set _ZN7rocprim17ROCPRIM_400000_NS6detail17trampoline_kernelINS0_14default_configENS1_22reduce_config_selectorIbEEZNS1_11reduce_implILb1ES3_N6hipcub16HIPCUB_304000_NS22TransformInputIteratorIbN2at6native12_GLOBAL__N_19NonZeroOpIaEEPKalEEPiiNS8_6detail34convert_binary_result_type_wrapperINS8_3SumESH_iEEEE10hipError_tPvRmT1_T2_T3_mT4_P12ihipStream_tbEUlT_E1_NS1_11comp_targetILNS1_3genE5ELNS1_11target_archE942ELNS1_3gpuE9ELNS1_3repE0EEENS1_30default_config_static_selectorELNS0_4arch9wavefront6targetE0EEEvSQ_.num_named_barrier, 0
	.set _ZN7rocprim17ROCPRIM_400000_NS6detail17trampoline_kernelINS0_14default_configENS1_22reduce_config_selectorIbEEZNS1_11reduce_implILb1ES3_N6hipcub16HIPCUB_304000_NS22TransformInputIteratorIbN2at6native12_GLOBAL__N_19NonZeroOpIaEEPKalEEPiiNS8_6detail34convert_binary_result_type_wrapperINS8_3SumESH_iEEEE10hipError_tPvRmT1_T2_T3_mT4_P12ihipStream_tbEUlT_E1_NS1_11comp_targetILNS1_3genE5ELNS1_11target_archE942ELNS1_3gpuE9ELNS1_3repE0EEENS1_30default_config_static_selectorELNS0_4arch9wavefront6targetE0EEEvSQ_.private_seg_size, 0
	.set _ZN7rocprim17ROCPRIM_400000_NS6detail17trampoline_kernelINS0_14default_configENS1_22reduce_config_selectorIbEEZNS1_11reduce_implILb1ES3_N6hipcub16HIPCUB_304000_NS22TransformInputIteratorIbN2at6native12_GLOBAL__N_19NonZeroOpIaEEPKalEEPiiNS8_6detail34convert_binary_result_type_wrapperINS8_3SumESH_iEEEE10hipError_tPvRmT1_T2_T3_mT4_P12ihipStream_tbEUlT_E1_NS1_11comp_targetILNS1_3genE5ELNS1_11target_archE942ELNS1_3gpuE9ELNS1_3repE0EEENS1_30default_config_static_selectorELNS0_4arch9wavefront6targetE0EEEvSQ_.uses_vcc, 0
	.set _ZN7rocprim17ROCPRIM_400000_NS6detail17trampoline_kernelINS0_14default_configENS1_22reduce_config_selectorIbEEZNS1_11reduce_implILb1ES3_N6hipcub16HIPCUB_304000_NS22TransformInputIteratorIbN2at6native12_GLOBAL__N_19NonZeroOpIaEEPKalEEPiiNS8_6detail34convert_binary_result_type_wrapperINS8_3SumESH_iEEEE10hipError_tPvRmT1_T2_T3_mT4_P12ihipStream_tbEUlT_E1_NS1_11comp_targetILNS1_3genE5ELNS1_11target_archE942ELNS1_3gpuE9ELNS1_3repE0EEENS1_30default_config_static_selectorELNS0_4arch9wavefront6targetE0EEEvSQ_.uses_flat_scratch, 0
	.set _ZN7rocprim17ROCPRIM_400000_NS6detail17trampoline_kernelINS0_14default_configENS1_22reduce_config_selectorIbEEZNS1_11reduce_implILb1ES3_N6hipcub16HIPCUB_304000_NS22TransformInputIteratorIbN2at6native12_GLOBAL__N_19NonZeroOpIaEEPKalEEPiiNS8_6detail34convert_binary_result_type_wrapperINS8_3SumESH_iEEEE10hipError_tPvRmT1_T2_T3_mT4_P12ihipStream_tbEUlT_E1_NS1_11comp_targetILNS1_3genE5ELNS1_11target_archE942ELNS1_3gpuE9ELNS1_3repE0EEENS1_30default_config_static_selectorELNS0_4arch9wavefront6targetE0EEEvSQ_.has_dyn_sized_stack, 0
	.set _ZN7rocprim17ROCPRIM_400000_NS6detail17trampoline_kernelINS0_14default_configENS1_22reduce_config_selectorIbEEZNS1_11reduce_implILb1ES3_N6hipcub16HIPCUB_304000_NS22TransformInputIteratorIbN2at6native12_GLOBAL__N_19NonZeroOpIaEEPKalEEPiiNS8_6detail34convert_binary_result_type_wrapperINS8_3SumESH_iEEEE10hipError_tPvRmT1_T2_T3_mT4_P12ihipStream_tbEUlT_E1_NS1_11comp_targetILNS1_3genE5ELNS1_11target_archE942ELNS1_3gpuE9ELNS1_3repE0EEENS1_30default_config_static_selectorELNS0_4arch9wavefront6targetE0EEEvSQ_.has_recursion, 0
	.set _ZN7rocprim17ROCPRIM_400000_NS6detail17trampoline_kernelINS0_14default_configENS1_22reduce_config_selectorIbEEZNS1_11reduce_implILb1ES3_N6hipcub16HIPCUB_304000_NS22TransformInputIteratorIbN2at6native12_GLOBAL__N_19NonZeroOpIaEEPKalEEPiiNS8_6detail34convert_binary_result_type_wrapperINS8_3SumESH_iEEEE10hipError_tPvRmT1_T2_T3_mT4_P12ihipStream_tbEUlT_E1_NS1_11comp_targetILNS1_3genE5ELNS1_11target_archE942ELNS1_3gpuE9ELNS1_3repE0EEENS1_30default_config_static_selectorELNS0_4arch9wavefront6targetE0EEEvSQ_.has_indirect_call, 0
	.section	.AMDGPU.csdata,"",@progbits
; Kernel info:
; codeLenInByte = 0
; TotalNumSgprs: 0
; NumVgprs: 0
; ScratchSize: 0
; MemoryBound: 0
; FloatMode: 240
; IeeeMode: 1
; LDSByteSize: 0 bytes/workgroup (compile time only)
; SGPRBlocks: 0
; VGPRBlocks: 0
; NumSGPRsForWavesPerEU: 1
; NumVGPRsForWavesPerEU: 1
; Occupancy: 16
; WaveLimiterHint : 0
; COMPUTE_PGM_RSRC2:SCRATCH_EN: 0
; COMPUTE_PGM_RSRC2:USER_SGPR: 2
; COMPUTE_PGM_RSRC2:TRAP_HANDLER: 0
; COMPUTE_PGM_RSRC2:TGID_X_EN: 1
; COMPUTE_PGM_RSRC2:TGID_Y_EN: 0
; COMPUTE_PGM_RSRC2:TGID_Z_EN: 0
; COMPUTE_PGM_RSRC2:TIDIG_COMP_CNT: 0
	.section	.text._ZN7rocprim17ROCPRIM_400000_NS6detail17trampoline_kernelINS0_14default_configENS1_22reduce_config_selectorIbEEZNS1_11reduce_implILb1ES3_N6hipcub16HIPCUB_304000_NS22TransformInputIteratorIbN2at6native12_GLOBAL__N_19NonZeroOpIaEEPKalEEPiiNS8_6detail34convert_binary_result_type_wrapperINS8_3SumESH_iEEEE10hipError_tPvRmT1_T2_T3_mT4_P12ihipStream_tbEUlT_E1_NS1_11comp_targetILNS1_3genE4ELNS1_11target_archE910ELNS1_3gpuE8ELNS1_3repE0EEENS1_30default_config_static_selectorELNS0_4arch9wavefront6targetE0EEEvSQ_,"axG",@progbits,_ZN7rocprim17ROCPRIM_400000_NS6detail17trampoline_kernelINS0_14default_configENS1_22reduce_config_selectorIbEEZNS1_11reduce_implILb1ES3_N6hipcub16HIPCUB_304000_NS22TransformInputIteratorIbN2at6native12_GLOBAL__N_19NonZeroOpIaEEPKalEEPiiNS8_6detail34convert_binary_result_type_wrapperINS8_3SumESH_iEEEE10hipError_tPvRmT1_T2_T3_mT4_P12ihipStream_tbEUlT_E1_NS1_11comp_targetILNS1_3genE4ELNS1_11target_archE910ELNS1_3gpuE8ELNS1_3repE0EEENS1_30default_config_static_selectorELNS0_4arch9wavefront6targetE0EEEvSQ_,comdat
	.globl	_ZN7rocprim17ROCPRIM_400000_NS6detail17trampoline_kernelINS0_14default_configENS1_22reduce_config_selectorIbEEZNS1_11reduce_implILb1ES3_N6hipcub16HIPCUB_304000_NS22TransformInputIteratorIbN2at6native12_GLOBAL__N_19NonZeroOpIaEEPKalEEPiiNS8_6detail34convert_binary_result_type_wrapperINS8_3SumESH_iEEEE10hipError_tPvRmT1_T2_T3_mT4_P12ihipStream_tbEUlT_E1_NS1_11comp_targetILNS1_3genE4ELNS1_11target_archE910ELNS1_3gpuE8ELNS1_3repE0EEENS1_30default_config_static_selectorELNS0_4arch9wavefront6targetE0EEEvSQ_ ; -- Begin function _ZN7rocprim17ROCPRIM_400000_NS6detail17trampoline_kernelINS0_14default_configENS1_22reduce_config_selectorIbEEZNS1_11reduce_implILb1ES3_N6hipcub16HIPCUB_304000_NS22TransformInputIteratorIbN2at6native12_GLOBAL__N_19NonZeroOpIaEEPKalEEPiiNS8_6detail34convert_binary_result_type_wrapperINS8_3SumESH_iEEEE10hipError_tPvRmT1_T2_T3_mT4_P12ihipStream_tbEUlT_E1_NS1_11comp_targetILNS1_3genE4ELNS1_11target_archE910ELNS1_3gpuE8ELNS1_3repE0EEENS1_30default_config_static_selectorELNS0_4arch9wavefront6targetE0EEEvSQ_
	.p2align	8
	.type	_ZN7rocprim17ROCPRIM_400000_NS6detail17trampoline_kernelINS0_14default_configENS1_22reduce_config_selectorIbEEZNS1_11reduce_implILb1ES3_N6hipcub16HIPCUB_304000_NS22TransformInputIteratorIbN2at6native12_GLOBAL__N_19NonZeroOpIaEEPKalEEPiiNS8_6detail34convert_binary_result_type_wrapperINS8_3SumESH_iEEEE10hipError_tPvRmT1_T2_T3_mT4_P12ihipStream_tbEUlT_E1_NS1_11comp_targetILNS1_3genE4ELNS1_11target_archE910ELNS1_3gpuE8ELNS1_3repE0EEENS1_30default_config_static_selectorELNS0_4arch9wavefront6targetE0EEEvSQ_,@function
_ZN7rocprim17ROCPRIM_400000_NS6detail17trampoline_kernelINS0_14default_configENS1_22reduce_config_selectorIbEEZNS1_11reduce_implILb1ES3_N6hipcub16HIPCUB_304000_NS22TransformInputIteratorIbN2at6native12_GLOBAL__N_19NonZeroOpIaEEPKalEEPiiNS8_6detail34convert_binary_result_type_wrapperINS8_3SumESH_iEEEE10hipError_tPvRmT1_T2_T3_mT4_P12ihipStream_tbEUlT_E1_NS1_11comp_targetILNS1_3genE4ELNS1_11target_archE910ELNS1_3gpuE8ELNS1_3repE0EEENS1_30default_config_static_selectorELNS0_4arch9wavefront6targetE0EEEvSQ_: ; @_ZN7rocprim17ROCPRIM_400000_NS6detail17trampoline_kernelINS0_14default_configENS1_22reduce_config_selectorIbEEZNS1_11reduce_implILb1ES3_N6hipcub16HIPCUB_304000_NS22TransformInputIteratorIbN2at6native12_GLOBAL__N_19NonZeroOpIaEEPKalEEPiiNS8_6detail34convert_binary_result_type_wrapperINS8_3SumESH_iEEEE10hipError_tPvRmT1_T2_T3_mT4_P12ihipStream_tbEUlT_E1_NS1_11comp_targetILNS1_3genE4ELNS1_11target_archE910ELNS1_3gpuE8ELNS1_3repE0EEENS1_30default_config_static_selectorELNS0_4arch9wavefront6targetE0EEEvSQ_
; %bb.0:
	.section	.rodata,"a",@progbits
	.p2align	6, 0x0
	.amdhsa_kernel _ZN7rocprim17ROCPRIM_400000_NS6detail17trampoline_kernelINS0_14default_configENS1_22reduce_config_selectorIbEEZNS1_11reduce_implILb1ES3_N6hipcub16HIPCUB_304000_NS22TransformInputIteratorIbN2at6native12_GLOBAL__N_19NonZeroOpIaEEPKalEEPiiNS8_6detail34convert_binary_result_type_wrapperINS8_3SumESH_iEEEE10hipError_tPvRmT1_T2_T3_mT4_P12ihipStream_tbEUlT_E1_NS1_11comp_targetILNS1_3genE4ELNS1_11target_archE910ELNS1_3gpuE8ELNS1_3repE0EEENS1_30default_config_static_selectorELNS0_4arch9wavefront6targetE0EEEvSQ_
		.amdhsa_group_segment_fixed_size 0
		.amdhsa_private_segment_fixed_size 0
		.amdhsa_kernarg_size 48
		.amdhsa_user_sgpr_count 2
		.amdhsa_user_sgpr_dispatch_ptr 0
		.amdhsa_user_sgpr_queue_ptr 0
		.amdhsa_user_sgpr_kernarg_segment_ptr 1
		.amdhsa_user_sgpr_dispatch_id 0
		.amdhsa_user_sgpr_private_segment_size 0
		.amdhsa_wavefront_size32 1
		.amdhsa_uses_dynamic_stack 0
		.amdhsa_enable_private_segment 0
		.amdhsa_system_sgpr_workgroup_id_x 1
		.amdhsa_system_sgpr_workgroup_id_y 0
		.amdhsa_system_sgpr_workgroup_id_z 0
		.amdhsa_system_sgpr_workgroup_info 0
		.amdhsa_system_vgpr_workitem_id 0
		.amdhsa_next_free_vgpr 1
		.amdhsa_next_free_sgpr 1
		.amdhsa_reserve_vcc 0
		.amdhsa_float_round_mode_32 0
		.amdhsa_float_round_mode_16_64 0
		.amdhsa_float_denorm_mode_32 3
		.amdhsa_float_denorm_mode_16_64 3
		.amdhsa_fp16_overflow 0
		.amdhsa_workgroup_processor_mode 1
		.amdhsa_memory_ordered 1
		.amdhsa_forward_progress 1
		.amdhsa_inst_pref_size 0
		.amdhsa_round_robin_scheduling 0
		.amdhsa_exception_fp_ieee_invalid_op 0
		.amdhsa_exception_fp_denorm_src 0
		.amdhsa_exception_fp_ieee_div_zero 0
		.amdhsa_exception_fp_ieee_overflow 0
		.amdhsa_exception_fp_ieee_underflow 0
		.amdhsa_exception_fp_ieee_inexact 0
		.amdhsa_exception_int_div_zero 0
	.end_amdhsa_kernel
	.section	.text._ZN7rocprim17ROCPRIM_400000_NS6detail17trampoline_kernelINS0_14default_configENS1_22reduce_config_selectorIbEEZNS1_11reduce_implILb1ES3_N6hipcub16HIPCUB_304000_NS22TransformInputIteratorIbN2at6native12_GLOBAL__N_19NonZeroOpIaEEPKalEEPiiNS8_6detail34convert_binary_result_type_wrapperINS8_3SumESH_iEEEE10hipError_tPvRmT1_T2_T3_mT4_P12ihipStream_tbEUlT_E1_NS1_11comp_targetILNS1_3genE4ELNS1_11target_archE910ELNS1_3gpuE8ELNS1_3repE0EEENS1_30default_config_static_selectorELNS0_4arch9wavefront6targetE0EEEvSQ_,"axG",@progbits,_ZN7rocprim17ROCPRIM_400000_NS6detail17trampoline_kernelINS0_14default_configENS1_22reduce_config_selectorIbEEZNS1_11reduce_implILb1ES3_N6hipcub16HIPCUB_304000_NS22TransformInputIteratorIbN2at6native12_GLOBAL__N_19NonZeroOpIaEEPKalEEPiiNS8_6detail34convert_binary_result_type_wrapperINS8_3SumESH_iEEEE10hipError_tPvRmT1_T2_T3_mT4_P12ihipStream_tbEUlT_E1_NS1_11comp_targetILNS1_3genE4ELNS1_11target_archE910ELNS1_3gpuE8ELNS1_3repE0EEENS1_30default_config_static_selectorELNS0_4arch9wavefront6targetE0EEEvSQ_,comdat
.Lfunc_end111:
	.size	_ZN7rocprim17ROCPRIM_400000_NS6detail17trampoline_kernelINS0_14default_configENS1_22reduce_config_selectorIbEEZNS1_11reduce_implILb1ES3_N6hipcub16HIPCUB_304000_NS22TransformInputIteratorIbN2at6native12_GLOBAL__N_19NonZeroOpIaEEPKalEEPiiNS8_6detail34convert_binary_result_type_wrapperINS8_3SumESH_iEEEE10hipError_tPvRmT1_T2_T3_mT4_P12ihipStream_tbEUlT_E1_NS1_11comp_targetILNS1_3genE4ELNS1_11target_archE910ELNS1_3gpuE8ELNS1_3repE0EEENS1_30default_config_static_selectorELNS0_4arch9wavefront6targetE0EEEvSQ_, .Lfunc_end111-_ZN7rocprim17ROCPRIM_400000_NS6detail17trampoline_kernelINS0_14default_configENS1_22reduce_config_selectorIbEEZNS1_11reduce_implILb1ES3_N6hipcub16HIPCUB_304000_NS22TransformInputIteratorIbN2at6native12_GLOBAL__N_19NonZeroOpIaEEPKalEEPiiNS8_6detail34convert_binary_result_type_wrapperINS8_3SumESH_iEEEE10hipError_tPvRmT1_T2_T3_mT4_P12ihipStream_tbEUlT_E1_NS1_11comp_targetILNS1_3genE4ELNS1_11target_archE910ELNS1_3gpuE8ELNS1_3repE0EEENS1_30default_config_static_selectorELNS0_4arch9wavefront6targetE0EEEvSQ_
                                        ; -- End function
	.set _ZN7rocprim17ROCPRIM_400000_NS6detail17trampoline_kernelINS0_14default_configENS1_22reduce_config_selectorIbEEZNS1_11reduce_implILb1ES3_N6hipcub16HIPCUB_304000_NS22TransformInputIteratorIbN2at6native12_GLOBAL__N_19NonZeroOpIaEEPKalEEPiiNS8_6detail34convert_binary_result_type_wrapperINS8_3SumESH_iEEEE10hipError_tPvRmT1_T2_T3_mT4_P12ihipStream_tbEUlT_E1_NS1_11comp_targetILNS1_3genE4ELNS1_11target_archE910ELNS1_3gpuE8ELNS1_3repE0EEENS1_30default_config_static_selectorELNS0_4arch9wavefront6targetE0EEEvSQ_.num_vgpr, 0
	.set _ZN7rocprim17ROCPRIM_400000_NS6detail17trampoline_kernelINS0_14default_configENS1_22reduce_config_selectorIbEEZNS1_11reduce_implILb1ES3_N6hipcub16HIPCUB_304000_NS22TransformInputIteratorIbN2at6native12_GLOBAL__N_19NonZeroOpIaEEPKalEEPiiNS8_6detail34convert_binary_result_type_wrapperINS8_3SumESH_iEEEE10hipError_tPvRmT1_T2_T3_mT4_P12ihipStream_tbEUlT_E1_NS1_11comp_targetILNS1_3genE4ELNS1_11target_archE910ELNS1_3gpuE8ELNS1_3repE0EEENS1_30default_config_static_selectorELNS0_4arch9wavefront6targetE0EEEvSQ_.num_agpr, 0
	.set _ZN7rocprim17ROCPRIM_400000_NS6detail17trampoline_kernelINS0_14default_configENS1_22reduce_config_selectorIbEEZNS1_11reduce_implILb1ES3_N6hipcub16HIPCUB_304000_NS22TransformInputIteratorIbN2at6native12_GLOBAL__N_19NonZeroOpIaEEPKalEEPiiNS8_6detail34convert_binary_result_type_wrapperINS8_3SumESH_iEEEE10hipError_tPvRmT1_T2_T3_mT4_P12ihipStream_tbEUlT_E1_NS1_11comp_targetILNS1_3genE4ELNS1_11target_archE910ELNS1_3gpuE8ELNS1_3repE0EEENS1_30default_config_static_selectorELNS0_4arch9wavefront6targetE0EEEvSQ_.numbered_sgpr, 0
	.set _ZN7rocprim17ROCPRIM_400000_NS6detail17trampoline_kernelINS0_14default_configENS1_22reduce_config_selectorIbEEZNS1_11reduce_implILb1ES3_N6hipcub16HIPCUB_304000_NS22TransformInputIteratorIbN2at6native12_GLOBAL__N_19NonZeroOpIaEEPKalEEPiiNS8_6detail34convert_binary_result_type_wrapperINS8_3SumESH_iEEEE10hipError_tPvRmT1_T2_T3_mT4_P12ihipStream_tbEUlT_E1_NS1_11comp_targetILNS1_3genE4ELNS1_11target_archE910ELNS1_3gpuE8ELNS1_3repE0EEENS1_30default_config_static_selectorELNS0_4arch9wavefront6targetE0EEEvSQ_.num_named_barrier, 0
	.set _ZN7rocprim17ROCPRIM_400000_NS6detail17trampoline_kernelINS0_14default_configENS1_22reduce_config_selectorIbEEZNS1_11reduce_implILb1ES3_N6hipcub16HIPCUB_304000_NS22TransformInputIteratorIbN2at6native12_GLOBAL__N_19NonZeroOpIaEEPKalEEPiiNS8_6detail34convert_binary_result_type_wrapperINS8_3SumESH_iEEEE10hipError_tPvRmT1_T2_T3_mT4_P12ihipStream_tbEUlT_E1_NS1_11comp_targetILNS1_3genE4ELNS1_11target_archE910ELNS1_3gpuE8ELNS1_3repE0EEENS1_30default_config_static_selectorELNS0_4arch9wavefront6targetE0EEEvSQ_.private_seg_size, 0
	.set _ZN7rocprim17ROCPRIM_400000_NS6detail17trampoline_kernelINS0_14default_configENS1_22reduce_config_selectorIbEEZNS1_11reduce_implILb1ES3_N6hipcub16HIPCUB_304000_NS22TransformInputIteratorIbN2at6native12_GLOBAL__N_19NonZeroOpIaEEPKalEEPiiNS8_6detail34convert_binary_result_type_wrapperINS8_3SumESH_iEEEE10hipError_tPvRmT1_T2_T3_mT4_P12ihipStream_tbEUlT_E1_NS1_11comp_targetILNS1_3genE4ELNS1_11target_archE910ELNS1_3gpuE8ELNS1_3repE0EEENS1_30default_config_static_selectorELNS0_4arch9wavefront6targetE0EEEvSQ_.uses_vcc, 0
	.set _ZN7rocprim17ROCPRIM_400000_NS6detail17trampoline_kernelINS0_14default_configENS1_22reduce_config_selectorIbEEZNS1_11reduce_implILb1ES3_N6hipcub16HIPCUB_304000_NS22TransformInputIteratorIbN2at6native12_GLOBAL__N_19NonZeroOpIaEEPKalEEPiiNS8_6detail34convert_binary_result_type_wrapperINS8_3SumESH_iEEEE10hipError_tPvRmT1_T2_T3_mT4_P12ihipStream_tbEUlT_E1_NS1_11comp_targetILNS1_3genE4ELNS1_11target_archE910ELNS1_3gpuE8ELNS1_3repE0EEENS1_30default_config_static_selectorELNS0_4arch9wavefront6targetE0EEEvSQ_.uses_flat_scratch, 0
	.set _ZN7rocprim17ROCPRIM_400000_NS6detail17trampoline_kernelINS0_14default_configENS1_22reduce_config_selectorIbEEZNS1_11reduce_implILb1ES3_N6hipcub16HIPCUB_304000_NS22TransformInputIteratorIbN2at6native12_GLOBAL__N_19NonZeroOpIaEEPKalEEPiiNS8_6detail34convert_binary_result_type_wrapperINS8_3SumESH_iEEEE10hipError_tPvRmT1_T2_T3_mT4_P12ihipStream_tbEUlT_E1_NS1_11comp_targetILNS1_3genE4ELNS1_11target_archE910ELNS1_3gpuE8ELNS1_3repE0EEENS1_30default_config_static_selectorELNS0_4arch9wavefront6targetE0EEEvSQ_.has_dyn_sized_stack, 0
	.set _ZN7rocprim17ROCPRIM_400000_NS6detail17trampoline_kernelINS0_14default_configENS1_22reduce_config_selectorIbEEZNS1_11reduce_implILb1ES3_N6hipcub16HIPCUB_304000_NS22TransformInputIteratorIbN2at6native12_GLOBAL__N_19NonZeroOpIaEEPKalEEPiiNS8_6detail34convert_binary_result_type_wrapperINS8_3SumESH_iEEEE10hipError_tPvRmT1_T2_T3_mT4_P12ihipStream_tbEUlT_E1_NS1_11comp_targetILNS1_3genE4ELNS1_11target_archE910ELNS1_3gpuE8ELNS1_3repE0EEENS1_30default_config_static_selectorELNS0_4arch9wavefront6targetE0EEEvSQ_.has_recursion, 0
	.set _ZN7rocprim17ROCPRIM_400000_NS6detail17trampoline_kernelINS0_14default_configENS1_22reduce_config_selectorIbEEZNS1_11reduce_implILb1ES3_N6hipcub16HIPCUB_304000_NS22TransformInputIteratorIbN2at6native12_GLOBAL__N_19NonZeroOpIaEEPKalEEPiiNS8_6detail34convert_binary_result_type_wrapperINS8_3SumESH_iEEEE10hipError_tPvRmT1_T2_T3_mT4_P12ihipStream_tbEUlT_E1_NS1_11comp_targetILNS1_3genE4ELNS1_11target_archE910ELNS1_3gpuE8ELNS1_3repE0EEENS1_30default_config_static_selectorELNS0_4arch9wavefront6targetE0EEEvSQ_.has_indirect_call, 0
	.section	.AMDGPU.csdata,"",@progbits
; Kernel info:
; codeLenInByte = 0
; TotalNumSgprs: 0
; NumVgprs: 0
; ScratchSize: 0
; MemoryBound: 0
; FloatMode: 240
; IeeeMode: 1
; LDSByteSize: 0 bytes/workgroup (compile time only)
; SGPRBlocks: 0
; VGPRBlocks: 0
; NumSGPRsForWavesPerEU: 1
; NumVGPRsForWavesPerEU: 1
; Occupancy: 16
; WaveLimiterHint : 0
; COMPUTE_PGM_RSRC2:SCRATCH_EN: 0
; COMPUTE_PGM_RSRC2:USER_SGPR: 2
; COMPUTE_PGM_RSRC2:TRAP_HANDLER: 0
; COMPUTE_PGM_RSRC2:TGID_X_EN: 1
; COMPUTE_PGM_RSRC2:TGID_Y_EN: 0
; COMPUTE_PGM_RSRC2:TGID_Z_EN: 0
; COMPUTE_PGM_RSRC2:TIDIG_COMP_CNT: 0
	.section	.text._ZN7rocprim17ROCPRIM_400000_NS6detail17trampoline_kernelINS0_14default_configENS1_22reduce_config_selectorIbEEZNS1_11reduce_implILb1ES3_N6hipcub16HIPCUB_304000_NS22TransformInputIteratorIbN2at6native12_GLOBAL__N_19NonZeroOpIaEEPKalEEPiiNS8_6detail34convert_binary_result_type_wrapperINS8_3SumESH_iEEEE10hipError_tPvRmT1_T2_T3_mT4_P12ihipStream_tbEUlT_E1_NS1_11comp_targetILNS1_3genE3ELNS1_11target_archE908ELNS1_3gpuE7ELNS1_3repE0EEENS1_30default_config_static_selectorELNS0_4arch9wavefront6targetE0EEEvSQ_,"axG",@progbits,_ZN7rocprim17ROCPRIM_400000_NS6detail17trampoline_kernelINS0_14default_configENS1_22reduce_config_selectorIbEEZNS1_11reduce_implILb1ES3_N6hipcub16HIPCUB_304000_NS22TransformInputIteratorIbN2at6native12_GLOBAL__N_19NonZeroOpIaEEPKalEEPiiNS8_6detail34convert_binary_result_type_wrapperINS8_3SumESH_iEEEE10hipError_tPvRmT1_T2_T3_mT4_P12ihipStream_tbEUlT_E1_NS1_11comp_targetILNS1_3genE3ELNS1_11target_archE908ELNS1_3gpuE7ELNS1_3repE0EEENS1_30default_config_static_selectorELNS0_4arch9wavefront6targetE0EEEvSQ_,comdat
	.globl	_ZN7rocprim17ROCPRIM_400000_NS6detail17trampoline_kernelINS0_14default_configENS1_22reduce_config_selectorIbEEZNS1_11reduce_implILb1ES3_N6hipcub16HIPCUB_304000_NS22TransformInputIteratorIbN2at6native12_GLOBAL__N_19NonZeroOpIaEEPKalEEPiiNS8_6detail34convert_binary_result_type_wrapperINS8_3SumESH_iEEEE10hipError_tPvRmT1_T2_T3_mT4_P12ihipStream_tbEUlT_E1_NS1_11comp_targetILNS1_3genE3ELNS1_11target_archE908ELNS1_3gpuE7ELNS1_3repE0EEENS1_30default_config_static_selectorELNS0_4arch9wavefront6targetE0EEEvSQ_ ; -- Begin function _ZN7rocprim17ROCPRIM_400000_NS6detail17trampoline_kernelINS0_14default_configENS1_22reduce_config_selectorIbEEZNS1_11reduce_implILb1ES3_N6hipcub16HIPCUB_304000_NS22TransformInputIteratorIbN2at6native12_GLOBAL__N_19NonZeroOpIaEEPKalEEPiiNS8_6detail34convert_binary_result_type_wrapperINS8_3SumESH_iEEEE10hipError_tPvRmT1_T2_T3_mT4_P12ihipStream_tbEUlT_E1_NS1_11comp_targetILNS1_3genE3ELNS1_11target_archE908ELNS1_3gpuE7ELNS1_3repE0EEENS1_30default_config_static_selectorELNS0_4arch9wavefront6targetE0EEEvSQ_
	.p2align	8
	.type	_ZN7rocprim17ROCPRIM_400000_NS6detail17trampoline_kernelINS0_14default_configENS1_22reduce_config_selectorIbEEZNS1_11reduce_implILb1ES3_N6hipcub16HIPCUB_304000_NS22TransformInputIteratorIbN2at6native12_GLOBAL__N_19NonZeroOpIaEEPKalEEPiiNS8_6detail34convert_binary_result_type_wrapperINS8_3SumESH_iEEEE10hipError_tPvRmT1_T2_T3_mT4_P12ihipStream_tbEUlT_E1_NS1_11comp_targetILNS1_3genE3ELNS1_11target_archE908ELNS1_3gpuE7ELNS1_3repE0EEENS1_30default_config_static_selectorELNS0_4arch9wavefront6targetE0EEEvSQ_,@function
_ZN7rocprim17ROCPRIM_400000_NS6detail17trampoline_kernelINS0_14default_configENS1_22reduce_config_selectorIbEEZNS1_11reduce_implILb1ES3_N6hipcub16HIPCUB_304000_NS22TransformInputIteratorIbN2at6native12_GLOBAL__N_19NonZeroOpIaEEPKalEEPiiNS8_6detail34convert_binary_result_type_wrapperINS8_3SumESH_iEEEE10hipError_tPvRmT1_T2_T3_mT4_P12ihipStream_tbEUlT_E1_NS1_11comp_targetILNS1_3genE3ELNS1_11target_archE908ELNS1_3gpuE7ELNS1_3repE0EEENS1_30default_config_static_selectorELNS0_4arch9wavefront6targetE0EEEvSQ_: ; @_ZN7rocprim17ROCPRIM_400000_NS6detail17trampoline_kernelINS0_14default_configENS1_22reduce_config_selectorIbEEZNS1_11reduce_implILb1ES3_N6hipcub16HIPCUB_304000_NS22TransformInputIteratorIbN2at6native12_GLOBAL__N_19NonZeroOpIaEEPKalEEPiiNS8_6detail34convert_binary_result_type_wrapperINS8_3SumESH_iEEEE10hipError_tPvRmT1_T2_T3_mT4_P12ihipStream_tbEUlT_E1_NS1_11comp_targetILNS1_3genE3ELNS1_11target_archE908ELNS1_3gpuE7ELNS1_3repE0EEENS1_30default_config_static_selectorELNS0_4arch9wavefront6targetE0EEEvSQ_
; %bb.0:
	.section	.rodata,"a",@progbits
	.p2align	6, 0x0
	.amdhsa_kernel _ZN7rocprim17ROCPRIM_400000_NS6detail17trampoline_kernelINS0_14default_configENS1_22reduce_config_selectorIbEEZNS1_11reduce_implILb1ES3_N6hipcub16HIPCUB_304000_NS22TransformInputIteratorIbN2at6native12_GLOBAL__N_19NonZeroOpIaEEPKalEEPiiNS8_6detail34convert_binary_result_type_wrapperINS8_3SumESH_iEEEE10hipError_tPvRmT1_T2_T3_mT4_P12ihipStream_tbEUlT_E1_NS1_11comp_targetILNS1_3genE3ELNS1_11target_archE908ELNS1_3gpuE7ELNS1_3repE0EEENS1_30default_config_static_selectorELNS0_4arch9wavefront6targetE0EEEvSQ_
		.amdhsa_group_segment_fixed_size 0
		.amdhsa_private_segment_fixed_size 0
		.amdhsa_kernarg_size 48
		.amdhsa_user_sgpr_count 2
		.amdhsa_user_sgpr_dispatch_ptr 0
		.amdhsa_user_sgpr_queue_ptr 0
		.amdhsa_user_sgpr_kernarg_segment_ptr 1
		.amdhsa_user_sgpr_dispatch_id 0
		.amdhsa_user_sgpr_private_segment_size 0
		.amdhsa_wavefront_size32 1
		.amdhsa_uses_dynamic_stack 0
		.amdhsa_enable_private_segment 0
		.amdhsa_system_sgpr_workgroup_id_x 1
		.amdhsa_system_sgpr_workgroup_id_y 0
		.amdhsa_system_sgpr_workgroup_id_z 0
		.amdhsa_system_sgpr_workgroup_info 0
		.amdhsa_system_vgpr_workitem_id 0
		.amdhsa_next_free_vgpr 1
		.amdhsa_next_free_sgpr 1
		.amdhsa_reserve_vcc 0
		.amdhsa_float_round_mode_32 0
		.amdhsa_float_round_mode_16_64 0
		.amdhsa_float_denorm_mode_32 3
		.amdhsa_float_denorm_mode_16_64 3
		.amdhsa_fp16_overflow 0
		.amdhsa_workgroup_processor_mode 1
		.amdhsa_memory_ordered 1
		.amdhsa_forward_progress 1
		.amdhsa_inst_pref_size 0
		.amdhsa_round_robin_scheduling 0
		.amdhsa_exception_fp_ieee_invalid_op 0
		.amdhsa_exception_fp_denorm_src 0
		.amdhsa_exception_fp_ieee_div_zero 0
		.amdhsa_exception_fp_ieee_overflow 0
		.amdhsa_exception_fp_ieee_underflow 0
		.amdhsa_exception_fp_ieee_inexact 0
		.amdhsa_exception_int_div_zero 0
	.end_amdhsa_kernel
	.section	.text._ZN7rocprim17ROCPRIM_400000_NS6detail17trampoline_kernelINS0_14default_configENS1_22reduce_config_selectorIbEEZNS1_11reduce_implILb1ES3_N6hipcub16HIPCUB_304000_NS22TransformInputIteratorIbN2at6native12_GLOBAL__N_19NonZeroOpIaEEPKalEEPiiNS8_6detail34convert_binary_result_type_wrapperINS8_3SumESH_iEEEE10hipError_tPvRmT1_T2_T3_mT4_P12ihipStream_tbEUlT_E1_NS1_11comp_targetILNS1_3genE3ELNS1_11target_archE908ELNS1_3gpuE7ELNS1_3repE0EEENS1_30default_config_static_selectorELNS0_4arch9wavefront6targetE0EEEvSQ_,"axG",@progbits,_ZN7rocprim17ROCPRIM_400000_NS6detail17trampoline_kernelINS0_14default_configENS1_22reduce_config_selectorIbEEZNS1_11reduce_implILb1ES3_N6hipcub16HIPCUB_304000_NS22TransformInputIteratorIbN2at6native12_GLOBAL__N_19NonZeroOpIaEEPKalEEPiiNS8_6detail34convert_binary_result_type_wrapperINS8_3SumESH_iEEEE10hipError_tPvRmT1_T2_T3_mT4_P12ihipStream_tbEUlT_E1_NS1_11comp_targetILNS1_3genE3ELNS1_11target_archE908ELNS1_3gpuE7ELNS1_3repE0EEENS1_30default_config_static_selectorELNS0_4arch9wavefront6targetE0EEEvSQ_,comdat
.Lfunc_end112:
	.size	_ZN7rocprim17ROCPRIM_400000_NS6detail17trampoline_kernelINS0_14default_configENS1_22reduce_config_selectorIbEEZNS1_11reduce_implILb1ES3_N6hipcub16HIPCUB_304000_NS22TransformInputIteratorIbN2at6native12_GLOBAL__N_19NonZeroOpIaEEPKalEEPiiNS8_6detail34convert_binary_result_type_wrapperINS8_3SumESH_iEEEE10hipError_tPvRmT1_T2_T3_mT4_P12ihipStream_tbEUlT_E1_NS1_11comp_targetILNS1_3genE3ELNS1_11target_archE908ELNS1_3gpuE7ELNS1_3repE0EEENS1_30default_config_static_selectorELNS0_4arch9wavefront6targetE0EEEvSQ_, .Lfunc_end112-_ZN7rocprim17ROCPRIM_400000_NS6detail17trampoline_kernelINS0_14default_configENS1_22reduce_config_selectorIbEEZNS1_11reduce_implILb1ES3_N6hipcub16HIPCUB_304000_NS22TransformInputIteratorIbN2at6native12_GLOBAL__N_19NonZeroOpIaEEPKalEEPiiNS8_6detail34convert_binary_result_type_wrapperINS8_3SumESH_iEEEE10hipError_tPvRmT1_T2_T3_mT4_P12ihipStream_tbEUlT_E1_NS1_11comp_targetILNS1_3genE3ELNS1_11target_archE908ELNS1_3gpuE7ELNS1_3repE0EEENS1_30default_config_static_selectorELNS0_4arch9wavefront6targetE0EEEvSQ_
                                        ; -- End function
	.set _ZN7rocprim17ROCPRIM_400000_NS6detail17trampoline_kernelINS0_14default_configENS1_22reduce_config_selectorIbEEZNS1_11reduce_implILb1ES3_N6hipcub16HIPCUB_304000_NS22TransformInputIteratorIbN2at6native12_GLOBAL__N_19NonZeroOpIaEEPKalEEPiiNS8_6detail34convert_binary_result_type_wrapperINS8_3SumESH_iEEEE10hipError_tPvRmT1_T2_T3_mT4_P12ihipStream_tbEUlT_E1_NS1_11comp_targetILNS1_3genE3ELNS1_11target_archE908ELNS1_3gpuE7ELNS1_3repE0EEENS1_30default_config_static_selectorELNS0_4arch9wavefront6targetE0EEEvSQ_.num_vgpr, 0
	.set _ZN7rocprim17ROCPRIM_400000_NS6detail17trampoline_kernelINS0_14default_configENS1_22reduce_config_selectorIbEEZNS1_11reduce_implILb1ES3_N6hipcub16HIPCUB_304000_NS22TransformInputIteratorIbN2at6native12_GLOBAL__N_19NonZeroOpIaEEPKalEEPiiNS8_6detail34convert_binary_result_type_wrapperINS8_3SumESH_iEEEE10hipError_tPvRmT1_T2_T3_mT4_P12ihipStream_tbEUlT_E1_NS1_11comp_targetILNS1_3genE3ELNS1_11target_archE908ELNS1_3gpuE7ELNS1_3repE0EEENS1_30default_config_static_selectorELNS0_4arch9wavefront6targetE0EEEvSQ_.num_agpr, 0
	.set _ZN7rocprim17ROCPRIM_400000_NS6detail17trampoline_kernelINS0_14default_configENS1_22reduce_config_selectorIbEEZNS1_11reduce_implILb1ES3_N6hipcub16HIPCUB_304000_NS22TransformInputIteratorIbN2at6native12_GLOBAL__N_19NonZeroOpIaEEPKalEEPiiNS8_6detail34convert_binary_result_type_wrapperINS8_3SumESH_iEEEE10hipError_tPvRmT1_T2_T3_mT4_P12ihipStream_tbEUlT_E1_NS1_11comp_targetILNS1_3genE3ELNS1_11target_archE908ELNS1_3gpuE7ELNS1_3repE0EEENS1_30default_config_static_selectorELNS0_4arch9wavefront6targetE0EEEvSQ_.numbered_sgpr, 0
	.set _ZN7rocprim17ROCPRIM_400000_NS6detail17trampoline_kernelINS0_14default_configENS1_22reduce_config_selectorIbEEZNS1_11reduce_implILb1ES3_N6hipcub16HIPCUB_304000_NS22TransformInputIteratorIbN2at6native12_GLOBAL__N_19NonZeroOpIaEEPKalEEPiiNS8_6detail34convert_binary_result_type_wrapperINS8_3SumESH_iEEEE10hipError_tPvRmT1_T2_T3_mT4_P12ihipStream_tbEUlT_E1_NS1_11comp_targetILNS1_3genE3ELNS1_11target_archE908ELNS1_3gpuE7ELNS1_3repE0EEENS1_30default_config_static_selectorELNS0_4arch9wavefront6targetE0EEEvSQ_.num_named_barrier, 0
	.set _ZN7rocprim17ROCPRIM_400000_NS6detail17trampoline_kernelINS0_14default_configENS1_22reduce_config_selectorIbEEZNS1_11reduce_implILb1ES3_N6hipcub16HIPCUB_304000_NS22TransformInputIteratorIbN2at6native12_GLOBAL__N_19NonZeroOpIaEEPKalEEPiiNS8_6detail34convert_binary_result_type_wrapperINS8_3SumESH_iEEEE10hipError_tPvRmT1_T2_T3_mT4_P12ihipStream_tbEUlT_E1_NS1_11comp_targetILNS1_3genE3ELNS1_11target_archE908ELNS1_3gpuE7ELNS1_3repE0EEENS1_30default_config_static_selectorELNS0_4arch9wavefront6targetE0EEEvSQ_.private_seg_size, 0
	.set _ZN7rocprim17ROCPRIM_400000_NS6detail17trampoline_kernelINS0_14default_configENS1_22reduce_config_selectorIbEEZNS1_11reduce_implILb1ES3_N6hipcub16HIPCUB_304000_NS22TransformInputIteratorIbN2at6native12_GLOBAL__N_19NonZeroOpIaEEPKalEEPiiNS8_6detail34convert_binary_result_type_wrapperINS8_3SumESH_iEEEE10hipError_tPvRmT1_T2_T3_mT4_P12ihipStream_tbEUlT_E1_NS1_11comp_targetILNS1_3genE3ELNS1_11target_archE908ELNS1_3gpuE7ELNS1_3repE0EEENS1_30default_config_static_selectorELNS0_4arch9wavefront6targetE0EEEvSQ_.uses_vcc, 0
	.set _ZN7rocprim17ROCPRIM_400000_NS6detail17trampoline_kernelINS0_14default_configENS1_22reduce_config_selectorIbEEZNS1_11reduce_implILb1ES3_N6hipcub16HIPCUB_304000_NS22TransformInputIteratorIbN2at6native12_GLOBAL__N_19NonZeroOpIaEEPKalEEPiiNS8_6detail34convert_binary_result_type_wrapperINS8_3SumESH_iEEEE10hipError_tPvRmT1_T2_T3_mT4_P12ihipStream_tbEUlT_E1_NS1_11comp_targetILNS1_3genE3ELNS1_11target_archE908ELNS1_3gpuE7ELNS1_3repE0EEENS1_30default_config_static_selectorELNS0_4arch9wavefront6targetE0EEEvSQ_.uses_flat_scratch, 0
	.set _ZN7rocprim17ROCPRIM_400000_NS6detail17trampoline_kernelINS0_14default_configENS1_22reduce_config_selectorIbEEZNS1_11reduce_implILb1ES3_N6hipcub16HIPCUB_304000_NS22TransformInputIteratorIbN2at6native12_GLOBAL__N_19NonZeroOpIaEEPKalEEPiiNS8_6detail34convert_binary_result_type_wrapperINS8_3SumESH_iEEEE10hipError_tPvRmT1_T2_T3_mT4_P12ihipStream_tbEUlT_E1_NS1_11comp_targetILNS1_3genE3ELNS1_11target_archE908ELNS1_3gpuE7ELNS1_3repE0EEENS1_30default_config_static_selectorELNS0_4arch9wavefront6targetE0EEEvSQ_.has_dyn_sized_stack, 0
	.set _ZN7rocprim17ROCPRIM_400000_NS6detail17trampoline_kernelINS0_14default_configENS1_22reduce_config_selectorIbEEZNS1_11reduce_implILb1ES3_N6hipcub16HIPCUB_304000_NS22TransformInputIteratorIbN2at6native12_GLOBAL__N_19NonZeroOpIaEEPKalEEPiiNS8_6detail34convert_binary_result_type_wrapperINS8_3SumESH_iEEEE10hipError_tPvRmT1_T2_T3_mT4_P12ihipStream_tbEUlT_E1_NS1_11comp_targetILNS1_3genE3ELNS1_11target_archE908ELNS1_3gpuE7ELNS1_3repE0EEENS1_30default_config_static_selectorELNS0_4arch9wavefront6targetE0EEEvSQ_.has_recursion, 0
	.set _ZN7rocprim17ROCPRIM_400000_NS6detail17trampoline_kernelINS0_14default_configENS1_22reduce_config_selectorIbEEZNS1_11reduce_implILb1ES3_N6hipcub16HIPCUB_304000_NS22TransformInputIteratorIbN2at6native12_GLOBAL__N_19NonZeroOpIaEEPKalEEPiiNS8_6detail34convert_binary_result_type_wrapperINS8_3SumESH_iEEEE10hipError_tPvRmT1_T2_T3_mT4_P12ihipStream_tbEUlT_E1_NS1_11comp_targetILNS1_3genE3ELNS1_11target_archE908ELNS1_3gpuE7ELNS1_3repE0EEENS1_30default_config_static_selectorELNS0_4arch9wavefront6targetE0EEEvSQ_.has_indirect_call, 0
	.section	.AMDGPU.csdata,"",@progbits
; Kernel info:
; codeLenInByte = 0
; TotalNumSgprs: 0
; NumVgprs: 0
; ScratchSize: 0
; MemoryBound: 0
; FloatMode: 240
; IeeeMode: 1
; LDSByteSize: 0 bytes/workgroup (compile time only)
; SGPRBlocks: 0
; VGPRBlocks: 0
; NumSGPRsForWavesPerEU: 1
; NumVGPRsForWavesPerEU: 1
; Occupancy: 16
; WaveLimiterHint : 0
; COMPUTE_PGM_RSRC2:SCRATCH_EN: 0
; COMPUTE_PGM_RSRC2:USER_SGPR: 2
; COMPUTE_PGM_RSRC2:TRAP_HANDLER: 0
; COMPUTE_PGM_RSRC2:TGID_X_EN: 1
; COMPUTE_PGM_RSRC2:TGID_Y_EN: 0
; COMPUTE_PGM_RSRC2:TGID_Z_EN: 0
; COMPUTE_PGM_RSRC2:TIDIG_COMP_CNT: 0
	.section	.text._ZN7rocprim17ROCPRIM_400000_NS6detail17trampoline_kernelINS0_14default_configENS1_22reduce_config_selectorIbEEZNS1_11reduce_implILb1ES3_N6hipcub16HIPCUB_304000_NS22TransformInputIteratorIbN2at6native12_GLOBAL__N_19NonZeroOpIaEEPKalEEPiiNS8_6detail34convert_binary_result_type_wrapperINS8_3SumESH_iEEEE10hipError_tPvRmT1_T2_T3_mT4_P12ihipStream_tbEUlT_E1_NS1_11comp_targetILNS1_3genE2ELNS1_11target_archE906ELNS1_3gpuE6ELNS1_3repE0EEENS1_30default_config_static_selectorELNS0_4arch9wavefront6targetE0EEEvSQ_,"axG",@progbits,_ZN7rocprim17ROCPRIM_400000_NS6detail17trampoline_kernelINS0_14default_configENS1_22reduce_config_selectorIbEEZNS1_11reduce_implILb1ES3_N6hipcub16HIPCUB_304000_NS22TransformInputIteratorIbN2at6native12_GLOBAL__N_19NonZeroOpIaEEPKalEEPiiNS8_6detail34convert_binary_result_type_wrapperINS8_3SumESH_iEEEE10hipError_tPvRmT1_T2_T3_mT4_P12ihipStream_tbEUlT_E1_NS1_11comp_targetILNS1_3genE2ELNS1_11target_archE906ELNS1_3gpuE6ELNS1_3repE0EEENS1_30default_config_static_selectorELNS0_4arch9wavefront6targetE0EEEvSQ_,comdat
	.globl	_ZN7rocprim17ROCPRIM_400000_NS6detail17trampoline_kernelINS0_14default_configENS1_22reduce_config_selectorIbEEZNS1_11reduce_implILb1ES3_N6hipcub16HIPCUB_304000_NS22TransformInputIteratorIbN2at6native12_GLOBAL__N_19NonZeroOpIaEEPKalEEPiiNS8_6detail34convert_binary_result_type_wrapperINS8_3SumESH_iEEEE10hipError_tPvRmT1_T2_T3_mT4_P12ihipStream_tbEUlT_E1_NS1_11comp_targetILNS1_3genE2ELNS1_11target_archE906ELNS1_3gpuE6ELNS1_3repE0EEENS1_30default_config_static_selectorELNS0_4arch9wavefront6targetE0EEEvSQ_ ; -- Begin function _ZN7rocprim17ROCPRIM_400000_NS6detail17trampoline_kernelINS0_14default_configENS1_22reduce_config_selectorIbEEZNS1_11reduce_implILb1ES3_N6hipcub16HIPCUB_304000_NS22TransformInputIteratorIbN2at6native12_GLOBAL__N_19NonZeroOpIaEEPKalEEPiiNS8_6detail34convert_binary_result_type_wrapperINS8_3SumESH_iEEEE10hipError_tPvRmT1_T2_T3_mT4_P12ihipStream_tbEUlT_E1_NS1_11comp_targetILNS1_3genE2ELNS1_11target_archE906ELNS1_3gpuE6ELNS1_3repE0EEENS1_30default_config_static_selectorELNS0_4arch9wavefront6targetE0EEEvSQ_
	.p2align	8
	.type	_ZN7rocprim17ROCPRIM_400000_NS6detail17trampoline_kernelINS0_14default_configENS1_22reduce_config_selectorIbEEZNS1_11reduce_implILb1ES3_N6hipcub16HIPCUB_304000_NS22TransformInputIteratorIbN2at6native12_GLOBAL__N_19NonZeroOpIaEEPKalEEPiiNS8_6detail34convert_binary_result_type_wrapperINS8_3SumESH_iEEEE10hipError_tPvRmT1_T2_T3_mT4_P12ihipStream_tbEUlT_E1_NS1_11comp_targetILNS1_3genE2ELNS1_11target_archE906ELNS1_3gpuE6ELNS1_3repE0EEENS1_30default_config_static_selectorELNS0_4arch9wavefront6targetE0EEEvSQ_,@function
_ZN7rocprim17ROCPRIM_400000_NS6detail17trampoline_kernelINS0_14default_configENS1_22reduce_config_selectorIbEEZNS1_11reduce_implILb1ES3_N6hipcub16HIPCUB_304000_NS22TransformInputIteratorIbN2at6native12_GLOBAL__N_19NonZeroOpIaEEPKalEEPiiNS8_6detail34convert_binary_result_type_wrapperINS8_3SumESH_iEEEE10hipError_tPvRmT1_T2_T3_mT4_P12ihipStream_tbEUlT_E1_NS1_11comp_targetILNS1_3genE2ELNS1_11target_archE906ELNS1_3gpuE6ELNS1_3repE0EEENS1_30default_config_static_selectorELNS0_4arch9wavefront6targetE0EEEvSQ_: ; @_ZN7rocprim17ROCPRIM_400000_NS6detail17trampoline_kernelINS0_14default_configENS1_22reduce_config_selectorIbEEZNS1_11reduce_implILb1ES3_N6hipcub16HIPCUB_304000_NS22TransformInputIteratorIbN2at6native12_GLOBAL__N_19NonZeroOpIaEEPKalEEPiiNS8_6detail34convert_binary_result_type_wrapperINS8_3SumESH_iEEEE10hipError_tPvRmT1_T2_T3_mT4_P12ihipStream_tbEUlT_E1_NS1_11comp_targetILNS1_3genE2ELNS1_11target_archE906ELNS1_3gpuE6ELNS1_3repE0EEENS1_30default_config_static_selectorELNS0_4arch9wavefront6targetE0EEEvSQ_
; %bb.0:
	.section	.rodata,"a",@progbits
	.p2align	6, 0x0
	.amdhsa_kernel _ZN7rocprim17ROCPRIM_400000_NS6detail17trampoline_kernelINS0_14default_configENS1_22reduce_config_selectorIbEEZNS1_11reduce_implILb1ES3_N6hipcub16HIPCUB_304000_NS22TransformInputIteratorIbN2at6native12_GLOBAL__N_19NonZeroOpIaEEPKalEEPiiNS8_6detail34convert_binary_result_type_wrapperINS8_3SumESH_iEEEE10hipError_tPvRmT1_T2_T3_mT4_P12ihipStream_tbEUlT_E1_NS1_11comp_targetILNS1_3genE2ELNS1_11target_archE906ELNS1_3gpuE6ELNS1_3repE0EEENS1_30default_config_static_selectorELNS0_4arch9wavefront6targetE0EEEvSQ_
		.amdhsa_group_segment_fixed_size 0
		.amdhsa_private_segment_fixed_size 0
		.amdhsa_kernarg_size 48
		.amdhsa_user_sgpr_count 2
		.amdhsa_user_sgpr_dispatch_ptr 0
		.amdhsa_user_sgpr_queue_ptr 0
		.amdhsa_user_sgpr_kernarg_segment_ptr 1
		.amdhsa_user_sgpr_dispatch_id 0
		.amdhsa_user_sgpr_private_segment_size 0
		.amdhsa_wavefront_size32 1
		.amdhsa_uses_dynamic_stack 0
		.amdhsa_enable_private_segment 0
		.amdhsa_system_sgpr_workgroup_id_x 1
		.amdhsa_system_sgpr_workgroup_id_y 0
		.amdhsa_system_sgpr_workgroup_id_z 0
		.amdhsa_system_sgpr_workgroup_info 0
		.amdhsa_system_vgpr_workitem_id 0
		.amdhsa_next_free_vgpr 1
		.amdhsa_next_free_sgpr 1
		.amdhsa_reserve_vcc 0
		.amdhsa_float_round_mode_32 0
		.amdhsa_float_round_mode_16_64 0
		.amdhsa_float_denorm_mode_32 3
		.amdhsa_float_denorm_mode_16_64 3
		.amdhsa_fp16_overflow 0
		.amdhsa_workgroup_processor_mode 1
		.amdhsa_memory_ordered 1
		.amdhsa_forward_progress 1
		.amdhsa_inst_pref_size 0
		.amdhsa_round_robin_scheduling 0
		.amdhsa_exception_fp_ieee_invalid_op 0
		.amdhsa_exception_fp_denorm_src 0
		.amdhsa_exception_fp_ieee_div_zero 0
		.amdhsa_exception_fp_ieee_overflow 0
		.amdhsa_exception_fp_ieee_underflow 0
		.amdhsa_exception_fp_ieee_inexact 0
		.amdhsa_exception_int_div_zero 0
	.end_amdhsa_kernel
	.section	.text._ZN7rocprim17ROCPRIM_400000_NS6detail17trampoline_kernelINS0_14default_configENS1_22reduce_config_selectorIbEEZNS1_11reduce_implILb1ES3_N6hipcub16HIPCUB_304000_NS22TransformInputIteratorIbN2at6native12_GLOBAL__N_19NonZeroOpIaEEPKalEEPiiNS8_6detail34convert_binary_result_type_wrapperINS8_3SumESH_iEEEE10hipError_tPvRmT1_T2_T3_mT4_P12ihipStream_tbEUlT_E1_NS1_11comp_targetILNS1_3genE2ELNS1_11target_archE906ELNS1_3gpuE6ELNS1_3repE0EEENS1_30default_config_static_selectorELNS0_4arch9wavefront6targetE0EEEvSQ_,"axG",@progbits,_ZN7rocprim17ROCPRIM_400000_NS6detail17trampoline_kernelINS0_14default_configENS1_22reduce_config_selectorIbEEZNS1_11reduce_implILb1ES3_N6hipcub16HIPCUB_304000_NS22TransformInputIteratorIbN2at6native12_GLOBAL__N_19NonZeroOpIaEEPKalEEPiiNS8_6detail34convert_binary_result_type_wrapperINS8_3SumESH_iEEEE10hipError_tPvRmT1_T2_T3_mT4_P12ihipStream_tbEUlT_E1_NS1_11comp_targetILNS1_3genE2ELNS1_11target_archE906ELNS1_3gpuE6ELNS1_3repE0EEENS1_30default_config_static_selectorELNS0_4arch9wavefront6targetE0EEEvSQ_,comdat
.Lfunc_end113:
	.size	_ZN7rocprim17ROCPRIM_400000_NS6detail17trampoline_kernelINS0_14default_configENS1_22reduce_config_selectorIbEEZNS1_11reduce_implILb1ES3_N6hipcub16HIPCUB_304000_NS22TransformInputIteratorIbN2at6native12_GLOBAL__N_19NonZeroOpIaEEPKalEEPiiNS8_6detail34convert_binary_result_type_wrapperINS8_3SumESH_iEEEE10hipError_tPvRmT1_T2_T3_mT4_P12ihipStream_tbEUlT_E1_NS1_11comp_targetILNS1_3genE2ELNS1_11target_archE906ELNS1_3gpuE6ELNS1_3repE0EEENS1_30default_config_static_selectorELNS0_4arch9wavefront6targetE0EEEvSQ_, .Lfunc_end113-_ZN7rocprim17ROCPRIM_400000_NS6detail17trampoline_kernelINS0_14default_configENS1_22reduce_config_selectorIbEEZNS1_11reduce_implILb1ES3_N6hipcub16HIPCUB_304000_NS22TransformInputIteratorIbN2at6native12_GLOBAL__N_19NonZeroOpIaEEPKalEEPiiNS8_6detail34convert_binary_result_type_wrapperINS8_3SumESH_iEEEE10hipError_tPvRmT1_T2_T3_mT4_P12ihipStream_tbEUlT_E1_NS1_11comp_targetILNS1_3genE2ELNS1_11target_archE906ELNS1_3gpuE6ELNS1_3repE0EEENS1_30default_config_static_selectorELNS0_4arch9wavefront6targetE0EEEvSQ_
                                        ; -- End function
	.set _ZN7rocprim17ROCPRIM_400000_NS6detail17trampoline_kernelINS0_14default_configENS1_22reduce_config_selectorIbEEZNS1_11reduce_implILb1ES3_N6hipcub16HIPCUB_304000_NS22TransformInputIteratorIbN2at6native12_GLOBAL__N_19NonZeroOpIaEEPKalEEPiiNS8_6detail34convert_binary_result_type_wrapperINS8_3SumESH_iEEEE10hipError_tPvRmT1_T2_T3_mT4_P12ihipStream_tbEUlT_E1_NS1_11comp_targetILNS1_3genE2ELNS1_11target_archE906ELNS1_3gpuE6ELNS1_3repE0EEENS1_30default_config_static_selectorELNS0_4arch9wavefront6targetE0EEEvSQ_.num_vgpr, 0
	.set _ZN7rocprim17ROCPRIM_400000_NS6detail17trampoline_kernelINS0_14default_configENS1_22reduce_config_selectorIbEEZNS1_11reduce_implILb1ES3_N6hipcub16HIPCUB_304000_NS22TransformInputIteratorIbN2at6native12_GLOBAL__N_19NonZeroOpIaEEPKalEEPiiNS8_6detail34convert_binary_result_type_wrapperINS8_3SumESH_iEEEE10hipError_tPvRmT1_T2_T3_mT4_P12ihipStream_tbEUlT_E1_NS1_11comp_targetILNS1_3genE2ELNS1_11target_archE906ELNS1_3gpuE6ELNS1_3repE0EEENS1_30default_config_static_selectorELNS0_4arch9wavefront6targetE0EEEvSQ_.num_agpr, 0
	.set _ZN7rocprim17ROCPRIM_400000_NS6detail17trampoline_kernelINS0_14default_configENS1_22reduce_config_selectorIbEEZNS1_11reduce_implILb1ES3_N6hipcub16HIPCUB_304000_NS22TransformInputIteratorIbN2at6native12_GLOBAL__N_19NonZeroOpIaEEPKalEEPiiNS8_6detail34convert_binary_result_type_wrapperINS8_3SumESH_iEEEE10hipError_tPvRmT1_T2_T3_mT4_P12ihipStream_tbEUlT_E1_NS1_11comp_targetILNS1_3genE2ELNS1_11target_archE906ELNS1_3gpuE6ELNS1_3repE0EEENS1_30default_config_static_selectorELNS0_4arch9wavefront6targetE0EEEvSQ_.numbered_sgpr, 0
	.set _ZN7rocprim17ROCPRIM_400000_NS6detail17trampoline_kernelINS0_14default_configENS1_22reduce_config_selectorIbEEZNS1_11reduce_implILb1ES3_N6hipcub16HIPCUB_304000_NS22TransformInputIteratorIbN2at6native12_GLOBAL__N_19NonZeroOpIaEEPKalEEPiiNS8_6detail34convert_binary_result_type_wrapperINS8_3SumESH_iEEEE10hipError_tPvRmT1_T2_T3_mT4_P12ihipStream_tbEUlT_E1_NS1_11comp_targetILNS1_3genE2ELNS1_11target_archE906ELNS1_3gpuE6ELNS1_3repE0EEENS1_30default_config_static_selectorELNS0_4arch9wavefront6targetE0EEEvSQ_.num_named_barrier, 0
	.set _ZN7rocprim17ROCPRIM_400000_NS6detail17trampoline_kernelINS0_14default_configENS1_22reduce_config_selectorIbEEZNS1_11reduce_implILb1ES3_N6hipcub16HIPCUB_304000_NS22TransformInputIteratorIbN2at6native12_GLOBAL__N_19NonZeroOpIaEEPKalEEPiiNS8_6detail34convert_binary_result_type_wrapperINS8_3SumESH_iEEEE10hipError_tPvRmT1_T2_T3_mT4_P12ihipStream_tbEUlT_E1_NS1_11comp_targetILNS1_3genE2ELNS1_11target_archE906ELNS1_3gpuE6ELNS1_3repE0EEENS1_30default_config_static_selectorELNS0_4arch9wavefront6targetE0EEEvSQ_.private_seg_size, 0
	.set _ZN7rocprim17ROCPRIM_400000_NS6detail17trampoline_kernelINS0_14default_configENS1_22reduce_config_selectorIbEEZNS1_11reduce_implILb1ES3_N6hipcub16HIPCUB_304000_NS22TransformInputIteratorIbN2at6native12_GLOBAL__N_19NonZeroOpIaEEPKalEEPiiNS8_6detail34convert_binary_result_type_wrapperINS8_3SumESH_iEEEE10hipError_tPvRmT1_T2_T3_mT4_P12ihipStream_tbEUlT_E1_NS1_11comp_targetILNS1_3genE2ELNS1_11target_archE906ELNS1_3gpuE6ELNS1_3repE0EEENS1_30default_config_static_selectorELNS0_4arch9wavefront6targetE0EEEvSQ_.uses_vcc, 0
	.set _ZN7rocprim17ROCPRIM_400000_NS6detail17trampoline_kernelINS0_14default_configENS1_22reduce_config_selectorIbEEZNS1_11reduce_implILb1ES3_N6hipcub16HIPCUB_304000_NS22TransformInputIteratorIbN2at6native12_GLOBAL__N_19NonZeroOpIaEEPKalEEPiiNS8_6detail34convert_binary_result_type_wrapperINS8_3SumESH_iEEEE10hipError_tPvRmT1_T2_T3_mT4_P12ihipStream_tbEUlT_E1_NS1_11comp_targetILNS1_3genE2ELNS1_11target_archE906ELNS1_3gpuE6ELNS1_3repE0EEENS1_30default_config_static_selectorELNS0_4arch9wavefront6targetE0EEEvSQ_.uses_flat_scratch, 0
	.set _ZN7rocprim17ROCPRIM_400000_NS6detail17trampoline_kernelINS0_14default_configENS1_22reduce_config_selectorIbEEZNS1_11reduce_implILb1ES3_N6hipcub16HIPCUB_304000_NS22TransformInputIteratorIbN2at6native12_GLOBAL__N_19NonZeroOpIaEEPKalEEPiiNS8_6detail34convert_binary_result_type_wrapperINS8_3SumESH_iEEEE10hipError_tPvRmT1_T2_T3_mT4_P12ihipStream_tbEUlT_E1_NS1_11comp_targetILNS1_3genE2ELNS1_11target_archE906ELNS1_3gpuE6ELNS1_3repE0EEENS1_30default_config_static_selectorELNS0_4arch9wavefront6targetE0EEEvSQ_.has_dyn_sized_stack, 0
	.set _ZN7rocprim17ROCPRIM_400000_NS6detail17trampoline_kernelINS0_14default_configENS1_22reduce_config_selectorIbEEZNS1_11reduce_implILb1ES3_N6hipcub16HIPCUB_304000_NS22TransformInputIteratorIbN2at6native12_GLOBAL__N_19NonZeroOpIaEEPKalEEPiiNS8_6detail34convert_binary_result_type_wrapperINS8_3SumESH_iEEEE10hipError_tPvRmT1_T2_T3_mT4_P12ihipStream_tbEUlT_E1_NS1_11comp_targetILNS1_3genE2ELNS1_11target_archE906ELNS1_3gpuE6ELNS1_3repE0EEENS1_30default_config_static_selectorELNS0_4arch9wavefront6targetE0EEEvSQ_.has_recursion, 0
	.set _ZN7rocprim17ROCPRIM_400000_NS6detail17trampoline_kernelINS0_14default_configENS1_22reduce_config_selectorIbEEZNS1_11reduce_implILb1ES3_N6hipcub16HIPCUB_304000_NS22TransformInputIteratorIbN2at6native12_GLOBAL__N_19NonZeroOpIaEEPKalEEPiiNS8_6detail34convert_binary_result_type_wrapperINS8_3SumESH_iEEEE10hipError_tPvRmT1_T2_T3_mT4_P12ihipStream_tbEUlT_E1_NS1_11comp_targetILNS1_3genE2ELNS1_11target_archE906ELNS1_3gpuE6ELNS1_3repE0EEENS1_30default_config_static_selectorELNS0_4arch9wavefront6targetE0EEEvSQ_.has_indirect_call, 0
	.section	.AMDGPU.csdata,"",@progbits
; Kernel info:
; codeLenInByte = 0
; TotalNumSgprs: 0
; NumVgprs: 0
; ScratchSize: 0
; MemoryBound: 0
; FloatMode: 240
; IeeeMode: 1
; LDSByteSize: 0 bytes/workgroup (compile time only)
; SGPRBlocks: 0
; VGPRBlocks: 0
; NumSGPRsForWavesPerEU: 1
; NumVGPRsForWavesPerEU: 1
; Occupancy: 16
; WaveLimiterHint : 0
; COMPUTE_PGM_RSRC2:SCRATCH_EN: 0
; COMPUTE_PGM_RSRC2:USER_SGPR: 2
; COMPUTE_PGM_RSRC2:TRAP_HANDLER: 0
; COMPUTE_PGM_RSRC2:TGID_X_EN: 1
; COMPUTE_PGM_RSRC2:TGID_Y_EN: 0
; COMPUTE_PGM_RSRC2:TGID_Z_EN: 0
; COMPUTE_PGM_RSRC2:TIDIG_COMP_CNT: 0
	.section	.text._ZN7rocprim17ROCPRIM_400000_NS6detail17trampoline_kernelINS0_14default_configENS1_22reduce_config_selectorIbEEZNS1_11reduce_implILb1ES3_N6hipcub16HIPCUB_304000_NS22TransformInputIteratorIbN2at6native12_GLOBAL__N_19NonZeroOpIaEEPKalEEPiiNS8_6detail34convert_binary_result_type_wrapperINS8_3SumESH_iEEEE10hipError_tPvRmT1_T2_T3_mT4_P12ihipStream_tbEUlT_E1_NS1_11comp_targetILNS1_3genE10ELNS1_11target_archE1201ELNS1_3gpuE5ELNS1_3repE0EEENS1_30default_config_static_selectorELNS0_4arch9wavefront6targetE0EEEvSQ_,"axG",@progbits,_ZN7rocprim17ROCPRIM_400000_NS6detail17trampoline_kernelINS0_14default_configENS1_22reduce_config_selectorIbEEZNS1_11reduce_implILb1ES3_N6hipcub16HIPCUB_304000_NS22TransformInputIteratorIbN2at6native12_GLOBAL__N_19NonZeroOpIaEEPKalEEPiiNS8_6detail34convert_binary_result_type_wrapperINS8_3SumESH_iEEEE10hipError_tPvRmT1_T2_T3_mT4_P12ihipStream_tbEUlT_E1_NS1_11comp_targetILNS1_3genE10ELNS1_11target_archE1201ELNS1_3gpuE5ELNS1_3repE0EEENS1_30default_config_static_selectorELNS0_4arch9wavefront6targetE0EEEvSQ_,comdat
	.globl	_ZN7rocprim17ROCPRIM_400000_NS6detail17trampoline_kernelINS0_14default_configENS1_22reduce_config_selectorIbEEZNS1_11reduce_implILb1ES3_N6hipcub16HIPCUB_304000_NS22TransformInputIteratorIbN2at6native12_GLOBAL__N_19NonZeroOpIaEEPKalEEPiiNS8_6detail34convert_binary_result_type_wrapperINS8_3SumESH_iEEEE10hipError_tPvRmT1_T2_T3_mT4_P12ihipStream_tbEUlT_E1_NS1_11comp_targetILNS1_3genE10ELNS1_11target_archE1201ELNS1_3gpuE5ELNS1_3repE0EEENS1_30default_config_static_selectorELNS0_4arch9wavefront6targetE0EEEvSQ_ ; -- Begin function _ZN7rocprim17ROCPRIM_400000_NS6detail17trampoline_kernelINS0_14default_configENS1_22reduce_config_selectorIbEEZNS1_11reduce_implILb1ES3_N6hipcub16HIPCUB_304000_NS22TransformInputIteratorIbN2at6native12_GLOBAL__N_19NonZeroOpIaEEPKalEEPiiNS8_6detail34convert_binary_result_type_wrapperINS8_3SumESH_iEEEE10hipError_tPvRmT1_T2_T3_mT4_P12ihipStream_tbEUlT_E1_NS1_11comp_targetILNS1_3genE10ELNS1_11target_archE1201ELNS1_3gpuE5ELNS1_3repE0EEENS1_30default_config_static_selectorELNS0_4arch9wavefront6targetE0EEEvSQ_
	.p2align	8
	.type	_ZN7rocprim17ROCPRIM_400000_NS6detail17trampoline_kernelINS0_14default_configENS1_22reduce_config_selectorIbEEZNS1_11reduce_implILb1ES3_N6hipcub16HIPCUB_304000_NS22TransformInputIteratorIbN2at6native12_GLOBAL__N_19NonZeroOpIaEEPKalEEPiiNS8_6detail34convert_binary_result_type_wrapperINS8_3SumESH_iEEEE10hipError_tPvRmT1_T2_T3_mT4_P12ihipStream_tbEUlT_E1_NS1_11comp_targetILNS1_3genE10ELNS1_11target_archE1201ELNS1_3gpuE5ELNS1_3repE0EEENS1_30default_config_static_selectorELNS0_4arch9wavefront6targetE0EEEvSQ_,@function
_ZN7rocprim17ROCPRIM_400000_NS6detail17trampoline_kernelINS0_14default_configENS1_22reduce_config_selectorIbEEZNS1_11reduce_implILb1ES3_N6hipcub16HIPCUB_304000_NS22TransformInputIteratorIbN2at6native12_GLOBAL__N_19NonZeroOpIaEEPKalEEPiiNS8_6detail34convert_binary_result_type_wrapperINS8_3SumESH_iEEEE10hipError_tPvRmT1_T2_T3_mT4_P12ihipStream_tbEUlT_E1_NS1_11comp_targetILNS1_3genE10ELNS1_11target_archE1201ELNS1_3gpuE5ELNS1_3repE0EEENS1_30default_config_static_selectorELNS0_4arch9wavefront6targetE0EEEvSQ_: ; @_ZN7rocprim17ROCPRIM_400000_NS6detail17trampoline_kernelINS0_14default_configENS1_22reduce_config_selectorIbEEZNS1_11reduce_implILb1ES3_N6hipcub16HIPCUB_304000_NS22TransformInputIteratorIbN2at6native12_GLOBAL__N_19NonZeroOpIaEEPKalEEPiiNS8_6detail34convert_binary_result_type_wrapperINS8_3SumESH_iEEEE10hipError_tPvRmT1_T2_T3_mT4_P12ihipStream_tbEUlT_E1_NS1_11comp_targetILNS1_3genE10ELNS1_11target_archE1201ELNS1_3gpuE5ELNS1_3repE0EEENS1_30default_config_static_selectorELNS0_4arch9wavefront6targetE0EEEvSQ_
; %bb.0:
	s_clause 0x2
	s_load_b32 s44, s[0:1], 0x4
	s_load_b64 s[40:41], s[0:1], 0x8
	s_load_b128 s[36:39], s[0:1], 0x18
	s_mov_b32 s34, ttmp9
	s_wait_kmcnt 0x0
	s_cmp_lt_i32 s44, 16
	s_cbranch_scc1 .LBB114_12
; %bb.1:
	s_cmp_gt_i32 s44, 63
	s_cbranch_scc0 .LBB114_13
; %bb.2:
	s_cmp_gt_i32 s44, 0x7f
	s_cbranch_scc0 .LBB114_22
; %bb.3:
	s_cmp_eq_u32 s44, 0x80
	s_mov_b32 s6, 0
	s_cbranch_scc0 .LBB114_23
; %bb.4:
	s_mov_b32 s35, 0
	s_lshl_b32 s4, s34, 15
	s_lshr_b64 s[2:3], s[36:37], 15
	s_mov_b32 s5, s35
	s_cmp_lg_u64 s[2:3], s[34:35]
	s_add_nc_u64 s[2:3], s[40:41], s[4:5]
	s_cbranch_scc0 .LBB114_34
; %bb.5:
	s_clause 0x1f
	global_load_u8 v1, v0, s[2:3]
	global_load_u8 v2, v0, s[2:3] offset:512
	global_load_u8 v3, v0, s[2:3] offset:256
	global_load_u8 v4, v0, s[2:3] offset:1024
	global_load_u8 v5, v0, s[2:3] offset:768
	global_load_u8 v6, v0, s[2:3] offset:1536
	global_load_u8 v7, v0, s[2:3] offset:1280
	global_load_u8 v8, v0, s[2:3] offset:2048
	global_load_u8 v9, v0, s[2:3] offset:1792
	global_load_u8 v10, v0, s[2:3] offset:2560
	global_load_u8 v11, v0, s[2:3] offset:2304
	global_load_u8 v12, v0, s[2:3] offset:3072
	global_load_u8 v13, v0, s[2:3] offset:2816
	global_load_u8 v14, v0, s[2:3] offset:3584
	global_load_u8 v15, v0, s[2:3] offset:3328
	global_load_u8 v16, v0, s[2:3] offset:4096
	global_load_u8 v17, v0, s[2:3] offset:3840
	global_load_u8 v18, v0, s[2:3] offset:4608
	global_load_u8 v19, v0, s[2:3] offset:4352
	global_load_u8 v20, v0, s[2:3] offset:5120
	global_load_u8 v21, v0, s[2:3] offset:4864
	global_load_u8 v22, v0, s[2:3] offset:5632
	global_load_u8 v23, v0, s[2:3] offset:5376
	global_load_u8 v24, v0, s[2:3] offset:6144
	global_load_u8 v25, v0, s[2:3] offset:5888
	global_load_u8 v26, v0, s[2:3] offset:6656
	global_load_u8 v27, v0, s[2:3] offset:6400
	global_load_u8 v28, v0, s[2:3] offset:7168
	global_load_u8 v29, v0, s[2:3] offset:6912
	global_load_u8 v30, v0, s[2:3] offset:7680
	global_load_u8 v31, v0, s[2:3] offset:7424
	global_load_u8 v32, v0, s[2:3] offset:8192
	s_clause 0x1f
	global_load_u8 v33, v0, s[2:3] offset:7936
	global_load_u8 v34, v0, s[2:3] offset:8704
	global_load_u8 v35, v0, s[2:3] offset:8448
	global_load_u8 v36, v0, s[2:3] offset:9216
	global_load_u8 v37, v0, s[2:3] offset:8960
	global_load_u8 v38, v0, s[2:3] offset:9728
	global_load_u8 v39, v0, s[2:3] offset:9472
	global_load_u8 v40, v0, s[2:3] offset:10240
	global_load_u8 v41, v0, s[2:3] offset:9984
	global_load_u8 v42, v0, s[2:3] offset:10752
	global_load_u8 v43, v0, s[2:3] offset:10496
	global_load_u8 v44, v0, s[2:3] offset:11264
	global_load_u8 v45, v0, s[2:3] offset:11008
	global_load_u8 v46, v0, s[2:3] offset:11776
	global_load_u8 v47, v0, s[2:3] offset:11520
	global_load_u8 v48, v0, s[2:3] offset:12288
	global_load_u8 v49, v0, s[2:3] offset:12032
	global_load_u8 v50, v0, s[2:3] offset:12800
	global_load_u8 v51, v0, s[2:3] offset:12544
	global_load_u8 v52, v0, s[2:3] offset:13312
	global_load_u8 v53, v0, s[2:3] offset:13056
	global_load_u8 v54, v0, s[2:3] offset:13824
	global_load_u8 v55, v0, s[2:3] offset:13568
	global_load_u8 v56, v0, s[2:3] offset:14336
	global_load_u8 v57, v0, s[2:3] offset:14080
	global_load_u8 v58, v0, s[2:3] offset:14848
	global_load_u8 v59, v0, s[2:3] offset:14592
	global_load_u8 v60, v0, s[2:3] offset:15360
	global_load_u8 v61, v0, s[2:3] offset:15104
	global_load_u8 v62, v0, s[2:3] offset:15872
	global_load_u8 v63, v0, s[2:3] offset:15616
	global_load_u8 v64, v0, s[2:3] offset:16384
	s_clause 0x1f
	global_load_u8 v65, v0, s[2:3] offset:16128
	;; [unrolled: 33-line block ×3, first 2 shown]
	global_load_u8 v98, v0, s[2:3] offset:25088
	global_load_u8 v99, v0, s[2:3] offset:24832
	;; [unrolled: 1-line block ×31, first 2 shown]
	s_mov_b32 s5, exec_lo
	s_wait_loadcnt 0x3e
	v_cmp_ne_u16_e32 vcc_lo, 0, v1
	v_cndmask_b32_e64 v1, 0, 1, vcc_lo
	v_cmp_ne_u16_e32 vcc_lo, 0, v2
	s_wait_alu 0xfffd
	v_cndmask_b32_e64 v2, 0, 1, vcc_lo
	v_cmp_ne_u16_e32 vcc_lo, 0, v3
	s_wait_alu 0xfffd
	v_add_co_ci_u32_e64 v1, null, 0, v1, vcc_lo
	v_cmp_ne_u16_e32 vcc_lo, 0, v4
	s_wait_alu 0xfffd
	v_cndmask_b32_e64 v3, 0, 1, vcc_lo
	v_cmp_ne_u16_e32 vcc_lo, 0, v5
	s_wait_alu 0xfffd
	v_add_co_ci_u32_e64 v1, null, v1, v2, vcc_lo
	;; [unrolled: 6-line block ×32, first 2 shown]
	v_cmp_ne_u16_e32 vcc_lo, 0, v66
	s_wait_alu 0xfffd
	v_cndmask_b32_e64 v2, 0, 1, vcc_lo
	s_wait_loadcnt 0x3d
	v_cmp_ne_u16_e32 vcc_lo, 0, v67
	s_wait_alu 0xfffd
	v_add_co_ci_u32_e64 v1, null, v1, v3, vcc_lo
	s_wait_loadcnt 0x3c
	v_cmp_ne_u16_e32 vcc_lo, 0, v68
	s_wait_alu 0xfffd
	v_cndmask_b32_e64 v3, 0, 1, vcc_lo
	s_wait_loadcnt 0x3b
	v_cmp_ne_u16_e32 vcc_lo, 0, v69
	s_wait_alu 0xfffd
	v_add_co_ci_u32_e64 v1, null, v1, v2, vcc_lo
	s_wait_loadcnt 0x3a
	;; [unrolled: 8-line block ×31, first 2 shown]
	v_cmp_ne_u16_e64 vcc_lo, 0, v128
	s_wait_alu 0xfffd
	s_delay_alu instid0(VALU_DEP_1) | instskip(NEXT) | instid1(VALU_DEP_1)
	v_add_co_ci_u32_e64 v1, null, v1, v2, vcc_lo
	v_mov_b32_dpp v2, v1 quad_perm:[1,0,3,2] row_mask:0xf bank_mask:0xf
	s_delay_alu instid0(VALU_DEP_1) | instskip(NEXT) | instid1(VALU_DEP_1)
	v_add_nc_u32_e32 v1, v1, v2
	v_mov_b32_dpp v2, v1 quad_perm:[2,3,0,1] row_mask:0xf bank_mask:0xf
	s_delay_alu instid0(VALU_DEP_1) | instskip(NEXT) | instid1(VALU_DEP_1)
	v_add_nc_u32_e32 v1, v1, v2
	v_mov_b32_dpp v2, v1 row_ror:4 row_mask:0xf bank_mask:0xf
	s_delay_alu instid0(VALU_DEP_1) | instskip(NEXT) | instid1(VALU_DEP_1)
	v_add_nc_u32_e32 v1, v1, v2
	v_mov_b32_dpp v2, v1 row_ror:8 row_mask:0xf bank_mask:0xf
	s_delay_alu instid0(VALU_DEP_1)
	v_add_nc_u32_e32 v1, v1, v2
	ds_swizzle_b32 v2, v1 offset:swizzle(BROADCAST,32,15)
	s_wait_dscnt 0x0
	v_dual_mov_b32 v2, 0 :: v_dual_add_nc_u32 v1, v1, v2
	ds_bpermute_b32 v1, v2, v1 offset:124
	v_mbcnt_lo_u32_b32 v2, -1, 0
	s_delay_alu instid0(VALU_DEP_1)
	v_cmpx_eq_u32_e32 0, v2
	s_cbranch_execz .LBB114_7
; %bb.6:
	v_lshrrev_b32_e32 v3, 3, v0
	s_delay_alu instid0(VALU_DEP_1)
	v_and_b32_e32 v3, 28, v3
	s_wait_dscnt 0x0
	ds_store_b32 v3, v1
.LBB114_7:
	s_or_b32 exec_lo, exec_lo, s5
	s_delay_alu instid0(SALU_CYCLE_1)
	s_mov_b32 s5, exec_lo
	s_wait_dscnt 0x0
	s_barrier_signal -1
	s_barrier_wait -1
	global_inv scope:SCOPE_SE
	v_cmpx_gt_u32_e32 32, v0
	s_cbranch_execz .LBB114_9
; %bb.8:
	v_and_b32_e32 v1, 7, v2
	s_delay_alu instid0(VALU_DEP_1)
	v_lshlrev_b32_e32 v3, 2, v1
	v_cmp_ne_u32_e32 vcc_lo, 7, v1
	ds_load_b32 v3, v3
	s_wait_alu 0xfffd
	v_add_co_ci_u32_e64 v4, null, 0, v2, vcc_lo
	v_cmp_gt_u32_e32 vcc_lo, 6, v1
	s_delay_alu instid0(VALU_DEP_2) | instskip(SKIP_2) | instid1(VALU_DEP_1)
	v_lshlrev_b32_e32 v4, 2, v4
	s_wait_alu 0xfffd
	v_cndmask_b32_e64 v1, 0, 2, vcc_lo
	v_add_lshl_u32 v1, v1, v2, 2
	v_lshlrev_b32_e32 v2, 2, v2
	s_delay_alu instid0(VALU_DEP_1)
	v_or_b32_e32 v2, 16, v2
	s_wait_dscnt 0x0
	ds_bpermute_b32 v4, v4, v3
	s_wait_dscnt 0x0
	v_add_nc_u32_e32 v3, v4, v3
	ds_bpermute_b32 v1, v1, v3
	s_wait_dscnt 0x0
	v_add_nc_u32_e32 v1, v1, v3
	;; [unrolled: 3-line block ×3, first 2 shown]
.LBB114_9:
	s_or_b32 exec_lo, exec_lo, s5
.LBB114_10:
	v_cmp_eq_u32_e64 s2, 0, v0
	s_and_b32 vcc_lo, exec_lo, s6
	s_wait_alu 0xfffe
	s_cbranch_vccnz .LBB114_24
.LBB114_11:
	s_branch .LBB114_512
.LBB114_12:
	s_mov_b32 s2, 0
                                        ; implicit-def: $vgpr1
	s_cbranch_execz .LBB114_623
	s_branch .LBB114_513
.LBB114_13:
	s_mov_b32 s2, 0
                                        ; implicit-def: $vgpr1
	s_cbranch_execz .LBB114_512
; %bb.14:
	s_cmp_gt_i32 s44, 31
	s_cbranch_scc0 .LBB114_31
; %bb.15:
	s_cmp_eq_u32 s44, 32
	s_cbranch_scc0 .LBB114_32
; %bb.16:
	s_mov_b32 s35, 0
	s_lshl_b32 s2, s34, 13
	s_lshr_b64 s[4:5], s[36:37], 13
	s_mov_b32 s3, s35
	s_cmp_lg_u64 s[4:5], s[34:35]
	s_add_nc_u64 s[42:43], s[40:41], s[2:3]
	s_cbranch_scc0 .LBB114_296
; %bb.17:
	s_clause 0x1f
	global_load_u8 v1, v0, s[42:43]
	global_load_u8 v2, v0, s[42:43] offset:512
	global_load_u8 v3, v0, s[42:43] offset:256
	;; [unrolled: 1-line block ×31, first 2 shown]
	s_mov_b32 s3, exec_lo
	s_wait_loadcnt 0x1f
	v_cmp_ne_u16_e32 vcc_lo, 0, v1
	v_cndmask_b32_e64 v1, 0, 1, vcc_lo
	s_wait_loadcnt 0x1e
	v_cmp_ne_u16_e32 vcc_lo, 0, v2
	s_wait_alu 0xfffd
	v_cndmask_b32_e64 v2, 0, 1, vcc_lo
	s_wait_loadcnt 0x1d
	v_cmp_ne_u16_e32 vcc_lo, 0, v3
	s_wait_alu 0xfffd
	v_add_co_ci_u32_e64 v1, null, 0, v1, vcc_lo
	s_wait_loadcnt 0x1c
	v_cmp_ne_u16_e32 vcc_lo, 0, v4
	s_wait_alu 0xfffd
	v_cndmask_b32_e64 v3, 0, 1, vcc_lo
	s_wait_loadcnt 0x1b
	v_cmp_ne_u16_e32 vcc_lo, 0, v5
	s_wait_alu 0xfffd
	v_add_co_ci_u32_e64 v1, null, v1, v2, vcc_lo
	;; [unrolled: 8-line block ×15, first 2 shown]
	s_wait_loadcnt 0x0
	v_cmp_ne_u16_e32 vcc_lo, 0, v32
	s_wait_alu 0xfffd
	s_delay_alu instid0(VALU_DEP_2) | instskip(NEXT) | instid1(VALU_DEP_1)
	v_add_co_ci_u32_e64 v1, null, v1, v2, vcc_lo
	v_mov_b32_dpp v2, v1 quad_perm:[1,0,3,2] row_mask:0xf bank_mask:0xf
	s_delay_alu instid0(VALU_DEP_1) | instskip(NEXT) | instid1(VALU_DEP_1)
	v_add_nc_u32_e32 v1, v1, v2
	v_mov_b32_dpp v2, v1 quad_perm:[2,3,0,1] row_mask:0xf bank_mask:0xf
	s_delay_alu instid0(VALU_DEP_1) | instskip(NEXT) | instid1(VALU_DEP_1)
	v_add_nc_u32_e32 v1, v1, v2
	v_mov_b32_dpp v2, v1 row_ror:4 row_mask:0xf bank_mask:0xf
	s_delay_alu instid0(VALU_DEP_1) | instskip(NEXT) | instid1(VALU_DEP_1)
	v_add_nc_u32_e32 v1, v1, v2
	v_mov_b32_dpp v2, v1 row_ror:8 row_mask:0xf bank_mask:0xf
	s_delay_alu instid0(VALU_DEP_1)
	v_add_nc_u32_e32 v1, v1, v2
	ds_swizzle_b32 v2, v1 offset:swizzle(BROADCAST,32,15)
	s_wait_dscnt 0x0
	v_dual_mov_b32 v2, 0 :: v_dual_add_nc_u32 v1, v1, v2
	ds_bpermute_b32 v1, v2, v1 offset:124
	v_mbcnt_lo_u32_b32 v2, -1, 0
	s_delay_alu instid0(VALU_DEP_1)
	v_cmpx_eq_u32_e32 0, v2
	s_cbranch_execz .LBB114_19
; %bb.18:
	v_lshrrev_b32_e32 v3, 3, v0
	s_delay_alu instid0(VALU_DEP_1)
	v_and_b32_e32 v3, 28, v3
	s_wait_dscnt 0x0
	ds_store_b32 v3, v1 offset:128
.LBB114_19:
	s_or_b32 exec_lo, exec_lo, s3
	s_delay_alu instid0(SALU_CYCLE_1)
	s_mov_b32 s3, exec_lo
	s_wait_dscnt 0x0
	s_barrier_signal -1
	s_barrier_wait -1
	global_inv scope:SCOPE_SE
	v_cmpx_gt_u32_e32 32, v0
	s_cbranch_execz .LBB114_21
; %bb.20:
	v_and_b32_e32 v1, 7, v2
	s_delay_alu instid0(VALU_DEP_1)
	v_lshlrev_b32_e32 v3, 2, v1
	v_cmp_ne_u32_e32 vcc_lo, 7, v1
	ds_load_b32 v3, v3 offset:128
	s_wait_alu 0xfffd
	v_add_co_ci_u32_e64 v4, null, 0, v2, vcc_lo
	v_cmp_gt_u32_e32 vcc_lo, 6, v1
	s_delay_alu instid0(VALU_DEP_2) | instskip(SKIP_2) | instid1(VALU_DEP_1)
	v_lshlrev_b32_e32 v4, 2, v4
	s_wait_alu 0xfffd
	v_cndmask_b32_e64 v1, 0, 2, vcc_lo
	v_add_lshl_u32 v1, v1, v2, 2
	v_lshlrev_b32_e32 v2, 2, v2
	s_delay_alu instid0(VALU_DEP_1)
	v_or_b32_e32 v2, 16, v2
	s_wait_dscnt 0x0
	ds_bpermute_b32 v4, v4, v3
	s_wait_dscnt 0x0
	v_add_nc_u32_e32 v3, v4, v3
	ds_bpermute_b32 v1, v1, v3
	s_wait_dscnt 0x0
	v_add_nc_u32_e32 v1, v1, v3
	;; [unrolled: 3-line block ×3, first 2 shown]
.LBB114_21:
	s_or_b32 exec_lo, exec_lo, s3
	s_mov_b32 s3, 0
	s_branch .LBB114_297
.LBB114_22:
	s_mov_b32 s6, -1
.LBB114_23:
	s_mov_b32 s2, 0
                                        ; implicit-def: $vgpr1
	s_and_b32 vcc_lo, exec_lo, s6
	s_cbranch_vccz .LBB114_11
.LBB114_24:
	s_cmp_eq_u32 s44, 64
	s_cbranch_scc0 .LBB114_33
; %bb.25:
	s_mov_b32 s35, 0
	s_lshl_b32 s4, s34, 14
	s_lshr_b64 s[2:3], s[36:37], 14
	s_mov_b32 s5, s35
	s_wait_alu 0xfffe
	s_cmp_lg_u64 s[2:3], s[34:35]
	s_add_nc_u64 s[2:3], s[40:41], s[4:5]
	s_cbranch_scc0 .LBB114_376
; %bb.26:
	s_clause 0x1f
	global_load_u8 v1, v0, s[2:3]
	global_load_u8 v2, v0, s[2:3] offset:512
	global_load_u8 v3, v0, s[2:3] offset:256
	;; [unrolled: 1-line block ×31, first 2 shown]
	s_clause 0x1f
	global_load_u8 v33, v0, s[2:3] offset:7936
	global_load_u8 v34, v0, s[2:3] offset:8704
	;; [unrolled: 1-line block ×32, first 2 shown]
	s_mov_b32 s5, exec_lo
	s_wait_loadcnt 0x3e
	v_cmp_ne_u16_e32 vcc_lo, 0, v1
	s_wait_alu 0xfffd
	v_cndmask_b32_e64 v1, 0, 1, vcc_lo
	v_cmp_ne_u16_e32 vcc_lo, 0, v2
	s_wait_alu 0xfffd
	v_cndmask_b32_e64 v2, 0, 1, vcc_lo
	s_wait_loadcnt 0x3d
	v_cmp_ne_u16_e32 vcc_lo, 0, v3
	s_wait_alu 0xfffd
	v_add_co_ci_u32_e64 v1, null, 0, v1, vcc_lo
	s_wait_loadcnt 0x3c
	v_cmp_ne_u16_e32 vcc_lo, 0, v4
	s_wait_alu 0xfffd
	v_cndmask_b32_e64 v3, 0, 1, vcc_lo
	s_wait_loadcnt 0x3b
	v_cmp_ne_u16_e32 vcc_lo, 0, v5
	s_wait_alu 0xfffd
	v_add_co_ci_u32_e64 v1, null, v1, v2, vcc_lo
	s_wait_loadcnt 0x3a
	;; [unrolled: 8-line block ×31, first 2 shown]
	v_cmp_ne_u16_e32 vcc_lo, 0, v64
	s_wait_alu 0xfffd
	s_delay_alu instid0(VALU_DEP_2) | instskip(NEXT) | instid1(VALU_DEP_1)
	v_add_co_ci_u32_e64 v1, null, v1, v2, vcc_lo
	v_mov_b32_dpp v2, v1 quad_perm:[1,0,3,2] row_mask:0xf bank_mask:0xf
	s_delay_alu instid0(VALU_DEP_1) | instskip(NEXT) | instid1(VALU_DEP_1)
	v_add_nc_u32_e32 v1, v1, v2
	v_mov_b32_dpp v2, v1 quad_perm:[2,3,0,1] row_mask:0xf bank_mask:0xf
	s_delay_alu instid0(VALU_DEP_1) | instskip(NEXT) | instid1(VALU_DEP_1)
	v_add_nc_u32_e32 v1, v1, v2
	v_mov_b32_dpp v2, v1 row_ror:4 row_mask:0xf bank_mask:0xf
	s_delay_alu instid0(VALU_DEP_1) | instskip(NEXT) | instid1(VALU_DEP_1)
	v_add_nc_u32_e32 v1, v1, v2
	v_mov_b32_dpp v2, v1 row_ror:8 row_mask:0xf bank_mask:0xf
	s_delay_alu instid0(VALU_DEP_1)
	v_add_nc_u32_e32 v1, v1, v2
	ds_swizzle_b32 v2, v1 offset:swizzle(BROADCAST,32,15)
	s_wait_dscnt 0x0
	v_dual_mov_b32 v2, 0 :: v_dual_add_nc_u32 v1, v1, v2
	ds_bpermute_b32 v1, v2, v1 offset:124
	v_mbcnt_lo_u32_b32 v2, -1, 0
	s_delay_alu instid0(VALU_DEP_1)
	v_cmpx_eq_u32_e32 0, v2
	s_cbranch_execz .LBB114_28
; %bb.27:
	v_lshrrev_b32_e32 v3, 3, v0
	s_delay_alu instid0(VALU_DEP_1)
	v_and_b32_e32 v3, 28, v3
	s_wait_dscnt 0x0
	ds_store_b32 v3, v1 offset:192
.LBB114_28:
	s_wait_alu 0xfffe
	s_or_b32 exec_lo, exec_lo, s5
	s_delay_alu instid0(SALU_CYCLE_1)
	s_mov_b32 s5, exec_lo
	s_wait_dscnt 0x0
	s_barrier_signal -1
	s_barrier_wait -1
	global_inv scope:SCOPE_SE
	v_cmpx_gt_u32_e32 32, v0
	s_cbranch_execz .LBB114_30
; %bb.29:
	v_and_b32_e32 v1, 7, v2
	s_delay_alu instid0(VALU_DEP_1)
	v_lshlrev_b32_e32 v3, 2, v1
	v_cmp_ne_u32_e32 vcc_lo, 7, v1
	ds_load_b32 v3, v3 offset:192
	s_wait_alu 0xfffd
	v_add_co_ci_u32_e64 v4, null, 0, v2, vcc_lo
	v_cmp_gt_u32_e32 vcc_lo, 6, v1
	s_delay_alu instid0(VALU_DEP_2) | instskip(SKIP_2) | instid1(VALU_DEP_1)
	v_lshlrev_b32_e32 v4, 2, v4
	s_wait_alu 0xfffd
	v_cndmask_b32_e64 v1, 0, 2, vcc_lo
	v_add_lshl_u32 v1, v1, v2, 2
	v_lshlrev_b32_e32 v2, 2, v2
	s_delay_alu instid0(VALU_DEP_1)
	v_or_b32_e32 v2, 16, v2
	s_wait_dscnt 0x0
	ds_bpermute_b32 v4, v4, v3
	s_wait_dscnt 0x0
	v_add_nc_u32_e32 v3, v4, v3
	ds_bpermute_b32 v1, v1, v3
	s_wait_dscnt 0x0
	v_add_nc_u32_e32 v1, v1, v3
	;; [unrolled: 3-line block ×3, first 2 shown]
.LBB114_30:
	s_wait_alu 0xfffe
	s_or_b32 exec_lo, exec_lo, s5
	s_mov_b32 s5, 0
	s_branch .LBB114_377
.LBB114_31:
                                        ; implicit-def: $vgpr1
	s_cbranch_execz .LBB114_512
	s_branch .LBB114_368
.LBB114_32:
                                        ; implicit-def: $vgpr1
	s_branch .LBB114_512
.LBB114_33:
                                        ; implicit-def: $vgpr1
	s_branch .LBB114_512
.LBB114_34:
                                        ; implicit-def: $vgpr1
	s_cbranch_execz .LBB114_10
; %bb.35:
	s_sub_co_i32 s4, s36, s4
	s_mov_b32 s5, exec_lo
                                        ; implicit-def: $vgpr1
	v_cmpx_gt_u32_e64 s4, v0
	s_cbranch_execz .LBB114_37
; %bb.36:
	global_load_u8 v1, v0, s[2:3]
	s_wait_loadcnt 0x0
	v_cmp_ne_u16_e32 vcc_lo, 0, v1
	v_cndmask_b32_e64 v1, 0, 1, vcc_lo
.LBB114_37:
	s_or_b32 exec_lo, exec_lo, s5
	v_or_b32_e32 v3, 0x100, v0
	v_mov_b32_e32 v2, 0
	s_delay_alu instid0(VALU_DEP_2)
	v_cmp_gt_u32_e32 vcc_lo, s4, v3
	v_mov_b32_e32 v3, 0
	s_and_saveexec_b32 s5, vcc_lo
	s_cbranch_execz .LBB114_39
; %bb.38:
	global_load_u8 v3, v0, s[2:3] offset:256
	s_wait_loadcnt 0x0
	v_cmp_ne_u16_e32 vcc_lo, 0, v3
	s_wait_alu 0xfffd
	v_cndmask_b32_e64 v3, 0, 1, vcc_lo
.LBB114_39:
	s_wait_alu 0xfffe
	s_or_b32 exec_lo, exec_lo, s5
	v_or_b32_e32 v4, 0x200, v0
	s_mov_b32 s5, exec_lo
	s_delay_alu instid0(VALU_DEP_1)
	v_cmpx_gt_u32_e64 s4, v4
	s_cbranch_execz .LBB114_41
; %bb.40:
	global_load_u8 v2, v0, s[2:3] offset:512
	s_wait_loadcnt 0x0
	v_cmp_ne_u16_e32 vcc_lo, 0, v2
	s_wait_alu 0xfffd
	v_cndmask_b32_e64 v2, 0, 1, vcc_lo
.LBB114_41:
	s_wait_alu 0xfffe
	s_or_b32 exec_lo, exec_lo, s5
	v_or_b32_e32 v5, 0x300, v0
	v_mov_b32_e32 v4, 0
	s_delay_alu instid0(VALU_DEP_2)
	v_cmp_gt_u32_e32 vcc_lo, s4, v5
	v_mov_b32_e32 v5, 0
	s_and_saveexec_b32 s5, vcc_lo
	s_cbranch_execz .LBB114_43
; %bb.42:
	global_load_u8 v5, v0, s[2:3] offset:768
	s_wait_loadcnt 0x0
	v_cmp_ne_u16_e32 vcc_lo, 0, v5
	s_wait_alu 0xfffd
	v_cndmask_b32_e64 v5, 0, 1, vcc_lo
.LBB114_43:
	s_wait_alu 0xfffe
	s_or_b32 exec_lo, exec_lo, s5
	v_or_b32_e32 v6, 0x400, v0
	s_mov_b32 s5, exec_lo
	s_delay_alu instid0(VALU_DEP_1)
	v_cmpx_gt_u32_e64 s4, v6
	s_cbranch_execz .LBB114_45
; %bb.44:
	global_load_u8 v4, v0, s[2:3] offset:1024
	s_wait_loadcnt 0x0
	v_cmp_ne_u16_e32 vcc_lo, 0, v4
	s_wait_alu 0xfffd
	v_cndmask_b32_e64 v4, 0, 1, vcc_lo
.LBB114_45:
	s_wait_alu 0xfffe
	;; [unrolled: 30-line block ×63, first 2 shown]
	s_or_b32 exec_lo, exec_lo, s5
	v_or_b32_e32 v128, 0x7f00, v0
	s_delay_alu instid0(VALU_DEP_1)
	v_cmp_gt_u32_e32 vcc_lo, s4, v128
	v_mov_b32_e32 v128, 0
	s_and_saveexec_b32 s5, vcc_lo
	s_cbranch_execz .LBB114_291
; %bb.290:
	global_load_u8 v128, v0, s[2:3] offset:32512
	s_wait_loadcnt 0x0
	v_cmp_ne_u16_e64 vcc_lo, 0, v128
	s_wait_alu 0xfffd
	s_delay_alu instid0(VALU_DEP_1)
	v_cndmask_b32_e64 v128, 0, 1, vcc_lo
.LBB114_291:
	s_wait_alu 0xfffe
	s_or_b32 exec_lo, exec_lo, s5
	v_add_nc_u32_e32 v1, v3, v1
	s_min_u32 s2, s4, 0x100
	s_mov_b32 s3, exec_lo
	s_delay_alu instid0(VALU_DEP_1) | instskip(SKIP_1) | instid1(VALU_DEP_2)
	v_add3_u32 v1, v1, v2, v5
	v_mbcnt_lo_u32_b32 v2, -1, 0
	v_add3_u32 v1, v1, v4, v7
	s_delay_alu instid0(VALU_DEP_2) | instskip(SKIP_1) | instid1(VALU_DEP_3)
	v_cmp_ne_u32_e32 vcc_lo, 31, v2
	v_add_nc_u32_e32 v5, 1, v2
	v_add3_u32 v1, v1, v6, v9
	s_wait_alu 0xfffd
	v_add_co_ci_u32_e64 v3, null, 0, v2, vcc_lo
	v_cmp_gt_u32_e32 vcc_lo, 30, v2
	s_delay_alu instid0(VALU_DEP_3) | instskip(NEXT) | instid1(VALU_DEP_3)
	v_add3_u32 v1, v1, v8, v11
	v_lshlrev_b32_e32 v3, 2, v3
	s_wait_alu 0xfffd
	v_cndmask_b32_e64 v6, 0, 2, vcc_lo
	s_delay_alu instid0(VALU_DEP_3) | instskip(NEXT) | instid1(VALU_DEP_1)
	v_add3_u32 v1, v1, v10, v13
	v_add3_u32 v1, v1, v12, v15
	s_delay_alu instid0(VALU_DEP_1) | instskip(NEXT) | instid1(VALU_DEP_1)
	v_add3_u32 v1, v1, v14, v17
	v_add3_u32 v1, v1, v16, v19
	s_delay_alu instid0(VALU_DEP_1) | instskip(NEXT) | instid1(VALU_DEP_1)
	;; [unrolled: 3-line block ×28, first 2 shown]
	v_add3_u32 v1, v1, v122, v125
	v_add3_u32 v1, v1, v124, v127
	s_delay_alu instid0(VALU_DEP_1) | instskip(SKIP_2) | instid1(VALU_DEP_1)
	v_add3_u32 v1, v1, v126, v128
	ds_bpermute_b32 v3, v3, v1
	v_and_b32_e32 v4, 0xe0, v0
	v_sub_nc_u32_e64 v4, s2, v4 clamp
	s_delay_alu instid0(VALU_DEP_1)
	v_cmp_lt_u32_e32 vcc_lo, v5, v4
	v_add_lshl_u32 v5, v6, v2, 2
	s_wait_dscnt 0x0
	s_wait_alu 0xfffd
	v_cndmask_b32_e32 v3, 0, v3, vcc_lo
	v_cmp_gt_u32_e32 vcc_lo, 28, v2
	s_delay_alu instid0(VALU_DEP_2) | instskip(SKIP_4) | instid1(VALU_DEP_1)
	v_add_nc_u32_e32 v1, v3, v1
	s_wait_alu 0xfffd
	v_cndmask_b32_e64 v6, 0, 4, vcc_lo
	ds_bpermute_b32 v3, v5, v1
	v_add_nc_u32_e32 v5, 2, v2
	v_cmp_lt_u32_e32 vcc_lo, v5, v4
	v_add_lshl_u32 v5, v6, v2, 2
	s_wait_dscnt 0x0
	s_wait_alu 0xfffd
	v_cndmask_b32_e32 v3, 0, v3, vcc_lo
	v_cmp_gt_u32_e32 vcc_lo, 24, v2
	s_delay_alu instid0(VALU_DEP_2) | instskip(SKIP_4) | instid1(VALU_DEP_1)
	v_add_nc_u32_e32 v1, v1, v3
	s_wait_alu 0xfffd
	v_cndmask_b32_e64 v6, 0, 8, vcc_lo
	ds_bpermute_b32 v3, v5, v1
	v_add_nc_u32_e32 v5, 4, v2
	v_cmp_lt_u32_e32 vcc_lo, v5, v4
	v_add_lshl_u32 v5, v6, v2, 2
	s_wait_dscnt 0x0
	s_wait_alu 0xfffd
	v_dual_cndmask_b32 v3, 0, v3 :: v_dual_add_nc_u32 v6, 8, v2
	s_delay_alu instid0(VALU_DEP_1) | instskip(NEXT) | instid1(VALU_DEP_2)
	v_cmp_lt_u32_e32 vcc_lo, v6, v4
	v_add_nc_u32_e32 v1, v1, v3
	v_lshlrev_b32_e32 v3, 2, v2
	ds_bpermute_b32 v5, v5, v1
	v_or_b32_e32 v6, 64, v3
	s_wait_dscnt 0x0
	s_wait_alu 0xfffd
	v_cndmask_b32_e32 v5, 0, v5, vcc_lo
	s_delay_alu instid0(VALU_DEP_1) | instskip(SKIP_2) | instid1(VALU_DEP_1)
	v_add_nc_u32_e32 v1, v1, v5
	ds_bpermute_b32 v5, v6, v1
	v_add_nc_u32_e32 v6, 16, v2
	v_cmp_lt_u32_e32 vcc_lo, v6, v4
	s_wait_dscnt 0x0
	s_wait_alu 0xfffd
	v_cndmask_b32_e32 v4, 0, v5, vcc_lo
	s_delay_alu instid0(VALU_DEP_1)
	v_add_nc_u32_e32 v1, v1, v4
	v_cmpx_eq_u32_e32 0, v2
; %bb.292:
	v_lshrrev_b32_e32 v4, 3, v0
	s_delay_alu instid0(VALU_DEP_1)
	v_and_b32_e32 v4, 28, v4
	ds_store_b32 v4, v1 offset:256
; %bb.293:
	s_or_b32 exec_lo, exec_lo, s3
	s_delay_alu instid0(SALU_CYCLE_1)
	s_mov_b32 s3, exec_lo
	s_wait_loadcnt_dscnt 0x0
	s_barrier_signal -1
	s_barrier_wait -1
	global_inv scope:SCOPE_SE
	v_cmpx_gt_u32_e32 8, v0
	s_cbranch_execz .LBB114_295
; %bb.294:
	ds_load_b32 v1, v3 offset:256
	v_and_b32_e32 v4, 7, v2
	s_add_co_i32 s2, s2, 31
	s_wait_alu 0xfffe
	s_lshr_b32 s2, s2, 5
	s_delay_alu instid0(VALU_DEP_1) | instskip(SKIP_4) | instid1(VALU_DEP_2)
	v_cmp_ne_u32_e32 vcc_lo, 7, v4
	v_add_nc_u32_e32 v6, 1, v4
	s_wait_alu 0xfffd
	v_add_co_ci_u32_e64 v5, null, 0, v2, vcc_lo
	v_cmp_gt_u32_e32 vcc_lo, 6, v4
	v_lshlrev_b32_e32 v5, 2, v5
	s_wait_alu 0xfffd
	v_cndmask_b32_e64 v7, 0, 2, vcc_lo
	s_wait_alu 0xfffe
	v_cmp_gt_u32_e32 vcc_lo, s2, v6
	s_wait_dscnt 0x0
	ds_bpermute_b32 v5, v5, v1
	v_add_lshl_u32 v2, v7, v2, 2
	s_wait_dscnt 0x0
	s_wait_alu 0xfffd
	v_cndmask_b32_e32 v5, 0, v5, vcc_lo
	s_delay_alu instid0(VALU_DEP_1)
	v_add_nc_u32_e32 v1, v5, v1
	v_add_nc_u32_e32 v5, 2, v4
	ds_bpermute_b32 v2, v2, v1
	v_cmp_gt_u32_e32 vcc_lo, s2, v5
	s_wait_dscnt 0x0
	s_wait_alu 0xfffd
	v_cndmask_b32_e32 v2, 0, v2, vcc_lo
	s_delay_alu instid0(VALU_DEP_1)
	v_add_nc_u32_e32 v1, v1, v2
	v_or_b32_e32 v2, 16, v3
	v_add_nc_u32_e32 v3, 4, v4
	ds_bpermute_b32 v2, v2, v1
	v_cmp_gt_u32_e32 vcc_lo, s2, v3
	s_wait_dscnt 0x0
	s_wait_alu 0xfffd
	v_cndmask_b32_e32 v2, 0, v2, vcc_lo
	s_delay_alu instid0(VALU_DEP_1)
	v_add_nc_u32_e32 v1, v1, v2
.LBB114_295:
	s_wait_alu 0xfffe
	s_or_b32 exec_lo, exec_lo, s3
	v_cmp_eq_u32_e64 s2, 0, v0
	s_and_b32 vcc_lo, exec_lo, s6
	s_wait_alu 0xfffe
	s_cbranch_vccnz .LBB114_24
	s_branch .LBB114_11
.LBB114_296:
	s_mov_b32 s3, -1
                                        ; implicit-def: $vgpr1
.LBB114_297:
	s_delay_alu instid0(SALU_CYCLE_1)
	s_and_b32 vcc_lo, exec_lo, s3
	s_wait_alu 0xfffe
	s_cbranch_vccz .LBB114_367
; %bb.298:
	v_mov_b32_e32 v1, 0
	s_sub_co_i32 s45, s36, s2
	s_delay_alu instid0(SALU_CYCLE_1) | instskip(NEXT) | instid1(VALU_DEP_2)
	v_cmp_gt_u32_e32 vcc_lo, s45, v0
	v_dual_mov_b32 v2, v1 :: v_dual_mov_b32 v3, v1
	v_dual_mov_b32 v4, v1 :: v_dual_mov_b32 v5, v1
	;; [unrolled: 1-line block ×15, first 2 shown]
	v_mov_b32_e32 v32, v1
	s_and_saveexec_b32 s2, vcc_lo
	s_cbranch_execz .LBB114_300
; %bb.299:
	global_load_u8 v2, v0, s[42:43]
	v_mov_b32_e32 v33, v1
	v_dual_mov_b32 v3, v1 :: v_dual_mov_b32 v4, v1
	v_dual_mov_b32 v5, v1 :: v_dual_mov_b32 v6, v1
	v_dual_mov_b32 v7, v1 :: v_dual_mov_b32 v8, v1
	v_dual_mov_b32 v9, v1 :: v_dual_mov_b32 v10, v1
	v_dual_mov_b32 v11, v1 :: v_dual_mov_b32 v12, v1
	v_dual_mov_b32 v13, v1 :: v_dual_mov_b32 v14, v1
	v_dual_mov_b32 v15, v1 :: v_dual_mov_b32 v16, v1
	v_dual_mov_b32 v17, v1 :: v_dual_mov_b32 v18, v1
	v_dual_mov_b32 v19, v1 :: v_dual_mov_b32 v20, v1
	v_dual_mov_b32 v21, v1 :: v_dual_mov_b32 v22, v1
	v_dual_mov_b32 v23, v1 :: v_dual_mov_b32 v24, v1
	v_dual_mov_b32 v25, v1 :: v_dual_mov_b32 v26, v1
	v_dual_mov_b32 v27, v1 :: v_dual_mov_b32 v28, v1
	v_dual_mov_b32 v29, v1 :: v_dual_mov_b32 v30, v1
	v_dual_mov_b32 v31, v1 :: v_dual_mov_b32 v32, v1
	s_wait_loadcnt 0x0
	v_cmp_ne_u16_e32 vcc_lo, 0, v2
	s_wait_alu 0xfffd
	v_cndmask_b32_e64 v2, 0, 1, vcc_lo
	s_delay_alu instid0(VALU_DEP_1)
	v_mov_b32_e32 v1, v2
	v_mov_b32_e32 v2, v3
	;; [unrolled: 1-line block ×32, first 2 shown]
.LBB114_300:
	s_or_b32 exec_lo, exec_lo, s2
	v_or_b32_e32 v33, 0x100, v0
	s_delay_alu instid0(VALU_DEP_1)
	v_cmp_gt_u32_e32 vcc_lo, s45, v33
	s_and_saveexec_b32 s3, vcc_lo
	s_cbranch_execz .LBB114_302
; %bb.301:
	global_load_u8 v2, v0, s[42:43] offset:256
	s_wait_loadcnt 0x0
	v_cmp_ne_u16_e64 s2, 0, v2
	s_delay_alu instid0(VALU_DEP_1)
	v_cndmask_b32_e64 v2, 0, 1, s2
.LBB114_302:
	s_or_b32 exec_lo, exec_lo, s3
	v_or_b32_e32 v33, 0x200, v0
	s_delay_alu instid0(VALU_DEP_1)
	v_cmp_gt_u32_e64 s2, s45, v33
	s_and_saveexec_b32 s4, s2
	s_cbranch_execz .LBB114_304
; %bb.303:
	global_load_u8 v3, v0, s[42:43] offset:512
	s_wait_loadcnt 0x0
	v_cmp_ne_u16_e64 s3, 0, v3
	s_wait_alu 0xf1ff
	s_delay_alu instid0(VALU_DEP_1)
	v_cndmask_b32_e64 v3, 0, 1, s3
.LBB114_304:
	s_or_b32 exec_lo, exec_lo, s4
	v_or_b32_e32 v33, 0x300, v0
	s_delay_alu instid0(VALU_DEP_1)
	v_cmp_gt_u32_e64 s3, s45, v33
	s_and_saveexec_b32 s5, s3
	s_cbranch_execz .LBB114_306
; %bb.305:
	global_load_u8 v4, v0, s[42:43] offset:768
	s_wait_loadcnt 0x0
	v_cmp_ne_u16_e64 s4, 0, v4
	s_delay_alu instid0(VALU_DEP_1)
	v_cndmask_b32_e64 v4, 0, 1, s4
.LBB114_306:
	s_or_b32 exec_lo, exec_lo, s5
	v_or_b32_e32 v33, 0x400, v0
	s_delay_alu instid0(VALU_DEP_1)
	v_cmp_gt_u32_e64 s4, s45, v33
	s_and_saveexec_b32 s6, s4
	s_cbranch_execz .LBB114_308
; %bb.307:
	global_load_u8 v5, v0, s[42:43] offset:1024
	s_wait_loadcnt 0x0
	v_cmp_ne_u16_e64 s5, 0, v5
	s_wait_alu 0xf1ff
	s_delay_alu instid0(VALU_DEP_1)
	v_cndmask_b32_e64 v5, 0, 1, s5
.LBB114_308:
	s_or_b32 exec_lo, exec_lo, s6
	v_or_b32_e32 v33, 0x500, v0
	s_delay_alu instid0(VALU_DEP_1)
	v_cmp_gt_u32_e64 s5, s45, v33
	s_and_saveexec_b32 s7, s5
	;; [unrolled: 27-line block ×15, first 2 shown]
	s_cbranch_execz .LBB114_362
; %bb.361:
	global_load_u8 v32, v0, s[42:43] offset:7936
	s_wait_loadcnt 0x0
	v_cmp_ne_u16_e64 s33, 0, v32
	s_delay_alu instid0(VALU_DEP_1)
	v_cndmask_b32_e64 v32, 0, 1, s33
.LBB114_362:
	s_or_b32 exec_lo, exec_lo, s46
	v_cndmask_b32_e32 v2, 0, v2, vcc_lo
	v_cndmask_b32_e64 v3, 0, v3, s2
	v_cndmask_b32_e64 v4, 0, v4, s3
	s_min_u32 s2, s45, 0x100
	s_mov_b32 s3, exec_lo
	v_add_nc_u32_e32 v1, v2, v1
	v_cndmask_b32_e64 v2, 0, v5, s4
	v_cndmask_b32_e64 v5, 0, v6, s5
	;; [unrolled: 1-line block ×3, first 2 shown]
	s_delay_alu instid0(VALU_DEP_4) | instskip(SKIP_3) | instid1(VALU_DEP_4)
	v_add3_u32 v1, v1, v3, v4
	v_cndmask_b32_e64 v3, 0, v7, s6
	v_cndmask_b32_e64 v4, 0, v8, s7
	;; [unrolled: 1-line block ×3, first 2 shown]
	v_add3_u32 v1, v1, v2, v5
	v_cndmask_b32_e64 v2, 0, v9, s8
	v_cndmask_b32_e64 v5, 0, v10, s9
	s_delay_alu instid0(VALU_DEP_3) | instskip(SKIP_2) | instid1(VALU_DEP_3)
	v_add3_u32 v1, v1, v3, v4
	v_cndmask_b32_e64 v3, 0, v11, s10
	v_cndmask_b32_e64 v4, 0, v12, s11
	v_add3_u32 v1, v1, v2, v5
	v_cndmask_b32_e64 v2, 0, v13, s12
	v_cndmask_b32_e64 v5, 0, v14, s13
	s_delay_alu instid0(VALU_DEP_3) | instskip(SKIP_2) | instid1(VALU_DEP_3)
	v_add3_u32 v1, v1, v3, v4
	v_cndmask_b32_e64 v3, 0, v15, s14
	v_cndmask_b32_e64 v4, 0, v16, s15
	;; [unrolled: 7-line block ×5, first 2 shown]
	v_add3_u32 v1, v1, v2, v5
	v_mbcnt_lo_u32_b32 v2, -1, 0
	v_cndmask_b32_e64 v5, 0, v29, s28
	s_delay_alu instid0(VALU_DEP_3) | instskip(NEXT) | instid1(VALU_DEP_3)
	v_add3_u32 v1, v1, v3, v4
	v_cmp_ne_u32_e32 vcc_lo, 31, v2
	v_cndmask_b32_e64 v3, 0, v32, s31
	s_delay_alu instid0(VALU_DEP_3)
	v_add3_u32 v1, v1, v5, v6
	s_wait_alu 0xfffd
	v_add_co_ci_u32_e64 v4, null, 0, v2, vcc_lo
	v_add_nc_u32_e32 v5, 1, v2
	v_cmp_gt_u32_e32 vcc_lo, 30, v2
	v_add3_u32 v1, v1, v7, v3
	s_delay_alu instid0(VALU_DEP_4)
	v_lshlrev_b32_e32 v4, 2, v4
	s_wait_alu 0xfffd
	v_cndmask_b32_e64 v6, 0, 2, vcc_lo
	ds_bpermute_b32 v3, v4, v1
	v_and_b32_e32 v4, 0xe0, v0
	s_wait_alu 0xfffe
	s_delay_alu instid0(VALU_DEP_1) | instskip(NEXT) | instid1(VALU_DEP_1)
	v_sub_nc_u32_e64 v4, s2, v4 clamp
	v_cmp_lt_u32_e32 vcc_lo, v5, v4
	v_add_lshl_u32 v5, v6, v2, 2
	s_wait_dscnt 0x0
	s_wait_alu 0xfffd
	v_cndmask_b32_e32 v3, 0, v3, vcc_lo
	v_cmp_gt_u32_e32 vcc_lo, 28, v2
	s_delay_alu instid0(VALU_DEP_2) | instskip(SKIP_4) | instid1(VALU_DEP_1)
	v_add_nc_u32_e32 v1, v1, v3
	s_wait_alu 0xfffd
	v_cndmask_b32_e64 v6, 0, 4, vcc_lo
	ds_bpermute_b32 v3, v5, v1
	v_add_nc_u32_e32 v5, 2, v2
	v_cmp_lt_u32_e32 vcc_lo, v5, v4
	v_add_lshl_u32 v5, v6, v2, 2
	s_wait_dscnt 0x0
	s_wait_alu 0xfffd
	v_cndmask_b32_e32 v3, 0, v3, vcc_lo
	v_cmp_gt_u32_e32 vcc_lo, 24, v2
	s_delay_alu instid0(VALU_DEP_2) | instskip(SKIP_4) | instid1(VALU_DEP_1)
	v_add_nc_u32_e32 v1, v1, v3
	s_wait_alu 0xfffd
	v_cndmask_b32_e64 v6, 0, 8, vcc_lo
	ds_bpermute_b32 v3, v5, v1
	v_add_nc_u32_e32 v5, 4, v2
	v_cmp_lt_u32_e32 vcc_lo, v5, v4
	v_add_lshl_u32 v5, v6, v2, 2
	s_wait_dscnt 0x0
	s_wait_alu 0xfffd
	v_cndmask_b32_e32 v3, 0, v3, vcc_lo
	s_delay_alu instid0(VALU_DEP_1) | instskip(SKIP_3) | instid1(VALU_DEP_1)
	v_add_nc_u32_e32 v1, v1, v3
	v_lshlrev_b32_e32 v3, 2, v2
	ds_bpermute_b32 v5, v5, v1
	v_add_nc_u32_e32 v6, 8, v2
	v_cmp_lt_u32_e32 vcc_lo, v6, v4
	v_or_b32_e32 v6, 64, v3
	s_wait_dscnt 0x0
	s_wait_alu 0xfffd
	v_cndmask_b32_e32 v5, 0, v5, vcc_lo
	s_delay_alu instid0(VALU_DEP_1) | instskip(SKIP_2) | instid1(VALU_DEP_1)
	v_add_nc_u32_e32 v1, v1, v5
	ds_bpermute_b32 v5, v6, v1
	v_add_nc_u32_e32 v6, 16, v2
	v_cmp_lt_u32_e32 vcc_lo, v6, v4
	s_wait_dscnt 0x0
	s_wait_alu 0xfffd
	v_cndmask_b32_e32 v4, 0, v5, vcc_lo
	s_delay_alu instid0(VALU_DEP_1)
	v_add_nc_u32_e32 v1, v1, v4
	v_cmpx_eq_u32_e32 0, v2
; %bb.363:
	v_lshrrev_b32_e32 v4, 3, v0
	s_delay_alu instid0(VALU_DEP_1)
	v_and_b32_e32 v4, 28, v4
	ds_store_b32 v4, v1 offset:256
; %bb.364:
	s_or_b32 exec_lo, exec_lo, s3
	s_delay_alu instid0(SALU_CYCLE_1)
	s_mov_b32 s3, exec_lo
	s_wait_loadcnt_dscnt 0x0
	s_barrier_signal -1
	s_barrier_wait -1
	global_inv scope:SCOPE_SE
	v_cmpx_gt_u32_e32 8, v0
	s_cbranch_execz .LBB114_366
; %bb.365:
	ds_load_b32 v1, v3 offset:256
	v_and_b32_e32 v4, 7, v2
	s_add_co_i32 s2, s2, 31
	s_wait_alu 0xfffe
	s_lshr_b32 s2, s2, 5
	s_delay_alu instid0(VALU_DEP_1) | instskip(SKIP_4) | instid1(VALU_DEP_2)
	v_cmp_ne_u32_e32 vcc_lo, 7, v4
	v_add_nc_u32_e32 v6, 1, v4
	s_wait_alu 0xfffd
	v_add_co_ci_u32_e64 v5, null, 0, v2, vcc_lo
	v_cmp_gt_u32_e32 vcc_lo, 6, v4
	v_lshlrev_b32_e32 v5, 2, v5
	s_wait_alu 0xfffd
	v_cndmask_b32_e64 v7, 0, 2, vcc_lo
	s_wait_alu 0xfffe
	v_cmp_gt_u32_e32 vcc_lo, s2, v6
	s_wait_dscnt 0x0
	ds_bpermute_b32 v5, v5, v1
	v_add_lshl_u32 v2, v7, v2, 2
	s_wait_dscnt 0x0
	s_wait_alu 0xfffd
	v_cndmask_b32_e32 v5, 0, v5, vcc_lo
	s_delay_alu instid0(VALU_DEP_1)
	v_add_nc_u32_e32 v1, v5, v1
	v_add_nc_u32_e32 v5, 2, v4
	ds_bpermute_b32 v2, v2, v1
	v_cmp_gt_u32_e32 vcc_lo, s2, v5
	s_wait_dscnt 0x0
	s_wait_alu 0xfffd
	v_cndmask_b32_e32 v2, 0, v2, vcc_lo
	s_delay_alu instid0(VALU_DEP_1)
	v_add_nc_u32_e32 v1, v1, v2
	v_or_b32_e32 v2, 16, v3
	v_add_nc_u32_e32 v3, 4, v4
	ds_bpermute_b32 v2, v2, v1
	v_cmp_gt_u32_e32 vcc_lo, s2, v3
	s_wait_dscnt 0x0
	s_wait_alu 0xfffd
	v_cndmask_b32_e32 v2, 0, v2, vcc_lo
	s_delay_alu instid0(VALU_DEP_1)
	v_add_nc_u32_e32 v1, v1, v2
.LBB114_366:
	s_wait_alu 0xfffe
	s_or_b32 exec_lo, exec_lo, s3
.LBB114_367:
	v_cmp_eq_u32_e64 s2, 0, v0
	s_branch .LBB114_512
.LBB114_368:
	s_cmp_eq_u32 s44, 16
	s_cbranch_scc0 .LBB114_375
; %bb.369:
	s_mov_b32 s35, 0
	s_lshl_b32 s2, s34, 12
	s_lshr_b64 s[4:5], s[36:37], 12
	s_mov_b32 s3, s35
	s_cmp_lg_u64 s[4:5], s[34:35]
	s_add_nc_u64 s[16:17], s[40:41], s[2:3]
	s_cbranch_scc0 .LBB114_533
; %bb.370:
	s_clause 0xf
	global_load_u8 v1, v0, s[16:17]
	global_load_u8 v2, v0, s[16:17] offset:512
	global_load_u8 v3, v0, s[16:17] offset:256
	;; [unrolled: 1-line block ×15, first 2 shown]
	s_mov_b32 s3, exec_lo
	s_wait_loadcnt 0xf
	v_cmp_ne_u16_e32 vcc_lo, 0, v1
	v_cndmask_b32_e64 v1, 0, 1, vcc_lo
	s_wait_loadcnt 0xe
	v_cmp_ne_u16_e32 vcc_lo, 0, v2
	s_wait_alu 0xfffd
	v_cndmask_b32_e64 v2, 0, 1, vcc_lo
	s_wait_loadcnt 0xd
	v_cmp_ne_u16_e32 vcc_lo, 0, v3
	s_wait_alu 0xfffd
	v_add_co_ci_u32_e64 v1, null, 0, v1, vcc_lo
	s_wait_loadcnt 0xc
	v_cmp_ne_u16_e32 vcc_lo, 0, v4
	s_wait_alu 0xfffd
	v_cndmask_b32_e64 v3, 0, 1, vcc_lo
	s_wait_loadcnt 0xb
	v_cmp_ne_u16_e32 vcc_lo, 0, v5
	s_wait_alu 0xfffd
	v_add_co_ci_u32_e64 v1, null, v1, v2, vcc_lo
	;; [unrolled: 8-line block ×7, first 2 shown]
	s_wait_loadcnt 0x0
	v_cmp_ne_u16_e32 vcc_lo, 0, v16
	s_wait_alu 0xfffd
	s_delay_alu instid0(VALU_DEP_2) | instskip(NEXT) | instid1(VALU_DEP_1)
	v_add_co_ci_u32_e64 v1, null, v1, v2, vcc_lo
	v_mov_b32_dpp v2, v1 quad_perm:[1,0,3,2] row_mask:0xf bank_mask:0xf
	s_delay_alu instid0(VALU_DEP_1) | instskip(NEXT) | instid1(VALU_DEP_1)
	v_add_nc_u32_e32 v1, v1, v2
	v_mov_b32_dpp v2, v1 quad_perm:[2,3,0,1] row_mask:0xf bank_mask:0xf
	s_delay_alu instid0(VALU_DEP_1) | instskip(NEXT) | instid1(VALU_DEP_1)
	v_add_nc_u32_e32 v1, v1, v2
	v_mov_b32_dpp v2, v1 row_ror:4 row_mask:0xf bank_mask:0xf
	s_delay_alu instid0(VALU_DEP_1) | instskip(NEXT) | instid1(VALU_DEP_1)
	v_add_nc_u32_e32 v1, v1, v2
	v_mov_b32_dpp v2, v1 row_ror:8 row_mask:0xf bank_mask:0xf
	s_delay_alu instid0(VALU_DEP_1)
	v_add_nc_u32_e32 v1, v1, v2
	ds_swizzle_b32 v2, v1 offset:swizzle(BROADCAST,32,15)
	s_wait_dscnt 0x0
	v_dual_mov_b32 v2, 0 :: v_dual_add_nc_u32 v1, v1, v2
	ds_bpermute_b32 v1, v2, v1 offset:124
	v_mbcnt_lo_u32_b32 v2, -1, 0
	s_delay_alu instid0(VALU_DEP_1)
	v_cmpx_eq_u32_e32 0, v2
	s_cbranch_execz .LBB114_372
; %bb.371:
	v_lshrrev_b32_e32 v3, 3, v0
	s_delay_alu instid0(VALU_DEP_1)
	v_and_b32_e32 v3, 28, v3
	s_wait_dscnt 0x0
	ds_store_b32 v3, v1 offset:32
.LBB114_372:
	s_or_b32 exec_lo, exec_lo, s3
	s_delay_alu instid0(SALU_CYCLE_1)
	s_mov_b32 s3, exec_lo
	s_wait_dscnt 0x0
	s_barrier_signal -1
	s_barrier_wait -1
	global_inv scope:SCOPE_SE
	v_cmpx_gt_u32_e32 32, v0
	s_cbranch_execz .LBB114_374
; %bb.373:
	v_and_b32_e32 v1, 7, v2
	s_delay_alu instid0(VALU_DEP_1)
	v_lshlrev_b32_e32 v3, 2, v1
	v_cmp_ne_u32_e32 vcc_lo, 7, v1
	ds_load_b32 v3, v3 offset:32
	s_wait_alu 0xfffd
	v_add_co_ci_u32_e64 v4, null, 0, v2, vcc_lo
	v_cmp_gt_u32_e32 vcc_lo, 6, v1
	s_delay_alu instid0(VALU_DEP_2) | instskip(SKIP_2) | instid1(VALU_DEP_1)
	v_lshlrev_b32_e32 v4, 2, v4
	s_wait_alu 0xfffd
	v_cndmask_b32_e64 v1, 0, 2, vcc_lo
	v_add_lshl_u32 v1, v1, v2, 2
	v_lshlrev_b32_e32 v2, 2, v2
	s_delay_alu instid0(VALU_DEP_1)
	v_or_b32_e32 v2, 16, v2
	s_wait_dscnt 0x0
	ds_bpermute_b32 v4, v4, v3
	s_wait_dscnt 0x0
	v_add_nc_u32_e32 v3, v4, v3
	ds_bpermute_b32 v1, v1, v3
	s_wait_dscnt 0x0
	v_add_nc_u32_e32 v1, v1, v3
	;; [unrolled: 3-line block ×3, first 2 shown]
.LBB114_374:
	s_or_b32 exec_lo, exec_lo, s3
	s_mov_b32 s3, 0
	s_branch .LBB114_534
.LBB114_375:
                                        ; implicit-def: $vgpr1
	s_branch .LBB114_623
.LBB114_376:
	s_mov_b32 s5, -1
                                        ; implicit-def: $vgpr1
.LBB114_377:
	s_wait_alu 0xfffe
	s_and_b32 vcc_lo, exec_lo, s5
	s_wait_alu 0xfffe
	s_cbranch_vccz .LBB114_511
; %bb.378:
	s_sub_co_i32 s4, s36, s4
	s_mov_b32 s5, exec_lo
                                        ; implicit-def: $vgpr1
	s_wait_alu 0xfffe
	v_cmpx_gt_u32_e64 s4, v0
	s_cbranch_execz .LBB114_380
; %bb.379:
	global_load_u8 v1, v0, s[2:3]
	s_wait_loadcnt 0x0
	v_cmp_ne_u16_e32 vcc_lo, 0, v1
	s_wait_alu 0xfffd
	v_cndmask_b32_e64 v1, 0, 1, vcc_lo
.LBB114_380:
	s_or_b32 exec_lo, exec_lo, s5
	v_or_b32_e32 v3, 0x100, v0
	v_mov_b32_e32 v2, 0
	s_delay_alu instid0(VALU_DEP_2)
	v_cmp_gt_u32_e32 vcc_lo, s4, v3
	v_mov_b32_e32 v3, 0
	s_and_saveexec_b32 s5, vcc_lo
	s_cbranch_execz .LBB114_382
; %bb.381:
	global_load_u8 v3, v0, s[2:3] offset:256
	s_wait_loadcnt 0x0
	v_cmp_ne_u16_e32 vcc_lo, 0, v3
	s_wait_alu 0xfffd
	v_cndmask_b32_e64 v3, 0, 1, vcc_lo
.LBB114_382:
	s_wait_alu 0xfffe
	s_or_b32 exec_lo, exec_lo, s5
	v_or_b32_e32 v4, 0x200, v0
	s_mov_b32 s5, exec_lo
	s_delay_alu instid0(VALU_DEP_1)
	v_cmpx_gt_u32_e64 s4, v4
	s_cbranch_execz .LBB114_384
; %bb.383:
	global_load_u8 v2, v0, s[2:3] offset:512
	s_wait_loadcnt 0x0
	v_cmp_ne_u16_e32 vcc_lo, 0, v2
	s_wait_alu 0xfffd
	v_cndmask_b32_e64 v2, 0, 1, vcc_lo
.LBB114_384:
	s_wait_alu 0xfffe
	s_or_b32 exec_lo, exec_lo, s5
	v_or_b32_e32 v5, 0x300, v0
	v_mov_b32_e32 v4, 0
	s_delay_alu instid0(VALU_DEP_2)
	v_cmp_gt_u32_e32 vcc_lo, s4, v5
	v_mov_b32_e32 v5, 0
	s_and_saveexec_b32 s5, vcc_lo
	s_cbranch_execz .LBB114_386
; %bb.385:
	global_load_u8 v5, v0, s[2:3] offset:768
	s_wait_loadcnt 0x0
	v_cmp_ne_u16_e32 vcc_lo, 0, v5
	s_wait_alu 0xfffd
	v_cndmask_b32_e64 v5, 0, 1, vcc_lo
.LBB114_386:
	s_wait_alu 0xfffe
	s_or_b32 exec_lo, exec_lo, s5
	v_or_b32_e32 v6, 0x400, v0
	s_mov_b32 s5, exec_lo
	s_delay_alu instid0(VALU_DEP_1)
	v_cmpx_gt_u32_e64 s4, v6
	s_cbranch_execz .LBB114_388
; %bb.387:
	global_load_u8 v4, v0, s[2:3] offset:1024
	s_wait_loadcnt 0x0
	v_cmp_ne_u16_e32 vcc_lo, 0, v4
	s_wait_alu 0xfffd
	v_cndmask_b32_e64 v4, 0, 1, vcc_lo
.LBB114_388:
	s_wait_alu 0xfffe
	s_or_b32 exec_lo, exec_lo, s5
	v_or_b32_e32 v7, 0x500, v0
	v_mov_b32_e32 v6, 0
	s_delay_alu instid0(VALU_DEP_2)
	v_cmp_gt_u32_e32 vcc_lo, s4, v7
	v_mov_b32_e32 v7, 0
	s_and_saveexec_b32 s5, vcc_lo
	s_cbranch_execz .LBB114_390
; %bb.389:
	global_load_u8 v7, v0, s[2:3] offset:1280
	s_wait_loadcnt 0x0
	v_cmp_ne_u16_e32 vcc_lo, 0, v7
	s_wait_alu 0xfffd
	v_cndmask_b32_e64 v7, 0, 1, vcc_lo
.LBB114_390:
	s_wait_alu 0xfffe
	s_or_b32 exec_lo, exec_lo, s5
	v_or_b32_e32 v8, 0x600, v0
	s_mov_b32 s5, exec_lo
	s_delay_alu instid0(VALU_DEP_1)
	v_cmpx_gt_u32_e64 s4, v8
	s_cbranch_execz .LBB114_392
; %bb.391:
	global_load_u8 v6, v0, s[2:3] offset:1536
	s_wait_loadcnt 0x0
	v_cmp_ne_u16_e32 vcc_lo, 0, v6
	s_wait_alu 0xfffd
	v_cndmask_b32_e64 v6, 0, 1, vcc_lo
.LBB114_392:
	s_wait_alu 0xfffe
	s_or_b32 exec_lo, exec_lo, s5
	v_or_b32_e32 v9, 0x700, v0
	v_mov_b32_e32 v8, 0
	s_delay_alu instid0(VALU_DEP_2)
	v_cmp_gt_u32_e32 vcc_lo, s4, v9
	v_mov_b32_e32 v9, 0
	s_and_saveexec_b32 s5, vcc_lo
	s_cbranch_execz .LBB114_394
; %bb.393:
	global_load_u8 v9, v0, s[2:3] offset:1792
	s_wait_loadcnt 0x0
	v_cmp_ne_u16_e32 vcc_lo, 0, v9
	s_wait_alu 0xfffd
	v_cndmask_b32_e64 v9, 0, 1, vcc_lo
.LBB114_394:
	s_wait_alu 0xfffe
	s_or_b32 exec_lo, exec_lo, s5
	v_or_b32_e32 v10, 0x800, v0
	s_mov_b32 s5, exec_lo
	s_delay_alu instid0(VALU_DEP_1)
	v_cmpx_gt_u32_e64 s4, v10
	s_cbranch_execz .LBB114_396
; %bb.395:
	global_load_u8 v8, v0, s[2:3] offset:2048
	s_wait_loadcnt 0x0
	v_cmp_ne_u16_e32 vcc_lo, 0, v8
	s_wait_alu 0xfffd
	v_cndmask_b32_e64 v8, 0, 1, vcc_lo
.LBB114_396:
	s_wait_alu 0xfffe
	s_or_b32 exec_lo, exec_lo, s5
	v_or_b32_e32 v11, 0x900, v0
	v_mov_b32_e32 v10, 0
	s_delay_alu instid0(VALU_DEP_2)
	v_cmp_gt_u32_e32 vcc_lo, s4, v11
	v_mov_b32_e32 v11, 0
	s_and_saveexec_b32 s5, vcc_lo
	s_cbranch_execz .LBB114_398
; %bb.397:
	global_load_u8 v11, v0, s[2:3] offset:2304
	s_wait_loadcnt 0x0
	v_cmp_ne_u16_e32 vcc_lo, 0, v11
	s_wait_alu 0xfffd
	v_cndmask_b32_e64 v11, 0, 1, vcc_lo
.LBB114_398:
	s_wait_alu 0xfffe
	s_or_b32 exec_lo, exec_lo, s5
	v_or_b32_e32 v12, 0xa00, v0
	s_mov_b32 s5, exec_lo
	s_delay_alu instid0(VALU_DEP_1)
	v_cmpx_gt_u32_e64 s4, v12
	s_cbranch_execz .LBB114_400
; %bb.399:
	global_load_u8 v10, v0, s[2:3] offset:2560
	s_wait_loadcnt 0x0
	v_cmp_ne_u16_e32 vcc_lo, 0, v10
	s_wait_alu 0xfffd
	v_cndmask_b32_e64 v10, 0, 1, vcc_lo
.LBB114_400:
	s_wait_alu 0xfffe
	s_or_b32 exec_lo, exec_lo, s5
	v_or_b32_e32 v13, 0xb00, v0
	v_mov_b32_e32 v12, 0
	s_delay_alu instid0(VALU_DEP_2)
	v_cmp_gt_u32_e32 vcc_lo, s4, v13
	v_mov_b32_e32 v13, 0
	s_and_saveexec_b32 s5, vcc_lo
	s_cbranch_execz .LBB114_402
; %bb.401:
	global_load_u8 v13, v0, s[2:3] offset:2816
	s_wait_loadcnt 0x0
	v_cmp_ne_u16_e32 vcc_lo, 0, v13
	s_wait_alu 0xfffd
	v_cndmask_b32_e64 v13, 0, 1, vcc_lo
.LBB114_402:
	s_wait_alu 0xfffe
	s_or_b32 exec_lo, exec_lo, s5
	v_or_b32_e32 v14, 0xc00, v0
	s_mov_b32 s5, exec_lo
	s_delay_alu instid0(VALU_DEP_1)
	v_cmpx_gt_u32_e64 s4, v14
	s_cbranch_execz .LBB114_404
; %bb.403:
	global_load_u8 v12, v0, s[2:3] offset:3072
	s_wait_loadcnt 0x0
	v_cmp_ne_u16_e32 vcc_lo, 0, v12
	s_wait_alu 0xfffd
	v_cndmask_b32_e64 v12, 0, 1, vcc_lo
.LBB114_404:
	s_wait_alu 0xfffe
	s_or_b32 exec_lo, exec_lo, s5
	v_or_b32_e32 v15, 0xd00, v0
	v_mov_b32_e32 v14, 0
	s_delay_alu instid0(VALU_DEP_2)
	v_cmp_gt_u32_e32 vcc_lo, s4, v15
	v_mov_b32_e32 v15, 0
	s_and_saveexec_b32 s5, vcc_lo
	s_cbranch_execz .LBB114_406
; %bb.405:
	global_load_u8 v15, v0, s[2:3] offset:3328
	s_wait_loadcnt 0x0
	v_cmp_ne_u16_e32 vcc_lo, 0, v15
	s_wait_alu 0xfffd
	v_cndmask_b32_e64 v15, 0, 1, vcc_lo
.LBB114_406:
	s_wait_alu 0xfffe
	s_or_b32 exec_lo, exec_lo, s5
	v_or_b32_e32 v16, 0xe00, v0
	s_mov_b32 s5, exec_lo
	s_delay_alu instid0(VALU_DEP_1)
	v_cmpx_gt_u32_e64 s4, v16
	s_cbranch_execz .LBB114_408
; %bb.407:
	global_load_u8 v14, v0, s[2:3] offset:3584
	s_wait_loadcnt 0x0
	v_cmp_ne_u16_e32 vcc_lo, 0, v14
	s_wait_alu 0xfffd
	v_cndmask_b32_e64 v14, 0, 1, vcc_lo
.LBB114_408:
	s_wait_alu 0xfffe
	s_or_b32 exec_lo, exec_lo, s5
	v_or_b32_e32 v17, 0xf00, v0
	v_mov_b32_e32 v16, 0
	s_delay_alu instid0(VALU_DEP_2)
	v_cmp_gt_u32_e32 vcc_lo, s4, v17
	v_mov_b32_e32 v17, 0
	s_and_saveexec_b32 s5, vcc_lo
	s_cbranch_execz .LBB114_410
; %bb.409:
	global_load_u8 v17, v0, s[2:3] offset:3840
	s_wait_loadcnt 0x0
	v_cmp_ne_u16_e32 vcc_lo, 0, v17
	s_wait_alu 0xfffd
	v_cndmask_b32_e64 v17, 0, 1, vcc_lo
.LBB114_410:
	s_wait_alu 0xfffe
	s_or_b32 exec_lo, exec_lo, s5
	v_or_b32_e32 v18, 0x1000, v0
	s_mov_b32 s5, exec_lo
	s_delay_alu instid0(VALU_DEP_1)
	v_cmpx_gt_u32_e64 s4, v18
	s_cbranch_execz .LBB114_412
; %bb.411:
	global_load_u8 v16, v0, s[2:3] offset:4096
	s_wait_loadcnt 0x0
	v_cmp_ne_u16_e32 vcc_lo, 0, v16
	s_wait_alu 0xfffd
	v_cndmask_b32_e64 v16, 0, 1, vcc_lo
.LBB114_412:
	s_wait_alu 0xfffe
	s_or_b32 exec_lo, exec_lo, s5
	v_or_b32_e32 v19, 0x1100, v0
	v_mov_b32_e32 v18, 0
	s_delay_alu instid0(VALU_DEP_2)
	v_cmp_gt_u32_e32 vcc_lo, s4, v19
	v_mov_b32_e32 v19, 0
	s_and_saveexec_b32 s5, vcc_lo
	s_cbranch_execz .LBB114_414
; %bb.413:
	global_load_u8 v19, v0, s[2:3] offset:4352
	s_wait_loadcnt 0x0
	v_cmp_ne_u16_e32 vcc_lo, 0, v19
	s_wait_alu 0xfffd
	v_cndmask_b32_e64 v19, 0, 1, vcc_lo
.LBB114_414:
	s_wait_alu 0xfffe
	s_or_b32 exec_lo, exec_lo, s5
	v_or_b32_e32 v20, 0x1200, v0
	s_mov_b32 s5, exec_lo
	s_delay_alu instid0(VALU_DEP_1)
	v_cmpx_gt_u32_e64 s4, v20
	s_cbranch_execz .LBB114_416
; %bb.415:
	global_load_u8 v18, v0, s[2:3] offset:4608
	s_wait_loadcnt 0x0
	v_cmp_ne_u16_e32 vcc_lo, 0, v18
	s_wait_alu 0xfffd
	v_cndmask_b32_e64 v18, 0, 1, vcc_lo
.LBB114_416:
	s_wait_alu 0xfffe
	s_or_b32 exec_lo, exec_lo, s5
	v_or_b32_e32 v21, 0x1300, v0
	v_mov_b32_e32 v20, 0
	s_delay_alu instid0(VALU_DEP_2)
	v_cmp_gt_u32_e32 vcc_lo, s4, v21
	v_mov_b32_e32 v21, 0
	s_and_saveexec_b32 s5, vcc_lo
	s_cbranch_execz .LBB114_418
; %bb.417:
	global_load_u8 v21, v0, s[2:3] offset:4864
	s_wait_loadcnt 0x0
	v_cmp_ne_u16_e32 vcc_lo, 0, v21
	s_wait_alu 0xfffd
	v_cndmask_b32_e64 v21, 0, 1, vcc_lo
.LBB114_418:
	s_wait_alu 0xfffe
	s_or_b32 exec_lo, exec_lo, s5
	v_or_b32_e32 v22, 0x1400, v0
	s_mov_b32 s5, exec_lo
	s_delay_alu instid0(VALU_DEP_1)
	v_cmpx_gt_u32_e64 s4, v22
	s_cbranch_execz .LBB114_420
; %bb.419:
	global_load_u8 v20, v0, s[2:3] offset:5120
	s_wait_loadcnt 0x0
	v_cmp_ne_u16_e32 vcc_lo, 0, v20
	s_wait_alu 0xfffd
	v_cndmask_b32_e64 v20, 0, 1, vcc_lo
.LBB114_420:
	s_wait_alu 0xfffe
	s_or_b32 exec_lo, exec_lo, s5
	v_or_b32_e32 v23, 0x1500, v0
	v_mov_b32_e32 v22, 0
	s_delay_alu instid0(VALU_DEP_2)
	v_cmp_gt_u32_e32 vcc_lo, s4, v23
	v_mov_b32_e32 v23, 0
	s_and_saveexec_b32 s5, vcc_lo
	s_cbranch_execz .LBB114_422
; %bb.421:
	global_load_u8 v23, v0, s[2:3] offset:5376
	s_wait_loadcnt 0x0
	v_cmp_ne_u16_e32 vcc_lo, 0, v23
	s_wait_alu 0xfffd
	v_cndmask_b32_e64 v23, 0, 1, vcc_lo
.LBB114_422:
	s_wait_alu 0xfffe
	s_or_b32 exec_lo, exec_lo, s5
	v_or_b32_e32 v24, 0x1600, v0
	s_mov_b32 s5, exec_lo
	s_delay_alu instid0(VALU_DEP_1)
	v_cmpx_gt_u32_e64 s4, v24
	s_cbranch_execz .LBB114_424
; %bb.423:
	global_load_u8 v22, v0, s[2:3] offset:5632
	s_wait_loadcnt 0x0
	v_cmp_ne_u16_e32 vcc_lo, 0, v22
	s_wait_alu 0xfffd
	v_cndmask_b32_e64 v22, 0, 1, vcc_lo
.LBB114_424:
	s_wait_alu 0xfffe
	s_or_b32 exec_lo, exec_lo, s5
	v_or_b32_e32 v25, 0x1700, v0
	v_mov_b32_e32 v24, 0
	s_delay_alu instid0(VALU_DEP_2)
	v_cmp_gt_u32_e32 vcc_lo, s4, v25
	v_mov_b32_e32 v25, 0
	s_and_saveexec_b32 s5, vcc_lo
	s_cbranch_execz .LBB114_426
; %bb.425:
	global_load_u8 v25, v0, s[2:3] offset:5888
	s_wait_loadcnt 0x0
	v_cmp_ne_u16_e32 vcc_lo, 0, v25
	s_wait_alu 0xfffd
	v_cndmask_b32_e64 v25, 0, 1, vcc_lo
.LBB114_426:
	s_wait_alu 0xfffe
	s_or_b32 exec_lo, exec_lo, s5
	v_or_b32_e32 v26, 0x1800, v0
	s_mov_b32 s5, exec_lo
	s_delay_alu instid0(VALU_DEP_1)
	v_cmpx_gt_u32_e64 s4, v26
	s_cbranch_execz .LBB114_428
; %bb.427:
	global_load_u8 v24, v0, s[2:3] offset:6144
	s_wait_loadcnt 0x0
	v_cmp_ne_u16_e32 vcc_lo, 0, v24
	s_wait_alu 0xfffd
	v_cndmask_b32_e64 v24, 0, 1, vcc_lo
.LBB114_428:
	s_wait_alu 0xfffe
	s_or_b32 exec_lo, exec_lo, s5
	v_or_b32_e32 v27, 0x1900, v0
	v_mov_b32_e32 v26, 0
	s_delay_alu instid0(VALU_DEP_2)
	v_cmp_gt_u32_e32 vcc_lo, s4, v27
	v_mov_b32_e32 v27, 0
	s_and_saveexec_b32 s5, vcc_lo
	s_cbranch_execz .LBB114_430
; %bb.429:
	global_load_u8 v27, v0, s[2:3] offset:6400
	s_wait_loadcnt 0x0
	v_cmp_ne_u16_e32 vcc_lo, 0, v27
	s_wait_alu 0xfffd
	v_cndmask_b32_e64 v27, 0, 1, vcc_lo
.LBB114_430:
	s_wait_alu 0xfffe
	s_or_b32 exec_lo, exec_lo, s5
	v_or_b32_e32 v28, 0x1a00, v0
	s_mov_b32 s5, exec_lo
	s_delay_alu instid0(VALU_DEP_1)
	v_cmpx_gt_u32_e64 s4, v28
	s_cbranch_execz .LBB114_432
; %bb.431:
	global_load_u8 v26, v0, s[2:3] offset:6656
	s_wait_loadcnt 0x0
	v_cmp_ne_u16_e32 vcc_lo, 0, v26
	s_wait_alu 0xfffd
	v_cndmask_b32_e64 v26, 0, 1, vcc_lo
.LBB114_432:
	s_wait_alu 0xfffe
	s_or_b32 exec_lo, exec_lo, s5
	v_or_b32_e32 v29, 0x1b00, v0
	v_mov_b32_e32 v28, 0
	s_delay_alu instid0(VALU_DEP_2)
	v_cmp_gt_u32_e32 vcc_lo, s4, v29
	v_mov_b32_e32 v29, 0
	s_and_saveexec_b32 s5, vcc_lo
	s_cbranch_execz .LBB114_434
; %bb.433:
	global_load_u8 v29, v0, s[2:3] offset:6912
	s_wait_loadcnt 0x0
	v_cmp_ne_u16_e32 vcc_lo, 0, v29
	s_wait_alu 0xfffd
	v_cndmask_b32_e64 v29, 0, 1, vcc_lo
.LBB114_434:
	s_wait_alu 0xfffe
	s_or_b32 exec_lo, exec_lo, s5
	v_or_b32_e32 v30, 0x1c00, v0
	s_mov_b32 s5, exec_lo
	s_delay_alu instid0(VALU_DEP_1)
	v_cmpx_gt_u32_e64 s4, v30
	s_cbranch_execz .LBB114_436
; %bb.435:
	global_load_u8 v28, v0, s[2:3] offset:7168
	s_wait_loadcnt 0x0
	v_cmp_ne_u16_e32 vcc_lo, 0, v28
	s_wait_alu 0xfffd
	v_cndmask_b32_e64 v28, 0, 1, vcc_lo
.LBB114_436:
	s_wait_alu 0xfffe
	s_or_b32 exec_lo, exec_lo, s5
	v_or_b32_e32 v31, 0x1d00, v0
	v_mov_b32_e32 v30, 0
	s_delay_alu instid0(VALU_DEP_2)
	v_cmp_gt_u32_e32 vcc_lo, s4, v31
	v_mov_b32_e32 v31, 0
	s_and_saveexec_b32 s5, vcc_lo
	s_cbranch_execz .LBB114_438
; %bb.437:
	global_load_u8 v31, v0, s[2:3] offset:7424
	s_wait_loadcnt 0x0
	v_cmp_ne_u16_e32 vcc_lo, 0, v31
	s_wait_alu 0xfffd
	v_cndmask_b32_e64 v31, 0, 1, vcc_lo
.LBB114_438:
	s_wait_alu 0xfffe
	s_or_b32 exec_lo, exec_lo, s5
	v_or_b32_e32 v32, 0x1e00, v0
	s_mov_b32 s5, exec_lo
	s_delay_alu instid0(VALU_DEP_1)
	v_cmpx_gt_u32_e64 s4, v32
	s_cbranch_execz .LBB114_440
; %bb.439:
	global_load_u8 v30, v0, s[2:3] offset:7680
	s_wait_loadcnt 0x0
	v_cmp_ne_u16_e32 vcc_lo, 0, v30
	s_wait_alu 0xfffd
	v_cndmask_b32_e64 v30, 0, 1, vcc_lo
.LBB114_440:
	s_wait_alu 0xfffe
	s_or_b32 exec_lo, exec_lo, s5
	v_or_b32_e32 v33, 0x1f00, v0
	v_mov_b32_e32 v32, 0
	s_delay_alu instid0(VALU_DEP_2)
	v_cmp_gt_u32_e32 vcc_lo, s4, v33
	v_mov_b32_e32 v33, 0
	s_and_saveexec_b32 s5, vcc_lo
	s_cbranch_execz .LBB114_442
; %bb.441:
	global_load_u8 v33, v0, s[2:3] offset:7936
	s_wait_loadcnt 0x0
	v_cmp_ne_u16_e32 vcc_lo, 0, v33
	s_wait_alu 0xfffd
	v_cndmask_b32_e64 v33, 0, 1, vcc_lo
.LBB114_442:
	s_wait_alu 0xfffe
	s_or_b32 exec_lo, exec_lo, s5
	v_or_b32_e32 v34, 0x2000, v0
	s_mov_b32 s5, exec_lo
	s_delay_alu instid0(VALU_DEP_1)
	v_cmpx_gt_u32_e64 s4, v34
	s_cbranch_execz .LBB114_444
; %bb.443:
	global_load_u8 v32, v0, s[2:3] offset:8192
	s_wait_loadcnt 0x0
	v_cmp_ne_u16_e32 vcc_lo, 0, v32
	s_wait_alu 0xfffd
	v_cndmask_b32_e64 v32, 0, 1, vcc_lo
.LBB114_444:
	s_wait_alu 0xfffe
	s_or_b32 exec_lo, exec_lo, s5
	v_or_b32_e32 v35, 0x2100, v0
	v_mov_b32_e32 v34, 0
	s_delay_alu instid0(VALU_DEP_2)
	v_cmp_gt_u32_e32 vcc_lo, s4, v35
	v_mov_b32_e32 v35, 0
	s_and_saveexec_b32 s5, vcc_lo
	s_cbranch_execz .LBB114_446
; %bb.445:
	global_load_u8 v35, v0, s[2:3] offset:8448
	s_wait_loadcnt 0x0
	v_cmp_ne_u16_e32 vcc_lo, 0, v35
	s_wait_alu 0xfffd
	v_cndmask_b32_e64 v35, 0, 1, vcc_lo
.LBB114_446:
	s_wait_alu 0xfffe
	s_or_b32 exec_lo, exec_lo, s5
	v_or_b32_e32 v36, 0x2200, v0
	s_mov_b32 s5, exec_lo
	s_delay_alu instid0(VALU_DEP_1)
	v_cmpx_gt_u32_e64 s4, v36
	s_cbranch_execz .LBB114_448
; %bb.447:
	global_load_u8 v34, v0, s[2:3] offset:8704
	s_wait_loadcnt 0x0
	v_cmp_ne_u16_e32 vcc_lo, 0, v34
	s_wait_alu 0xfffd
	v_cndmask_b32_e64 v34, 0, 1, vcc_lo
.LBB114_448:
	s_wait_alu 0xfffe
	s_or_b32 exec_lo, exec_lo, s5
	v_or_b32_e32 v37, 0x2300, v0
	v_mov_b32_e32 v36, 0
	s_delay_alu instid0(VALU_DEP_2)
	v_cmp_gt_u32_e32 vcc_lo, s4, v37
	v_mov_b32_e32 v37, 0
	s_and_saveexec_b32 s5, vcc_lo
	s_cbranch_execz .LBB114_450
; %bb.449:
	global_load_u8 v37, v0, s[2:3] offset:8960
	s_wait_loadcnt 0x0
	v_cmp_ne_u16_e32 vcc_lo, 0, v37
	s_wait_alu 0xfffd
	v_cndmask_b32_e64 v37, 0, 1, vcc_lo
.LBB114_450:
	s_wait_alu 0xfffe
	s_or_b32 exec_lo, exec_lo, s5
	v_or_b32_e32 v38, 0x2400, v0
	s_mov_b32 s5, exec_lo
	s_delay_alu instid0(VALU_DEP_1)
	v_cmpx_gt_u32_e64 s4, v38
	s_cbranch_execz .LBB114_452
; %bb.451:
	global_load_u8 v36, v0, s[2:3] offset:9216
	s_wait_loadcnt 0x0
	v_cmp_ne_u16_e32 vcc_lo, 0, v36
	s_wait_alu 0xfffd
	v_cndmask_b32_e64 v36, 0, 1, vcc_lo
.LBB114_452:
	s_wait_alu 0xfffe
	s_or_b32 exec_lo, exec_lo, s5
	v_or_b32_e32 v39, 0x2500, v0
	v_mov_b32_e32 v38, 0
	s_delay_alu instid0(VALU_DEP_2)
	v_cmp_gt_u32_e32 vcc_lo, s4, v39
	v_mov_b32_e32 v39, 0
	s_and_saveexec_b32 s5, vcc_lo
	s_cbranch_execz .LBB114_454
; %bb.453:
	global_load_u8 v39, v0, s[2:3] offset:9472
	s_wait_loadcnt 0x0
	v_cmp_ne_u16_e32 vcc_lo, 0, v39
	s_wait_alu 0xfffd
	v_cndmask_b32_e64 v39, 0, 1, vcc_lo
.LBB114_454:
	s_wait_alu 0xfffe
	s_or_b32 exec_lo, exec_lo, s5
	v_or_b32_e32 v40, 0x2600, v0
	s_mov_b32 s5, exec_lo
	s_delay_alu instid0(VALU_DEP_1)
	v_cmpx_gt_u32_e64 s4, v40
	s_cbranch_execz .LBB114_456
; %bb.455:
	global_load_u8 v38, v0, s[2:3] offset:9728
	s_wait_loadcnt 0x0
	v_cmp_ne_u16_e32 vcc_lo, 0, v38
	s_wait_alu 0xfffd
	v_cndmask_b32_e64 v38, 0, 1, vcc_lo
.LBB114_456:
	s_wait_alu 0xfffe
	s_or_b32 exec_lo, exec_lo, s5
	v_or_b32_e32 v41, 0x2700, v0
	v_mov_b32_e32 v40, 0
	s_delay_alu instid0(VALU_DEP_2)
	v_cmp_gt_u32_e32 vcc_lo, s4, v41
	v_mov_b32_e32 v41, 0
	s_and_saveexec_b32 s5, vcc_lo
	s_cbranch_execz .LBB114_458
; %bb.457:
	global_load_u8 v41, v0, s[2:3] offset:9984
	s_wait_loadcnt 0x0
	v_cmp_ne_u16_e32 vcc_lo, 0, v41
	s_wait_alu 0xfffd
	v_cndmask_b32_e64 v41, 0, 1, vcc_lo
.LBB114_458:
	s_wait_alu 0xfffe
	s_or_b32 exec_lo, exec_lo, s5
	v_or_b32_e32 v42, 0x2800, v0
	s_mov_b32 s5, exec_lo
	s_delay_alu instid0(VALU_DEP_1)
	v_cmpx_gt_u32_e64 s4, v42
	s_cbranch_execz .LBB114_460
; %bb.459:
	global_load_u8 v40, v0, s[2:3] offset:10240
	s_wait_loadcnt 0x0
	v_cmp_ne_u16_e32 vcc_lo, 0, v40
	s_wait_alu 0xfffd
	v_cndmask_b32_e64 v40, 0, 1, vcc_lo
.LBB114_460:
	s_wait_alu 0xfffe
	s_or_b32 exec_lo, exec_lo, s5
	v_or_b32_e32 v43, 0x2900, v0
	v_mov_b32_e32 v42, 0
	s_delay_alu instid0(VALU_DEP_2)
	v_cmp_gt_u32_e32 vcc_lo, s4, v43
	v_mov_b32_e32 v43, 0
	s_and_saveexec_b32 s5, vcc_lo
	s_cbranch_execz .LBB114_462
; %bb.461:
	global_load_u8 v43, v0, s[2:3] offset:10496
	s_wait_loadcnt 0x0
	v_cmp_ne_u16_e32 vcc_lo, 0, v43
	s_wait_alu 0xfffd
	v_cndmask_b32_e64 v43, 0, 1, vcc_lo
.LBB114_462:
	s_wait_alu 0xfffe
	s_or_b32 exec_lo, exec_lo, s5
	v_or_b32_e32 v44, 0x2a00, v0
	s_mov_b32 s5, exec_lo
	s_delay_alu instid0(VALU_DEP_1)
	v_cmpx_gt_u32_e64 s4, v44
	s_cbranch_execz .LBB114_464
; %bb.463:
	global_load_u8 v42, v0, s[2:3] offset:10752
	s_wait_loadcnt 0x0
	v_cmp_ne_u16_e32 vcc_lo, 0, v42
	s_wait_alu 0xfffd
	v_cndmask_b32_e64 v42, 0, 1, vcc_lo
.LBB114_464:
	s_wait_alu 0xfffe
	s_or_b32 exec_lo, exec_lo, s5
	v_or_b32_e32 v45, 0x2b00, v0
	v_mov_b32_e32 v44, 0
	s_delay_alu instid0(VALU_DEP_2)
	v_cmp_gt_u32_e32 vcc_lo, s4, v45
	v_mov_b32_e32 v45, 0
	s_and_saveexec_b32 s5, vcc_lo
	s_cbranch_execz .LBB114_466
; %bb.465:
	global_load_u8 v45, v0, s[2:3] offset:11008
	s_wait_loadcnt 0x0
	v_cmp_ne_u16_e32 vcc_lo, 0, v45
	s_wait_alu 0xfffd
	v_cndmask_b32_e64 v45, 0, 1, vcc_lo
.LBB114_466:
	s_wait_alu 0xfffe
	s_or_b32 exec_lo, exec_lo, s5
	v_or_b32_e32 v46, 0x2c00, v0
	s_mov_b32 s5, exec_lo
	s_delay_alu instid0(VALU_DEP_1)
	v_cmpx_gt_u32_e64 s4, v46
	s_cbranch_execz .LBB114_468
; %bb.467:
	global_load_u8 v44, v0, s[2:3] offset:11264
	s_wait_loadcnt 0x0
	v_cmp_ne_u16_e32 vcc_lo, 0, v44
	s_wait_alu 0xfffd
	v_cndmask_b32_e64 v44, 0, 1, vcc_lo
.LBB114_468:
	s_wait_alu 0xfffe
	s_or_b32 exec_lo, exec_lo, s5
	v_or_b32_e32 v47, 0x2d00, v0
	v_mov_b32_e32 v46, 0
	s_delay_alu instid0(VALU_DEP_2)
	v_cmp_gt_u32_e32 vcc_lo, s4, v47
	v_mov_b32_e32 v47, 0
	s_and_saveexec_b32 s5, vcc_lo
	s_cbranch_execz .LBB114_470
; %bb.469:
	global_load_u8 v47, v0, s[2:3] offset:11520
	s_wait_loadcnt 0x0
	v_cmp_ne_u16_e32 vcc_lo, 0, v47
	s_wait_alu 0xfffd
	v_cndmask_b32_e64 v47, 0, 1, vcc_lo
.LBB114_470:
	s_wait_alu 0xfffe
	s_or_b32 exec_lo, exec_lo, s5
	v_or_b32_e32 v48, 0x2e00, v0
	s_mov_b32 s5, exec_lo
	s_delay_alu instid0(VALU_DEP_1)
	v_cmpx_gt_u32_e64 s4, v48
	s_cbranch_execz .LBB114_472
; %bb.471:
	global_load_u8 v46, v0, s[2:3] offset:11776
	s_wait_loadcnt 0x0
	v_cmp_ne_u16_e32 vcc_lo, 0, v46
	s_wait_alu 0xfffd
	v_cndmask_b32_e64 v46, 0, 1, vcc_lo
.LBB114_472:
	s_wait_alu 0xfffe
	s_or_b32 exec_lo, exec_lo, s5
	v_or_b32_e32 v49, 0x2f00, v0
	v_mov_b32_e32 v48, 0
	s_delay_alu instid0(VALU_DEP_2)
	v_cmp_gt_u32_e32 vcc_lo, s4, v49
	v_mov_b32_e32 v49, 0
	s_and_saveexec_b32 s5, vcc_lo
	s_cbranch_execz .LBB114_474
; %bb.473:
	global_load_u8 v49, v0, s[2:3] offset:12032
	s_wait_loadcnt 0x0
	v_cmp_ne_u16_e32 vcc_lo, 0, v49
	s_wait_alu 0xfffd
	v_cndmask_b32_e64 v49, 0, 1, vcc_lo
.LBB114_474:
	s_wait_alu 0xfffe
	s_or_b32 exec_lo, exec_lo, s5
	v_or_b32_e32 v50, 0x3000, v0
	s_mov_b32 s5, exec_lo
	s_delay_alu instid0(VALU_DEP_1)
	v_cmpx_gt_u32_e64 s4, v50
	s_cbranch_execz .LBB114_476
; %bb.475:
	global_load_u8 v48, v0, s[2:3] offset:12288
	s_wait_loadcnt 0x0
	v_cmp_ne_u16_e32 vcc_lo, 0, v48
	s_wait_alu 0xfffd
	v_cndmask_b32_e64 v48, 0, 1, vcc_lo
.LBB114_476:
	s_wait_alu 0xfffe
	s_or_b32 exec_lo, exec_lo, s5
	v_or_b32_e32 v51, 0x3100, v0
	v_mov_b32_e32 v50, 0
	s_delay_alu instid0(VALU_DEP_2)
	v_cmp_gt_u32_e32 vcc_lo, s4, v51
	v_mov_b32_e32 v51, 0
	s_and_saveexec_b32 s5, vcc_lo
	s_cbranch_execz .LBB114_478
; %bb.477:
	global_load_u8 v51, v0, s[2:3] offset:12544
	s_wait_loadcnt 0x0
	v_cmp_ne_u16_e32 vcc_lo, 0, v51
	s_wait_alu 0xfffd
	v_cndmask_b32_e64 v51, 0, 1, vcc_lo
.LBB114_478:
	s_wait_alu 0xfffe
	s_or_b32 exec_lo, exec_lo, s5
	v_or_b32_e32 v52, 0x3200, v0
	s_mov_b32 s5, exec_lo
	s_delay_alu instid0(VALU_DEP_1)
	v_cmpx_gt_u32_e64 s4, v52
	s_cbranch_execz .LBB114_480
; %bb.479:
	global_load_u8 v50, v0, s[2:3] offset:12800
	s_wait_loadcnt 0x0
	v_cmp_ne_u16_e32 vcc_lo, 0, v50
	s_wait_alu 0xfffd
	v_cndmask_b32_e64 v50, 0, 1, vcc_lo
.LBB114_480:
	s_wait_alu 0xfffe
	s_or_b32 exec_lo, exec_lo, s5
	v_or_b32_e32 v53, 0x3300, v0
	v_mov_b32_e32 v52, 0
	s_delay_alu instid0(VALU_DEP_2)
	v_cmp_gt_u32_e32 vcc_lo, s4, v53
	v_mov_b32_e32 v53, 0
	s_and_saveexec_b32 s5, vcc_lo
	s_cbranch_execz .LBB114_482
; %bb.481:
	global_load_u8 v53, v0, s[2:3] offset:13056
	s_wait_loadcnt 0x0
	v_cmp_ne_u16_e32 vcc_lo, 0, v53
	s_wait_alu 0xfffd
	v_cndmask_b32_e64 v53, 0, 1, vcc_lo
.LBB114_482:
	s_wait_alu 0xfffe
	s_or_b32 exec_lo, exec_lo, s5
	v_or_b32_e32 v54, 0x3400, v0
	s_mov_b32 s5, exec_lo
	s_delay_alu instid0(VALU_DEP_1)
	v_cmpx_gt_u32_e64 s4, v54
	s_cbranch_execz .LBB114_484
; %bb.483:
	global_load_u8 v52, v0, s[2:3] offset:13312
	s_wait_loadcnt 0x0
	v_cmp_ne_u16_e32 vcc_lo, 0, v52
	s_wait_alu 0xfffd
	v_cndmask_b32_e64 v52, 0, 1, vcc_lo
.LBB114_484:
	s_wait_alu 0xfffe
	s_or_b32 exec_lo, exec_lo, s5
	v_or_b32_e32 v55, 0x3500, v0
	v_mov_b32_e32 v54, 0
	s_delay_alu instid0(VALU_DEP_2)
	v_cmp_gt_u32_e32 vcc_lo, s4, v55
	v_mov_b32_e32 v55, 0
	s_and_saveexec_b32 s5, vcc_lo
	s_cbranch_execz .LBB114_486
; %bb.485:
	global_load_u8 v55, v0, s[2:3] offset:13568
	s_wait_loadcnt 0x0
	v_cmp_ne_u16_e32 vcc_lo, 0, v55
	s_wait_alu 0xfffd
	v_cndmask_b32_e64 v55, 0, 1, vcc_lo
.LBB114_486:
	s_wait_alu 0xfffe
	s_or_b32 exec_lo, exec_lo, s5
	v_or_b32_e32 v56, 0x3600, v0
	s_mov_b32 s5, exec_lo
	s_delay_alu instid0(VALU_DEP_1)
	v_cmpx_gt_u32_e64 s4, v56
	s_cbranch_execz .LBB114_488
; %bb.487:
	global_load_u8 v54, v0, s[2:3] offset:13824
	s_wait_loadcnt 0x0
	v_cmp_ne_u16_e32 vcc_lo, 0, v54
	s_wait_alu 0xfffd
	v_cndmask_b32_e64 v54, 0, 1, vcc_lo
.LBB114_488:
	s_wait_alu 0xfffe
	s_or_b32 exec_lo, exec_lo, s5
	v_or_b32_e32 v57, 0x3700, v0
	v_mov_b32_e32 v56, 0
	s_delay_alu instid0(VALU_DEP_2)
	v_cmp_gt_u32_e32 vcc_lo, s4, v57
	v_mov_b32_e32 v57, 0
	s_and_saveexec_b32 s5, vcc_lo
	s_cbranch_execz .LBB114_490
; %bb.489:
	global_load_u8 v57, v0, s[2:3] offset:14080
	s_wait_loadcnt 0x0
	v_cmp_ne_u16_e32 vcc_lo, 0, v57
	s_wait_alu 0xfffd
	v_cndmask_b32_e64 v57, 0, 1, vcc_lo
.LBB114_490:
	s_wait_alu 0xfffe
	s_or_b32 exec_lo, exec_lo, s5
	v_or_b32_e32 v58, 0x3800, v0
	s_mov_b32 s5, exec_lo
	s_delay_alu instid0(VALU_DEP_1)
	v_cmpx_gt_u32_e64 s4, v58
	s_cbranch_execz .LBB114_492
; %bb.491:
	global_load_u8 v56, v0, s[2:3] offset:14336
	s_wait_loadcnt 0x0
	v_cmp_ne_u16_e32 vcc_lo, 0, v56
	s_wait_alu 0xfffd
	v_cndmask_b32_e64 v56, 0, 1, vcc_lo
.LBB114_492:
	s_wait_alu 0xfffe
	s_or_b32 exec_lo, exec_lo, s5
	v_or_b32_e32 v59, 0x3900, v0
	v_mov_b32_e32 v58, 0
	s_delay_alu instid0(VALU_DEP_2)
	v_cmp_gt_u32_e32 vcc_lo, s4, v59
	v_mov_b32_e32 v59, 0
	s_and_saveexec_b32 s5, vcc_lo
	s_cbranch_execz .LBB114_494
; %bb.493:
	global_load_u8 v59, v0, s[2:3] offset:14592
	s_wait_loadcnt 0x0
	v_cmp_ne_u16_e32 vcc_lo, 0, v59
	s_wait_alu 0xfffd
	v_cndmask_b32_e64 v59, 0, 1, vcc_lo
.LBB114_494:
	s_wait_alu 0xfffe
	s_or_b32 exec_lo, exec_lo, s5
	v_or_b32_e32 v60, 0x3a00, v0
	s_mov_b32 s5, exec_lo
	s_delay_alu instid0(VALU_DEP_1)
	v_cmpx_gt_u32_e64 s4, v60
	s_cbranch_execz .LBB114_496
; %bb.495:
	global_load_u8 v58, v0, s[2:3] offset:14848
	s_wait_loadcnt 0x0
	v_cmp_ne_u16_e32 vcc_lo, 0, v58
	s_wait_alu 0xfffd
	v_cndmask_b32_e64 v58, 0, 1, vcc_lo
.LBB114_496:
	s_wait_alu 0xfffe
	s_or_b32 exec_lo, exec_lo, s5
	v_or_b32_e32 v61, 0x3b00, v0
	v_mov_b32_e32 v60, 0
	s_delay_alu instid0(VALU_DEP_2)
	v_cmp_gt_u32_e32 vcc_lo, s4, v61
	v_mov_b32_e32 v61, 0
	s_and_saveexec_b32 s5, vcc_lo
	s_cbranch_execz .LBB114_498
; %bb.497:
	global_load_u8 v61, v0, s[2:3] offset:15104
	s_wait_loadcnt 0x0
	v_cmp_ne_u16_e32 vcc_lo, 0, v61
	s_wait_alu 0xfffd
	v_cndmask_b32_e64 v61, 0, 1, vcc_lo
.LBB114_498:
	s_wait_alu 0xfffe
	s_or_b32 exec_lo, exec_lo, s5
	v_or_b32_e32 v62, 0x3c00, v0
	s_mov_b32 s5, exec_lo
	s_delay_alu instid0(VALU_DEP_1)
	v_cmpx_gt_u32_e64 s4, v62
	s_cbranch_execz .LBB114_500
; %bb.499:
	global_load_u8 v60, v0, s[2:3] offset:15360
	s_wait_loadcnt 0x0
	v_cmp_ne_u16_e32 vcc_lo, 0, v60
	s_wait_alu 0xfffd
	v_cndmask_b32_e64 v60, 0, 1, vcc_lo
.LBB114_500:
	s_wait_alu 0xfffe
	s_or_b32 exec_lo, exec_lo, s5
	v_or_b32_e32 v63, 0x3d00, v0
	v_mov_b32_e32 v62, 0
	s_delay_alu instid0(VALU_DEP_2)
	v_cmp_gt_u32_e32 vcc_lo, s4, v63
	v_mov_b32_e32 v63, 0
	s_and_saveexec_b32 s5, vcc_lo
	s_cbranch_execz .LBB114_502
; %bb.501:
	global_load_u8 v63, v0, s[2:3] offset:15616
	s_wait_loadcnt 0x0
	v_cmp_ne_u16_e32 vcc_lo, 0, v63
	s_wait_alu 0xfffd
	v_cndmask_b32_e64 v63, 0, 1, vcc_lo
.LBB114_502:
	s_wait_alu 0xfffe
	s_or_b32 exec_lo, exec_lo, s5
	v_or_b32_e32 v64, 0x3e00, v0
	s_mov_b32 s5, exec_lo
	s_delay_alu instid0(VALU_DEP_1)
	v_cmpx_gt_u32_e64 s4, v64
	s_cbranch_execz .LBB114_504
; %bb.503:
	global_load_u8 v62, v0, s[2:3] offset:15872
	s_wait_loadcnt 0x0
	v_cmp_ne_u16_e32 vcc_lo, 0, v62
	s_wait_alu 0xfffd
	v_cndmask_b32_e64 v62, 0, 1, vcc_lo
.LBB114_504:
	s_wait_alu 0xfffe
	s_or_b32 exec_lo, exec_lo, s5
	v_or_b32_e32 v64, 0x3f00, v0
	s_delay_alu instid0(VALU_DEP_1)
	v_cmp_gt_u32_e32 vcc_lo, s4, v64
	v_mov_b32_e32 v64, 0
	s_and_saveexec_b32 s5, vcc_lo
	s_cbranch_execz .LBB114_506
; %bb.505:
	global_load_u8 v64, v0, s[2:3] offset:16128
	s_wait_loadcnt 0x0
	v_cmp_ne_u16_e32 vcc_lo, 0, v64
	s_wait_alu 0xfffd
	v_cndmask_b32_e64 v64, 0, 1, vcc_lo
.LBB114_506:
	s_wait_alu 0xfffe
	s_or_b32 exec_lo, exec_lo, s5
	v_add_nc_u32_e32 v1, v3, v1
	s_min_u32 s2, s4, 0x100
	s_mov_b32 s3, exec_lo
	s_delay_alu instid0(VALU_DEP_1) | instskip(SKIP_1) | instid1(VALU_DEP_2)
	v_add3_u32 v1, v1, v2, v5
	v_mbcnt_lo_u32_b32 v2, -1, 0
	v_add3_u32 v1, v1, v4, v7
	s_delay_alu instid0(VALU_DEP_2) | instskip(SKIP_1) | instid1(VALU_DEP_3)
	v_cmp_ne_u32_e32 vcc_lo, 31, v2
	v_add_nc_u32_e32 v5, 1, v2
	v_add3_u32 v1, v1, v6, v9
	s_wait_alu 0xfffd
	v_add_co_ci_u32_e64 v3, null, 0, v2, vcc_lo
	v_cmp_gt_u32_e32 vcc_lo, 30, v2
	s_delay_alu instid0(VALU_DEP_3) | instskip(NEXT) | instid1(VALU_DEP_3)
	v_add3_u32 v1, v1, v8, v11
	v_lshlrev_b32_e32 v3, 2, v3
	s_wait_alu 0xfffd
	v_cndmask_b32_e64 v6, 0, 2, vcc_lo
	s_delay_alu instid0(VALU_DEP_3) | instskip(NEXT) | instid1(VALU_DEP_1)
	v_add3_u32 v1, v1, v10, v13
	v_add3_u32 v1, v1, v12, v15
	s_delay_alu instid0(VALU_DEP_1) | instskip(NEXT) | instid1(VALU_DEP_1)
	v_add3_u32 v1, v1, v14, v17
	v_add3_u32 v1, v1, v16, v19
	s_delay_alu instid0(VALU_DEP_1) | instskip(NEXT) | instid1(VALU_DEP_1)
	;; [unrolled: 3-line block ×12, first 2 shown]
	v_add3_u32 v1, v1, v58, v61
	v_add3_u32 v1, v1, v60, v63
	s_delay_alu instid0(VALU_DEP_1) | instskip(SKIP_3) | instid1(VALU_DEP_1)
	v_add3_u32 v1, v1, v62, v64
	ds_bpermute_b32 v3, v3, v1
	v_and_b32_e32 v4, 0xe0, v0
	s_wait_alu 0xfffe
	v_sub_nc_u32_e64 v4, s2, v4 clamp
	s_delay_alu instid0(VALU_DEP_1)
	v_cmp_lt_u32_e32 vcc_lo, v5, v4
	v_add_lshl_u32 v5, v6, v2, 2
	s_wait_dscnt 0x0
	s_wait_alu 0xfffd
	v_cndmask_b32_e32 v3, 0, v3, vcc_lo
	v_cmp_gt_u32_e32 vcc_lo, 28, v2
	s_delay_alu instid0(VALU_DEP_2) | instskip(SKIP_4) | instid1(VALU_DEP_1)
	v_add_nc_u32_e32 v1, v3, v1
	s_wait_alu 0xfffd
	v_cndmask_b32_e64 v6, 0, 4, vcc_lo
	ds_bpermute_b32 v3, v5, v1
	v_add_nc_u32_e32 v5, 2, v2
	v_cmp_lt_u32_e32 vcc_lo, v5, v4
	v_add_lshl_u32 v5, v6, v2, 2
	s_wait_dscnt 0x0
	s_wait_alu 0xfffd
	v_cndmask_b32_e32 v3, 0, v3, vcc_lo
	v_cmp_gt_u32_e32 vcc_lo, 24, v2
	s_delay_alu instid0(VALU_DEP_2) | instskip(SKIP_4) | instid1(VALU_DEP_1)
	v_add_nc_u32_e32 v1, v1, v3
	s_wait_alu 0xfffd
	v_cndmask_b32_e64 v6, 0, 8, vcc_lo
	ds_bpermute_b32 v3, v5, v1
	v_add_nc_u32_e32 v5, 4, v2
	v_cmp_lt_u32_e32 vcc_lo, v5, v4
	v_add_lshl_u32 v5, v6, v2, 2
	s_wait_dscnt 0x0
	s_wait_alu 0xfffd
	v_dual_cndmask_b32 v3, 0, v3 :: v_dual_add_nc_u32 v6, 8, v2
	s_delay_alu instid0(VALU_DEP_1) | instskip(NEXT) | instid1(VALU_DEP_2)
	v_cmp_lt_u32_e32 vcc_lo, v6, v4
	v_add_nc_u32_e32 v1, v1, v3
	v_lshlrev_b32_e32 v3, 2, v2
	ds_bpermute_b32 v5, v5, v1
	v_or_b32_e32 v6, 64, v3
	s_wait_dscnt 0x0
	s_wait_alu 0xfffd
	v_cndmask_b32_e32 v5, 0, v5, vcc_lo
	s_delay_alu instid0(VALU_DEP_1) | instskip(SKIP_2) | instid1(VALU_DEP_1)
	v_add_nc_u32_e32 v1, v1, v5
	ds_bpermute_b32 v5, v6, v1
	v_add_nc_u32_e32 v6, 16, v2
	v_cmp_lt_u32_e32 vcc_lo, v6, v4
	s_wait_dscnt 0x0
	s_wait_alu 0xfffd
	v_cndmask_b32_e32 v4, 0, v5, vcc_lo
	s_delay_alu instid0(VALU_DEP_1)
	v_add_nc_u32_e32 v1, v1, v4
	v_cmpx_eq_u32_e32 0, v2
; %bb.507:
	v_lshrrev_b32_e32 v4, 3, v0
	s_delay_alu instid0(VALU_DEP_1)
	v_and_b32_e32 v4, 28, v4
	ds_store_b32 v4, v1 offset:256
; %bb.508:
	s_or_b32 exec_lo, exec_lo, s3
	s_delay_alu instid0(SALU_CYCLE_1)
	s_mov_b32 s3, exec_lo
	s_wait_loadcnt_dscnt 0x0
	s_barrier_signal -1
	s_barrier_wait -1
	global_inv scope:SCOPE_SE
	v_cmpx_gt_u32_e32 8, v0
	s_cbranch_execz .LBB114_510
; %bb.509:
	ds_load_b32 v1, v3 offset:256
	v_and_b32_e32 v4, 7, v2
	s_add_co_i32 s2, s2, 31
	s_wait_alu 0xfffe
	s_lshr_b32 s2, s2, 5
	s_delay_alu instid0(VALU_DEP_1) | instskip(SKIP_4) | instid1(VALU_DEP_2)
	v_cmp_ne_u32_e32 vcc_lo, 7, v4
	v_add_nc_u32_e32 v6, 1, v4
	s_wait_alu 0xfffd
	v_add_co_ci_u32_e64 v5, null, 0, v2, vcc_lo
	v_cmp_gt_u32_e32 vcc_lo, 6, v4
	v_lshlrev_b32_e32 v5, 2, v5
	s_wait_alu 0xfffd
	v_cndmask_b32_e64 v7, 0, 2, vcc_lo
	s_wait_alu 0xfffe
	v_cmp_gt_u32_e32 vcc_lo, s2, v6
	s_wait_dscnt 0x0
	ds_bpermute_b32 v5, v5, v1
	v_add_lshl_u32 v2, v7, v2, 2
	s_wait_dscnt 0x0
	s_wait_alu 0xfffd
	v_cndmask_b32_e32 v5, 0, v5, vcc_lo
	s_delay_alu instid0(VALU_DEP_1)
	v_add_nc_u32_e32 v1, v5, v1
	v_add_nc_u32_e32 v5, 2, v4
	ds_bpermute_b32 v2, v2, v1
	v_cmp_gt_u32_e32 vcc_lo, s2, v5
	s_wait_dscnt 0x0
	s_wait_alu 0xfffd
	v_cndmask_b32_e32 v2, 0, v2, vcc_lo
	s_delay_alu instid0(VALU_DEP_1)
	v_add_nc_u32_e32 v1, v1, v2
	v_or_b32_e32 v2, 16, v3
	v_add_nc_u32_e32 v3, 4, v4
	ds_bpermute_b32 v2, v2, v1
	v_cmp_gt_u32_e32 vcc_lo, s2, v3
	s_wait_dscnt 0x0
	s_wait_alu 0xfffd
	v_cndmask_b32_e32 v2, 0, v2, vcc_lo
	s_delay_alu instid0(VALU_DEP_1)
	v_add_nc_u32_e32 v1, v1, v2
.LBB114_510:
	s_wait_alu 0xfffe
	s_or_b32 exec_lo, exec_lo, s3
.LBB114_511:
	v_cmp_eq_u32_e64 s2, 0, v0
.LBB114_512:
	s_branch .LBB114_623
.LBB114_513:
	s_cmp_gt_i32 s44, 3
	s_cbranch_scc0 .LBB114_522
; %bb.514:
	s_cmp_gt_i32 s44, 7
	s_cbranch_scc0 .LBB114_523
; %bb.515:
	s_cmp_eq_u32 s44, 8
	s_cbranch_scc0 .LBB114_531
; %bb.516:
	s_mov_b32 s35, 0
	s_lshl_b32 s2, s34, 11
	s_lshr_b64 s[4:5], s[36:37], 11
	s_mov_b32 s3, s35
	s_cmp_lg_u64 s[4:5], s[34:35]
	s_add_nc_u64 s[8:9], s[40:41], s[2:3]
	s_cbranch_scc0 .LBB114_573
; %bb.517:
	s_clause 0x7
	global_load_u8 v1, v0, s[8:9]
	global_load_u8 v2, v0, s[8:9] offset:512
	global_load_u8 v3, v0, s[8:9] offset:256
	;; [unrolled: 1-line block ×7, first 2 shown]
	s_mov_b32 s3, exec_lo
	s_wait_loadcnt 0x7
	v_cmp_ne_u16_e32 vcc_lo, 0, v1
	v_cndmask_b32_e64 v1, 0, 1, vcc_lo
	s_wait_loadcnt 0x6
	v_cmp_ne_u16_e32 vcc_lo, 0, v2
	s_wait_alu 0xfffd
	v_cndmask_b32_e64 v2, 0, 1, vcc_lo
	s_wait_loadcnt 0x5
	v_cmp_ne_u16_e32 vcc_lo, 0, v3
	s_wait_alu 0xfffd
	v_add_co_ci_u32_e64 v1, null, 0, v1, vcc_lo
	s_wait_loadcnt 0x4
	v_cmp_ne_u16_e32 vcc_lo, 0, v4
	s_wait_alu 0xfffd
	v_cndmask_b32_e64 v3, 0, 1, vcc_lo
	s_wait_loadcnt 0x3
	v_cmp_ne_u16_e32 vcc_lo, 0, v5
	s_wait_alu 0xfffd
	v_add_co_ci_u32_e64 v1, null, v1, v2, vcc_lo
	;; [unrolled: 8-line block ×3, first 2 shown]
	s_wait_loadcnt 0x0
	v_cmp_ne_u16_e32 vcc_lo, 0, v8
	s_wait_alu 0xfffd
	s_delay_alu instid0(VALU_DEP_2) | instskip(NEXT) | instid1(VALU_DEP_1)
	v_add_co_ci_u32_e64 v1, null, v1, v2, vcc_lo
	v_mov_b32_dpp v2, v1 quad_perm:[1,0,3,2] row_mask:0xf bank_mask:0xf
	s_delay_alu instid0(VALU_DEP_1) | instskip(NEXT) | instid1(VALU_DEP_1)
	v_add_nc_u32_e32 v1, v1, v2
	v_mov_b32_dpp v2, v1 quad_perm:[2,3,0,1] row_mask:0xf bank_mask:0xf
	s_delay_alu instid0(VALU_DEP_1) | instskip(NEXT) | instid1(VALU_DEP_1)
	v_add_nc_u32_e32 v1, v1, v2
	v_mov_b32_dpp v2, v1 row_ror:4 row_mask:0xf bank_mask:0xf
	s_delay_alu instid0(VALU_DEP_1) | instskip(NEXT) | instid1(VALU_DEP_1)
	v_add_nc_u32_e32 v1, v1, v2
	v_mov_b32_dpp v2, v1 row_ror:8 row_mask:0xf bank_mask:0xf
	s_delay_alu instid0(VALU_DEP_1)
	v_add_nc_u32_e32 v1, v1, v2
	ds_swizzle_b32 v2, v1 offset:swizzle(BROADCAST,32,15)
	s_wait_dscnt 0x0
	v_dual_mov_b32 v2, 0 :: v_dual_add_nc_u32 v1, v1, v2
	ds_bpermute_b32 v1, v2, v1 offset:124
	v_mbcnt_lo_u32_b32 v2, -1, 0
	s_delay_alu instid0(VALU_DEP_1)
	v_cmpx_eq_u32_e32 0, v2
	s_cbranch_execz .LBB114_519
; %bb.518:
	v_lshrrev_b32_e32 v3, 3, v0
	s_delay_alu instid0(VALU_DEP_1)
	v_and_b32_e32 v3, 28, v3
	s_wait_dscnt 0x0
	ds_store_b32 v3, v1 offset:224
.LBB114_519:
	s_or_b32 exec_lo, exec_lo, s3
	s_delay_alu instid0(SALU_CYCLE_1)
	s_mov_b32 s3, exec_lo
	s_wait_dscnt 0x0
	s_barrier_signal -1
	s_barrier_wait -1
	global_inv scope:SCOPE_SE
	v_cmpx_gt_u32_e32 32, v0
	s_cbranch_execz .LBB114_521
; %bb.520:
	v_lshl_or_b32 v1, v2, 2, 0xe0
	v_and_b32_e32 v3, 7, v2
	ds_load_b32 v1, v1
	v_cmp_ne_u32_e32 vcc_lo, 7, v3
	s_wait_alu 0xfffd
	v_add_co_ci_u32_e64 v4, null, 0, v2, vcc_lo
	v_cmp_gt_u32_e32 vcc_lo, 6, v3
	s_delay_alu instid0(VALU_DEP_2) | instskip(SKIP_2) | instid1(VALU_DEP_1)
	v_lshlrev_b32_e32 v4, 2, v4
	s_wait_alu 0xfffd
	v_cndmask_b32_e64 v3, 0, 2, vcc_lo
	v_add_lshl_u32 v3, v3, v2, 2
	v_lshlrev_b32_e32 v2, 2, v2
	s_wait_dscnt 0x0
	ds_bpermute_b32 v4, v4, v1
	v_or_b32_e32 v2, 16, v2
	s_wait_dscnt 0x0
	v_add_nc_u32_e32 v1, v4, v1
	ds_bpermute_b32 v3, v3, v1
	s_wait_dscnt 0x0
	v_add_nc_u32_e32 v1, v3, v1
	ds_bpermute_b32 v2, v2, v1
	s_wait_dscnt 0x0
	v_add_nc_u32_e32 v1, v2, v1
.LBB114_521:
	s_or_b32 exec_lo, exec_lo, s3
	s_mov_b32 s3, 0
	s_branch .LBB114_574
.LBB114_522:
                                        ; implicit-def: $vgpr1
	s_cbranch_execnz .LBB114_614
	s_branch .LBB114_623
.LBB114_523:
                                        ; implicit-def: $vgpr1
	s_cbranch_execz .LBB114_597
; %bb.524:
	s_cmp_eq_u32 s44, 4
	s_cbranch_scc0 .LBB114_532
; %bb.525:
	s_mov_b32 s35, 0
	s_lshl_b32 s2, s34, 10
	s_lshr_b64 s[4:5], s[36:37], 10
	s_mov_b32 s3, s35
	s_cmp_lg_u64 s[4:5], s[34:35]
	s_add_nc_u64 s[4:5], s[40:41], s[2:3]
	s_cbranch_scc0 .LBB114_598
; %bb.526:
	s_clause 0x3
	global_load_u8 v1, v0, s[4:5]
	global_load_u8 v2, v0, s[4:5] offset:512
	global_load_u8 v3, v0, s[4:5] offset:256
	;; [unrolled: 1-line block ×3, first 2 shown]
	s_mov_b32 s3, exec_lo
	s_wait_loadcnt 0x3
	v_cmp_ne_u16_e32 vcc_lo, 0, v1
	v_cndmask_b32_e64 v1, 0, 1, vcc_lo
	s_wait_loadcnt 0x2
	v_cmp_ne_u16_e32 vcc_lo, 0, v2
	s_wait_alu 0xfffd
	v_cndmask_b32_e64 v2, 0, 1, vcc_lo
	s_wait_loadcnt 0x1
	v_cmp_ne_u16_e32 vcc_lo, 0, v3
	s_wait_alu 0xfffd
	v_add_co_ci_u32_e64 v1, null, 0, v1, vcc_lo
	s_wait_loadcnt 0x0
	v_cmp_ne_u16_e32 vcc_lo, 0, v4
	s_wait_alu 0xfffd
	s_delay_alu instid0(VALU_DEP_2) | instskip(NEXT) | instid1(VALU_DEP_1)
	v_add_co_ci_u32_e64 v1, null, v1, v2, vcc_lo
	v_mov_b32_dpp v2, v1 quad_perm:[1,0,3,2] row_mask:0xf bank_mask:0xf
	s_delay_alu instid0(VALU_DEP_1) | instskip(NEXT) | instid1(VALU_DEP_1)
	v_add_nc_u32_e32 v1, v1, v2
	v_mov_b32_dpp v2, v1 quad_perm:[2,3,0,1] row_mask:0xf bank_mask:0xf
	s_delay_alu instid0(VALU_DEP_1) | instskip(NEXT) | instid1(VALU_DEP_1)
	v_add_nc_u32_e32 v1, v1, v2
	v_mov_b32_dpp v2, v1 row_ror:4 row_mask:0xf bank_mask:0xf
	s_delay_alu instid0(VALU_DEP_1) | instskip(NEXT) | instid1(VALU_DEP_1)
	v_add_nc_u32_e32 v1, v1, v2
	v_mov_b32_dpp v2, v1 row_ror:8 row_mask:0xf bank_mask:0xf
	s_delay_alu instid0(VALU_DEP_1)
	v_add_nc_u32_e32 v1, v1, v2
	ds_swizzle_b32 v2, v1 offset:swizzle(BROADCAST,32,15)
	s_wait_dscnt 0x0
	v_dual_mov_b32 v2, 0 :: v_dual_add_nc_u32 v1, v1, v2
	ds_bpermute_b32 v1, v2, v1 offset:124
	v_mbcnt_lo_u32_b32 v2, -1, 0
	s_delay_alu instid0(VALU_DEP_1)
	v_cmpx_eq_u32_e32 0, v2
	s_cbranch_execz .LBB114_528
; %bb.527:
	v_lshrrev_b32_e32 v3, 3, v0
	s_delay_alu instid0(VALU_DEP_1)
	v_and_b32_e32 v3, 28, v3
	s_wait_dscnt 0x0
	ds_store_b32 v3, v1 offset:160
.LBB114_528:
	s_or_b32 exec_lo, exec_lo, s3
	s_delay_alu instid0(SALU_CYCLE_1)
	s_mov_b32 s3, exec_lo
	s_wait_dscnt 0x0
	s_barrier_signal -1
	s_barrier_wait -1
	global_inv scope:SCOPE_SE
	v_cmpx_gt_u32_e32 32, v0
	s_cbranch_execz .LBB114_530
; %bb.529:
	v_and_b32_e32 v1, 7, v2
	s_delay_alu instid0(VALU_DEP_1)
	v_lshlrev_b32_e32 v3, 2, v1
	v_cmp_ne_u32_e32 vcc_lo, 7, v1
	ds_load_b32 v3, v3 offset:160
	s_wait_alu 0xfffd
	v_add_co_ci_u32_e64 v4, null, 0, v2, vcc_lo
	v_cmp_gt_u32_e32 vcc_lo, 6, v1
	s_delay_alu instid0(VALU_DEP_2) | instskip(SKIP_2) | instid1(VALU_DEP_1)
	v_lshlrev_b32_e32 v4, 2, v4
	s_wait_alu 0xfffd
	v_cndmask_b32_e64 v1, 0, 2, vcc_lo
	v_add_lshl_u32 v1, v1, v2, 2
	v_lshlrev_b32_e32 v2, 2, v2
	s_delay_alu instid0(VALU_DEP_1)
	v_or_b32_e32 v2, 16, v2
	s_wait_dscnt 0x0
	ds_bpermute_b32 v4, v4, v3
	s_wait_dscnt 0x0
	v_add_nc_u32_e32 v3, v4, v3
	ds_bpermute_b32 v1, v1, v3
	s_wait_dscnt 0x0
	v_add_nc_u32_e32 v1, v1, v3
	;; [unrolled: 3-line block ×3, first 2 shown]
.LBB114_530:
	s_or_b32 exec_lo, exec_lo, s3
	s_mov_b32 s3, 0
	s_branch .LBB114_599
.LBB114_531:
                                        ; implicit-def: $vgpr1
	s_branch .LBB114_597
.LBB114_532:
                                        ; implicit-def: $vgpr1
	s_branch .LBB114_623
.LBB114_533:
	s_mov_b32 s3, -1
                                        ; implicit-def: $vgpr1
.LBB114_534:
	s_delay_alu instid0(SALU_CYCLE_1)
	s_and_b32 vcc_lo, exec_lo, s3
	s_wait_alu 0xfffe
	s_cbranch_vccz .LBB114_572
; %bb.535:
	v_mov_b32_e32 v1, 0
	s_sub_co_i32 s18, s36, s2
	s_mov_b32 s2, exec_lo
	s_delay_alu instid0(VALU_DEP_1)
	v_dual_mov_b32 v2, v1 :: v_dual_mov_b32 v3, v1
	v_dual_mov_b32 v4, v1 :: v_dual_mov_b32 v5, v1
	;; [unrolled: 1-line block ×7, first 2 shown]
	v_mov_b32_e32 v16, v1
	v_cmpx_gt_u32_e64 s18, v0
	s_cbranch_execz .LBB114_537
; %bb.536:
	global_load_u8 v2, v0, s[16:17]
	v_dual_mov_b32 v3, v1 :: v_dual_mov_b32 v4, v1
	v_dual_mov_b32 v5, v1 :: v_dual_mov_b32 v6, v1
	;; [unrolled: 1-line block ×7, first 2 shown]
	v_mov_b32_e32 v17, v1
	s_wait_loadcnt 0x0
	v_cmp_ne_u16_e32 vcc_lo, 0, v2
	s_wait_alu 0xfffd
	v_cndmask_b32_e64 v2, 0, 1, vcc_lo
	s_delay_alu instid0(VALU_DEP_1) | instskip(NEXT) | instid1(VALU_DEP_1)
	v_and_b32_e32 v2, 0xffff, v2
	v_mov_b32_e32 v1, v2
	v_mov_b32_e32 v2, v3
	;; [unrolled: 1-line block ×16, first 2 shown]
.LBB114_537:
	s_or_b32 exec_lo, exec_lo, s2
	v_or_b32_e32 v17, 0x100, v0
	s_delay_alu instid0(VALU_DEP_1)
	v_cmp_gt_u32_e32 vcc_lo, s18, v17
	s_and_saveexec_b32 s3, vcc_lo
	s_cbranch_execz .LBB114_539
; %bb.538:
	global_load_u8 v2, v0, s[16:17] offset:256
	s_wait_loadcnt 0x0
	v_cmp_ne_u16_e64 s2, 0, v2
	s_delay_alu instid0(VALU_DEP_1)
	v_cndmask_b32_e64 v2, 0, 1, s2
.LBB114_539:
	s_or_b32 exec_lo, exec_lo, s3
	v_or_b32_e32 v17, 0x200, v0
	s_delay_alu instid0(VALU_DEP_1)
	v_cmp_gt_u32_e64 s2, s18, v17
	s_and_saveexec_b32 s4, s2
	s_cbranch_execz .LBB114_541
; %bb.540:
	global_load_u8 v3, v0, s[16:17] offset:512
	s_wait_loadcnt 0x0
	v_cmp_ne_u16_e64 s3, 0, v3
	s_wait_alu 0xf1ff
	s_delay_alu instid0(VALU_DEP_1)
	v_cndmask_b32_e64 v3, 0, 1, s3
.LBB114_541:
	s_or_b32 exec_lo, exec_lo, s4
	v_or_b32_e32 v17, 0x300, v0
	s_delay_alu instid0(VALU_DEP_1)
	v_cmp_gt_u32_e64 s3, s18, v17
	s_and_saveexec_b32 s5, s3
	s_cbranch_execz .LBB114_543
; %bb.542:
	global_load_u8 v4, v0, s[16:17] offset:768
	s_wait_loadcnt 0x0
	v_cmp_ne_u16_e64 s4, 0, v4
	s_delay_alu instid0(VALU_DEP_1)
	v_cndmask_b32_e64 v4, 0, 1, s4
.LBB114_543:
	s_or_b32 exec_lo, exec_lo, s5
	v_or_b32_e32 v17, 0x400, v0
	s_delay_alu instid0(VALU_DEP_1)
	v_cmp_gt_u32_e64 s4, s18, v17
	s_and_saveexec_b32 s6, s4
	s_cbranch_execz .LBB114_545
; %bb.544:
	global_load_u8 v5, v0, s[16:17] offset:1024
	s_wait_loadcnt 0x0
	v_cmp_ne_u16_e64 s5, 0, v5
	s_wait_alu 0xf1ff
	s_delay_alu instid0(VALU_DEP_1)
	v_cndmask_b32_e64 v5, 0, 1, s5
.LBB114_545:
	s_or_b32 exec_lo, exec_lo, s6
	v_or_b32_e32 v17, 0x500, v0
	s_delay_alu instid0(VALU_DEP_1)
	v_cmp_gt_u32_e64 s5, s18, v17
	s_and_saveexec_b32 s7, s5
	;; [unrolled: 27-line block ×6, first 2 shown]
	s_cbranch_execz .LBB114_563
; %bb.562:
	global_load_u8 v14, v0, s[16:17] offset:3328
	s_wait_loadcnt 0x0
	v_cmp_ne_u16_e64 s14, 0, v14
	s_delay_alu instid0(VALU_DEP_1)
	v_cndmask_b32_e64 v14, 0, 1, s14
.LBB114_563:
	s_or_b32 exec_lo, exec_lo, s15
	v_or_b32_e32 v17, 0xe00, v0
	s_delay_alu instid0(VALU_DEP_1)
	v_cmp_gt_u32_e64 s14, s18, v17
	s_and_saveexec_b32 s19, s14
	s_cbranch_execz .LBB114_565
; %bb.564:
	global_load_u8 v15, v0, s[16:17] offset:3584
	s_wait_loadcnt 0x0
	v_cmp_ne_u16_e64 s15, 0, v15
	s_wait_alu 0xf1ff
	s_delay_alu instid0(VALU_DEP_1)
	v_cndmask_b32_e64 v15, 0, 1, s15
.LBB114_565:
	s_wait_alu 0xfffe
	s_or_b32 exec_lo, exec_lo, s19
	v_or_b32_e32 v17, 0xf00, v0
	s_delay_alu instid0(VALU_DEP_1)
	v_cmp_gt_u32_e64 s15, s18, v17
	s_and_saveexec_b32 s19, s15
	s_cbranch_execz .LBB114_567
; %bb.566:
	global_load_u8 v16, v0, s[16:17] offset:3840
	s_wait_loadcnt 0x0
	v_cmp_ne_u16_e64 s16, 0, v16
	s_delay_alu instid0(VALU_DEP_1)
	v_cndmask_b32_e64 v16, 0, 1, s16
.LBB114_567:
	s_wait_alu 0xfffe
	s_or_b32 exec_lo, exec_lo, s19
	v_cndmask_b32_e32 v2, 0, v2, vcc_lo
	v_cndmask_b32_e64 v3, 0, v3, s2
	v_cndmask_b32_e64 v4, 0, v4, s3
	s_min_u32 s2, s18, 0x100
	s_mov_b32 s3, exec_lo
	v_add_nc_u32_e32 v1, v2, v1
	v_cndmask_b32_e64 v2, 0, v5, s4
	v_cndmask_b32_e64 v5, 0, v6, s5
	;; [unrolled: 1-line block ×3, first 2 shown]
	s_delay_alu instid0(VALU_DEP_4) | instskip(SKIP_3) | instid1(VALU_DEP_4)
	v_add3_u32 v1, v1, v3, v4
	v_cndmask_b32_e64 v3, 0, v7, s6
	v_cndmask_b32_e64 v4, 0, v8, s7
	;; [unrolled: 1-line block ×3, first 2 shown]
	v_add3_u32 v1, v1, v2, v5
	v_cndmask_b32_e64 v2, 0, v9, s8
	v_cndmask_b32_e64 v5, 0, v10, s9
	s_delay_alu instid0(VALU_DEP_3) | instskip(SKIP_2) | instid1(VALU_DEP_3)
	v_add3_u32 v1, v1, v3, v4
	v_cndmask_b32_e64 v3, 0, v11, s10
	v_cndmask_b32_e64 v4, 0, v12, s11
	v_add3_u32 v1, v1, v2, v5
	v_mbcnt_lo_u32_b32 v2, -1, 0
	v_cndmask_b32_e64 v5, 0, v13, s12
	s_delay_alu instid0(VALU_DEP_3) | instskip(NEXT) | instid1(VALU_DEP_3)
	v_add3_u32 v1, v1, v3, v4
	v_cmp_ne_u32_e32 vcc_lo, 31, v2
	v_cndmask_b32_e64 v3, 0, v16, s15
	s_delay_alu instid0(VALU_DEP_3)
	v_add3_u32 v1, v1, v5, v6
	s_wait_alu 0xfffd
	v_add_co_ci_u32_e64 v4, null, 0, v2, vcc_lo
	v_add_nc_u32_e32 v5, 1, v2
	v_cmp_gt_u32_e32 vcc_lo, 30, v2
	v_add3_u32 v1, v1, v7, v3
	s_delay_alu instid0(VALU_DEP_4)
	v_lshlrev_b32_e32 v4, 2, v4
	s_wait_alu 0xfffd
	v_cndmask_b32_e64 v6, 0, 2, vcc_lo
	ds_bpermute_b32 v3, v4, v1
	v_and_b32_e32 v4, 0xe0, v0
	s_wait_alu 0xfffe
	s_delay_alu instid0(VALU_DEP_1) | instskip(NEXT) | instid1(VALU_DEP_1)
	v_sub_nc_u32_e64 v4, s2, v4 clamp
	v_cmp_lt_u32_e32 vcc_lo, v5, v4
	v_add_lshl_u32 v5, v6, v2, 2
	s_wait_dscnt 0x0
	s_wait_alu 0xfffd
	v_cndmask_b32_e32 v3, 0, v3, vcc_lo
	v_cmp_gt_u32_e32 vcc_lo, 28, v2
	s_delay_alu instid0(VALU_DEP_2) | instskip(SKIP_4) | instid1(VALU_DEP_1)
	v_add_nc_u32_e32 v1, v1, v3
	s_wait_alu 0xfffd
	v_cndmask_b32_e64 v6, 0, 4, vcc_lo
	ds_bpermute_b32 v3, v5, v1
	v_add_nc_u32_e32 v5, 2, v2
	v_cmp_lt_u32_e32 vcc_lo, v5, v4
	v_add_lshl_u32 v5, v6, v2, 2
	s_wait_dscnt 0x0
	s_wait_alu 0xfffd
	v_cndmask_b32_e32 v3, 0, v3, vcc_lo
	v_cmp_gt_u32_e32 vcc_lo, 24, v2
	s_delay_alu instid0(VALU_DEP_2) | instskip(SKIP_4) | instid1(VALU_DEP_1)
	v_add_nc_u32_e32 v1, v1, v3
	s_wait_alu 0xfffd
	v_cndmask_b32_e64 v6, 0, 8, vcc_lo
	ds_bpermute_b32 v3, v5, v1
	v_add_nc_u32_e32 v5, 4, v2
	v_cmp_lt_u32_e32 vcc_lo, v5, v4
	v_add_lshl_u32 v5, v6, v2, 2
	s_wait_dscnt 0x0
	s_wait_alu 0xfffd
	v_cndmask_b32_e32 v3, 0, v3, vcc_lo
	s_delay_alu instid0(VALU_DEP_1) | instskip(SKIP_3) | instid1(VALU_DEP_1)
	v_add_nc_u32_e32 v1, v1, v3
	v_lshlrev_b32_e32 v3, 2, v2
	ds_bpermute_b32 v5, v5, v1
	v_add_nc_u32_e32 v6, 8, v2
	v_cmp_lt_u32_e32 vcc_lo, v6, v4
	v_or_b32_e32 v6, 64, v3
	s_wait_dscnt 0x0
	s_wait_alu 0xfffd
	v_cndmask_b32_e32 v5, 0, v5, vcc_lo
	s_delay_alu instid0(VALU_DEP_1) | instskip(SKIP_2) | instid1(VALU_DEP_1)
	v_add_nc_u32_e32 v1, v1, v5
	ds_bpermute_b32 v5, v6, v1
	v_add_nc_u32_e32 v6, 16, v2
	v_cmp_lt_u32_e32 vcc_lo, v6, v4
	s_wait_dscnt 0x0
	s_wait_alu 0xfffd
	v_cndmask_b32_e32 v4, 0, v5, vcc_lo
	s_delay_alu instid0(VALU_DEP_1)
	v_add_nc_u32_e32 v1, v1, v4
	v_cmpx_eq_u32_e32 0, v2
; %bb.568:
	v_lshrrev_b32_e32 v4, 3, v0
	s_delay_alu instid0(VALU_DEP_1)
	v_and_b32_e32 v4, 28, v4
	ds_store_b32 v4, v1 offset:256
; %bb.569:
	s_or_b32 exec_lo, exec_lo, s3
	s_delay_alu instid0(SALU_CYCLE_1)
	s_mov_b32 s3, exec_lo
	s_wait_loadcnt_dscnt 0x0
	s_barrier_signal -1
	s_barrier_wait -1
	global_inv scope:SCOPE_SE
	v_cmpx_gt_u32_e32 8, v0
	s_cbranch_execz .LBB114_571
; %bb.570:
	ds_load_b32 v1, v3 offset:256
	v_and_b32_e32 v4, 7, v2
	s_add_co_i32 s2, s2, 31
	s_wait_alu 0xfffe
	s_lshr_b32 s2, s2, 5
	s_delay_alu instid0(VALU_DEP_1) | instskip(SKIP_4) | instid1(VALU_DEP_2)
	v_cmp_ne_u32_e32 vcc_lo, 7, v4
	v_add_nc_u32_e32 v6, 1, v4
	s_wait_alu 0xfffd
	v_add_co_ci_u32_e64 v5, null, 0, v2, vcc_lo
	v_cmp_gt_u32_e32 vcc_lo, 6, v4
	v_lshlrev_b32_e32 v5, 2, v5
	s_wait_alu 0xfffd
	v_cndmask_b32_e64 v7, 0, 2, vcc_lo
	s_wait_alu 0xfffe
	v_cmp_gt_u32_e32 vcc_lo, s2, v6
	s_wait_dscnt 0x0
	ds_bpermute_b32 v5, v5, v1
	v_add_lshl_u32 v2, v7, v2, 2
	s_wait_dscnt 0x0
	s_wait_alu 0xfffd
	v_cndmask_b32_e32 v5, 0, v5, vcc_lo
	s_delay_alu instid0(VALU_DEP_1)
	v_add_nc_u32_e32 v1, v5, v1
	v_add_nc_u32_e32 v5, 2, v4
	ds_bpermute_b32 v2, v2, v1
	v_cmp_gt_u32_e32 vcc_lo, s2, v5
	s_wait_dscnt 0x0
	s_wait_alu 0xfffd
	v_cndmask_b32_e32 v2, 0, v2, vcc_lo
	s_delay_alu instid0(VALU_DEP_1)
	v_add_nc_u32_e32 v1, v1, v2
	v_or_b32_e32 v2, 16, v3
	v_add_nc_u32_e32 v3, 4, v4
	ds_bpermute_b32 v2, v2, v1
	v_cmp_gt_u32_e32 vcc_lo, s2, v3
	s_wait_dscnt 0x0
	s_wait_alu 0xfffd
	v_cndmask_b32_e32 v2, 0, v2, vcc_lo
	s_delay_alu instid0(VALU_DEP_1)
	v_add_nc_u32_e32 v1, v1, v2
.LBB114_571:
	s_wait_alu 0xfffe
	s_or_b32 exec_lo, exec_lo, s3
.LBB114_572:
	v_cmp_eq_u32_e64 s2, 0, v0
	s_branch .LBB114_623
.LBB114_573:
	s_mov_b32 s3, -1
                                        ; implicit-def: $vgpr1
.LBB114_574:
	s_delay_alu instid0(SALU_CYCLE_1)
	s_and_b32 vcc_lo, exec_lo, s3
	s_wait_alu 0xfffe
	s_cbranch_vccz .LBB114_596
; %bb.575:
	v_mov_b32_e32 v1, 0
	s_sub_co_i32 s10, s36, s2
	s_mov_b32 s2, exec_lo
	s_delay_alu instid0(VALU_DEP_1)
	v_dual_mov_b32 v2, v1 :: v_dual_mov_b32 v3, v1
	v_dual_mov_b32 v4, v1 :: v_dual_mov_b32 v5, v1
	;; [unrolled: 1-line block ×3, first 2 shown]
	v_mov_b32_e32 v8, v1
	v_cmpx_gt_u32_e64 s10, v0
	s_cbranch_execz .LBB114_577
; %bb.576:
	global_load_u8 v2, v0, s[8:9]
	v_dual_mov_b32 v3, v1 :: v_dual_mov_b32 v4, v1
	v_dual_mov_b32 v5, v1 :: v_dual_mov_b32 v6, v1
	;; [unrolled: 1-line block ×3, first 2 shown]
	v_mov_b32_e32 v9, v1
	s_wait_loadcnt 0x0
	v_cmp_ne_u16_e32 vcc_lo, 0, v2
	s_wait_alu 0xfffd
	v_cndmask_b32_e64 v2, 0, 1, vcc_lo
	s_delay_alu instid0(VALU_DEP_1) | instskip(NEXT) | instid1(VALU_DEP_1)
	v_and_b32_e32 v2, 0xffff, v2
	v_mov_b32_e32 v1, v2
	v_mov_b32_e32 v2, v3
	;; [unrolled: 1-line block ×8, first 2 shown]
.LBB114_577:
	s_or_b32 exec_lo, exec_lo, s2
	v_or_b32_e32 v9, 0x100, v0
	s_delay_alu instid0(VALU_DEP_1)
	v_cmp_gt_u32_e32 vcc_lo, s10, v9
	s_and_saveexec_b32 s3, vcc_lo
	s_cbranch_execz .LBB114_579
; %bb.578:
	global_load_u8 v2, v0, s[8:9] offset:256
	s_wait_loadcnt 0x0
	v_cmp_ne_u16_e64 s2, 0, v2
	s_delay_alu instid0(VALU_DEP_1)
	v_cndmask_b32_e64 v2, 0, 1, s2
.LBB114_579:
	s_or_b32 exec_lo, exec_lo, s3
	v_or_b32_e32 v9, 0x200, v0
	s_delay_alu instid0(VALU_DEP_1)
	v_cmp_gt_u32_e64 s2, s10, v9
	s_and_saveexec_b32 s4, s2
	s_cbranch_execz .LBB114_581
; %bb.580:
	global_load_u8 v3, v0, s[8:9] offset:512
	s_wait_loadcnt 0x0
	v_cmp_ne_u16_e64 s3, 0, v3
	s_wait_alu 0xf1ff
	s_delay_alu instid0(VALU_DEP_1)
	v_cndmask_b32_e64 v3, 0, 1, s3
.LBB114_581:
	s_or_b32 exec_lo, exec_lo, s4
	v_or_b32_e32 v9, 0x300, v0
	s_delay_alu instid0(VALU_DEP_1)
	v_cmp_gt_u32_e64 s3, s10, v9
	s_and_saveexec_b32 s5, s3
	s_cbranch_execz .LBB114_583
; %bb.582:
	global_load_u8 v4, v0, s[8:9] offset:768
	s_wait_loadcnt 0x0
	v_cmp_ne_u16_e64 s4, 0, v4
	s_delay_alu instid0(VALU_DEP_1)
	v_cndmask_b32_e64 v4, 0, 1, s4
.LBB114_583:
	s_or_b32 exec_lo, exec_lo, s5
	v_or_b32_e32 v9, 0x400, v0
	s_delay_alu instid0(VALU_DEP_1)
	v_cmp_gt_u32_e64 s4, s10, v9
	s_and_saveexec_b32 s6, s4
	s_cbranch_execz .LBB114_585
; %bb.584:
	global_load_u8 v5, v0, s[8:9] offset:1024
	s_wait_loadcnt 0x0
	v_cmp_ne_u16_e64 s5, 0, v5
	s_wait_alu 0xf1ff
	s_delay_alu instid0(VALU_DEP_1)
	v_cndmask_b32_e64 v5, 0, 1, s5
.LBB114_585:
	s_or_b32 exec_lo, exec_lo, s6
	v_or_b32_e32 v9, 0x500, v0
	s_delay_alu instid0(VALU_DEP_1)
	v_cmp_gt_u32_e64 s5, s10, v9
	s_and_saveexec_b32 s7, s5
	s_cbranch_execz .LBB114_587
; %bb.586:
	global_load_u8 v6, v0, s[8:9] offset:1280
	s_wait_loadcnt 0x0
	v_cmp_ne_u16_e64 s6, 0, v6
	s_delay_alu instid0(VALU_DEP_1)
	v_cndmask_b32_e64 v6, 0, 1, s6
.LBB114_587:
	s_or_b32 exec_lo, exec_lo, s7
	v_or_b32_e32 v9, 0x600, v0
	s_delay_alu instid0(VALU_DEP_1)
	v_cmp_gt_u32_e64 s6, s10, v9
	s_and_saveexec_b32 s11, s6
	s_cbranch_execz .LBB114_589
; %bb.588:
	global_load_u8 v7, v0, s[8:9] offset:1536
	s_wait_loadcnt 0x0
	v_cmp_ne_u16_e64 s7, 0, v7
	s_wait_alu 0xf1ff
	s_delay_alu instid0(VALU_DEP_1)
	v_cndmask_b32_e64 v7, 0, 1, s7
.LBB114_589:
	s_wait_alu 0xfffe
	s_or_b32 exec_lo, exec_lo, s11
	v_or_b32_e32 v9, 0x700, v0
	s_delay_alu instid0(VALU_DEP_1)
	v_cmp_gt_u32_e64 s7, s10, v9
	s_and_saveexec_b32 s11, s7
	s_cbranch_execz .LBB114_591
; %bb.590:
	global_load_u8 v8, v0, s[8:9] offset:1792
	s_wait_loadcnt 0x0
	v_cmp_ne_u16_e64 s8, 0, v8
	s_delay_alu instid0(VALU_DEP_1)
	v_cndmask_b32_e64 v8, 0, 1, s8
.LBB114_591:
	s_wait_alu 0xfffe
	s_or_b32 exec_lo, exec_lo, s11
	v_cndmask_b32_e32 v2, 0, v2, vcc_lo
	v_cndmask_b32_e64 v3, 0, v3, s2
	v_cndmask_b32_e64 v4, 0, v4, s3
	;; [unrolled: 1-line block ×4, first 2 shown]
	v_add_nc_u32_e32 v1, v2, v1
	v_mbcnt_lo_u32_b32 v2, -1, 0
	v_cndmask_b32_e64 v7, 0, v7, s6
	s_min_u32 s2, s10, 0x100
	s_mov_b32 s3, exec_lo
	v_add3_u32 v1, v1, v3, v4
	v_cmp_ne_u32_e32 vcc_lo, 31, v2
	v_cndmask_b32_e64 v3, 0, v8, s7
	s_delay_alu instid0(VALU_DEP_3)
	v_add3_u32 v1, v1, v5, v6
	s_wait_alu 0xfffd
	v_add_co_ci_u32_e64 v4, null, 0, v2, vcc_lo
	v_add_nc_u32_e32 v5, 1, v2
	v_cmp_gt_u32_e32 vcc_lo, 30, v2
	v_add3_u32 v1, v1, v7, v3
	s_delay_alu instid0(VALU_DEP_4)
	v_lshlrev_b32_e32 v4, 2, v4
	s_wait_alu 0xfffd
	v_cndmask_b32_e64 v6, 0, 2, vcc_lo
	ds_bpermute_b32 v3, v4, v1
	v_and_b32_e32 v4, 0xe0, v0
	s_wait_alu 0xfffe
	s_delay_alu instid0(VALU_DEP_1) | instskip(NEXT) | instid1(VALU_DEP_1)
	v_sub_nc_u32_e64 v4, s2, v4 clamp
	v_cmp_lt_u32_e32 vcc_lo, v5, v4
	v_add_lshl_u32 v5, v6, v2, 2
	s_wait_dscnt 0x0
	s_wait_alu 0xfffd
	v_cndmask_b32_e32 v3, 0, v3, vcc_lo
	v_cmp_gt_u32_e32 vcc_lo, 28, v2
	s_delay_alu instid0(VALU_DEP_2) | instskip(SKIP_4) | instid1(VALU_DEP_1)
	v_add_nc_u32_e32 v1, v1, v3
	s_wait_alu 0xfffd
	v_cndmask_b32_e64 v6, 0, 4, vcc_lo
	ds_bpermute_b32 v3, v5, v1
	v_add_nc_u32_e32 v5, 2, v2
	v_cmp_lt_u32_e32 vcc_lo, v5, v4
	v_add_lshl_u32 v5, v6, v2, 2
	s_wait_dscnt 0x0
	s_wait_alu 0xfffd
	v_cndmask_b32_e32 v3, 0, v3, vcc_lo
	v_cmp_gt_u32_e32 vcc_lo, 24, v2
	s_delay_alu instid0(VALU_DEP_2) | instskip(SKIP_4) | instid1(VALU_DEP_1)
	v_add_nc_u32_e32 v1, v1, v3
	s_wait_alu 0xfffd
	v_cndmask_b32_e64 v6, 0, 8, vcc_lo
	ds_bpermute_b32 v3, v5, v1
	v_add_nc_u32_e32 v5, 4, v2
	v_cmp_lt_u32_e32 vcc_lo, v5, v4
	v_add_lshl_u32 v5, v6, v2, 2
	s_wait_dscnt 0x0
	s_wait_alu 0xfffd
	v_cndmask_b32_e32 v3, 0, v3, vcc_lo
	s_delay_alu instid0(VALU_DEP_1) | instskip(SKIP_3) | instid1(VALU_DEP_1)
	v_add_nc_u32_e32 v1, v1, v3
	v_lshlrev_b32_e32 v3, 2, v2
	ds_bpermute_b32 v5, v5, v1
	v_add_nc_u32_e32 v6, 8, v2
	v_cmp_lt_u32_e32 vcc_lo, v6, v4
	v_or_b32_e32 v6, 64, v3
	s_wait_dscnt 0x0
	s_wait_alu 0xfffd
	v_cndmask_b32_e32 v5, 0, v5, vcc_lo
	s_delay_alu instid0(VALU_DEP_1) | instskip(SKIP_2) | instid1(VALU_DEP_1)
	v_add_nc_u32_e32 v1, v1, v5
	ds_bpermute_b32 v5, v6, v1
	v_add_nc_u32_e32 v6, 16, v2
	v_cmp_lt_u32_e32 vcc_lo, v6, v4
	s_wait_dscnt 0x0
	s_wait_alu 0xfffd
	v_cndmask_b32_e32 v4, 0, v5, vcc_lo
	s_delay_alu instid0(VALU_DEP_1)
	v_add_nc_u32_e32 v1, v1, v4
	v_cmpx_eq_u32_e32 0, v2
; %bb.592:
	v_lshrrev_b32_e32 v4, 3, v0
	s_delay_alu instid0(VALU_DEP_1)
	v_and_b32_e32 v4, 28, v4
	ds_store_b32 v4, v1 offset:256
; %bb.593:
	s_or_b32 exec_lo, exec_lo, s3
	s_delay_alu instid0(SALU_CYCLE_1)
	s_mov_b32 s3, exec_lo
	s_wait_loadcnt_dscnt 0x0
	s_barrier_signal -1
	s_barrier_wait -1
	global_inv scope:SCOPE_SE
	v_cmpx_gt_u32_e32 8, v0
	s_cbranch_execz .LBB114_595
; %bb.594:
	ds_load_b32 v1, v3 offset:256
	v_and_b32_e32 v4, 7, v2
	s_add_co_i32 s2, s2, 31
	s_wait_alu 0xfffe
	s_lshr_b32 s2, s2, 5
	s_delay_alu instid0(VALU_DEP_1) | instskip(SKIP_4) | instid1(VALU_DEP_2)
	v_cmp_ne_u32_e32 vcc_lo, 7, v4
	v_add_nc_u32_e32 v6, 1, v4
	s_wait_alu 0xfffd
	v_add_co_ci_u32_e64 v5, null, 0, v2, vcc_lo
	v_cmp_gt_u32_e32 vcc_lo, 6, v4
	v_lshlrev_b32_e32 v5, 2, v5
	s_wait_alu 0xfffd
	v_cndmask_b32_e64 v7, 0, 2, vcc_lo
	s_wait_alu 0xfffe
	v_cmp_gt_u32_e32 vcc_lo, s2, v6
	s_wait_dscnt 0x0
	ds_bpermute_b32 v5, v5, v1
	v_add_lshl_u32 v2, v7, v2, 2
	s_wait_dscnt 0x0
	s_wait_alu 0xfffd
	v_cndmask_b32_e32 v5, 0, v5, vcc_lo
	s_delay_alu instid0(VALU_DEP_1)
	v_add_nc_u32_e32 v1, v5, v1
	v_add_nc_u32_e32 v5, 2, v4
	ds_bpermute_b32 v2, v2, v1
	v_cmp_gt_u32_e32 vcc_lo, s2, v5
	s_wait_dscnt 0x0
	s_wait_alu 0xfffd
	v_cndmask_b32_e32 v2, 0, v2, vcc_lo
	s_delay_alu instid0(VALU_DEP_1)
	v_add_nc_u32_e32 v1, v1, v2
	v_or_b32_e32 v2, 16, v3
	v_add_nc_u32_e32 v3, 4, v4
	ds_bpermute_b32 v2, v2, v1
	v_cmp_gt_u32_e32 vcc_lo, s2, v3
	s_wait_dscnt 0x0
	s_wait_alu 0xfffd
	v_cndmask_b32_e32 v2, 0, v2, vcc_lo
	s_delay_alu instid0(VALU_DEP_1)
	v_add_nc_u32_e32 v1, v1, v2
.LBB114_595:
	s_wait_alu 0xfffe
	s_or_b32 exec_lo, exec_lo, s3
.LBB114_596:
	v_cmp_eq_u32_e64 s2, 0, v0
.LBB114_597:
	s_branch .LBB114_623
.LBB114_598:
	s_mov_b32 s3, -1
                                        ; implicit-def: $vgpr1
.LBB114_599:
	s_delay_alu instid0(SALU_CYCLE_1)
	s_and_b32 vcc_lo, exec_lo, s3
	s_wait_alu 0xfffe
	s_cbranch_vccz .LBB114_613
; %bb.600:
	v_mov_b32_e32 v1, 0
	s_sub_co_i32 s6, s36, s2
	s_mov_b32 s2, exec_lo
	s_delay_alu instid0(VALU_DEP_1)
	v_dual_mov_b32 v2, v1 :: v_dual_mov_b32 v3, v1
	v_mov_b32_e32 v4, v1
	v_cmpx_gt_u32_e64 s6, v0
	s_cbranch_execz .LBB114_602
; %bb.601:
	global_load_u8 v2, v0, s[4:5]
	v_dual_mov_b32 v3, v1 :: v_dual_mov_b32 v4, v1
	v_mov_b32_e32 v5, v1
	s_wait_loadcnt 0x0
	v_cmp_ne_u16_e32 vcc_lo, 0, v2
	s_wait_alu 0xfffd
	v_cndmask_b32_e64 v2, 0, 1, vcc_lo
	s_delay_alu instid0(VALU_DEP_1) | instskip(NEXT) | instid1(VALU_DEP_1)
	v_and_b32_e32 v2, 0xffff, v2
	v_mov_b32_e32 v1, v2
	v_mov_b32_e32 v2, v3
	;; [unrolled: 1-line block ×4, first 2 shown]
.LBB114_602:
	s_or_b32 exec_lo, exec_lo, s2
	v_or_b32_e32 v5, 0x100, v0
	s_delay_alu instid0(VALU_DEP_1)
	v_cmp_gt_u32_e32 vcc_lo, s6, v5
	s_and_saveexec_b32 s3, vcc_lo
	s_cbranch_execz .LBB114_604
; %bb.603:
	global_load_u8 v2, v0, s[4:5] offset:256
	s_wait_loadcnt 0x0
	v_cmp_ne_u16_e64 s2, 0, v2
	s_delay_alu instid0(VALU_DEP_1)
	v_cndmask_b32_e64 v2, 0, 1, s2
.LBB114_604:
	s_or_b32 exec_lo, exec_lo, s3
	v_or_b32_e32 v5, 0x200, v0
	s_delay_alu instid0(VALU_DEP_1)
	v_cmp_gt_u32_e64 s2, s6, v5
	s_and_saveexec_b32 s7, s2
	s_cbranch_execz .LBB114_606
; %bb.605:
	global_load_u8 v3, v0, s[4:5] offset:512
	s_wait_loadcnt 0x0
	v_cmp_ne_u16_e64 s3, 0, v3
	s_wait_alu 0xf1ff
	s_delay_alu instid0(VALU_DEP_1)
	v_cndmask_b32_e64 v3, 0, 1, s3
.LBB114_606:
	s_wait_alu 0xfffe
	s_or_b32 exec_lo, exec_lo, s7
	v_or_b32_e32 v5, 0x300, v0
	s_delay_alu instid0(VALU_DEP_1)
	v_cmp_gt_u32_e64 s3, s6, v5
	s_and_saveexec_b32 s7, s3
	s_cbranch_execz .LBB114_608
; %bb.607:
	global_load_u8 v4, v0, s[4:5] offset:768
	s_wait_loadcnt 0x0
	v_cmp_ne_u16_e64 s4, 0, v4
	s_delay_alu instid0(VALU_DEP_1)
	v_cndmask_b32_e64 v4, 0, 1, s4
.LBB114_608:
	s_wait_alu 0xfffe
	s_or_b32 exec_lo, exec_lo, s7
	v_cndmask_b32_e32 v5, 0, v2, vcc_lo
	v_mbcnt_lo_u32_b32 v2, -1, 0
	v_cndmask_b32_e64 v3, 0, v3, s2
	v_cndmask_b32_e64 v4, 0, v4, s3
	s_min_u32 s2, s6, 0x100
	v_add_nc_u32_e32 v1, v5, v1
	v_cmp_ne_u32_e32 vcc_lo, 31, v2
	s_mov_b32 s3, exec_lo
	s_delay_alu instid0(VALU_DEP_2) | instskip(SKIP_4) | instid1(VALU_DEP_3)
	v_add3_u32 v1, v1, v3, v4
	s_wait_alu 0xfffd
	v_add_co_ci_u32_e64 v5, null, 0, v2, vcc_lo
	v_and_b32_e32 v4, 0xe0, v0
	v_cmp_gt_u32_e32 vcc_lo, 30, v2
	v_lshlrev_b32_e32 v3, 2, v5
	v_add_nc_u32_e32 v5, 1, v2
	s_wait_alu 0xfffe
	v_sub_nc_u32_e64 v4, s2, v4 clamp
	s_wait_alu 0xfffd
	v_cndmask_b32_e64 v6, 0, 2, vcc_lo
	ds_bpermute_b32 v3, v3, v1
	v_cmp_lt_u32_e32 vcc_lo, v5, v4
	v_add_lshl_u32 v5, v6, v2, 2
	s_wait_dscnt 0x0
	s_wait_alu 0xfffd
	v_cndmask_b32_e32 v3, 0, v3, vcc_lo
	v_cmp_gt_u32_e32 vcc_lo, 28, v2
	s_delay_alu instid0(VALU_DEP_2) | instskip(SKIP_4) | instid1(VALU_DEP_1)
	v_add_nc_u32_e32 v1, v3, v1
	s_wait_alu 0xfffd
	v_cndmask_b32_e64 v6, 0, 4, vcc_lo
	ds_bpermute_b32 v3, v5, v1
	v_add_nc_u32_e32 v5, 2, v2
	v_cmp_lt_u32_e32 vcc_lo, v5, v4
	v_add_lshl_u32 v5, v6, v2, 2
	s_wait_dscnt 0x0
	s_wait_alu 0xfffd
	v_cndmask_b32_e32 v3, 0, v3, vcc_lo
	v_cmp_gt_u32_e32 vcc_lo, 24, v2
	s_delay_alu instid0(VALU_DEP_2) | instskip(SKIP_4) | instid1(VALU_DEP_1)
	v_add_nc_u32_e32 v1, v1, v3
	s_wait_alu 0xfffd
	v_cndmask_b32_e64 v6, 0, 8, vcc_lo
	ds_bpermute_b32 v3, v5, v1
	v_add_nc_u32_e32 v5, 4, v2
	v_cmp_lt_u32_e32 vcc_lo, v5, v4
	v_add_lshl_u32 v5, v6, v2, 2
	s_wait_dscnt 0x0
	s_wait_alu 0xfffd
	v_dual_cndmask_b32 v3, 0, v3 :: v_dual_add_nc_u32 v6, 8, v2
	s_delay_alu instid0(VALU_DEP_1) | instskip(NEXT) | instid1(VALU_DEP_2)
	v_cmp_lt_u32_e32 vcc_lo, v6, v4
	v_add_nc_u32_e32 v1, v1, v3
	v_lshlrev_b32_e32 v3, 2, v2
	ds_bpermute_b32 v5, v5, v1
	v_or_b32_e32 v6, 64, v3
	s_wait_dscnt 0x0
	s_wait_alu 0xfffd
	v_cndmask_b32_e32 v5, 0, v5, vcc_lo
	s_delay_alu instid0(VALU_DEP_1) | instskip(SKIP_2) | instid1(VALU_DEP_1)
	v_add_nc_u32_e32 v1, v1, v5
	ds_bpermute_b32 v5, v6, v1
	v_add_nc_u32_e32 v6, 16, v2
	v_cmp_lt_u32_e32 vcc_lo, v6, v4
	s_wait_dscnt 0x0
	s_wait_alu 0xfffd
	v_cndmask_b32_e32 v4, 0, v5, vcc_lo
	s_delay_alu instid0(VALU_DEP_1)
	v_add_nc_u32_e32 v1, v1, v4
	v_cmpx_eq_u32_e32 0, v2
; %bb.609:
	v_lshrrev_b32_e32 v4, 3, v0
	s_delay_alu instid0(VALU_DEP_1)
	v_and_b32_e32 v4, 28, v4
	ds_store_b32 v4, v1 offset:256
; %bb.610:
	s_or_b32 exec_lo, exec_lo, s3
	s_delay_alu instid0(SALU_CYCLE_1)
	s_mov_b32 s3, exec_lo
	s_wait_loadcnt_dscnt 0x0
	s_barrier_signal -1
	s_barrier_wait -1
	global_inv scope:SCOPE_SE
	v_cmpx_gt_u32_e32 8, v0
	s_cbranch_execz .LBB114_612
; %bb.611:
	ds_load_b32 v1, v3 offset:256
	v_and_b32_e32 v4, 7, v2
	s_add_co_i32 s2, s2, 31
	s_wait_alu 0xfffe
	s_lshr_b32 s2, s2, 5
	s_delay_alu instid0(VALU_DEP_1) | instskip(SKIP_4) | instid1(VALU_DEP_2)
	v_cmp_ne_u32_e32 vcc_lo, 7, v4
	v_add_nc_u32_e32 v6, 1, v4
	s_wait_alu 0xfffd
	v_add_co_ci_u32_e64 v5, null, 0, v2, vcc_lo
	v_cmp_gt_u32_e32 vcc_lo, 6, v4
	v_lshlrev_b32_e32 v5, 2, v5
	s_wait_alu 0xfffd
	v_cndmask_b32_e64 v7, 0, 2, vcc_lo
	s_wait_alu 0xfffe
	v_cmp_gt_u32_e32 vcc_lo, s2, v6
	s_wait_dscnt 0x0
	ds_bpermute_b32 v5, v5, v1
	v_add_lshl_u32 v2, v7, v2, 2
	s_wait_dscnt 0x0
	s_wait_alu 0xfffd
	v_cndmask_b32_e32 v5, 0, v5, vcc_lo
	s_delay_alu instid0(VALU_DEP_1)
	v_add_nc_u32_e32 v1, v5, v1
	v_add_nc_u32_e32 v5, 2, v4
	ds_bpermute_b32 v2, v2, v1
	v_cmp_gt_u32_e32 vcc_lo, s2, v5
	s_wait_dscnt 0x0
	s_wait_alu 0xfffd
	v_cndmask_b32_e32 v2, 0, v2, vcc_lo
	s_delay_alu instid0(VALU_DEP_1)
	v_add_nc_u32_e32 v1, v1, v2
	v_or_b32_e32 v2, 16, v3
	v_add_nc_u32_e32 v3, 4, v4
	ds_bpermute_b32 v2, v2, v1
	v_cmp_gt_u32_e32 vcc_lo, s2, v3
	s_wait_dscnt 0x0
	s_wait_alu 0xfffd
	v_cndmask_b32_e32 v2, 0, v2, vcc_lo
	s_delay_alu instid0(VALU_DEP_1)
	v_add_nc_u32_e32 v1, v1, v2
.LBB114_612:
	s_wait_alu 0xfffe
	s_or_b32 exec_lo, exec_lo, s3
.LBB114_613:
	v_cmp_eq_u32_e64 s2, 0, v0
	s_branch .LBB114_623
.LBB114_614:
	s_cmp_gt_i32 s44, 1
	s_cbranch_scc0 .LBB114_622
; %bb.615:
	s_cmp_eq_u32 s44, 2
	s_cbranch_scc0 .LBB114_626
; %bb.616:
	s_mov_b32 s35, 0
	s_lshl_b32 s4, s34, 9
	s_lshr_b64 s[2:3], s[36:37], 9
	s_mov_b32 s5, s35
	s_cmp_lg_u64 s[2:3], s[34:35]
	s_add_nc_u64 s[2:3], s[40:41], s[4:5]
	s_cbranch_scc0 .LBB114_627
; %bb.617:
	s_clause 0x1
	global_load_u8 v1, v0, s[2:3]
	global_load_u8 v2, v0, s[2:3] offset:256
	s_mov_b32 s5, exec_lo
	s_wait_loadcnt 0x1
	v_cmp_ne_u16_e32 vcc_lo, 0, v1
	v_cndmask_b32_e64 v1, 0, 1, vcc_lo
	s_wait_loadcnt 0x0
	v_cmp_ne_u16_e32 vcc_lo, 0, v2
	s_wait_alu 0xfffd
	s_delay_alu instid0(VALU_DEP_2) | instskip(NEXT) | instid1(VALU_DEP_1)
	v_add_co_ci_u32_e64 v2, null, 0, v1, vcc_lo
	v_mov_b32_dpp v2, v2 quad_perm:[1,0,3,2] row_mask:0xf bank_mask:0xf
	s_delay_alu instid0(VALU_DEP_1) | instskip(NEXT) | instid1(VALU_DEP_1)
	v_add_co_ci_u32_e64 v1, null, v2, v1, vcc_lo
	v_mov_b32_dpp v2, v1 quad_perm:[2,3,0,1] row_mask:0xf bank_mask:0xf
	s_delay_alu instid0(VALU_DEP_1) | instskip(NEXT) | instid1(VALU_DEP_1)
	v_add_nc_u32_e32 v1, v1, v2
	v_mov_b32_dpp v2, v1 row_ror:4 row_mask:0xf bank_mask:0xf
	s_delay_alu instid0(VALU_DEP_1) | instskip(NEXT) | instid1(VALU_DEP_1)
	v_add_nc_u32_e32 v1, v1, v2
	v_mov_b32_dpp v2, v1 row_ror:8 row_mask:0xf bank_mask:0xf
	s_delay_alu instid0(VALU_DEP_1)
	v_add_nc_u32_e32 v1, v1, v2
	ds_swizzle_b32 v2, v1 offset:swizzle(BROADCAST,32,15)
	s_wait_dscnt 0x0
	v_dual_mov_b32 v2, 0 :: v_dual_add_nc_u32 v1, v1, v2
	ds_bpermute_b32 v1, v2, v1 offset:124
	v_mbcnt_lo_u32_b32 v2, -1, 0
	s_delay_alu instid0(VALU_DEP_1)
	v_cmpx_eq_u32_e32 0, v2
	s_cbranch_execz .LBB114_619
; %bb.618:
	v_lshrrev_b32_e32 v3, 3, v0
	s_delay_alu instid0(VALU_DEP_1)
	v_and_b32_e32 v3, 28, v3
	s_wait_dscnt 0x0
	ds_store_b32 v3, v1 offset:96
.LBB114_619:
	s_or_b32 exec_lo, exec_lo, s5
	s_delay_alu instid0(SALU_CYCLE_1)
	s_mov_b32 s5, exec_lo
	s_wait_dscnt 0x0
	s_barrier_signal -1
	s_barrier_wait -1
	global_inv scope:SCOPE_SE
	v_cmpx_gt_u32_e32 32, v0
	s_cbranch_execz .LBB114_621
; %bb.620:
	v_lshl_or_b32 v1, v2, 2, 0x60
	v_and_b32_e32 v3, 7, v2
	ds_load_b32 v1, v1
	v_cmp_ne_u32_e32 vcc_lo, 7, v3
	s_wait_alu 0xfffd
	v_add_co_ci_u32_e64 v4, null, 0, v2, vcc_lo
	v_cmp_gt_u32_e32 vcc_lo, 6, v3
	s_delay_alu instid0(VALU_DEP_2) | instskip(SKIP_2) | instid1(VALU_DEP_1)
	v_lshlrev_b32_e32 v4, 2, v4
	s_wait_alu 0xfffd
	v_cndmask_b32_e64 v3, 0, 2, vcc_lo
	v_add_lshl_u32 v3, v3, v2, 2
	v_lshlrev_b32_e32 v2, 2, v2
	s_wait_dscnt 0x0
	ds_bpermute_b32 v4, v4, v1
	v_or_b32_e32 v2, 16, v2
	s_wait_dscnt 0x0
	v_add_nc_u32_e32 v1, v4, v1
	ds_bpermute_b32 v3, v3, v1
	s_wait_dscnt 0x0
	v_add_nc_u32_e32 v1, v3, v1
	ds_bpermute_b32 v2, v2, v1
	s_wait_dscnt 0x0
	v_add_nc_u32_e32 v1, v2, v1
.LBB114_621:
	s_or_b32 exec_lo, exec_lo, s5
	s_mov_b32 s5, 0
	s_branch .LBB114_628
.LBB114_622:
                                        ; implicit-def: $vgpr1
	s_cbranch_execnz .LBB114_639
.LBB114_623:
	s_delay_alu instid0(VALU_DEP_1)
	s_and_saveexec_b32 s3, s2
	s_cbranch_execz .LBB114_625
.LBB114_624:
	s_load_b32 s2, s[0:1], 0x28
	s_lshl_b64 s[0:1], s[34:35], 2
	s_cmp_lg_u64 s[36:37], 0
	s_add_nc_u64 s[0:1], s[38:39], s[0:1]
	s_cselect_b32 vcc_lo, -1, 0
	s_wait_alu 0xfffe
	v_dual_cndmask_b32 v0, 0, v1 :: v_dual_mov_b32 v1, 0
	s_wait_kmcnt 0x0
	s_delay_alu instid0(VALU_DEP_1)
	v_add_nc_u32_e32 v0, s2, v0
	global_store_b32 v1, v0, s[0:1]
.LBB114_625:
	s_nop 0
	s_sendmsg sendmsg(MSG_DEALLOC_VGPRS)
	s_endpgm
.LBB114_626:
                                        ; implicit-def: $vgpr1
	s_branch .LBB114_623
.LBB114_627:
	s_mov_b32 s5, -1
                                        ; implicit-def: $vgpr1
.LBB114_628:
	s_delay_alu instid0(SALU_CYCLE_1)
	s_and_b32 vcc_lo, exec_lo, s5
	s_wait_alu 0xfffe
	s_cbranch_vccz .LBB114_638
; %bb.629:
	v_mov_b32_e32 v1, 0
	s_sub_co_i32 s4, s36, s4
	s_mov_b32 s5, exec_lo
	s_delay_alu instid0(VALU_DEP_1)
	v_mov_b32_e32 v2, v1
	v_cmpx_gt_u32_e64 s4, v0
	s_cbranch_execz .LBB114_631
; %bb.630:
	global_load_u8 v2, v0, s[2:3]
	v_mov_b32_e32 v3, v1
	s_wait_loadcnt 0x0
	v_cmp_ne_u16_e32 vcc_lo, 0, v2
	s_wait_alu 0xfffd
	v_cndmask_b32_e64 v2, 0, 1, vcc_lo
	s_delay_alu instid0(VALU_DEP_1) | instskip(NEXT) | instid1(VALU_DEP_1)
	v_and_b32_e32 v2, 0xffff, v2
	v_mov_b32_e32 v1, v2
	v_mov_b32_e32 v2, v3
.LBB114_631:
	s_or_b32 exec_lo, exec_lo, s5
	v_or_b32_e32 v3, 0x100, v0
	s_delay_alu instid0(VALU_DEP_1)
	v_cmp_gt_u32_e32 vcc_lo, s4, v3
	s_and_saveexec_b32 s5, vcc_lo
	s_cbranch_execz .LBB114_633
; %bb.632:
	global_load_u8 v2, v0, s[2:3] offset:256
	s_wait_loadcnt 0x0
	v_cmp_ne_u16_e64 s2, 0, v2
	s_delay_alu instid0(VALU_DEP_1)
	v_cndmask_b32_e64 v2, 0, 1, s2
.LBB114_633:
	s_wait_alu 0xfffe
	s_or_b32 exec_lo, exec_lo, s5
	v_mbcnt_lo_u32_b32 v3, -1, 0
	s_delay_alu instid0(VALU_DEP_2) | instskip(SKIP_2) | instid1(VALU_DEP_2)
	v_cndmask_b32_e32 v2, 0, v2, vcc_lo
	s_min_u32 s2, s4, 0x100
	s_mov_b32 s3, exec_lo
	v_cmp_ne_u32_e32 vcc_lo, 31, v3
	v_add_nc_u32_e32 v5, 1, v3
	v_add_nc_u32_e32 v1, v2, v1
	s_wait_alu 0xfffd
	v_add_co_ci_u32_e64 v4, null, 0, v3, vcc_lo
	v_cmp_gt_u32_e32 vcc_lo, 30, v3
	s_delay_alu instid0(VALU_DEP_2)
	v_lshlrev_b32_e32 v2, 2, v4
	v_and_b32_e32 v4, 0xe0, v0
	s_wait_alu 0xfffd
	v_cndmask_b32_e64 v6, 0, 2, vcc_lo
	ds_bpermute_b32 v2, v2, v1
	s_wait_alu 0xfffe
	v_sub_nc_u32_e64 v4, s2, v4 clamp
	s_delay_alu instid0(VALU_DEP_1)
	v_cmp_lt_u32_e32 vcc_lo, v5, v4
	v_add_lshl_u32 v5, v6, v3, 2
	s_wait_dscnt 0x0
	s_wait_alu 0xfffd
	v_cndmask_b32_e32 v2, 0, v2, vcc_lo
	v_cmp_gt_u32_e32 vcc_lo, 28, v3
	s_delay_alu instid0(VALU_DEP_2) | instskip(SKIP_4) | instid1(VALU_DEP_1)
	v_add_nc_u32_e32 v1, v2, v1
	s_wait_alu 0xfffd
	v_cndmask_b32_e64 v6, 0, 4, vcc_lo
	ds_bpermute_b32 v2, v5, v1
	v_add_nc_u32_e32 v5, 2, v3
	v_cmp_lt_u32_e32 vcc_lo, v5, v4
	v_add_lshl_u32 v5, v6, v3, 2
	s_wait_dscnt 0x0
	s_wait_alu 0xfffd
	v_cndmask_b32_e32 v2, 0, v2, vcc_lo
	v_cmp_gt_u32_e32 vcc_lo, 24, v3
	s_delay_alu instid0(VALU_DEP_2) | instskip(SKIP_4) | instid1(VALU_DEP_1)
	v_add_nc_u32_e32 v1, v1, v2
	s_wait_alu 0xfffd
	v_cndmask_b32_e64 v6, 0, 8, vcc_lo
	ds_bpermute_b32 v2, v5, v1
	v_add_nc_u32_e32 v5, 4, v3
	v_cmp_lt_u32_e32 vcc_lo, v5, v4
	v_add_lshl_u32 v5, v6, v3, 2
	v_add_nc_u32_e32 v6, 8, v3
	s_wait_dscnt 0x0
	s_wait_alu 0xfffd
	v_cndmask_b32_e32 v2, 0, v2, vcc_lo
	s_delay_alu instid0(VALU_DEP_2) | instskip(NEXT) | instid1(VALU_DEP_2)
	v_cmp_lt_u32_e32 vcc_lo, v6, v4
	v_add_nc_u32_e32 v1, v1, v2
	v_lshlrev_b32_e32 v2, 2, v3
	ds_bpermute_b32 v5, v5, v1
	v_or_b32_e32 v6, 64, v2
	s_wait_dscnt 0x0
	s_wait_alu 0xfffd
	v_cndmask_b32_e32 v5, 0, v5, vcc_lo
	s_delay_alu instid0(VALU_DEP_1) | instskip(SKIP_2) | instid1(VALU_DEP_1)
	v_add_nc_u32_e32 v1, v1, v5
	ds_bpermute_b32 v5, v6, v1
	v_add_nc_u32_e32 v6, 16, v3
	v_cmp_lt_u32_e32 vcc_lo, v6, v4
	s_wait_dscnt 0x0
	s_wait_alu 0xfffd
	v_cndmask_b32_e32 v4, 0, v5, vcc_lo
	s_delay_alu instid0(VALU_DEP_1)
	v_add_nc_u32_e32 v1, v1, v4
	v_cmpx_eq_u32_e32 0, v3
; %bb.634:
	v_lshrrev_b32_e32 v4, 3, v0
	s_delay_alu instid0(VALU_DEP_1)
	v_and_b32_e32 v4, 28, v4
	ds_store_b32 v4, v1 offset:256
; %bb.635:
	s_or_b32 exec_lo, exec_lo, s3
	s_delay_alu instid0(SALU_CYCLE_1)
	s_mov_b32 s3, exec_lo
	s_wait_loadcnt_dscnt 0x0
	s_barrier_signal -1
	s_barrier_wait -1
	global_inv scope:SCOPE_SE
	v_cmpx_gt_u32_e32 8, v0
	s_cbranch_execz .LBB114_637
; %bb.636:
	ds_load_b32 v1, v2 offset:256
	v_and_b32_e32 v4, 7, v3
	s_add_co_i32 s2, s2, 31
	v_or_b32_e32 v2, 16, v2
	s_wait_alu 0xfffe
	s_lshr_b32 s2, s2, 5
	v_cmp_ne_u32_e32 vcc_lo, 7, v4
	v_add_nc_u32_e32 v6, 1, v4
	s_wait_alu 0xfffd
	v_add_co_ci_u32_e64 v5, null, 0, v3, vcc_lo
	v_cmp_gt_u32_e32 vcc_lo, 6, v4
	s_delay_alu instid0(VALU_DEP_2)
	v_lshlrev_b32_e32 v5, 2, v5
	s_wait_alu 0xfffd
	v_cndmask_b32_e64 v7, 0, 2, vcc_lo
	s_wait_alu 0xfffe
	v_cmp_gt_u32_e32 vcc_lo, s2, v6
	s_wait_dscnt 0x0
	ds_bpermute_b32 v5, v5, v1
	v_add_lshl_u32 v3, v7, v3, 2
	s_wait_dscnt 0x0
	s_wait_alu 0xfffd
	v_cndmask_b32_e32 v5, 0, v5, vcc_lo
	s_delay_alu instid0(VALU_DEP_1)
	v_add_nc_u32_e32 v1, v5, v1
	v_add_nc_u32_e32 v5, 2, v4
	ds_bpermute_b32 v3, v3, v1
	v_cmp_gt_u32_e32 vcc_lo, s2, v5
	s_wait_dscnt 0x0
	s_wait_alu 0xfffd
	v_cndmask_b32_e32 v3, 0, v3, vcc_lo
	s_delay_alu instid0(VALU_DEP_1)
	v_add_nc_u32_e32 v1, v1, v3
	v_add_nc_u32_e32 v3, 4, v4
	ds_bpermute_b32 v2, v2, v1
	v_cmp_gt_u32_e32 vcc_lo, s2, v3
	s_wait_dscnt 0x0
	s_wait_alu 0xfffd
	v_cndmask_b32_e32 v2, 0, v2, vcc_lo
	s_delay_alu instid0(VALU_DEP_1)
	v_add_nc_u32_e32 v1, v1, v2
.LBB114_637:
	s_wait_alu 0xfffe
	s_or_b32 exec_lo, exec_lo, s3
.LBB114_638:
	v_cmp_eq_u32_e64 s2, 0, v0
	s_branch .LBB114_623
.LBB114_639:
	s_cmp_eq_u32 s44, 1
	s_cbranch_scc0 .LBB114_647
; %bb.640:
	s_mov_b32 s3, 0
	v_mbcnt_lo_u32_b32 v2, -1, 0
	s_lshr_b64 s[4:5], s[36:37], 8
	s_mov_b32 s35, s3
	s_lshl_b32 s2, s34, 8
	s_cmp_lg_u64 s[4:5], s[34:35]
	s_cbranch_scc0 .LBB114_648
; %bb.641:
	s_add_nc_u64 s[4:5], s[40:41], s[2:3]
	global_load_u8 v1, v0, s[4:5]
	s_mov_b32 s4, exec_lo
	s_wait_loadcnt 0x0
	v_cmp_ne_u16_e32 vcc_lo, 0, v1
	v_cndmask_b32_e64 v1, 0, 1, vcc_lo
	s_delay_alu instid0(VALU_DEP_1) | instskip(NEXT) | instid1(VALU_DEP_1)
	v_mov_b32_dpp v1, v1 quad_perm:[1,0,3,2] row_mask:0xf bank_mask:0xf
	v_add_co_ci_u32_e64 v3, null, 0, v1, vcc_lo
	s_delay_alu instid0(VALU_DEP_1) | instskip(NEXT) | instid1(VALU_DEP_1)
	v_mov_b32_dpp v3, v3 quad_perm:[2,3,0,1] row_mask:0xf bank_mask:0xf
	v_add_co_ci_u32_e64 v1, null, v3, v1, vcc_lo
	s_delay_alu instid0(VALU_DEP_1) | instskip(NEXT) | instid1(VALU_DEP_1)
	v_mov_b32_dpp v3, v1 row_ror:4 row_mask:0xf bank_mask:0xf
	v_add_nc_u32_e32 v1, v1, v3
	s_delay_alu instid0(VALU_DEP_1) | instskip(NEXT) | instid1(VALU_DEP_1)
	v_mov_b32_dpp v3, v1 row_ror:8 row_mask:0xf bank_mask:0xf
	v_add_nc_u32_e32 v1, v1, v3
	ds_swizzle_b32 v3, v1 offset:swizzle(BROADCAST,32,15)
	s_wait_dscnt 0x0
	v_add_nc_u32_e32 v1, v1, v3
	v_mov_b32_e32 v3, 0
	ds_bpermute_b32 v1, v3, v1 offset:124
	v_cmpx_eq_u32_e32 0, v2
	s_cbranch_execz .LBB114_643
; %bb.642:
	v_lshrrev_b32_e32 v3, 3, v0
	s_delay_alu instid0(VALU_DEP_1)
	v_and_b32_e32 v3, 28, v3
	s_wait_dscnt 0x0
	ds_store_b32 v3, v1 offset:64
.LBB114_643:
	s_or_b32 exec_lo, exec_lo, s4
	s_delay_alu instid0(SALU_CYCLE_1)
	s_mov_b32 s4, exec_lo
	s_wait_dscnt 0x0
	s_barrier_signal -1
	s_barrier_wait -1
	global_inv scope:SCOPE_SE
	v_cmpx_gt_u32_e32 32, v0
	s_cbranch_execz .LBB114_645
; %bb.644:
	v_and_b32_e32 v1, 7, v2
	s_delay_alu instid0(VALU_DEP_1)
	v_lshlrev_b32_e32 v3, 2, v1
	v_cmp_ne_u32_e32 vcc_lo, 7, v1
	ds_load_b32 v3, v3 offset:64
	s_wait_alu 0xfffd
	v_add_co_ci_u32_e64 v4, null, 0, v2, vcc_lo
	v_cmp_gt_u32_e32 vcc_lo, 6, v1
	s_delay_alu instid0(VALU_DEP_2) | instskip(SKIP_2) | instid1(VALU_DEP_1)
	v_lshlrev_b32_e32 v4, 2, v4
	s_wait_alu 0xfffd
	v_cndmask_b32_e64 v1, 0, 2, vcc_lo
	v_add_lshl_u32 v1, v1, v2, 2
	s_wait_dscnt 0x0
	ds_bpermute_b32 v4, v4, v3
	s_wait_dscnt 0x0
	v_add_nc_u32_e32 v3, v4, v3
	v_lshlrev_b32_e32 v4, 2, v2
	ds_bpermute_b32 v1, v1, v3
	s_wait_dscnt 0x0
	v_add_nc_u32_e32 v1, v1, v3
	v_or_b32_e32 v3, 16, v4
	ds_bpermute_b32 v3, v3, v1
	s_wait_dscnt 0x0
	v_add_nc_u32_e32 v1, v3, v1
.LBB114_645:
	s_or_b32 exec_lo, exec_lo, s4
.LBB114_646:
	v_cmp_eq_u32_e64 s2, 0, v0
	s_and_saveexec_b32 s3, s2
	s_cbranch_execnz .LBB114_624
	s_branch .LBB114_625
.LBB114_647:
                                        ; implicit-def: $vgpr1
                                        ; implicit-def: $sgpr34_sgpr35
	s_and_saveexec_b32 s3, s2
	s_cbranch_execz .LBB114_625
	s_branch .LBB114_624
.LBB114_648:
                                        ; implicit-def: $vgpr1
	s_cbranch_execz .LBB114_646
; %bb.649:
	s_sub_co_i32 s4, s36, s2
	s_mov_b32 s5, exec_lo
                                        ; implicit-def: $vgpr1
	v_cmpx_gt_u32_e64 s4, v0
	s_cbranch_execz .LBB114_651
; %bb.650:
	s_add_nc_u64 s[2:3], s[40:41], s[2:3]
	global_load_u8 v1, v0, s[2:3]
	s_wait_loadcnt 0x0
	v_cmp_ne_u16_e32 vcc_lo, 0, v1
	v_cndmask_b32_e64 v1, 0, 1, vcc_lo
.LBB114_651:
	s_or_b32 exec_lo, exec_lo, s5
	v_cmp_ne_u32_e32 vcc_lo, 31, v2
	s_min_u32 s2, s4, 0x100
	v_add_nc_u32_e32 v5, 1, v2
	s_mov_b32 s3, exec_lo
	s_wait_alu 0xfffd
	v_add_co_ci_u32_e64 v3, null, 0, v2, vcc_lo
	v_cmp_gt_u32_e32 vcc_lo, 30, v2
	s_delay_alu instid0(VALU_DEP_2) | instskip(SKIP_4) | instid1(VALU_DEP_1)
	v_lshlrev_b32_e32 v3, 2, v3
	s_wait_alu 0xfffd
	v_cndmask_b32_e64 v6, 0, 2, vcc_lo
	ds_bpermute_b32 v3, v3, v1
	v_and_b32_e32 v4, 0xe0, v0
	v_sub_nc_u32_e64 v4, s2, v4 clamp
	s_delay_alu instid0(VALU_DEP_1)
	v_cmp_lt_u32_e32 vcc_lo, v5, v4
	v_add_lshl_u32 v5, v6, v2, 2
	s_wait_dscnt 0x0
	s_wait_alu 0xfffd
	v_cndmask_b32_e32 v3, 0, v3, vcc_lo
	v_cmp_gt_u32_e32 vcc_lo, 28, v2
	s_delay_alu instid0(VALU_DEP_2) | instskip(SKIP_4) | instid1(VALU_DEP_1)
	v_add_nc_u32_e32 v1, v3, v1
	s_wait_alu 0xfffd
	v_cndmask_b32_e64 v6, 0, 4, vcc_lo
	ds_bpermute_b32 v3, v5, v1
	v_add_nc_u32_e32 v5, 2, v2
	v_cmp_lt_u32_e32 vcc_lo, v5, v4
	v_add_lshl_u32 v5, v6, v2, 2
	s_wait_dscnt 0x0
	s_wait_alu 0xfffd
	v_cndmask_b32_e32 v3, 0, v3, vcc_lo
	v_cmp_gt_u32_e32 vcc_lo, 24, v2
	s_delay_alu instid0(VALU_DEP_2) | instskip(SKIP_4) | instid1(VALU_DEP_1)
	v_add_nc_u32_e32 v1, v1, v3
	s_wait_alu 0xfffd
	v_cndmask_b32_e64 v6, 0, 8, vcc_lo
	ds_bpermute_b32 v3, v5, v1
	v_add_nc_u32_e32 v5, 4, v2
	v_cmp_lt_u32_e32 vcc_lo, v5, v4
	v_add_lshl_u32 v5, v6, v2, 2
	s_wait_dscnt 0x0
	s_wait_alu 0xfffd
	v_dual_cndmask_b32 v3, 0, v3 :: v_dual_add_nc_u32 v6, 8, v2
	s_delay_alu instid0(VALU_DEP_1) | instskip(NEXT) | instid1(VALU_DEP_2)
	v_cmp_lt_u32_e32 vcc_lo, v6, v4
	v_add_nc_u32_e32 v1, v1, v3
	v_lshlrev_b32_e32 v3, 2, v2
	ds_bpermute_b32 v5, v5, v1
	v_or_b32_e32 v6, 64, v3
	s_wait_dscnt 0x0
	s_wait_alu 0xfffd
	v_cndmask_b32_e32 v5, 0, v5, vcc_lo
	s_delay_alu instid0(VALU_DEP_1) | instskip(SKIP_2) | instid1(VALU_DEP_1)
	v_add_nc_u32_e32 v1, v1, v5
	ds_bpermute_b32 v5, v6, v1
	v_add_nc_u32_e32 v6, 16, v2
	v_cmp_lt_u32_e32 vcc_lo, v6, v4
	s_wait_dscnt 0x0
	s_wait_alu 0xfffd
	v_cndmask_b32_e32 v4, 0, v5, vcc_lo
	s_delay_alu instid0(VALU_DEP_1)
	v_add_nc_u32_e32 v1, v1, v4
	v_cmpx_eq_u32_e32 0, v2
; %bb.652:
	v_lshrrev_b32_e32 v4, 3, v0
	s_delay_alu instid0(VALU_DEP_1)
	v_and_b32_e32 v4, 28, v4
	ds_store_b32 v4, v1 offset:256
; %bb.653:
	s_or_b32 exec_lo, exec_lo, s3
	s_delay_alu instid0(SALU_CYCLE_1)
	s_mov_b32 s3, exec_lo
	s_wait_loadcnt_dscnt 0x0
	s_barrier_signal -1
	s_barrier_wait -1
	global_inv scope:SCOPE_SE
	v_cmpx_gt_u32_e32 8, v0
	s_cbranch_execz .LBB114_655
; %bb.654:
	ds_load_b32 v1, v3 offset:256
	v_and_b32_e32 v4, 7, v2
	s_add_co_i32 s2, s2, 31
	s_wait_alu 0xfffe
	s_lshr_b32 s2, s2, 5
	s_delay_alu instid0(VALU_DEP_1) | instskip(SKIP_4) | instid1(VALU_DEP_2)
	v_cmp_ne_u32_e32 vcc_lo, 7, v4
	v_add_nc_u32_e32 v6, 1, v4
	s_wait_alu 0xfffd
	v_add_co_ci_u32_e64 v5, null, 0, v2, vcc_lo
	v_cmp_gt_u32_e32 vcc_lo, 6, v4
	v_lshlrev_b32_e32 v5, 2, v5
	s_wait_alu 0xfffd
	v_cndmask_b32_e64 v7, 0, 2, vcc_lo
	s_wait_alu 0xfffe
	v_cmp_gt_u32_e32 vcc_lo, s2, v6
	s_wait_dscnt 0x0
	ds_bpermute_b32 v5, v5, v1
	v_add_lshl_u32 v2, v7, v2, 2
	s_wait_dscnt 0x0
	s_wait_alu 0xfffd
	v_cndmask_b32_e32 v5, 0, v5, vcc_lo
	s_delay_alu instid0(VALU_DEP_1)
	v_add_nc_u32_e32 v1, v5, v1
	v_add_nc_u32_e32 v5, 2, v4
	ds_bpermute_b32 v2, v2, v1
	v_cmp_gt_u32_e32 vcc_lo, s2, v5
	s_wait_dscnt 0x0
	s_wait_alu 0xfffd
	v_cndmask_b32_e32 v2, 0, v2, vcc_lo
	s_delay_alu instid0(VALU_DEP_1)
	v_add_nc_u32_e32 v1, v1, v2
	v_or_b32_e32 v2, 16, v3
	v_add_nc_u32_e32 v3, 4, v4
	ds_bpermute_b32 v2, v2, v1
	v_cmp_gt_u32_e32 vcc_lo, s2, v3
	s_wait_dscnt 0x0
	s_wait_alu 0xfffd
	v_cndmask_b32_e32 v2, 0, v2, vcc_lo
	s_delay_alu instid0(VALU_DEP_1)
	v_add_nc_u32_e32 v1, v1, v2
.LBB114_655:
	s_wait_alu 0xfffe
	s_or_b32 exec_lo, exec_lo, s3
	v_cmp_eq_u32_e64 s2, 0, v0
	s_and_saveexec_b32 s3, s2
	s_cbranch_execnz .LBB114_624
	s_branch .LBB114_625
	.section	.rodata,"a",@progbits
	.p2align	6, 0x0
	.amdhsa_kernel _ZN7rocprim17ROCPRIM_400000_NS6detail17trampoline_kernelINS0_14default_configENS1_22reduce_config_selectorIbEEZNS1_11reduce_implILb1ES3_N6hipcub16HIPCUB_304000_NS22TransformInputIteratorIbN2at6native12_GLOBAL__N_19NonZeroOpIaEEPKalEEPiiNS8_6detail34convert_binary_result_type_wrapperINS8_3SumESH_iEEEE10hipError_tPvRmT1_T2_T3_mT4_P12ihipStream_tbEUlT_E1_NS1_11comp_targetILNS1_3genE10ELNS1_11target_archE1201ELNS1_3gpuE5ELNS1_3repE0EEENS1_30default_config_static_selectorELNS0_4arch9wavefront6targetE0EEEvSQ_
		.amdhsa_group_segment_fixed_size 288
		.amdhsa_private_segment_fixed_size 0
		.amdhsa_kernarg_size 48
		.amdhsa_user_sgpr_count 2
		.amdhsa_user_sgpr_dispatch_ptr 0
		.amdhsa_user_sgpr_queue_ptr 0
		.amdhsa_user_sgpr_kernarg_segment_ptr 1
		.amdhsa_user_sgpr_dispatch_id 0
		.amdhsa_user_sgpr_private_segment_size 0
		.amdhsa_wavefront_size32 1
		.amdhsa_uses_dynamic_stack 0
		.amdhsa_enable_private_segment 0
		.amdhsa_system_sgpr_workgroup_id_x 1
		.amdhsa_system_sgpr_workgroup_id_y 0
		.amdhsa_system_sgpr_workgroup_id_z 0
		.amdhsa_system_sgpr_workgroup_info 0
		.amdhsa_system_vgpr_workitem_id 0
		.amdhsa_next_free_vgpr 129
		.amdhsa_next_free_sgpr 47
		.amdhsa_reserve_vcc 1
		.amdhsa_float_round_mode_32 0
		.amdhsa_float_round_mode_16_64 0
		.amdhsa_float_denorm_mode_32 3
		.amdhsa_float_denorm_mode_16_64 3
		.amdhsa_fp16_overflow 0
		.amdhsa_workgroup_processor_mode 1
		.amdhsa_memory_ordered 1
		.amdhsa_forward_progress 1
		.amdhsa_inst_pref_size 255
		.amdhsa_round_robin_scheduling 0
		.amdhsa_exception_fp_ieee_invalid_op 0
		.amdhsa_exception_fp_denorm_src 0
		.amdhsa_exception_fp_ieee_div_zero 0
		.amdhsa_exception_fp_ieee_overflow 0
		.amdhsa_exception_fp_ieee_underflow 0
		.amdhsa_exception_fp_ieee_inexact 0
		.amdhsa_exception_int_div_zero 0
	.end_amdhsa_kernel
	.section	.text._ZN7rocprim17ROCPRIM_400000_NS6detail17trampoline_kernelINS0_14default_configENS1_22reduce_config_selectorIbEEZNS1_11reduce_implILb1ES3_N6hipcub16HIPCUB_304000_NS22TransformInputIteratorIbN2at6native12_GLOBAL__N_19NonZeroOpIaEEPKalEEPiiNS8_6detail34convert_binary_result_type_wrapperINS8_3SumESH_iEEEE10hipError_tPvRmT1_T2_T3_mT4_P12ihipStream_tbEUlT_E1_NS1_11comp_targetILNS1_3genE10ELNS1_11target_archE1201ELNS1_3gpuE5ELNS1_3repE0EEENS1_30default_config_static_selectorELNS0_4arch9wavefront6targetE0EEEvSQ_,"axG",@progbits,_ZN7rocprim17ROCPRIM_400000_NS6detail17trampoline_kernelINS0_14default_configENS1_22reduce_config_selectorIbEEZNS1_11reduce_implILb1ES3_N6hipcub16HIPCUB_304000_NS22TransformInputIteratorIbN2at6native12_GLOBAL__N_19NonZeroOpIaEEPKalEEPiiNS8_6detail34convert_binary_result_type_wrapperINS8_3SumESH_iEEEE10hipError_tPvRmT1_T2_T3_mT4_P12ihipStream_tbEUlT_E1_NS1_11comp_targetILNS1_3genE10ELNS1_11target_archE1201ELNS1_3gpuE5ELNS1_3repE0EEENS1_30default_config_static_selectorELNS0_4arch9wavefront6targetE0EEEvSQ_,comdat
.Lfunc_end114:
	.size	_ZN7rocprim17ROCPRIM_400000_NS6detail17trampoline_kernelINS0_14default_configENS1_22reduce_config_selectorIbEEZNS1_11reduce_implILb1ES3_N6hipcub16HIPCUB_304000_NS22TransformInputIteratorIbN2at6native12_GLOBAL__N_19NonZeroOpIaEEPKalEEPiiNS8_6detail34convert_binary_result_type_wrapperINS8_3SumESH_iEEEE10hipError_tPvRmT1_T2_T3_mT4_P12ihipStream_tbEUlT_E1_NS1_11comp_targetILNS1_3genE10ELNS1_11target_archE1201ELNS1_3gpuE5ELNS1_3repE0EEENS1_30default_config_static_selectorELNS0_4arch9wavefront6targetE0EEEvSQ_, .Lfunc_end114-_ZN7rocprim17ROCPRIM_400000_NS6detail17trampoline_kernelINS0_14default_configENS1_22reduce_config_selectorIbEEZNS1_11reduce_implILb1ES3_N6hipcub16HIPCUB_304000_NS22TransformInputIteratorIbN2at6native12_GLOBAL__N_19NonZeroOpIaEEPKalEEPiiNS8_6detail34convert_binary_result_type_wrapperINS8_3SumESH_iEEEE10hipError_tPvRmT1_T2_T3_mT4_P12ihipStream_tbEUlT_E1_NS1_11comp_targetILNS1_3genE10ELNS1_11target_archE1201ELNS1_3gpuE5ELNS1_3repE0EEENS1_30default_config_static_selectorELNS0_4arch9wavefront6targetE0EEEvSQ_
                                        ; -- End function
	.set _ZN7rocprim17ROCPRIM_400000_NS6detail17trampoline_kernelINS0_14default_configENS1_22reduce_config_selectorIbEEZNS1_11reduce_implILb1ES3_N6hipcub16HIPCUB_304000_NS22TransformInputIteratorIbN2at6native12_GLOBAL__N_19NonZeroOpIaEEPKalEEPiiNS8_6detail34convert_binary_result_type_wrapperINS8_3SumESH_iEEEE10hipError_tPvRmT1_T2_T3_mT4_P12ihipStream_tbEUlT_E1_NS1_11comp_targetILNS1_3genE10ELNS1_11target_archE1201ELNS1_3gpuE5ELNS1_3repE0EEENS1_30default_config_static_selectorELNS0_4arch9wavefront6targetE0EEEvSQ_.num_vgpr, 129
	.set _ZN7rocprim17ROCPRIM_400000_NS6detail17trampoline_kernelINS0_14default_configENS1_22reduce_config_selectorIbEEZNS1_11reduce_implILb1ES3_N6hipcub16HIPCUB_304000_NS22TransformInputIteratorIbN2at6native12_GLOBAL__N_19NonZeroOpIaEEPKalEEPiiNS8_6detail34convert_binary_result_type_wrapperINS8_3SumESH_iEEEE10hipError_tPvRmT1_T2_T3_mT4_P12ihipStream_tbEUlT_E1_NS1_11comp_targetILNS1_3genE10ELNS1_11target_archE1201ELNS1_3gpuE5ELNS1_3repE0EEENS1_30default_config_static_selectorELNS0_4arch9wavefront6targetE0EEEvSQ_.num_agpr, 0
	.set _ZN7rocprim17ROCPRIM_400000_NS6detail17trampoline_kernelINS0_14default_configENS1_22reduce_config_selectorIbEEZNS1_11reduce_implILb1ES3_N6hipcub16HIPCUB_304000_NS22TransformInputIteratorIbN2at6native12_GLOBAL__N_19NonZeroOpIaEEPKalEEPiiNS8_6detail34convert_binary_result_type_wrapperINS8_3SumESH_iEEEE10hipError_tPvRmT1_T2_T3_mT4_P12ihipStream_tbEUlT_E1_NS1_11comp_targetILNS1_3genE10ELNS1_11target_archE1201ELNS1_3gpuE5ELNS1_3repE0EEENS1_30default_config_static_selectorELNS0_4arch9wavefront6targetE0EEEvSQ_.numbered_sgpr, 47
	.set _ZN7rocprim17ROCPRIM_400000_NS6detail17trampoline_kernelINS0_14default_configENS1_22reduce_config_selectorIbEEZNS1_11reduce_implILb1ES3_N6hipcub16HIPCUB_304000_NS22TransformInputIteratorIbN2at6native12_GLOBAL__N_19NonZeroOpIaEEPKalEEPiiNS8_6detail34convert_binary_result_type_wrapperINS8_3SumESH_iEEEE10hipError_tPvRmT1_T2_T3_mT4_P12ihipStream_tbEUlT_E1_NS1_11comp_targetILNS1_3genE10ELNS1_11target_archE1201ELNS1_3gpuE5ELNS1_3repE0EEENS1_30default_config_static_selectorELNS0_4arch9wavefront6targetE0EEEvSQ_.num_named_barrier, 0
	.set _ZN7rocprim17ROCPRIM_400000_NS6detail17trampoline_kernelINS0_14default_configENS1_22reduce_config_selectorIbEEZNS1_11reduce_implILb1ES3_N6hipcub16HIPCUB_304000_NS22TransformInputIteratorIbN2at6native12_GLOBAL__N_19NonZeroOpIaEEPKalEEPiiNS8_6detail34convert_binary_result_type_wrapperINS8_3SumESH_iEEEE10hipError_tPvRmT1_T2_T3_mT4_P12ihipStream_tbEUlT_E1_NS1_11comp_targetILNS1_3genE10ELNS1_11target_archE1201ELNS1_3gpuE5ELNS1_3repE0EEENS1_30default_config_static_selectorELNS0_4arch9wavefront6targetE0EEEvSQ_.private_seg_size, 0
	.set _ZN7rocprim17ROCPRIM_400000_NS6detail17trampoline_kernelINS0_14default_configENS1_22reduce_config_selectorIbEEZNS1_11reduce_implILb1ES3_N6hipcub16HIPCUB_304000_NS22TransformInputIteratorIbN2at6native12_GLOBAL__N_19NonZeroOpIaEEPKalEEPiiNS8_6detail34convert_binary_result_type_wrapperINS8_3SumESH_iEEEE10hipError_tPvRmT1_T2_T3_mT4_P12ihipStream_tbEUlT_E1_NS1_11comp_targetILNS1_3genE10ELNS1_11target_archE1201ELNS1_3gpuE5ELNS1_3repE0EEENS1_30default_config_static_selectorELNS0_4arch9wavefront6targetE0EEEvSQ_.uses_vcc, 1
	.set _ZN7rocprim17ROCPRIM_400000_NS6detail17trampoline_kernelINS0_14default_configENS1_22reduce_config_selectorIbEEZNS1_11reduce_implILb1ES3_N6hipcub16HIPCUB_304000_NS22TransformInputIteratorIbN2at6native12_GLOBAL__N_19NonZeroOpIaEEPKalEEPiiNS8_6detail34convert_binary_result_type_wrapperINS8_3SumESH_iEEEE10hipError_tPvRmT1_T2_T3_mT4_P12ihipStream_tbEUlT_E1_NS1_11comp_targetILNS1_3genE10ELNS1_11target_archE1201ELNS1_3gpuE5ELNS1_3repE0EEENS1_30default_config_static_selectorELNS0_4arch9wavefront6targetE0EEEvSQ_.uses_flat_scratch, 0
	.set _ZN7rocprim17ROCPRIM_400000_NS6detail17trampoline_kernelINS0_14default_configENS1_22reduce_config_selectorIbEEZNS1_11reduce_implILb1ES3_N6hipcub16HIPCUB_304000_NS22TransformInputIteratorIbN2at6native12_GLOBAL__N_19NonZeroOpIaEEPKalEEPiiNS8_6detail34convert_binary_result_type_wrapperINS8_3SumESH_iEEEE10hipError_tPvRmT1_T2_T3_mT4_P12ihipStream_tbEUlT_E1_NS1_11comp_targetILNS1_3genE10ELNS1_11target_archE1201ELNS1_3gpuE5ELNS1_3repE0EEENS1_30default_config_static_selectorELNS0_4arch9wavefront6targetE0EEEvSQ_.has_dyn_sized_stack, 0
	.set _ZN7rocprim17ROCPRIM_400000_NS6detail17trampoline_kernelINS0_14default_configENS1_22reduce_config_selectorIbEEZNS1_11reduce_implILb1ES3_N6hipcub16HIPCUB_304000_NS22TransformInputIteratorIbN2at6native12_GLOBAL__N_19NonZeroOpIaEEPKalEEPiiNS8_6detail34convert_binary_result_type_wrapperINS8_3SumESH_iEEEE10hipError_tPvRmT1_T2_T3_mT4_P12ihipStream_tbEUlT_E1_NS1_11comp_targetILNS1_3genE10ELNS1_11target_archE1201ELNS1_3gpuE5ELNS1_3repE0EEENS1_30default_config_static_selectorELNS0_4arch9wavefront6targetE0EEEvSQ_.has_recursion, 0
	.set _ZN7rocprim17ROCPRIM_400000_NS6detail17trampoline_kernelINS0_14default_configENS1_22reduce_config_selectorIbEEZNS1_11reduce_implILb1ES3_N6hipcub16HIPCUB_304000_NS22TransformInputIteratorIbN2at6native12_GLOBAL__N_19NonZeroOpIaEEPKalEEPiiNS8_6detail34convert_binary_result_type_wrapperINS8_3SumESH_iEEEE10hipError_tPvRmT1_T2_T3_mT4_P12ihipStream_tbEUlT_E1_NS1_11comp_targetILNS1_3genE10ELNS1_11target_archE1201ELNS1_3gpuE5ELNS1_3repE0EEENS1_30default_config_static_selectorELNS0_4arch9wavefront6targetE0EEEvSQ_.has_indirect_call, 0
	.section	.AMDGPU.csdata,"",@progbits
; Kernel info:
; codeLenInByte = 36380
; TotalNumSgprs: 49
; NumVgprs: 129
; ScratchSize: 0
; MemoryBound: 0
; FloatMode: 240
; IeeeMode: 1
; LDSByteSize: 288 bytes/workgroup (compile time only)
; SGPRBlocks: 0
; VGPRBlocks: 16
; NumSGPRsForWavesPerEU: 49
; NumVGPRsForWavesPerEU: 129
; Occupancy: 10
; WaveLimiterHint : 1
; COMPUTE_PGM_RSRC2:SCRATCH_EN: 0
; COMPUTE_PGM_RSRC2:USER_SGPR: 2
; COMPUTE_PGM_RSRC2:TRAP_HANDLER: 0
; COMPUTE_PGM_RSRC2:TGID_X_EN: 1
; COMPUTE_PGM_RSRC2:TGID_Y_EN: 0
; COMPUTE_PGM_RSRC2:TGID_Z_EN: 0
; COMPUTE_PGM_RSRC2:TIDIG_COMP_CNT: 0
	.section	.text._ZN7rocprim17ROCPRIM_400000_NS6detail17trampoline_kernelINS0_14default_configENS1_22reduce_config_selectorIbEEZNS1_11reduce_implILb1ES3_N6hipcub16HIPCUB_304000_NS22TransformInputIteratorIbN2at6native12_GLOBAL__N_19NonZeroOpIaEEPKalEEPiiNS8_6detail34convert_binary_result_type_wrapperINS8_3SumESH_iEEEE10hipError_tPvRmT1_T2_T3_mT4_P12ihipStream_tbEUlT_E1_NS1_11comp_targetILNS1_3genE10ELNS1_11target_archE1200ELNS1_3gpuE4ELNS1_3repE0EEENS1_30default_config_static_selectorELNS0_4arch9wavefront6targetE0EEEvSQ_,"axG",@progbits,_ZN7rocprim17ROCPRIM_400000_NS6detail17trampoline_kernelINS0_14default_configENS1_22reduce_config_selectorIbEEZNS1_11reduce_implILb1ES3_N6hipcub16HIPCUB_304000_NS22TransformInputIteratorIbN2at6native12_GLOBAL__N_19NonZeroOpIaEEPKalEEPiiNS8_6detail34convert_binary_result_type_wrapperINS8_3SumESH_iEEEE10hipError_tPvRmT1_T2_T3_mT4_P12ihipStream_tbEUlT_E1_NS1_11comp_targetILNS1_3genE10ELNS1_11target_archE1200ELNS1_3gpuE4ELNS1_3repE0EEENS1_30default_config_static_selectorELNS0_4arch9wavefront6targetE0EEEvSQ_,comdat
	.globl	_ZN7rocprim17ROCPRIM_400000_NS6detail17trampoline_kernelINS0_14default_configENS1_22reduce_config_selectorIbEEZNS1_11reduce_implILb1ES3_N6hipcub16HIPCUB_304000_NS22TransformInputIteratorIbN2at6native12_GLOBAL__N_19NonZeroOpIaEEPKalEEPiiNS8_6detail34convert_binary_result_type_wrapperINS8_3SumESH_iEEEE10hipError_tPvRmT1_T2_T3_mT4_P12ihipStream_tbEUlT_E1_NS1_11comp_targetILNS1_3genE10ELNS1_11target_archE1200ELNS1_3gpuE4ELNS1_3repE0EEENS1_30default_config_static_selectorELNS0_4arch9wavefront6targetE0EEEvSQ_ ; -- Begin function _ZN7rocprim17ROCPRIM_400000_NS6detail17trampoline_kernelINS0_14default_configENS1_22reduce_config_selectorIbEEZNS1_11reduce_implILb1ES3_N6hipcub16HIPCUB_304000_NS22TransformInputIteratorIbN2at6native12_GLOBAL__N_19NonZeroOpIaEEPKalEEPiiNS8_6detail34convert_binary_result_type_wrapperINS8_3SumESH_iEEEE10hipError_tPvRmT1_T2_T3_mT4_P12ihipStream_tbEUlT_E1_NS1_11comp_targetILNS1_3genE10ELNS1_11target_archE1200ELNS1_3gpuE4ELNS1_3repE0EEENS1_30default_config_static_selectorELNS0_4arch9wavefront6targetE0EEEvSQ_
	.p2align	8
	.type	_ZN7rocprim17ROCPRIM_400000_NS6detail17trampoline_kernelINS0_14default_configENS1_22reduce_config_selectorIbEEZNS1_11reduce_implILb1ES3_N6hipcub16HIPCUB_304000_NS22TransformInputIteratorIbN2at6native12_GLOBAL__N_19NonZeroOpIaEEPKalEEPiiNS8_6detail34convert_binary_result_type_wrapperINS8_3SumESH_iEEEE10hipError_tPvRmT1_T2_T3_mT4_P12ihipStream_tbEUlT_E1_NS1_11comp_targetILNS1_3genE10ELNS1_11target_archE1200ELNS1_3gpuE4ELNS1_3repE0EEENS1_30default_config_static_selectorELNS0_4arch9wavefront6targetE0EEEvSQ_,@function
_ZN7rocprim17ROCPRIM_400000_NS6detail17trampoline_kernelINS0_14default_configENS1_22reduce_config_selectorIbEEZNS1_11reduce_implILb1ES3_N6hipcub16HIPCUB_304000_NS22TransformInputIteratorIbN2at6native12_GLOBAL__N_19NonZeroOpIaEEPKalEEPiiNS8_6detail34convert_binary_result_type_wrapperINS8_3SumESH_iEEEE10hipError_tPvRmT1_T2_T3_mT4_P12ihipStream_tbEUlT_E1_NS1_11comp_targetILNS1_3genE10ELNS1_11target_archE1200ELNS1_3gpuE4ELNS1_3repE0EEENS1_30default_config_static_selectorELNS0_4arch9wavefront6targetE0EEEvSQ_: ; @_ZN7rocprim17ROCPRIM_400000_NS6detail17trampoline_kernelINS0_14default_configENS1_22reduce_config_selectorIbEEZNS1_11reduce_implILb1ES3_N6hipcub16HIPCUB_304000_NS22TransformInputIteratorIbN2at6native12_GLOBAL__N_19NonZeroOpIaEEPKalEEPiiNS8_6detail34convert_binary_result_type_wrapperINS8_3SumESH_iEEEE10hipError_tPvRmT1_T2_T3_mT4_P12ihipStream_tbEUlT_E1_NS1_11comp_targetILNS1_3genE10ELNS1_11target_archE1200ELNS1_3gpuE4ELNS1_3repE0EEENS1_30default_config_static_selectorELNS0_4arch9wavefront6targetE0EEEvSQ_
; %bb.0:
	.section	.rodata,"a",@progbits
	.p2align	6, 0x0
	.amdhsa_kernel _ZN7rocprim17ROCPRIM_400000_NS6detail17trampoline_kernelINS0_14default_configENS1_22reduce_config_selectorIbEEZNS1_11reduce_implILb1ES3_N6hipcub16HIPCUB_304000_NS22TransformInputIteratorIbN2at6native12_GLOBAL__N_19NonZeroOpIaEEPKalEEPiiNS8_6detail34convert_binary_result_type_wrapperINS8_3SumESH_iEEEE10hipError_tPvRmT1_T2_T3_mT4_P12ihipStream_tbEUlT_E1_NS1_11comp_targetILNS1_3genE10ELNS1_11target_archE1200ELNS1_3gpuE4ELNS1_3repE0EEENS1_30default_config_static_selectorELNS0_4arch9wavefront6targetE0EEEvSQ_
		.amdhsa_group_segment_fixed_size 0
		.amdhsa_private_segment_fixed_size 0
		.amdhsa_kernarg_size 48
		.amdhsa_user_sgpr_count 2
		.amdhsa_user_sgpr_dispatch_ptr 0
		.amdhsa_user_sgpr_queue_ptr 0
		.amdhsa_user_sgpr_kernarg_segment_ptr 1
		.amdhsa_user_sgpr_dispatch_id 0
		.amdhsa_user_sgpr_private_segment_size 0
		.amdhsa_wavefront_size32 1
		.amdhsa_uses_dynamic_stack 0
		.amdhsa_enable_private_segment 0
		.amdhsa_system_sgpr_workgroup_id_x 1
		.amdhsa_system_sgpr_workgroup_id_y 0
		.amdhsa_system_sgpr_workgroup_id_z 0
		.amdhsa_system_sgpr_workgroup_info 0
		.amdhsa_system_vgpr_workitem_id 0
		.amdhsa_next_free_vgpr 1
		.amdhsa_next_free_sgpr 1
		.amdhsa_reserve_vcc 0
		.amdhsa_float_round_mode_32 0
		.amdhsa_float_round_mode_16_64 0
		.amdhsa_float_denorm_mode_32 3
		.amdhsa_float_denorm_mode_16_64 3
		.amdhsa_fp16_overflow 0
		.amdhsa_workgroup_processor_mode 1
		.amdhsa_memory_ordered 1
		.amdhsa_forward_progress 1
		.amdhsa_inst_pref_size 0
		.amdhsa_round_robin_scheduling 0
		.amdhsa_exception_fp_ieee_invalid_op 0
		.amdhsa_exception_fp_denorm_src 0
		.amdhsa_exception_fp_ieee_div_zero 0
		.amdhsa_exception_fp_ieee_overflow 0
		.amdhsa_exception_fp_ieee_underflow 0
		.amdhsa_exception_fp_ieee_inexact 0
		.amdhsa_exception_int_div_zero 0
	.end_amdhsa_kernel
	.section	.text._ZN7rocprim17ROCPRIM_400000_NS6detail17trampoline_kernelINS0_14default_configENS1_22reduce_config_selectorIbEEZNS1_11reduce_implILb1ES3_N6hipcub16HIPCUB_304000_NS22TransformInputIteratorIbN2at6native12_GLOBAL__N_19NonZeroOpIaEEPKalEEPiiNS8_6detail34convert_binary_result_type_wrapperINS8_3SumESH_iEEEE10hipError_tPvRmT1_T2_T3_mT4_P12ihipStream_tbEUlT_E1_NS1_11comp_targetILNS1_3genE10ELNS1_11target_archE1200ELNS1_3gpuE4ELNS1_3repE0EEENS1_30default_config_static_selectorELNS0_4arch9wavefront6targetE0EEEvSQ_,"axG",@progbits,_ZN7rocprim17ROCPRIM_400000_NS6detail17trampoline_kernelINS0_14default_configENS1_22reduce_config_selectorIbEEZNS1_11reduce_implILb1ES3_N6hipcub16HIPCUB_304000_NS22TransformInputIteratorIbN2at6native12_GLOBAL__N_19NonZeroOpIaEEPKalEEPiiNS8_6detail34convert_binary_result_type_wrapperINS8_3SumESH_iEEEE10hipError_tPvRmT1_T2_T3_mT4_P12ihipStream_tbEUlT_E1_NS1_11comp_targetILNS1_3genE10ELNS1_11target_archE1200ELNS1_3gpuE4ELNS1_3repE0EEENS1_30default_config_static_selectorELNS0_4arch9wavefront6targetE0EEEvSQ_,comdat
.Lfunc_end115:
	.size	_ZN7rocprim17ROCPRIM_400000_NS6detail17trampoline_kernelINS0_14default_configENS1_22reduce_config_selectorIbEEZNS1_11reduce_implILb1ES3_N6hipcub16HIPCUB_304000_NS22TransformInputIteratorIbN2at6native12_GLOBAL__N_19NonZeroOpIaEEPKalEEPiiNS8_6detail34convert_binary_result_type_wrapperINS8_3SumESH_iEEEE10hipError_tPvRmT1_T2_T3_mT4_P12ihipStream_tbEUlT_E1_NS1_11comp_targetILNS1_3genE10ELNS1_11target_archE1200ELNS1_3gpuE4ELNS1_3repE0EEENS1_30default_config_static_selectorELNS0_4arch9wavefront6targetE0EEEvSQ_, .Lfunc_end115-_ZN7rocprim17ROCPRIM_400000_NS6detail17trampoline_kernelINS0_14default_configENS1_22reduce_config_selectorIbEEZNS1_11reduce_implILb1ES3_N6hipcub16HIPCUB_304000_NS22TransformInputIteratorIbN2at6native12_GLOBAL__N_19NonZeroOpIaEEPKalEEPiiNS8_6detail34convert_binary_result_type_wrapperINS8_3SumESH_iEEEE10hipError_tPvRmT1_T2_T3_mT4_P12ihipStream_tbEUlT_E1_NS1_11comp_targetILNS1_3genE10ELNS1_11target_archE1200ELNS1_3gpuE4ELNS1_3repE0EEENS1_30default_config_static_selectorELNS0_4arch9wavefront6targetE0EEEvSQ_
                                        ; -- End function
	.set _ZN7rocprim17ROCPRIM_400000_NS6detail17trampoline_kernelINS0_14default_configENS1_22reduce_config_selectorIbEEZNS1_11reduce_implILb1ES3_N6hipcub16HIPCUB_304000_NS22TransformInputIteratorIbN2at6native12_GLOBAL__N_19NonZeroOpIaEEPKalEEPiiNS8_6detail34convert_binary_result_type_wrapperINS8_3SumESH_iEEEE10hipError_tPvRmT1_T2_T3_mT4_P12ihipStream_tbEUlT_E1_NS1_11comp_targetILNS1_3genE10ELNS1_11target_archE1200ELNS1_3gpuE4ELNS1_3repE0EEENS1_30default_config_static_selectorELNS0_4arch9wavefront6targetE0EEEvSQ_.num_vgpr, 0
	.set _ZN7rocprim17ROCPRIM_400000_NS6detail17trampoline_kernelINS0_14default_configENS1_22reduce_config_selectorIbEEZNS1_11reduce_implILb1ES3_N6hipcub16HIPCUB_304000_NS22TransformInputIteratorIbN2at6native12_GLOBAL__N_19NonZeroOpIaEEPKalEEPiiNS8_6detail34convert_binary_result_type_wrapperINS8_3SumESH_iEEEE10hipError_tPvRmT1_T2_T3_mT4_P12ihipStream_tbEUlT_E1_NS1_11comp_targetILNS1_3genE10ELNS1_11target_archE1200ELNS1_3gpuE4ELNS1_3repE0EEENS1_30default_config_static_selectorELNS0_4arch9wavefront6targetE0EEEvSQ_.num_agpr, 0
	.set _ZN7rocprim17ROCPRIM_400000_NS6detail17trampoline_kernelINS0_14default_configENS1_22reduce_config_selectorIbEEZNS1_11reduce_implILb1ES3_N6hipcub16HIPCUB_304000_NS22TransformInputIteratorIbN2at6native12_GLOBAL__N_19NonZeroOpIaEEPKalEEPiiNS8_6detail34convert_binary_result_type_wrapperINS8_3SumESH_iEEEE10hipError_tPvRmT1_T2_T3_mT4_P12ihipStream_tbEUlT_E1_NS1_11comp_targetILNS1_3genE10ELNS1_11target_archE1200ELNS1_3gpuE4ELNS1_3repE0EEENS1_30default_config_static_selectorELNS0_4arch9wavefront6targetE0EEEvSQ_.numbered_sgpr, 0
	.set _ZN7rocprim17ROCPRIM_400000_NS6detail17trampoline_kernelINS0_14default_configENS1_22reduce_config_selectorIbEEZNS1_11reduce_implILb1ES3_N6hipcub16HIPCUB_304000_NS22TransformInputIteratorIbN2at6native12_GLOBAL__N_19NonZeroOpIaEEPKalEEPiiNS8_6detail34convert_binary_result_type_wrapperINS8_3SumESH_iEEEE10hipError_tPvRmT1_T2_T3_mT4_P12ihipStream_tbEUlT_E1_NS1_11comp_targetILNS1_3genE10ELNS1_11target_archE1200ELNS1_3gpuE4ELNS1_3repE0EEENS1_30default_config_static_selectorELNS0_4arch9wavefront6targetE0EEEvSQ_.num_named_barrier, 0
	.set _ZN7rocprim17ROCPRIM_400000_NS6detail17trampoline_kernelINS0_14default_configENS1_22reduce_config_selectorIbEEZNS1_11reduce_implILb1ES3_N6hipcub16HIPCUB_304000_NS22TransformInputIteratorIbN2at6native12_GLOBAL__N_19NonZeroOpIaEEPKalEEPiiNS8_6detail34convert_binary_result_type_wrapperINS8_3SumESH_iEEEE10hipError_tPvRmT1_T2_T3_mT4_P12ihipStream_tbEUlT_E1_NS1_11comp_targetILNS1_3genE10ELNS1_11target_archE1200ELNS1_3gpuE4ELNS1_3repE0EEENS1_30default_config_static_selectorELNS0_4arch9wavefront6targetE0EEEvSQ_.private_seg_size, 0
	.set _ZN7rocprim17ROCPRIM_400000_NS6detail17trampoline_kernelINS0_14default_configENS1_22reduce_config_selectorIbEEZNS1_11reduce_implILb1ES3_N6hipcub16HIPCUB_304000_NS22TransformInputIteratorIbN2at6native12_GLOBAL__N_19NonZeroOpIaEEPKalEEPiiNS8_6detail34convert_binary_result_type_wrapperINS8_3SumESH_iEEEE10hipError_tPvRmT1_T2_T3_mT4_P12ihipStream_tbEUlT_E1_NS1_11comp_targetILNS1_3genE10ELNS1_11target_archE1200ELNS1_3gpuE4ELNS1_3repE0EEENS1_30default_config_static_selectorELNS0_4arch9wavefront6targetE0EEEvSQ_.uses_vcc, 0
	.set _ZN7rocprim17ROCPRIM_400000_NS6detail17trampoline_kernelINS0_14default_configENS1_22reduce_config_selectorIbEEZNS1_11reduce_implILb1ES3_N6hipcub16HIPCUB_304000_NS22TransformInputIteratorIbN2at6native12_GLOBAL__N_19NonZeroOpIaEEPKalEEPiiNS8_6detail34convert_binary_result_type_wrapperINS8_3SumESH_iEEEE10hipError_tPvRmT1_T2_T3_mT4_P12ihipStream_tbEUlT_E1_NS1_11comp_targetILNS1_3genE10ELNS1_11target_archE1200ELNS1_3gpuE4ELNS1_3repE0EEENS1_30default_config_static_selectorELNS0_4arch9wavefront6targetE0EEEvSQ_.uses_flat_scratch, 0
	.set _ZN7rocprim17ROCPRIM_400000_NS6detail17trampoline_kernelINS0_14default_configENS1_22reduce_config_selectorIbEEZNS1_11reduce_implILb1ES3_N6hipcub16HIPCUB_304000_NS22TransformInputIteratorIbN2at6native12_GLOBAL__N_19NonZeroOpIaEEPKalEEPiiNS8_6detail34convert_binary_result_type_wrapperINS8_3SumESH_iEEEE10hipError_tPvRmT1_T2_T3_mT4_P12ihipStream_tbEUlT_E1_NS1_11comp_targetILNS1_3genE10ELNS1_11target_archE1200ELNS1_3gpuE4ELNS1_3repE0EEENS1_30default_config_static_selectorELNS0_4arch9wavefront6targetE0EEEvSQ_.has_dyn_sized_stack, 0
	.set _ZN7rocprim17ROCPRIM_400000_NS6detail17trampoline_kernelINS0_14default_configENS1_22reduce_config_selectorIbEEZNS1_11reduce_implILb1ES3_N6hipcub16HIPCUB_304000_NS22TransformInputIteratorIbN2at6native12_GLOBAL__N_19NonZeroOpIaEEPKalEEPiiNS8_6detail34convert_binary_result_type_wrapperINS8_3SumESH_iEEEE10hipError_tPvRmT1_T2_T3_mT4_P12ihipStream_tbEUlT_E1_NS1_11comp_targetILNS1_3genE10ELNS1_11target_archE1200ELNS1_3gpuE4ELNS1_3repE0EEENS1_30default_config_static_selectorELNS0_4arch9wavefront6targetE0EEEvSQ_.has_recursion, 0
	.set _ZN7rocprim17ROCPRIM_400000_NS6detail17trampoline_kernelINS0_14default_configENS1_22reduce_config_selectorIbEEZNS1_11reduce_implILb1ES3_N6hipcub16HIPCUB_304000_NS22TransformInputIteratorIbN2at6native12_GLOBAL__N_19NonZeroOpIaEEPKalEEPiiNS8_6detail34convert_binary_result_type_wrapperINS8_3SumESH_iEEEE10hipError_tPvRmT1_T2_T3_mT4_P12ihipStream_tbEUlT_E1_NS1_11comp_targetILNS1_3genE10ELNS1_11target_archE1200ELNS1_3gpuE4ELNS1_3repE0EEENS1_30default_config_static_selectorELNS0_4arch9wavefront6targetE0EEEvSQ_.has_indirect_call, 0
	.section	.AMDGPU.csdata,"",@progbits
; Kernel info:
; codeLenInByte = 0
; TotalNumSgprs: 0
; NumVgprs: 0
; ScratchSize: 0
; MemoryBound: 0
; FloatMode: 240
; IeeeMode: 1
; LDSByteSize: 0 bytes/workgroup (compile time only)
; SGPRBlocks: 0
; VGPRBlocks: 0
; NumSGPRsForWavesPerEU: 1
; NumVGPRsForWavesPerEU: 1
; Occupancy: 16
; WaveLimiterHint : 0
; COMPUTE_PGM_RSRC2:SCRATCH_EN: 0
; COMPUTE_PGM_RSRC2:USER_SGPR: 2
; COMPUTE_PGM_RSRC2:TRAP_HANDLER: 0
; COMPUTE_PGM_RSRC2:TGID_X_EN: 1
; COMPUTE_PGM_RSRC2:TGID_Y_EN: 0
; COMPUTE_PGM_RSRC2:TGID_Z_EN: 0
; COMPUTE_PGM_RSRC2:TIDIG_COMP_CNT: 0
	.section	.text._ZN7rocprim17ROCPRIM_400000_NS6detail17trampoline_kernelINS0_14default_configENS1_22reduce_config_selectorIbEEZNS1_11reduce_implILb1ES3_N6hipcub16HIPCUB_304000_NS22TransformInputIteratorIbN2at6native12_GLOBAL__N_19NonZeroOpIaEEPKalEEPiiNS8_6detail34convert_binary_result_type_wrapperINS8_3SumESH_iEEEE10hipError_tPvRmT1_T2_T3_mT4_P12ihipStream_tbEUlT_E1_NS1_11comp_targetILNS1_3genE9ELNS1_11target_archE1100ELNS1_3gpuE3ELNS1_3repE0EEENS1_30default_config_static_selectorELNS0_4arch9wavefront6targetE0EEEvSQ_,"axG",@progbits,_ZN7rocprim17ROCPRIM_400000_NS6detail17trampoline_kernelINS0_14default_configENS1_22reduce_config_selectorIbEEZNS1_11reduce_implILb1ES3_N6hipcub16HIPCUB_304000_NS22TransformInputIteratorIbN2at6native12_GLOBAL__N_19NonZeroOpIaEEPKalEEPiiNS8_6detail34convert_binary_result_type_wrapperINS8_3SumESH_iEEEE10hipError_tPvRmT1_T2_T3_mT4_P12ihipStream_tbEUlT_E1_NS1_11comp_targetILNS1_3genE9ELNS1_11target_archE1100ELNS1_3gpuE3ELNS1_3repE0EEENS1_30default_config_static_selectorELNS0_4arch9wavefront6targetE0EEEvSQ_,comdat
	.globl	_ZN7rocprim17ROCPRIM_400000_NS6detail17trampoline_kernelINS0_14default_configENS1_22reduce_config_selectorIbEEZNS1_11reduce_implILb1ES3_N6hipcub16HIPCUB_304000_NS22TransformInputIteratorIbN2at6native12_GLOBAL__N_19NonZeroOpIaEEPKalEEPiiNS8_6detail34convert_binary_result_type_wrapperINS8_3SumESH_iEEEE10hipError_tPvRmT1_T2_T3_mT4_P12ihipStream_tbEUlT_E1_NS1_11comp_targetILNS1_3genE9ELNS1_11target_archE1100ELNS1_3gpuE3ELNS1_3repE0EEENS1_30default_config_static_selectorELNS0_4arch9wavefront6targetE0EEEvSQ_ ; -- Begin function _ZN7rocprim17ROCPRIM_400000_NS6detail17trampoline_kernelINS0_14default_configENS1_22reduce_config_selectorIbEEZNS1_11reduce_implILb1ES3_N6hipcub16HIPCUB_304000_NS22TransformInputIteratorIbN2at6native12_GLOBAL__N_19NonZeroOpIaEEPKalEEPiiNS8_6detail34convert_binary_result_type_wrapperINS8_3SumESH_iEEEE10hipError_tPvRmT1_T2_T3_mT4_P12ihipStream_tbEUlT_E1_NS1_11comp_targetILNS1_3genE9ELNS1_11target_archE1100ELNS1_3gpuE3ELNS1_3repE0EEENS1_30default_config_static_selectorELNS0_4arch9wavefront6targetE0EEEvSQ_
	.p2align	8
	.type	_ZN7rocprim17ROCPRIM_400000_NS6detail17trampoline_kernelINS0_14default_configENS1_22reduce_config_selectorIbEEZNS1_11reduce_implILb1ES3_N6hipcub16HIPCUB_304000_NS22TransformInputIteratorIbN2at6native12_GLOBAL__N_19NonZeroOpIaEEPKalEEPiiNS8_6detail34convert_binary_result_type_wrapperINS8_3SumESH_iEEEE10hipError_tPvRmT1_T2_T3_mT4_P12ihipStream_tbEUlT_E1_NS1_11comp_targetILNS1_3genE9ELNS1_11target_archE1100ELNS1_3gpuE3ELNS1_3repE0EEENS1_30default_config_static_selectorELNS0_4arch9wavefront6targetE0EEEvSQ_,@function
_ZN7rocprim17ROCPRIM_400000_NS6detail17trampoline_kernelINS0_14default_configENS1_22reduce_config_selectorIbEEZNS1_11reduce_implILb1ES3_N6hipcub16HIPCUB_304000_NS22TransformInputIteratorIbN2at6native12_GLOBAL__N_19NonZeroOpIaEEPKalEEPiiNS8_6detail34convert_binary_result_type_wrapperINS8_3SumESH_iEEEE10hipError_tPvRmT1_T2_T3_mT4_P12ihipStream_tbEUlT_E1_NS1_11comp_targetILNS1_3genE9ELNS1_11target_archE1100ELNS1_3gpuE3ELNS1_3repE0EEENS1_30default_config_static_selectorELNS0_4arch9wavefront6targetE0EEEvSQ_: ; @_ZN7rocprim17ROCPRIM_400000_NS6detail17trampoline_kernelINS0_14default_configENS1_22reduce_config_selectorIbEEZNS1_11reduce_implILb1ES3_N6hipcub16HIPCUB_304000_NS22TransformInputIteratorIbN2at6native12_GLOBAL__N_19NonZeroOpIaEEPKalEEPiiNS8_6detail34convert_binary_result_type_wrapperINS8_3SumESH_iEEEE10hipError_tPvRmT1_T2_T3_mT4_P12ihipStream_tbEUlT_E1_NS1_11comp_targetILNS1_3genE9ELNS1_11target_archE1100ELNS1_3gpuE3ELNS1_3repE0EEENS1_30default_config_static_selectorELNS0_4arch9wavefront6targetE0EEEvSQ_
; %bb.0:
	.section	.rodata,"a",@progbits
	.p2align	6, 0x0
	.amdhsa_kernel _ZN7rocprim17ROCPRIM_400000_NS6detail17trampoline_kernelINS0_14default_configENS1_22reduce_config_selectorIbEEZNS1_11reduce_implILb1ES3_N6hipcub16HIPCUB_304000_NS22TransformInputIteratorIbN2at6native12_GLOBAL__N_19NonZeroOpIaEEPKalEEPiiNS8_6detail34convert_binary_result_type_wrapperINS8_3SumESH_iEEEE10hipError_tPvRmT1_T2_T3_mT4_P12ihipStream_tbEUlT_E1_NS1_11comp_targetILNS1_3genE9ELNS1_11target_archE1100ELNS1_3gpuE3ELNS1_3repE0EEENS1_30default_config_static_selectorELNS0_4arch9wavefront6targetE0EEEvSQ_
		.amdhsa_group_segment_fixed_size 0
		.amdhsa_private_segment_fixed_size 0
		.amdhsa_kernarg_size 48
		.amdhsa_user_sgpr_count 2
		.amdhsa_user_sgpr_dispatch_ptr 0
		.amdhsa_user_sgpr_queue_ptr 0
		.amdhsa_user_sgpr_kernarg_segment_ptr 1
		.amdhsa_user_sgpr_dispatch_id 0
		.amdhsa_user_sgpr_private_segment_size 0
		.amdhsa_wavefront_size32 1
		.amdhsa_uses_dynamic_stack 0
		.amdhsa_enable_private_segment 0
		.amdhsa_system_sgpr_workgroup_id_x 1
		.amdhsa_system_sgpr_workgroup_id_y 0
		.amdhsa_system_sgpr_workgroup_id_z 0
		.amdhsa_system_sgpr_workgroup_info 0
		.amdhsa_system_vgpr_workitem_id 0
		.amdhsa_next_free_vgpr 1
		.amdhsa_next_free_sgpr 1
		.amdhsa_reserve_vcc 0
		.amdhsa_float_round_mode_32 0
		.amdhsa_float_round_mode_16_64 0
		.amdhsa_float_denorm_mode_32 3
		.amdhsa_float_denorm_mode_16_64 3
		.amdhsa_fp16_overflow 0
		.amdhsa_workgroup_processor_mode 1
		.amdhsa_memory_ordered 1
		.amdhsa_forward_progress 1
		.amdhsa_inst_pref_size 0
		.amdhsa_round_robin_scheduling 0
		.amdhsa_exception_fp_ieee_invalid_op 0
		.amdhsa_exception_fp_denorm_src 0
		.amdhsa_exception_fp_ieee_div_zero 0
		.amdhsa_exception_fp_ieee_overflow 0
		.amdhsa_exception_fp_ieee_underflow 0
		.amdhsa_exception_fp_ieee_inexact 0
		.amdhsa_exception_int_div_zero 0
	.end_amdhsa_kernel
	.section	.text._ZN7rocprim17ROCPRIM_400000_NS6detail17trampoline_kernelINS0_14default_configENS1_22reduce_config_selectorIbEEZNS1_11reduce_implILb1ES3_N6hipcub16HIPCUB_304000_NS22TransformInputIteratorIbN2at6native12_GLOBAL__N_19NonZeroOpIaEEPKalEEPiiNS8_6detail34convert_binary_result_type_wrapperINS8_3SumESH_iEEEE10hipError_tPvRmT1_T2_T3_mT4_P12ihipStream_tbEUlT_E1_NS1_11comp_targetILNS1_3genE9ELNS1_11target_archE1100ELNS1_3gpuE3ELNS1_3repE0EEENS1_30default_config_static_selectorELNS0_4arch9wavefront6targetE0EEEvSQ_,"axG",@progbits,_ZN7rocprim17ROCPRIM_400000_NS6detail17trampoline_kernelINS0_14default_configENS1_22reduce_config_selectorIbEEZNS1_11reduce_implILb1ES3_N6hipcub16HIPCUB_304000_NS22TransformInputIteratorIbN2at6native12_GLOBAL__N_19NonZeroOpIaEEPKalEEPiiNS8_6detail34convert_binary_result_type_wrapperINS8_3SumESH_iEEEE10hipError_tPvRmT1_T2_T3_mT4_P12ihipStream_tbEUlT_E1_NS1_11comp_targetILNS1_3genE9ELNS1_11target_archE1100ELNS1_3gpuE3ELNS1_3repE0EEENS1_30default_config_static_selectorELNS0_4arch9wavefront6targetE0EEEvSQ_,comdat
.Lfunc_end116:
	.size	_ZN7rocprim17ROCPRIM_400000_NS6detail17trampoline_kernelINS0_14default_configENS1_22reduce_config_selectorIbEEZNS1_11reduce_implILb1ES3_N6hipcub16HIPCUB_304000_NS22TransformInputIteratorIbN2at6native12_GLOBAL__N_19NonZeroOpIaEEPKalEEPiiNS8_6detail34convert_binary_result_type_wrapperINS8_3SumESH_iEEEE10hipError_tPvRmT1_T2_T3_mT4_P12ihipStream_tbEUlT_E1_NS1_11comp_targetILNS1_3genE9ELNS1_11target_archE1100ELNS1_3gpuE3ELNS1_3repE0EEENS1_30default_config_static_selectorELNS0_4arch9wavefront6targetE0EEEvSQ_, .Lfunc_end116-_ZN7rocprim17ROCPRIM_400000_NS6detail17trampoline_kernelINS0_14default_configENS1_22reduce_config_selectorIbEEZNS1_11reduce_implILb1ES3_N6hipcub16HIPCUB_304000_NS22TransformInputIteratorIbN2at6native12_GLOBAL__N_19NonZeroOpIaEEPKalEEPiiNS8_6detail34convert_binary_result_type_wrapperINS8_3SumESH_iEEEE10hipError_tPvRmT1_T2_T3_mT4_P12ihipStream_tbEUlT_E1_NS1_11comp_targetILNS1_3genE9ELNS1_11target_archE1100ELNS1_3gpuE3ELNS1_3repE0EEENS1_30default_config_static_selectorELNS0_4arch9wavefront6targetE0EEEvSQ_
                                        ; -- End function
	.set _ZN7rocprim17ROCPRIM_400000_NS6detail17trampoline_kernelINS0_14default_configENS1_22reduce_config_selectorIbEEZNS1_11reduce_implILb1ES3_N6hipcub16HIPCUB_304000_NS22TransformInputIteratorIbN2at6native12_GLOBAL__N_19NonZeroOpIaEEPKalEEPiiNS8_6detail34convert_binary_result_type_wrapperINS8_3SumESH_iEEEE10hipError_tPvRmT1_T2_T3_mT4_P12ihipStream_tbEUlT_E1_NS1_11comp_targetILNS1_3genE9ELNS1_11target_archE1100ELNS1_3gpuE3ELNS1_3repE0EEENS1_30default_config_static_selectorELNS0_4arch9wavefront6targetE0EEEvSQ_.num_vgpr, 0
	.set _ZN7rocprim17ROCPRIM_400000_NS6detail17trampoline_kernelINS0_14default_configENS1_22reduce_config_selectorIbEEZNS1_11reduce_implILb1ES3_N6hipcub16HIPCUB_304000_NS22TransformInputIteratorIbN2at6native12_GLOBAL__N_19NonZeroOpIaEEPKalEEPiiNS8_6detail34convert_binary_result_type_wrapperINS8_3SumESH_iEEEE10hipError_tPvRmT1_T2_T3_mT4_P12ihipStream_tbEUlT_E1_NS1_11comp_targetILNS1_3genE9ELNS1_11target_archE1100ELNS1_3gpuE3ELNS1_3repE0EEENS1_30default_config_static_selectorELNS0_4arch9wavefront6targetE0EEEvSQ_.num_agpr, 0
	.set _ZN7rocprim17ROCPRIM_400000_NS6detail17trampoline_kernelINS0_14default_configENS1_22reduce_config_selectorIbEEZNS1_11reduce_implILb1ES3_N6hipcub16HIPCUB_304000_NS22TransformInputIteratorIbN2at6native12_GLOBAL__N_19NonZeroOpIaEEPKalEEPiiNS8_6detail34convert_binary_result_type_wrapperINS8_3SumESH_iEEEE10hipError_tPvRmT1_T2_T3_mT4_P12ihipStream_tbEUlT_E1_NS1_11comp_targetILNS1_3genE9ELNS1_11target_archE1100ELNS1_3gpuE3ELNS1_3repE0EEENS1_30default_config_static_selectorELNS0_4arch9wavefront6targetE0EEEvSQ_.numbered_sgpr, 0
	.set _ZN7rocprim17ROCPRIM_400000_NS6detail17trampoline_kernelINS0_14default_configENS1_22reduce_config_selectorIbEEZNS1_11reduce_implILb1ES3_N6hipcub16HIPCUB_304000_NS22TransformInputIteratorIbN2at6native12_GLOBAL__N_19NonZeroOpIaEEPKalEEPiiNS8_6detail34convert_binary_result_type_wrapperINS8_3SumESH_iEEEE10hipError_tPvRmT1_T2_T3_mT4_P12ihipStream_tbEUlT_E1_NS1_11comp_targetILNS1_3genE9ELNS1_11target_archE1100ELNS1_3gpuE3ELNS1_3repE0EEENS1_30default_config_static_selectorELNS0_4arch9wavefront6targetE0EEEvSQ_.num_named_barrier, 0
	.set _ZN7rocprim17ROCPRIM_400000_NS6detail17trampoline_kernelINS0_14default_configENS1_22reduce_config_selectorIbEEZNS1_11reduce_implILb1ES3_N6hipcub16HIPCUB_304000_NS22TransformInputIteratorIbN2at6native12_GLOBAL__N_19NonZeroOpIaEEPKalEEPiiNS8_6detail34convert_binary_result_type_wrapperINS8_3SumESH_iEEEE10hipError_tPvRmT1_T2_T3_mT4_P12ihipStream_tbEUlT_E1_NS1_11comp_targetILNS1_3genE9ELNS1_11target_archE1100ELNS1_3gpuE3ELNS1_3repE0EEENS1_30default_config_static_selectorELNS0_4arch9wavefront6targetE0EEEvSQ_.private_seg_size, 0
	.set _ZN7rocprim17ROCPRIM_400000_NS6detail17trampoline_kernelINS0_14default_configENS1_22reduce_config_selectorIbEEZNS1_11reduce_implILb1ES3_N6hipcub16HIPCUB_304000_NS22TransformInputIteratorIbN2at6native12_GLOBAL__N_19NonZeroOpIaEEPKalEEPiiNS8_6detail34convert_binary_result_type_wrapperINS8_3SumESH_iEEEE10hipError_tPvRmT1_T2_T3_mT4_P12ihipStream_tbEUlT_E1_NS1_11comp_targetILNS1_3genE9ELNS1_11target_archE1100ELNS1_3gpuE3ELNS1_3repE0EEENS1_30default_config_static_selectorELNS0_4arch9wavefront6targetE0EEEvSQ_.uses_vcc, 0
	.set _ZN7rocprim17ROCPRIM_400000_NS6detail17trampoline_kernelINS0_14default_configENS1_22reduce_config_selectorIbEEZNS1_11reduce_implILb1ES3_N6hipcub16HIPCUB_304000_NS22TransformInputIteratorIbN2at6native12_GLOBAL__N_19NonZeroOpIaEEPKalEEPiiNS8_6detail34convert_binary_result_type_wrapperINS8_3SumESH_iEEEE10hipError_tPvRmT1_T2_T3_mT4_P12ihipStream_tbEUlT_E1_NS1_11comp_targetILNS1_3genE9ELNS1_11target_archE1100ELNS1_3gpuE3ELNS1_3repE0EEENS1_30default_config_static_selectorELNS0_4arch9wavefront6targetE0EEEvSQ_.uses_flat_scratch, 0
	.set _ZN7rocprim17ROCPRIM_400000_NS6detail17trampoline_kernelINS0_14default_configENS1_22reduce_config_selectorIbEEZNS1_11reduce_implILb1ES3_N6hipcub16HIPCUB_304000_NS22TransformInputIteratorIbN2at6native12_GLOBAL__N_19NonZeroOpIaEEPKalEEPiiNS8_6detail34convert_binary_result_type_wrapperINS8_3SumESH_iEEEE10hipError_tPvRmT1_T2_T3_mT4_P12ihipStream_tbEUlT_E1_NS1_11comp_targetILNS1_3genE9ELNS1_11target_archE1100ELNS1_3gpuE3ELNS1_3repE0EEENS1_30default_config_static_selectorELNS0_4arch9wavefront6targetE0EEEvSQ_.has_dyn_sized_stack, 0
	.set _ZN7rocprim17ROCPRIM_400000_NS6detail17trampoline_kernelINS0_14default_configENS1_22reduce_config_selectorIbEEZNS1_11reduce_implILb1ES3_N6hipcub16HIPCUB_304000_NS22TransformInputIteratorIbN2at6native12_GLOBAL__N_19NonZeroOpIaEEPKalEEPiiNS8_6detail34convert_binary_result_type_wrapperINS8_3SumESH_iEEEE10hipError_tPvRmT1_T2_T3_mT4_P12ihipStream_tbEUlT_E1_NS1_11comp_targetILNS1_3genE9ELNS1_11target_archE1100ELNS1_3gpuE3ELNS1_3repE0EEENS1_30default_config_static_selectorELNS0_4arch9wavefront6targetE0EEEvSQ_.has_recursion, 0
	.set _ZN7rocprim17ROCPRIM_400000_NS6detail17trampoline_kernelINS0_14default_configENS1_22reduce_config_selectorIbEEZNS1_11reduce_implILb1ES3_N6hipcub16HIPCUB_304000_NS22TransformInputIteratorIbN2at6native12_GLOBAL__N_19NonZeroOpIaEEPKalEEPiiNS8_6detail34convert_binary_result_type_wrapperINS8_3SumESH_iEEEE10hipError_tPvRmT1_T2_T3_mT4_P12ihipStream_tbEUlT_E1_NS1_11comp_targetILNS1_3genE9ELNS1_11target_archE1100ELNS1_3gpuE3ELNS1_3repE0EEENS1_30default_config_static_selectorELNS0_4arch9wavefront6targetE0EEEvSQ_.has_indirect_call, 0
	.section	.AMDGPU.csdata,"",@progbits
; Kernel info:
; codeLenInByte = 0
; TotalNumSgprs: 0
; NumVgprs: 0
; ScratchSize: 0
; MemoryBound: 0
; FloatMode: 240
; IeeeMode: 1
; LDSByteSize: 0 bytes/workgroup (compile time only)
; SGPRBlocks: 0
; VGPRBlocks: 0
; NumSGPRsForWavesPerEU: 1
; NumVGPRsForWavesPerEU: 1
; Occupancy: 16
; WaveLimiterHint : 0
; COMPUTE_PGM_RSRC2:SCRATCH_EN: 0
; COMPUTE_PGM_RSRC2:USER_SGPR: 2
; COMPUTE_PGM_RSRC2:TRAP_HANDLER: 0
; COMPUTE_PGM_RSRC2:TGID_X_EN: 1
; COMPUTE_PGM_RSRC2:TGID_Y_EN: 0
; COMPUTE_PGM_RSRC2:TGID_Z_EN: 0
; COMPUTE_PGM_RSRC2:TIDIG_COMP_CNT: 0
	.section	.text._ZN7rocprim17ROCPRIM_400000_NS6detail17trampoline_kernelINS0_14default_configENS1_22reduce_config_selectorIbEEZNS1_11reduce_implILb1ES3_N6hipcub16HIPCUB_304000_NS22TransformInputIteratorIbN2at6native12_GLOBAL__N_19NonZeroOpIaEEPKalEEPiiNS8_6detail34convert_binary_result_type_wrapperINS8_3SumESH_iEEEE10hipError_tPvRmT1_T2_T3_mT4_P12ihipStream_tbEUlT_E1_NS1_11comp_targetILNS1_3genE8ELNS1_11target_archE1030ELNS1_3gpuE2ELNS1_3repE0EEENS1_30default_config_static_selectorELNS0_4arch9wavefront6targetE0EEEvSQ_,"axG",@progbits,_ZN7rocprim17ROCPRIM_400000_NS6detail17trampoline_kernelINS0_14default_configENS1_22reduce_config_selectorIbEEZNS1_11reduce_implILb1ES3_N6hipcub16HIPCUB_304000_NS22TransformInputIteratorIbN2at6native12_GLOBAL__N_19NonZeroOpIaEEPKalEEPiiNS8_6detail34convert_binary_result_type_wrapperINS8_3SumESH_iEEEE10hipError_tPvRmT1_T2_T3_mT4_P12ihipStream_tbEUlT_E1_NS1_11comp_targetILNS1_3genE8ELNS1_11target_archE1030ELNS1_3gpuE2ELNS1_3repE0EEENS1_30default_config_static_selectorELNS0_4arch9wavefront6targetE0EEEvSQ_,comdat
	.globl	_ZN7rocprim17ROCPRIM_400000_NS6detail17trampoline_kernelINS0_14default_configENS1_22reduce_config_selectorIbEEZNS1_11reduce_implILb1ES3_N6hipcub16HIPCUB_304000_NS22TransformInputIteratorIbN2at6native12_GLOBAL__N_19NonZeroOpIaEEPKalEEPiiNS8_6detail34convert_binary_result_type_wrapperINS8_3SumESH_iEEEE10hipError_tPvRmT1_T2_T3_mT4_P12ihipStream_tbEUlT_E1_NS1_11comp_targetILNS1_3genE8ELNS1_11target_archE1030ELNS1_3gpuE2ELNS1_3repE0EEENS1_30default_config_static_selectorELNS0_4arch9wavefront6targetE0EEEvSQ_ ; -- Begin function _ZN7rocprim17ROCPRIM_400000_NS6detail17trampoline_kernelINS0_14default_configENS1_22reduce_config_selectorIbEEZNS1_11reduce_implILb1ES3_N6hipcub16HIPCUB_304000_NS22TransformInputIteratorIbN2at6native12_GLOBAL__N_19NonZeroOpIaEEPKalEEPiiNS8_6detail34convert_binary_result_type_wrapperINS8_3SumESH_iEEEE10hipError_tPvRmT1_T2_T3_mT4_P12ihipStream_tbEUlT_E1_NS1_11comp_targetILNS1_3genE8ELNS1_11target_archE1030ELNS1_3gpuE2ELNS1_3repE0EEENS1_30default_config_static_selectorELNS0_4arch9wavefront6targetE0EEEvSQ_
	.p2align	8
	.type	_ZN7rocprim17ROCPRIM_400000_NS6detail17trampoline_kernelINS0_14default_configENS1_22reduce_config_selectorIbEEZNS1_11reduce_implILb1ES3_N6hipcub16HIPCUB_304000_NS22TransformInputIteratorIbN2at6native12_GLOBAL__N_19NonZeroOpIaEEPKalEEPiiNS8_6detail34convert_binary_result_type_wrapperINS8_3SumESH_iEEEE10hipError_tPvRmT1_T2_T3_mT4_P12ihipStream_tbEUlT_E1_NS1_11comp_targetILNS1_3genE8ELNS1_11target_archE1030ELNS1_3gpuE2ELNS1_3repE0EEENS1_30default_config_static_selectorELNS0_4arch9wavefront6targetE0EEEvSQ_,@function
_ZN7rocprim17ROCPRIM_400000_NS6detail17trampoline_kernelINS0_14default_configENS1_22reduce_config_selectorIbEEZNS1_11reduce_implILb1ES3_N6hipcub16HIPCUB_304000_NS22TransformInputIteratorIbN2at6native12_GLOBAL__N_19NonZeroOpIaEEPKalEEPiiNS8_6detail34convert_binary_result_type_wrapperINS8_3SumESH_iEEEE10hipError_tPvRmT1_T2_T3_mT4_P12ihipStream_tbEUlT_E1_NS1_11comp_targetILNS1_3genE8ELNS1_11target_archE1030ELNS1_3gpuE2ELNS1_3repE0EEENS1_30default_config_static_selectorELNS0_4arch9wavefront6targetE0EEEvSQ_: ; @_ZN7rocprim17ROCPRIM_400000_NS6detail17trampoline_kernelINS0_14default_configENS1_22reduce_config_selectorIbEEZNS1_11reduce_implILb1ES3_N6hipcub16HIPCUB_304000_NS22TransformInputIteratorIbN2at6native12_GLOBAL__N_19NonZeroOpIaEEPKalEEPiiNS8_6detail34convert_binary_result_type_wrapperINS8_3SumESH_iEEEE10hipError_tPvRmT1_T2_T3_mT4_P12ihipStream_tbEUlT_E1_NS1_11comp_targetILNS1_3genE8ELNS1_11target_archE1030ELNS1_3gpuE2ELNS1_3repE0EEENS1_30default_config_static_selectorELNS0_4arch9wavefront6targetE0EEEvSQ_
; %bb.0:
	.section	.rodata,"a",@progbits
	.p2align	6, 0x0
	.amdhsa_kernel _ZN7rocprim17ROCPRIM_400000_NS6detail17trampoline_kernelINS0_14default_configENS1_22reduce_config_selectorIbEEZNS1_11reduce_implILb1ES3_N6hipcub16HIPCUB_304000_NS22TransformInputIteratorIbN2at6native12_GLOBAL__N_19NonZeroOpIaEEPKalEEPiiNS8_6detail34convert_binary_result_type_wrapperINS8_3SumESH_iEEEE10hipError_tPvRmT1_T2_T3_mT4_P12ihipStream_tbEUlT_E1_NS1_11comp_targetILNS1_3genE8ELNS1_11target_archE1030ELNS1_3gpuE2ELNS1_3repE0EEENS1_30default_config_static_selectorELNS0_4arch9wavefront6targetE0EEEvSQ_
		.amdhsa_group_segment_fixed_size 0
		.amdhsa_private_segment_fixed_size 0
		.amdhsa_kernarg_size 48
		.amdhsa_user_sgpr_count 2
		.amdhsa_user_sgpr_dispatch_ptr 0
		.amdhsa_user_sgpr_queue_ptr 0
		.amdhsa_user_sgpr_kernarg_segment_ptr 1
		.amdhsa_user_sgpr_dispatch_id 0
		.amdhsa_user_sgpr_private_segment_size 0
		.amdhsa_wavefront_size32 1
		.amdhsa_uses_dynamic_stack 0
		.amdhsa_enable_private_segment 0
		.amdhsa_system_sgpr_workgroup_id_x 1
		.amdhsa_system_sgpr_workgroup_id_y 0
		.amdhsa_system_sgpr_workgroup_id_z 0
		.amdhsa_system_sgpr_workgroup_info 0
		.amdhsa_system_vgpr_workitem_id 0
		.amdhsa_next_free_vgpr 1
		.amdhsa_next_free_sgpr 1
		.amdhsa_reserve_vcc 0
		.amdhsa_float_round_mode_32 0
		.amdhsa_float_round_mode_16_64 0
		.amdhsa_float_denorm_mode_32 3
		.amdhsa_float_denorm_mode_16_64 3
		.amdhsa_fp16_overflow 0
		.amdhsa_workgroup_processor_mode 1
		.amdhsa_memory_ordered 1
		.amdhsa_forward_progress 1
		.amdhsa_inst_pref_size 0
		.amdhsa_round_robin_scheduling 0
		.amdhsa_exception_fp_ieee_invalid_op 0
		.amdhsa_exception_fp_denorm_src 0
		.amdhsa_exception_fp_ieee_div_zero 0
		.amdhsa_exception_fp_ieee_overflow 0
		.amdhsa_exception_fp_ieee_underflow 0
		.amdhsa_exception_fp_ieee_inexact 0
		.amdhsa_exception_int_div_zero 0
	.end_amdhsa_kernel
	.section	.text._ZN7rocprim17ROCPRIM_400000_NS6detail17trampoline_kernelINS0_14default_configENS1_22reduce_config_selectorIbEEZNS1_11reduce_implILb1ES3_N6hipcub16HIPCUB_304000_NS22TransformInputIteratorIbN2at6native12_GLOBAL__N_19NonZeroOpIaEEPKalEEPiiNS8_6detail34convert_binary_result_type_wrapperINS8_3SumESH_iEEEE10hipError_tPvRmT1_T2_T3_mT4_P12ihipStream_tbEUlT_E1_NS1_11comp_targetILNS1_3genE8ELNS1_11target_archE1030ELNS1_3gpuE2ELNS1_3repE0EEENS1_30default_config_static_selectorELNS0_4arch9wavefront6targetE0EEEvSQ_,"axG",@progbits,_ZN7rocprim17ROCPRIM_400000_NS6detail17trampoline_kernelINS0_14default_configENS1_22reduce_config_selectorIbEEZNS1_11reduce_implILb1ES3_N6hipcub16HIPCUB_304000_NS22TransformInputIteratorIbN2at6native12_GLOBAL__N_19NonZeroOpIaEEPKalEEPiiNS8_6detail34convert_binary_result_type_wrapperINS8_3SumESH_iEEEE10hipError_tPvRmT1_T2_T3_mT4_P12ihipStream_tbEUlT_E1_NS1_11comp_targetILNS1_3genE8ELNS1_11target_archE1030ELNS1_3gpuE2ELNS1_3repE0EEENS1_30default_config_static_selectorELNS0_4arch9wavefront6targetE0EEEvSQ_,comdat
.Lfunc_end117:
	.size	_ZN7rocprim17ROCPRIM_400000_NS6detail17trampoline_kernelINS0_14default_configENS1_22reduce_config_selectorIbEEZNS1_11reduce_implILb1ES3_N6hipcub16HIPCUB_304000_NS22TransformInputIteratorIbN2at6native12_GLOBAL__N_19NonZeroOpIaEEPKalEEPiiNS8_6detail34convert_binary_result_type_wrapperINS8_3SumESH_iEEEE10hipError_tPvRmT1_T2_T3_mT4_P12ihipStream_tbEUlT_E1_NS1_11comp_targetILNS1_3genE8ELNS1_11target_archE1030ELNS1_3gpuE2ELNS1_3repE0EEENS1_30default_config_static_selectorELNS0_4arch9wavefront6targetE0EEEvSQ_, .Lfunc_end117-_ZN7rocprim17ROCPRIM_400000_NS6detail17trampoline_kernelINS0_14default_configENS1_22reduce_config_selectorIbEEZNS1_11reduce_implILb1ES3_N6hipcub16HIPCUB_304000_NS22TransformInputIteratorIbN2at6native12_GLOBAL__N_19NonZeroOpIaEEPKalEEPiiNS8_6detail34convert_binary_result_type_wrapperINS8_3SumESH_iEEEE10hipError_tPvRmT1_T2_T3_mT4_P12ihipStream_tbEUlT_E1_NS1_11comp_targetILNS1_3genE8ELNS1_11target_archE1030ELNS1_3gpuE2ELNS1_3repE0EEENS1_30default_config_static_selectorELNS0_4arch9wavefront6targetE0EEEvSQ_
                                        ; -- End function
	.set _ZN7rocprim17ROCPRIM_400000_NS6detail17trampoline_kernelINS0_14default_configENS1_22reduce_config_selectorIbEEZNS1_11reduce_implILb1ES3_N6hipcub16HIPCUB_304000_NS22TransformInputIteratorIbN2at6native12_GLOBAL__N_19NonZeroOpIaEEPKalEEPiiNS8_6detail34convert_binary_result_type_wrapperINS8_3SumESH_iEEEE10hipError_tPvRmT1_T2_T3_mT4_P12ihipStream_tbEUlT_E1_NS1_11comp_targetILNS1_3genE8ELNS1_11target_archE1030ELNS1_3gpuE2ELNS1_3repE0EEENS1_30default_config_static_selectorELNS0_4arch9wavefront6targetE0EEEvSQ_.num_vgpr, 0
	.set _ZN7rocprim17ROCPRIM_400000_NS6detail17trampoline_kernelINS0_14default_configENS1_22reduce_config_selectorIbEEZNS1_11reduce_implILb1ES3_N6hipcub16HIPCUB_304000_NS22TransformInputIteratorIbN2at6native12_GLOBAL__N_19NonZeroOpIaEEPKalEEPiiNS8_6detail34convert_binary_result_type_wrapperINS8_3SumESH_iEEEE10hipError_tPvRmT1_T2_T3_mT4_P12ihipStream_tbEUlT_E1_NS1_11comp_targetILNS1_3genE8ELNS1_11target_archE1030ELNS1_3gpuE2ELNS1_3repE0EEENS1_30default_config_static_selectorELNS0_4arch9wavefront6targetE0EEEvSQ_.num_agpr, 0
	.set _ZN7rocprim17ROCPRIM_400000_NS6detail17trampoline_kernelINS0_14default_configENS1_22reduce_config_selectorIbEEZNS1_11reduce_implILb1ES3_N6hipcub16HIPCUB_304000_NS22TransformInputIteratorIbN2at6native12_GLOBAL__N_19NonZeroOpIaEEPKalEEPiiNS8_6detail34convert_binary_result_type_wrapperINS8_3SumESH_iEEEE10hipError_tPvRmT1_T2_T3_mT4_P12ihipStream_tbEUlT_E1_NS1_11comp_targetILNS1_3genE8ELNS1_11target_archE1030ELNS1_3gpuE2ELNS1_3repE0EEENS1_30default_config_static_selectorELNS0_4arch9wavefront6targetE0EEEvSQ_.numbered_sgpr, 0
	.set _ZN7rocprim17ROCPRIM_400000_NS6detail17trampoline_kernelINS0_14default_configENS1_22reduce_config_selectorIbEEZNS1_11reduce_implILb1ES3_N6hipcub16HIPCUB_304000_NS22TransformInputIteratorIbN2at6native12_GLOBAL__N_19NonZeroOpIaEEPKalEEPiiNS8_6detail34convert_binary_result_type_wrapperINS8_3SumESH_iEEEE10hipError_tPvRmT1_T2_T3_mT4_P12ihipStream_tbEUlT_E1_NS1_11comp_targetILNS1_3genE8ELNS1_11target_archE1030ELNS1_3gpuE2ELNS1_3repE0EEENS1_30default_config_static_selectorELNS0_4arch9wavefront6targetE0EEEvSQ_.num_named_barrier, 0
	.set _ZN7rocprim17ROCPRIM_400000_NS6detail17trampoline_kernelINS0_14default_configENS1_22reduce_config_selectorIbEEZNS1_11reduce_implILb1ES3_N6hipcub16HIPCUB_304000_NS22TransformInputIteratorIbN2at6native12_GLOBAL__N_19NonZeroOpIaEEPKalEEPiiNS8_6detail34convert_binary_result_type_wrapperINS8_3SumESH_iEEEE10hipError_tPvRmT1_T2_T3_mT4_P12ihipStream_tbEUlT_E1_NS1_11comp_targetILNS1_3genE8ELNS1_11target_archE1030ELNS1_3gpuE2ELNS1_3repE0EEENS1_30default_config_static_selectorELNS0_4arch9wavefront6targetE0EEEvSQ_.private_seg_size, 0
	.set _ZN7rocprim17ROCPRIM_400000_NS6detail17trampoline_kernelINS0_14default_configENS1_22reduce_config_selectorIbEEZNS1_11reduce_implILb1ES3_N6hipcub16HIPCUB_304000_NS22TransformInputIteratorIbN2at6native12_GLOBAL__N_19NonZeroOpIaEEPKalEEPiiNS8_6detail34convert_binary_result_type_wrapperINS8_3SumESH_iEEEE10hipError_tPvRmT1_T2_T3_mT4_P12ihipStream_tbEUlT_E1_NS1_11comp_targetILNS1_3genE8ELNS1_11target_archE1030ELNS1_3gpuE2ELNS1_3repE0EEENS1_30default_config_static_selectorELNS0_4arch9wavefront6targetE0EEEvSQ_.uses_vcc, 0
	.set _ZN7rocprim17ROCPRIM_400000_NS6detail17trampoline_kernelINS0_14default_configENS1_22reduce_config_selectorIbEEZNS1_11reduce_implILb1ES3_N6hipcub16HIPCUB_304000_NS22TransformInputIteratorIbN2at6native12_GLOBAL__N_19NonZeroOpIaEEPKalEEPiiNS8_6detail34convert_binary_result_type_wrapperINS8_3SumESH_iEEEE10hipError_tPvRmT1_T2_T3_mT4_P12ihipStream_tbEUlT_E1_NS1_11comp_targetILNS1_3genE8ELNS1_11target_archE1030ELNS1_3gpuE2ELNS1_3repE0EEENS1_30default_config_static_selectorELNS0_4arch9wavefront6targetE0EEEvSQ_.uses_flat_scratch, 0
	.set _ZN7rocprim17ROCPRIM_400000_NS6detail17trampoline_kernelINS0_14default_configENS1_22reduce_config_selectorIbEEZNS1_11reduce_implILb1ES3_N6hipcub16HIPCUB_304000_NS22TransformInputIteratorIbN2at6native12_GLOBAL__N_19NonZeroOpIaEEPKalEEPiiNS8_6detail34convert_binary_result_type_wrapperINS8_3SumESH_iEEEE10hipError_tPvRmT1_T2_T3_mT4_P12ihipStream_tbEUlT_E1_NS1_11comp_targetILNS1_3genE8ELNS1_11target_archE1030ELNS1_3gpuE2ELNS1_3repE0EEENS1_30default_config_static_selectorELNS0_4arch9wavefront6targetE0EEEvSQ_.has_dyn_sized_stack, 0
	.set _ZN7rocprim17ROCPRIM_400000_NS6detail17trampoline_kernelINS0_14default_configENS1_22reduce_config_selectorIbEEZNS1_11reduce_implILb1ES3_N6hipcub16HIPCUB_304000_NS22TransformInputIteratorIbN2at6native12_GLOBAL__N_19NonZeroOpIaEEPKalEEPiiNS8_6detail34convert_binary_result_type_wrapperINS8_3SumESH_iEEEE10hipError_tPvRmT1_T2_T3_mT4_P12ihipStream_tbEUlT_E1_NS1_11comp_targetILNS1_3genE8ELNS1_11target_archE1030ELNS1_3gpuE2ELNS1_3repE0EEENS1_30default_config_static_selectorELNS0_4arch9wavefront6targetE0EEEvSQ_.has_recursion, 0
	.set _ZN7rocprim17ROCPRIM_400000_NS6detail17trampoline_kernelINS0_14default_configENS1_22reduce_config_selectorIbEEZNS1_11reduce_implILb1ES3_N6hipcub16HIPCUB_304000_NS22TransformInputIteratorIbN2at6native12_GLOBAL__N_19NonZeroOpIaEEPKalEEPiiNS8_6detail34convert_binary_result_type_wrapperINS8_3SumESH_iEEEE10hipError_tPvRmT1_T2_T3_mT4_P12ihipStream_tbEUlT_E1_NS1_11comp_targetILNS1_3genE8ELNS1_11target_archE1030ELNS1_3gpuE2ELNS1_3repE0EEENS1_30default_config_static_selectorELNS0_4arch9wavefront6targetE0EEEvSQ_.has_indirect_call, 0
	.section	.AMDGPU.csdata,"",@progbits
; Kernel info:
; codeLenInByte = 0
; TotalNumSgprs: 0
; NumVgprs: 0
; ScratchSize: 0
; MemoryBound: 0
; FloatMode: 240
; IeeeMode: 1
; LDSByteSize: 0 bytes/workgroup (compile time only)
; SGPRBlocks: 0
; VGPRBlocks: 0
; NumSGPRsForWavesPerEU: 1
; NumVGPRsForWavesPerEU: 1
; Occupancy: 16
; WaveLimiterHint : 0
; COMPUTE_PGM_RSRC2:SCRATCH_EN: 0
; COMPUTE_PGM_RSRC2:USER_SGPR: 2
; COMPUTE_PGM_RSRC2:TRAP_HANDLER: 0
; COMPUTE_PGM_RSRC2:TGID_X_EN: 1
; COMPUTE_PGM_RSRC2:TGID_Y_EN: 0
; COMPUTE_PGM_RSRC2:TGID_Z_EN: 0
; COMPUTE_PGM_RSRC2:TIDIG_COMP_CNT: 0
	.section	.text._ZN7rocprim17ROCPRIM_400000_NS6detail17trampoline_kernelINS0_14default_configENS1_25partition_config_selectorILNS1_17partition_subalgoE5ElNS0_10empty_typeEbEEZZNS1_14partition_implILS5_5ELb0ES3_mN6hipcub16HIPCUB_304000_NS21CountingInputIteratorIllEEPS6_NSA_22TransformInputIteratorIbN2at6native12_GLOBAL__N_19NonZeroOpIaEEPKalEENS0_5tupleIJPlS6_EEENSN_IJSD_SD_EEES6_PiJS6_EEE10hipError_tPvRmT3_T4_T5_T6_T7_T9_mT8_P12ihipStream_tbDpT10_ENKUlT_T0_E_clISt17integral_constantIbLb0EES1B_EEDaS16_S17_EUlS16_E_NS1_11comp_targetILNS1_3genE0ELNS1_11target_archE4294967295ELNS1_3gpuE0ELNS1_3repE0EEENS1_30default_config_static_selectorELNS0_4arch9wavefront6targetE0EEEvT1_,"axG",@progbits,_ZN7rocprim17ROCPRIM_400000_NS6detail17trampoline_kernelINS0_14default_configENS1_25partition_config_selectorILNS1_17partition_subalgoE5ElNS0_10empty_typeEbEEZZNS1_14partition_implILS5_5ELb0ES3_mN6hipcub16HIPCUB_304000_NS21CountingInputIteratorIllEEPS6_NSA_22TransformInputIteratorIbN2at6native12_GLOBAL__N_19NonZeroOpIaEEPKalEENS0_5tupleIJPlS6_EEENSN_IJSD_SD_EEES6_PiJS6_EEE10hipError_tPvRmT3_T4_T5_T6_T7_T9_mT8_P12ihipStream_tbDpT10_ENKUlT_T0_E_clISt17integral_constantIbLb0EES1B_EEDaS16_S17_EUlS16_E_NS1_11comp_targetILNS1_3genE0ELNS1_11target_archE4294967295ELNS1_3gpuE0ELNS1_3repE0EEENS1_30default_config_static_selectorELNS0_4arch9wavefront6targetE0EEEvT1_,comdat
	.globl	_ZN7rocprim17ROCPRIM_400000_NS6detail17trampoline_kernelINS0_14default_configENS1_25partition_config_selectorILNS1_17partition_subalgoE5ElNS0_10empty_typeEbEEZZNS1_14partition_implILS5_5ELb0ES3_mN6hipcub16HIPCUB_304000_NS21CountingInputIteratorIllEEPS6_NSA_22TransformInputIteratorIbN2at6native12_GLOBAL__N_19NonZeroOpIaEEPKalEENS0_5tupleIJPlS6_EEENSN_IJSD_SD_EEES6_PiJS6_EEE10hipError_tPvRmT3_T4_T5_T6_T7_T9_mT8_P12ihipStream_tbDpT10_ENKUlT_T0_E_clISt17integral_constantIbLb0EES1B_EEDaS16_S17_EUlS16_E_NS1_11comp_targetILNS1_3genE0ELNS1_11target_archE4294967295ELNS1_3gpuE0ELNS1_3repE0EEENS1_30default_config_static_selectorELNS0_4arch9wavefront6targetE0EEEvT1_ ; -- Begin function _ZN7rocprim17ROCPRIM_400000_NS6detail17trampoline_kernelINS0_14default_configENS1_25partition_config_selectorILNS1_17partition_subalgoE5ElNS0_10empty_typeEbEEZZNS1_14partition_implILS5_5ELb0ES3_mN6hipcub16HIPCUB_304000_NS21CountingInputIteratorIllEEPS6_NSA_22TransformInputIteratorIbN2at6native12_GLOBAL__N_19NonZeroOpIaEEPKalEENS0_5tupleIJPlS6_EEENSN_IJSD_SD_EEES6_PiJS6_EEE10hipError_tPvRmT3_T4_T5_T6_T7_T9_mT8_P12ihipStream_tbDpT10_ENKUlT_T0_E_clISt17integral_constantIbLb0EES1B_EEDaS16_S17_EUlS16_E_NS1_11comp_targetILNS1_3genE0ELNS1_11target_archE4294967295ELNS1_3gpuE0ELNS1_3repE0EEENS1_30default_config_static_selectorELNS0_4arch9wavefront6targetE0EEEvT1_
	.p2align	8
	.type	_ZN7rocprim17ROCPRIM_400000_NS6detail17trampoline_kernelINS0_14default_configENS1_25partition_config_selectorILNS1_17partition_subalgoE5ElNS0_10empty_typeEbEEZZNS1_14partition_implILS5_5ELb0ES3_mN6hipcub16HIPCUB_304000_NS21CountingInputIteratorIllEEPS6_NSA_22TransformInputIteratorIbN2at6native12_GLOBAL__N_19NonZeroOpIaEEPKalEENS0_5tupleIJPlS6_EEENSN_IJSD_SD_EEES6_PiJS6_EEE10hipError_tPvRmT3_T4_T5_T6_T7_T9_mT8_P12ihipStream_tbDpT10_ENKUlT_T0_E_clISt17integral_constantIbLb0EES1B_EEDaS16_S17_EUlS16_E_NS1_11comp_targetILNS1_3genE0ELNS1_11target_archE4294967295ELNS1_3gpuE0ELNS1_3repE0EEENS1_30default_config_static_selectorELNS0_4arch9wavefront6targetE0EEEvT1_,@function
_ZN7rocprim17ROCPRIM_400000_NS6detail17trampoline_kernelINS0_14default_configENS1_25partition_config_selectorILNS1_17partition_subalgoE5ElNS0_10empty_typeEbEEZZNS1_14partition_implILS5_5ELb0ES3_mN6hipcub16HIPCUB_304000_NS21CountingInputIteratorIllEEPS6_NSA_22TransformInputIteratorIbN2at6native12_GLOBAL__N_19NonZeroOpIaEEPKalEENS0_5tupleIJPlS6_EEENSN_IJSD_SD_EEES6_PiJS6_EEE10hipError_tPvRmT3_T4_T5_T6_T7_T9_mT8_P12ihipStream_tbDpT10_ENKUlT_T0_E_clISt17integral_constantIbLb0EES1B_EEDaS16_S17_EUlS16_E_NS1_11comp_targetILNS1_3genE0ELNS1_11target_archE4294967295ELNS1_3gpuE0ELNS1_3repE0EEENS1_30default_config_static_selectorELNS0_4arch9wavefront6targetE0EEEvT1_: ; @_ZN7rocprim17ROCPRIM_400000_NS6detail17trampoline_kernelINS0_14default_configENS1_25partition_config_selectorILNS1_17partition_subalgoE5ElNS0_10empty_typeEbEEZZNS1_14partition_implILS5_5ELb0ES3_mN6hipcub16HIPCUB_304000_NS21CountingInputIteratorIllEEPS6_NSA_22TransformInputIteratorIbN2at6native12_GLOBAL__N_19NonZeroOpIaEEPKalEENS0_5tupleIJPlS6_EEENSN_IJSD_SD_EEES6_PiJS6_EEE10hipError_tPvRmT3_T4_T5_T6_T7_T9_mT8_P12ihipStream_tbDpT10_ENKUlT_T0_E_clISt17integral_constantIbLb0EES1B_EEDaS16_S17_EUlS16_E_NS1_11comp_targetILNS1_3genE0ELNS1_11target_archE4294967295ELNS1_3gpuE0ELNS1_3repE0EEENS1_30default_config_static_selectorELNS0_4arch9wavefront6targetE0EEEvT1_
; %bb.0:
	.section	.rodata,"a",@progbits
	.p2align	6, 0x0
	.amdhsa_kernel _ZN7rocprim17ROCPRIM_400000_NS6detail17trampoline_kernelINS0_14default_configENS1_25partition_config_selectorILNS1_17partition_subalgoE5ElNS0_10empty_typeEbEEZZNS1_14partition_implILS5_5ELb0ES3_mN6hipcub16HIPCUB_304000_NS21CountingInputIteratorIllEEPS6_NSA_22TransformInputIteratorIbN2at6native12_GLOBAL__N_19NonZeroOpIaEEPKalEENS0_5tupleIJPlS6_EEENSN_IJSD_SD_EEES6_PiJS6_EEE10hipError_tPvRmT3_T4_T5_T6_T7_T9_mT8_P12ihipStream_tbDpT10_ENKUlT_T0_E_clISt17integral_constantIbLb0EES1B_EEDaS16_S17_EUlS16_E_NS1_11comp_targetILNS1_3genE0ELNS1_11target_archE4294967295ELNS1_3gpuE0ELNS1_3repE0EEENS1_30default_config_static_selectorELNS0_4arch9wavefront6targetE0EEEvT1_
		.amdhsa_group_segment_fixed_size 0
		.amdhsa_private_segment_fixed_size 0
		.amdhsa_kernarg_size 120
		.amdhsa_user_sgpr_count 2
		.amdhsa_user_sgpr_dispatch_ptr 0
		.amdhsa_user_sgpr_queue_ptr 0
		.amdhsa_user_sgpr_kernarg_segment_ptr 1
		.amdhsa_user_sgpr_dispatch_id 0
		.amdhsa_user_sgpr_private_segment_size 0
		.amdhsa_wavefront_size32 1
		.amdhsa_uses_dynamic_stack 0
		.amdhsa_enable_private_segment 0
		.amdhsa_system_sgpr_workgroup_id_x 1
		.amdhsa_system_sgpr_workgroup_id_y 0
		.amdhsa_system_sgpr_workgroup_id_z 0
		.amdhsa_system_sgpr_workgroup_info 0
		.amdhsa_system_vgpr_workitem_id 0
		.amdhsa_next_free_vgpr 1
		.amdhsa_next_free_sgpr 1
		.amdhsa_reserve_vcc 0
		.amdhsa_float_round_mode_32 0
		.amdhsa_float_round_mode_16_64 0
		.amdhsa_float_denorm_mode_32 3
		.amdhsa_float_denorm_mode_16_64 3
		.amdhsa_fp16_overflow 0
		.amdhsa_workgroup_processor_mode 1
		.amdhsa_memory_ordered 1
		.amdhsa_forward_progress 1
		.amdhsa_inst_pref_size 0
		.amdhsa_round_robin_scheduling 0
		.amdhsa_exception_fp_ieee_invalid_op 0
		.amdhsa_exception_fp_denorm_src 0
		.amdhsa_exception_fp_ieee_div_zero 0
		.amdhsa_exception_fp_ieee_overflow 0
		.amdhsa_exception_fp_ieee_underflow 0
		.amdhsa_exception_fp_ieee_inexact 0
		.amdhsa_exception_int_div_zero 0
	.end_amdhsa_kernel
	.section	.text._ZN7rocprim17ROCPRIM_400000_NS6detail17trampoline_kernelINS0_14default_configENS1_25partition_config_selectorILNS1_17partition_subalgoE5ElNS0_10empty_typeEbEEZZNS1_14partition_implILS5_5ELb0ES3_mN6hipcub16HIPCUB_304000_NS21CountingInputIteratorIllEEPS6_NSA_22TransformInputIteratorIbN2at6native12_GLOBAL__N_19NonZeroOpIaEEPKalEENS0_5tupleIJPlS6_EEENSN_IJSD_SD_EEES6_PiJS6_EEE10hipError_tPvRmT3_T4_T5_T6_T7_T9_mT8_P12ihipStream_tbDpT10_ENKUlT_T0_E_clISt17integral_constantIbLb0EES1B_EEDaS16_S17_EUlS16_E_NS1_11comp_targetILNS1_3genE0ELNS1_11target_archE4294967295ELNS1_3gpuE0ELNS1_3repE0EEENS1_30default_config_static_selectorELNS0_4arch9wavefront6targetE0EEEvT1_,"axG",@progbits,_ZN7rocprim17ROCPRIM_400000_NS6detail17trampoline_kernelINS0_14default_configENS1_25partition_config_selectorILNS1_17partition_subalgoE5ElNS0_10empty_typeEbEEZZNS1_14partition_implILS5_5ELb0ES3_mN6hipcub16HIPCUB_304000_NS21CountingInputIteratorIllEEPS6_NSA_22TransformInputIteratorIbN2at6native12_GLOBAL__N_19NonZeroOpIaEEPKalEENS0_5tupleIJPlS6_EEENSN_IJSD_SD_EEES6_PiJS6_EEE10hipError_tPvRmT3_T4_T5_T6_T7_T9_mT8_P12ihipStream_tbDpT10_ENKUlT_T0_E_clISt17integral_constantIbLb0EES1B_EEDaS16_S17_EUlS16_E_NS1_11comp_targetILNS1_3genE0ELNS1_11target_archE4294967295ELNS1_3gpuE0ELNS1_3repE0EEENS1_30default_config_static_selectorELNS0_4arch9wavefront6targetE0EEEvT1_,comdat
.Lfunc_end118:
	.size	_ZN7rocprim17ROCPRIM_400000_NS6detail17trampoline_kernelINS0_14default_configENS1_25partition_config_selectorILNS1_17partition_subalgoE5ElNS0_10empty_typeEbEEZZNS1_14partition_implILS5_5ELb0ES3_mN6hipcub16HIPCUB_304000_NS21CountingInputIteratorIllEEPS6_NSA_22TransformInputIteratorIbN2at6native12_GLOBAL__N_19NonZeroOpIaEEPKalEENS0_5tupleIJPlS6_EEENSN_IJSD_SD_EEES6_PiJS6_EEE10hipError_tPvRmT3_T4_T5_T6_T7_T9_mT8_P12ihipStream_tbDpT10_ENKUlT_T0_E_clISt17integral_constantIbLb0EES1B_EEDaS16_S17_EUlS16_E_NS1_11comp_targetILNS1_3genE0ELNS1_11target_archE4294967295ELNS1_3gpuE0ELNS1_3repE0EEENS1_30default_config_static_selectorELNS0_4arch9wavefront6targetE0EEEvT1_, .Lfunc_end118-_ZN7rocprim17ROCPRIM_400000_NS6detail17trampoline_kernelINS0_14default_configENS1_25partition_config_selectorILNS1_17partition_subalgoE5ElNS0_10empty_typeEbEEZZNS1_14partition_implILS5_5ELb0ES3_mN6hipcub16HIPCUB_304000_NS21CountingInputIteratorIllEEPS6_NSA_22TransformInputIteratorIbN2at6native12_GLOBAL__N_19NonZeroOpIaEEPKalEENS0_5tupleIJPlS6_EEENSN_IJSD_SD_EEES6_PiJS6_EEE10hipError_tPvRmT3_T4_T5_T6_T7_T9_mT8_P12ihipStream_tbDpT10_ENKUlT_T0_E_clISt17integral_constantIbLb0EES1B_EEDaS16_S17_EUlS16_E_NS1_11comp_targetILNS1_3genE0ELNS1_11target_archE4294967295ELNS1_3gpuE0ELNS1_3repE0EEENS1_30default_config_static_selectorELNS0_4arch9wavefront6targetE0EEEvT1_
                                        ; -- End function
	.set _ZN7rocprim17ROCPRIM_400000_NS6detail17trampoline_kernelINS0_14default_configENS1_25partition_config_selectorILNS1_17partition_subalgoE5ElNS0_10empty_typeEbEEZZNS1_14partition_implILS5_5ELb0ES3_mN6hipcub16HIPCUB_304000_NS21CountingInputIteratorIllEEPS6_NSA_22TransformInputIteratorIbN2at6native12_GLOBAL__N_19NonZeroOpIaEEPKalEENS0_5tupleIJPlS6_EEENSN_IJSD_SD_EEES6_PiJS6_EEE10hipError_tPvRmT3_T4_T5_T6_T7_T9_mT8_P12ihipStream_tbDpT10_ENKUlT_T0_E_clISt17integral_constantIbLb0EES1B_EEDaS16_S17_EUlS16_E_NS1_11comp_targetILNS1_3genE0ELNS1_11target_archE4294967295ELNS1_3gpuE0ELNS1_3repE0EEENS1_30default_config_static_selectorELNS0_4arch9wavefront6targetE0EEEvT1_.num_vgpr, 0
	.set _ZN7rocprim17ROCPRIM_400000_NS6detail17trampoline_kernelINS0_14default_configENS1_25partition_config_selectorILNS1_17partition_subalgoE5ElNS0_10empty_typeEbEEZZNS1_14partition_implILS5_5ELb0ES3_mN6hipcub16HIPCUB_304000_NS21CountingInputIteratorIllEEPS6_NSA_22TransformInputIteratorIbN2at6native12_GLOBAL__N_19NonZeroOpIaEEPKalEENS0_5tupleIJPlS6_EEENSN_IJSD_SD_EEES6_PiJS6_EEE10hipError_tPvRmT3_T4_T5_T6_T7_T9_mT8_P12ihipStream_tbDpT10_ENKUlT_T0_E_clISt17integral_constantIbLb0EES1B_EEDaS16_S17_EUlS16_E_NS1_11comp_targetILNS1_3genE0ELNS1_11target_archE4294967295ELNS1_3gpuE0ELNS1_3repE0EEENS1_30default_config_static_selectorELNS0_4arch9wavefront6targetE0EEEvT1_.num_agpr, 0
	.set _ZN7rocprim17ROCPRIM_400000_NS6detail17trampoline_kernelINS0_14default_configENS1_25partition_config_selectorILNS1_17partition_subalgoE5ElNS0_10empty_typeEbEEZZNS1_14partition_implILS5_5ELb0ES3_mN6hipcub16HIPCUB_304000_NS21CountingInputIteratorIllEEPS6_NSA_22TransformInputIteratorIbN2at6native12_GLOBAL__N_19NonZeroOpIaEEPKalEENS0_5tupleIJPlS6_EEENSN_IJSD_SD_EEES6_PiJS6_EEE10hipError_tPvRmT3_T4_T5_T6_T7_T9_mT8_P12ihipStream_tbDpT10_ENKUlT_T0_E_clISt17integral_constantIbLb0EES1B_EEDaS16_S17_EUlS16_E_NS1_11comp_targetILNS1_3genE0ELNS1_11target_archE4294967295ELNS1_3gpuE0ELNS1_3repE0EEENS1_30default_config_static_selectorELNS0_4arch9wavefront6targetE0EEEvT1_.numbered_sgpr, 0
	.set _ZN7rocprim17ROCPRIM_400000_NS6detail17trampoline_kernelINS0_14default_configENS1_25partition_config_selectorILNS1_17partition_subalgoE5ElNS0_10empty_typeEbEEZZNS1_14partition_implILS5_5ELb0ES3_mN6hipcub16HIPCUB_304000_NS21CountingInputIteratorIllEEPS6_NSA_22TransformInputIteratorIbN2at6native12_GLOBAL__N_19NonZeroOpIaEEPKalEENS0_5tupleIJPlS6_EEENSN_IJSD_SD_EEES6_PiJS6_EEE10hipError_tPvRmT3_T4_T5_T6_T7_T9_mT8_P12ihipStream_tbDpT10_ENKUlT_T0_E_clISt17integral_constantIbLb0EES1B_EEDaS16_S17_EUlS16_E_NS1_11comp_targetILNS1_3genE0ELNS1_11target_archE4294967295ELNS1_3gpuE0ELNS1_3repE0EEENS1_30default_config_static_selectorELNS0_4arch9wavefront6targetE0EEEvT1_.num_named_barrier, 0
	.set _ZN7rocprim17ROCPRIM_400000_NS6detail17trampoline_kernelINS0_14default_configENS1_25partition_config_selectorILNS1_17partition_subalgoE5ElNS0_10empty_typeEbEEZZNS1_14partition_implILS5_5ELb0ES3_mN6hipcub16HIPCUB_304000_NS21CountingInputIteratorIllEEPS6_NSA_22TransformInputIteratorIbN2at6native12_GLOBAL__N_19NonZeroOpIaEEPKalEENS0_5tupleIJPlS6_EEENSN_IJSD_SD_EEES6_PiJS6_EEE10hipError_tPvRmT3_T4_T5_T6_T7_T9_mT8_P12ihipStream_tbDpT10_ENKUlT_T0_E_clISt17integral_constantIbLb0EES1B_EEDaS16_S17_EUlS16_E_NS1_11comp_targetILNS1_3genE0ELNS1_11target_archE4294967295ELNS1_3gpuE0ELNS1_3repE0EEENS1_30default_config_static_selectorELNS0_4arch9wavefront6targetE0EEEvT1_.private_seg_size, 0
	.set _ZN7rocprim17ROCPRIM_400000_NS6detail17trampoline_kernelINS0_14default_configENS1_25partition_config_selectorILNS1_17partition_subalgoE5ElNS0_10empty_typeEbEEZZNS1_14partition_implILS5_5ELb0ES3_mN6hipcub16HIPCUB_304000_NS21CountingInputIteratorIllEEPS6_NSA_22TransformInputIteratorIbN2at6native12_GLOBAL__N_19NonZeroOpIaEEPKalEENS0_5tupleIJPlS6_EEENSN_IJSD_SD_EEES6_PiJS6_EEE10hipError_tPvRmT3_T4_T5_T6_T7_T9_mT8_P12ihipStream_tbDpT10_ENKUlT_T0_E_clISt17integral_constantIbLb0EES1B_EEDaS16_S17_EUlS16_E_NS1_11comp_targetILNS1_3genE0ELNS1_11target_archE4294967295ELNS1_3gpuE0ELNS1_3repE0EEENS1_30default_config_static_selectorELNS0_4arch9wavefront6targetE0EEEvT1_.uses_vcc, 0
	.set _ZN7rocprim17ROCPRIM_400000_NS6detail17trampoline_kernelINS0_14default_configENS1_25partition_config_selectorILNS1_17partition_subalgoE5ElNS0_10empty_typeEbEEZZNS1_14partition_implILS5_5ELb0ES3_mN6hipcub16HIPCUB_304000_NS21CountingInputIteratorIllEEPS6_NSA_22TransformInputIteratorIbN2at6native12_GLOBAL__N_19NonZeroOpIaEEPKalEENS0_5tupleIJPlS6_EEENSN_IJSD_SD_EEES6_PiJS6_EEE10hipError_tPvRmT3_T4_T5_T6_T7_T9_mT8_P12ihipStream_tbDpT10_ENKUlT_T0_E_clISt17integral_constantIbLb0EES1B_EEDaS16_S17_EUlS16_E_NS1_11comp_targetILNS1_3genE0ELNS1_11target_archE4294967295ELNS1_3gpuE0ELNS1_3repE0EEENS1_30default_config_static_selectorELNS0_4arch9wavefront6targetE0EEEvT1_.uses_flat_scratch, 0
	.set _ZN7rocprim17ROCPRIM_400000_NS6detail17trampoline_kernelINS0_14default_configENS1_25partition_config_selectorILNS1_17partition_subalgoE5ElNS0_10empty_typeEbEEZZNS1_14partition_implILS5_5ELb0ES3_mN6hipcub16HIPCUB_304000_NS21CountingInputIteratorIllEEPS6_NSA_22TransformInputIteratorIbN2at6native12_GLOBAL__N_19NonZeroOpIaEEPKalEENS0_5tupleIJPlS6_EEENSN_IJSD_SD_EEES6_PiJS6_EEE10hipError_tPvRmT3_T4_T5_T6_T7_T9_mT8_P12ihipStream_tbDpT10_ENKUlT_T0_E_clISt17integral_constantIbLb0EES1B_EEDaS16_S17_EUlS16_E_NS1_11comp_targetILNS1_3genE0ELNS1_11target_archE4294967295ELNS1_3gpuE0ELNS1_3repE0EEENS1_30default_config_static_selectorELNS0_4arch9wavefront6targetE0EEEvT1_.has_dyn_sized_stack, 0
	.set _ZN7rocprim17ROCPRIM_400000_NS6detail17trampoline_kernelINS0_14default_configENS1_25partition_config_selectorILNS1_17partition_subalgoE5ElNS0_10empty_typeEbEEZZNS1_14partition_implILS5_5ELb0ES3_mN6hipcub16HIPCUB_304000_NS21CountingInputIteratorIllEEPS6_NSA_22TransformInputIteratorIbN2at6native12_GLOBAL__N_19NonZeroOpIaEEPKalEENS0_5tupleIJPlS6_EEENSN_IJSD_SD_EEES6_PiJS6_EEE10hipError_tPvRmT3_T4_T5_T6_T7_T9_mT8_P12ihipStream_tbDpT10_ENKUlT_T0_E_clISt17integral_constantIbLb0EES1B_EEDaS16_S17_EUlS16_E_NS1_11comp_targetILNS1_3genE0ELNS1_11target_archE4294967295ELNS1_3gpuE0ELNS1_3repE0EEENS1_30default_config_static_selectorELNS0_4arch9wavefront6targetE0EEEvT1_.has_recursion, 0
	.set _ZN7rocprim17ROCPRIM_400000_NS6detail17trampoline_kernelINS0_14default_configENS1_25partition_config_selectorILNS1_17partition_subalgoE5ElNS0_10empty_typeEbEEZZNS1_14partition_implILS5_5ELb0ES3_mN6hipcub16HIPCUB_304000_NS21CountingInputIteratorIllEEPS6_NSA_22TransformInputIteratorIbN2at6native12_GLOBAL__N_19NonZeroOpIaEEPKalEENS0_5tupleIJPlS6_EEENSN_IJSD_SD_EEES6_PiJS6_EEE10hipError_tPvRmT3_T4_T5_T6_T7_T9_mT8_P12ihipStream_tbDpT10_ENKUlT_T0_E_clISt17integral_constantIbLb0EES1B_EEDaS16_S17_EUlS16_E_NS1_11comp_targetILNS1_3genE0ELNS1_11target_archE4294967295ELNS1_3gpuE0ELNS1_3repE0EEENS1_30default_config_static_selectorELNS0_4arch9wavefront6targetE0EEEvT1_.has_indirect_call, 0
	.section	.AMDGPU.csdata,"",@progbits
; Kernel info:
; codeLenInByte = 0
; TotalNumSgprs: 0
; NumVgprs: 0
; ScratchSize: 0
; MemoryBound: 0
; FloatMode: 240
; IeeeMode: 1
; LDSByteSize: 0 bytes/workgroup (compile time only)
; SGPRBlocks: 0
; VGPRBlocks: 0
; NumSGPRsForWavesPerEU: 1
; NumVGPRsForWavesPerEU: 1
; Occupancy: 16
; WaveLimiterHint : 0
; COMPUTE_PGM_RSRC2:SCRATCH_EN: 0
; COMPUTE_PGM_RSRC2:USER_SGPR: 2
; COMPUTE_PGM_RSRC2:TRAP_HANDLER: 0
; COMPUTE_PGM_RSRC2:TGID_X_EN: 1
; COMPUTE_PGM_RSRC2:TGID_Y_EN: 0
; COMPUTE_PGM_RSRC2:TGID_Z_EN: 0
; COMPUTE_PGM_RSRC2:TIDIG_COMP_CNT: 0
	.section	.text._ZN7rocprim17ROCPRIM_400000_NS6detail17trampoline_kernelINS0_14default_configENS1_25partition_config_selectorILNS1_17partition_subalgoE5ElNS0_10empty_typeEbEEZZNS1_14partition_implILS5_5ELb0ES3_mN6hipcub16HIPCUB_304000_NS21CountingInputIteratorIllEEPS6_NSA_22TransformInputIteratorIbN2at6native12_GLOBAL__N_19NonZeroOpIaEEPKalEENS0_5tupleIJPlS6_EEENSN_IJSD_SD_EEES6_PiJS6_EEE10hipError_tPvRmT3_T4_T5_T6_T7_T9_mT8_P12ihipStream_tbDpT10_ENKUlT_T0_E_clISt17integral_constantIbLb0EES1B_EEDaS16_S17_EUlS16_E_NS1_11comp_targetILNS1_3genE5ELNS1_11target_archE942ELNS1_3gpuE9ELNS1_3repE0EEENS1_30default_config_static_selectorELNS0_4arch9wavefront6targetE0EEEvT1_,"axG",@progbits,_ZN7rocprim17ROCPRIM_400000_NS6detail17trampoline_kernelINS0_14default_configENS1_25partition_config_selectorILNS1_17partition_subalgoE5ElNS0_10empty_typeEbEEZZNS1_14partition_implILS5_5ELb0ES3_mN6hipcub16HIPCUB_304000_NS21CountingInputIteratorIllEEPS6_NSA_22TransformInputIteratorIbN2at6native12_GLOBAL__N_19NonZeroOpIaEEPKalEENS0_5tupleIJPlS6_EEENSN_IJSD_SD_EEES6_PiJS6_EEE10hipError_tPvRmT3_T4_T5_T6_T7_T9_mT8_P12ihipStream_tbDpT10_ENKUlT_T0_E_clISt17integral_constantIbLb0EES1B_EEDaS16_S17_EUlS16_E_NS1_11comp_targetILNS1_3genE5ELNS1_11target_archE942ELNS1_3gpuE9ELNS1_3repE0EEENS1_30default_config_static_selectorELNS0_4arch9wavefront6targetE0EEEvT1_,comdat
	.globl	_ZN7rocprim17ROCPRIM_400000_NS6detail17trampoline_kernelINS0_14default_configENS1_25partition_config_selectorILNS1_17partition_subalgoE5ElNS0_10empty_typeEbEEZZNS1_14partition_implILS5_5ELb0ES3_mN6hipcub16HIPCUB_304000_NS21CountingInputIteratorIllEEPS6_NSA_22TransformInputIteratorIbN2at6native12_GLOBAL__N_19NonZeroOpIaEEPKalEENS0_5tupleIJPlS6_EEENSN_IJSD_SD_EEES6_PiJS6_EEE10hipError_tPvRmT3_T4_T5_T6_T7_T9_mT8_P12ihipStream_tbDpT10_ENKUlT_T0_E_clISt17integral_constantIbLb0EES1B_EEDaS16_S17_EUlS16_E_NS1_11comp_targetILNS1_3genE5ELNS1_11target_archE942ELNS1_3gpuE9ELNS1_3repE0EEENS1_30default_config_static_selectorELNS0_4arch9wavefront6targetE0EEEvT1_ ; -- Begin function _ZN7rocprim17ROCPRIM_400000_NS6detail17trampoline_kernelINS0_14default_configENS1_25partition_config_selectorILNS1_17partition_subalgoE5ElNS0_10empty_typeEbEEZZNS1_14partition_implILS5_5ELb0ES3_mN6hipcub16HIPCUB_304000_NS21CountingInputIteratorIllEEPS6_NSA_22TransformInputIteratorIbN2at6native12_GLOBAL__N_19NonZeroOpIaEEPKalEENS0_5tupleIJPlS6_EEENSN_IJSD_SD_EEES6_PiJS6_EEE10hipError_tPvRmT3_T4_T5_T6_T7_T9_mT8_P12ihipStream_tbDpT10_ENKUlT_T0_E_clISt17integral_constantIbLb0EES1B_EEDaS16_S17_EUlS16_E_NS1_11comp_targetILNS1_3genE5ELNS1_11target_archE942ELNS1_3gpuE9ELNS1_3repE0EEENS1_30default_config_static_selectorELNS0_4arch9wavefront6targetE0EEEvT1_
	.p2align	8
	.type	_ZN7rocprim17ROCPRIM_400000_NS6detail17trampoline_kernelINS0_14default_configENS1_25partition_config_selectorILNS1_17partition_subalgoE5ElNS0_10empty_typeEbEEZZNS1_14partition_implILS5_5ELb0ES3_mN6hipcub16HIPCUB_304000_NS21CountingInputIteratorIllEEPS6_NSA_22TransformInputIteratorIbN2at6native12_GLOBAL__N_19NonZeroOpIaEEPKalEENS0_5tupleIJPlS6_EEENSN_IJSD_SD_EEES6_PiJS6_EEE10hipError_tPvRmT3_T4_T5_T6_T7_T9_mT8_P12ihipStream_tbDpT10_ENKUlT_T0_E_clISt17integral_constantIbLb0EES1B_EEDaS16_S17_EUlS16_E_NS1_11comp_targetILNS1_3genE5ELNS1_11target_archE942ELNS1_3gpuE9ELNS1_3repE0EEENS1_30default_config_static_selectorELNS0_4arch9wavefront6targetE0EEEvT1_,@function
_ZN7rocprim17ROCPRIM_400000_NS6detail17trampoline_kernelINS0_14default_configENS1_25partition_config_selectorILNS1_17partition_subalgoE5ElNS0_10empty_typeEbEEZZNS1_14partition_implILS5_5ELb0ES3_mN6hipcub16HIPCUB_304000_NS21CountingInputIteratorIllEEPS6_NSA_22TransformInputIteratorIbN2at6native12_GLOBAL__N_19NonZeroOpIaEEPKalEENS0_5tupleIJPlS6_EEENSN_IJSD_SD_EEES6_PiJS6_EEE10hipError_tPvRmT3_T4_T5_T6_T7_T9_mT8_P12ihipStream_tbDpT10_ENKUlT_T0_E_clISt17integral_constantIbLb0EES1B_EEDaS16_S17_EUlS16_E_NS1_11comp_targetILNS1_3genE5ELNS1_11target_archE942ELNS1_3gpuE9ELNS1_3repE0EEENS1_30default_config_static_selectorELNS0_4arch9wavefront6targetE0EEEvT1_: ; @_ZN7rocprim17ROCPRIM_400000_NS6detail17trampoline_kernelINS0_14default_configENS1_25partition_config_selectorILNS1_17partition_subalgoE5ElNS0_10empty_typeEbEEZZNS1_14partition_implILS5_5ELb0ES3_mN6hipcub16HIPCUB_304000_NS21CountingInputIteratorIllEEPS6_NSA_22TransformInputIteratorIbN2at6native12_GLOBAL__N_19NonZeroOpIaEEPKalEENS0_5tupleIJPlS6_EEENSN_IJSD_SD_EEES6_PiJS6_EEE10hipError_tPvRmT3_T4_T5_T6_T7_T9_mT8_P12ihipStream_tbDpT10_ENKUlT_T0_E_clISt17integral_constantIbLb0EES1B_EEDaS16_S17_EUlS16_E_NS1_11comp_targetILNS1_3genE5ELNS1_11target_archE942ELNS1_3gpuE9ELNS1_3repE0EEENS1_30default_config_static_selectorELNS0_4arch9wavefront6targetE0EEEvT1_
; %bb.0:
	.section	.rodata,"a",@progbits
	.p2align	6, 0x0
	.amdhsa_kernel _ZN7rocprim17ROCPRIM_400000_NS6detail17trampoline_kernelINS0_14default_configENS1_25partition_config_selectorILNS1_17partition_subalgoE5ElNS0_10empty_typeEbEEZZNS1_14partition_implILS5_5ELb0ES3_mN6hipcub16HIPCUB_304000_NS21CountingInputIteratorIllEEPS6_NSA_22TransformInputIteratorIbN2at6native12_GLOBAL__N_19NonZeroOpIaEEPKalEENS0_5tupleIJPlS6_EEENSN_IJSD_SD_EEES6_PiJS6_EEE10hipError_tPvRmT3_T4_T5_T6_T7_T9_mT8_P12ihipStream_tbDpT10_ENKUlT_T0_E_clISt17integral_constantIbLb0EES1B_EEDaS16_S17_EUlS16_E_NS1_11comp_targetILNS1_3genE5ELNS1_11target_archE942ELNS1_3gpuE9ELNS1_3repE0EEENS1_30default_config_static_selectorELNS0_4arch9wavefront6targetE0EEEvT1_
		.amdhsa_group_segment_fixed_size 0
		.amdhsa_private_segment_fixed_size 0
		.amdhsa_kernarg_size 120
		.amdhsa_user_sgpr_count 2
		.amdhsa_user_sgpr_dispatch_ptr 0
		.amdhsa_user_sgpr_queue_ptr 0
		.amdhsa_user_sgpr_kernarg_segment_ptr 1
		.amdhsa_user_sgpr_dispatch_id 0
		.amdhsa_user_sgpr_private_segment_size 0
		.amdhsa_wavefront_size32 1
		.amdhsa_uses_dynamic_stack 0
		.amdhsa_enable_private_segment 0
		.amdhsa_system_sgpr_workgroup_id_x 1
		.amdhsa_system_sgpr_workgroup_id_y 0
		.amdhsa_system_sgpr_workgroup_id_z 0
		.amdhsa_system_sgpr_workgroup_info 0
		.amdhsa_system_vgpr_workitem_id 0
		.amdhsa_next_free_vgpr 1
		.amdhsa_next_free_sgpr 1
		.amdhsa_reserve_vcc 0
		.amdhsa_float_round_mode_32 0
		.amdhsa_float_round_mode_16_64 0
		.amdhsa_float_denorm_mode_32 3
		.amdhsa_float_denorm_mode_16_64 3
		.amdhsa_fp16_overflow 0
		.amdhsa_workgroup_processor_mode 1
		.amdhsa_memory_ordered 1
		.amdhsa_forward_progress 1
		.amdhsa_inst_pref_size 0
		.amdhsa_round_robin_scheduling 0
		.amdhsa_exception_fp_ieee_invalid_op 0
		.amdhsa_exception_fp_denorm_src 0
		.amdhsa_exception_fp_ieee_div_zero 0
		.amdhsa_exception_fp_ieee_overflow 0
		.amdhsa_exception_fp_ieee_underflow 0
		.amdhsa_exception_fp_ieee_inexact 0
		.amdhsa_exception_int_div_zero 0
	.end_amdhsa_kernel
	.section	.text._ZN7rocprim17ROCPRIM_400000_NS6detail17trampoline_kernelINS0_14default_configENS1_25partition_config_selectorILNS1_17partition_subalgoE5ElNS0_10empty_typeEbEEZZNS1_14partition_implILS5_5ELb0ES3_mN6hipcub16HIPCUB_304000_NS21CountingInputIteratorIllEEPS6_NSA_22TransformInputIteratorIbN2at6native12_GLOBAL__N_19NonZeroOpIaEEPKalEENS0_5tupleIJPlS6_EEENSN_IJSD_SD_EEES6_PiJS6_EEE10hipError_tPvRmT3_T4_T5_T6_T7_T9_mT8_P12ihipStream_tbDpT10_ENKUlT_T0_E_clISt17integral_constantIbLb0EES1B_EEDaS16_S17_EUlS16_E_NS1_11comp_targetILNS1_3genE5ELNS1_11target_archE942ELNS1_3gpuE9ELNS1_3repE0EEENS1_30default_config_static_selectorELNS0_4arch9wavefront6targetE0EEEvT1_,"axG",@progbits,_ZN7rocprim17ROCPRIM_400000_NS6detail17trampoline_kernelINS0_14default_configENS1_25partition_config_selectorILNS1_17partition_subalgoE5ElNS0_10empty_typeEbEEZZNS1_14partition_implILS5_5ELb0ES3_mN6hipcub16HIPCUB_304000_NS21CountingInputIteratorIllEEPS6_NSA_22TransformInputIteratorIbN2at6native12_GLOBAL__N_19NonZeroOpIaEEPKalEENS0_5tupleIJPlS6_EEENSN_IJSD_SD_EEES6_PiJS6_EEE10hipError_tPvRmT3_T4_T5_T6_T7_T9_mT8_P12ihipStream_tbDpT10_ENKUlT_T0_E_clISt17integral_constantIbLb0EES1B_EEDaS16_S17_EUlS16_E_NS1_11comp_targetILNS1_3genE5ELNS1_11target_archE942ELNS1_3gpuE9ELNS1_3repE0EEENS1_30default_config_static_selectorELNS0_4arch9wavefront6targetE0EEEvT1_,comdat
.Lfunc_end119:
	.size	_ZN7rocprim17ROCPRIM_400000_NS6detail17trampoline_kernelINS0_14default_configENS1_25partition_config_selectorILNS1_17partition_subalgoE5ElNS0_10empty_typeEbEEZZNS1_14partition_implILS5_5ELb0ES3_mN6hipcub16HIPCUB_304000_NS21CountingInputIteratorIllEEPS6_NSA_22TransformInputIteratorIbN2at6native12_GLOBAL__N_19NonZeroOpIaEEPKalEENS0_5tupleIJPlS6_EEENSN_IJSD_SD_EEES6_PiJS6_EEE10hipError_tPvRmT3_T4_T5_T6_T7_T9_mT8_P12ihipStream_tbDpT10_ENKUlT_T0_E_clISt17integral_constantIbLb0EES1B_EEDaS16_S17_EUlS16_E_NS1_11comp_targetILNS1_3genE5ELNS1_11target_archE942ELNS1_3gpuE9ELNS1_3repE0EEENS1_30default_config_static_selectorELNS0_4arch9wavefront6targetE0EEEvT1_, .Lfunc_end119-_ZN7rocprim17ROCPRIM_400000_NS6detail17trampoline_kernelINS0_14default_configENS1_25partition_config_selectorILNS1_17partition_subalgoE5ElNS0_10empty_typeEbEEZZNS1_14partition_implILS5_5ELb0ES3_mN6hipcub16HIPCUB_304000_NS21CountingInputIteratorIllEEPS6_NSA_22TransformInputIteratorIbN2at6native12_GLOBAL__N_19NonZeroOpIaEEPKalEENS0_5tupleIJPlS6_EEENSN_IJSD_SD_EEES6_PiJS6_EEE10hipError_tPvRmT3_T4_T5_T6_T7_T9_mT8_P12ihipStream_tbDpT10_ENKUlT_T0_E_clISt17integral_constantIbLb0EES1B_EEDaS16_S17_EUlS16_E_NS1_11comp_targetILNS1_3genE5ELNS1_11target_archE942ELNS1_3gpuE9ELNS1_3repE0EEENS1_30default_config_static_selectorELNS0_4arch9wavefront6targetE0EEEvT1_
                                        ; -- End function
	.set _ZN7rocprim17ROCPRIM_400000_NS6detail17trampoline_kernelINS0_14default_configENS1_25partition_config_selectorILNS1_17partition_subalgoE5ElNS0_10empty_typeEbEEZZNS1_14partition_implILS5_5ELb0ES3_mN6hipcub16HIPCUB_304000_NS21CountingInputIteratorIllEEPS6_NSA_22TransformInputIteratorIbN2at6native12_GLOBAL__N_19NonZeroOpIaEEPKalEENS0_5tupleIJPlS6_EEENSN_IJSD_SD_EEES6_PiJS6_EEE10hipError_tPvRmT3_T4_T5_T6_T7_T9_mT8_P12ihipStream_tbDpT10_ENKUlT_T0_E_clISt17integral_constantIbLb0EES1B_EEDaS16_S17_EUlS16_E_NS1_11comp_targetILNS1_3genE5ELNS1_11target_archE942ELNS1_3gpuE9ELNS1_3repE0EEENS1_30default_config_static_selectorELNS0_4arch9wavefront6targetE0EEEvT1_.num_vgpr, 0
	.set _ZN7rocprim17ROCPRIM_400000_NS6detail17trampoline_kernelINS0_14default_configENS1_25partition_config_selectorILNS1_17partition_subalgoE5ElNS0_10empty_typeEbEEZZNS1_14partition_implILS5_5ELb0ES3_mN6hipcub16HIPCUB_304000_NS21CountingInputIteratorIllEEPS6_NSA_22TransformInputIteratorIbN2at6native12_GLOBAL__N_19NonZeroOpIaEEPKalEENS0_5tupleIJPlS6_EEENSN_IJSD_SD_EEES6_PiJS6_EEE10hipError_tPvRmT3_T4_T5_T6_T7_T9_mT8_P12ihipStream_tbDpT10_ENKUlT_T0_E_clISt17integral_constantIbLb0EES1B_EEDaS16_S17_EUlS16_E_NS1_11comp_targetILNS1_3genE5ELNS1_11target_archE942ELNS1_3gpuE9ELNS1_3repE0EEENS1_30default_config_static_selectorELNS0_4arch9wavefront6targetE0EEEvT1_.num_agpr, 0
	.set _ZN7rocprim17ROCPRIM_400000_NS6detail17trampoline_kernelINS0_14default_configENS1_25partition_config_selectorILNS1_17partition_subalgoE5ElNS0_10empty_typeEbEEZZNS1_14partition_implILS5_5ELb0ES3_mN6hipcub16HIPCUB_304000_NS21CountingInputIteratorIllEEPS6_NSA_22TransformInputIteratorIbN2at6native12_GLOBAL__N_19NonZeroOpIaEEPKalEENS0_5tupleIJPlS6_EEENSN_IJSD_SD_EEES6_PiJS6_EEE10hipError_tPvRmT3_T4_T5_T6_T7_T9_mT8_P12ihipStream_tbDpT10_ENKUlT_T0_E_clISt17integral_constantIbLb0EES1B_EEDaS16_S17_EUlS16_E_NS1_11comp_targetILNS1_3genE5ELNS1_11target_archE942ELNS1_3gpuE9ELNS1_3repE0EEENS1_30default_config_static_selectorELNS0_4arch9wavefront6targetE0EEEvT1_.numbered_sgpr, 0
	.set _ZN7rocprim17ROCPRIM_400000_NS6detail17trampoline_kernelINS0_14default_configENS1_25partition_config_selectorILNS1_17partition_subalgoE5ElNS0_10empty_typeEbEEZZNS1_14partition_implILS5_5ELb0ES3_mN6hipcub16HIPCUB_304000_NS21CountingInputIteratorIllEEPS6_NSA_22TransformInputIteratorIbN2at6native12_GLOBAL__N_19NonZeroOpIaEEPKalEENS0_5tupleIJPlS6_EEENSN_IJSD_SD_EEES6_PiJS6_EEE10hipError_tPvRmT3_T4_T5_T6_T7_T9_mT8_P12ihipStream_tbDpT10_ENKUlT_T0_E_clISt17integral_constantIbLb0EES1B_EEDaS16_S17_EUlS16_E_NS1_11comp_targetILNS1_3genE5ELNS1_11target_archE942ELNS1_3gpuE9ELNS1_3repE0EEENS1_30default_config_static_selectorELNS0_4arch9wavefront6targetE0EEEvT1_.num_named_barrier, 0
	.set _ZN7rocprim17ROCPRIM_400000_NS6detail17trampoline_kernelINS0_14default_configENS1_25partition_config_selectorILNS1_17partition_subalgoE5ElNS0_10empty_typeEbEEZZNS1_14partition_implILS5_5ELb0ES3_mN6hipcub16HIPCUB_304000_NS21CountingInputIteratorIllEEPS6_NSA_22TransformInputIteratorIbN2at6native12_GLOBAL__N_19NonZeroOpIaEEPKalEENS0_5tupleIJPlS6_EEENSN_IJSD_SD_EEES6_PiJS6_EEE10hipError_tPvRmT3_T4_T5_T6_T7_T9_mT8_P12ihipStream_tbDpT10_ENKUlT_T0_E_clISt17integral_constantIbLb0EES1B_EEDaS16_S17_EUlS16_E_NS1_11comp_targetILNS1_3genE5ELNS1_11target_archE942ELNS1_3gpuE9ELNS1_3repE0EEENS1_30default_config_static_selectorELNS0_4arch9wavefront6targetE0EEEvT1_.private_seg_size, 0
	.set _ZN7rocprim17ROCPRIM_400000_NS6detail17trampoline_kernelINS0_14default_configENS1_25partition_config_selectorILNS1_17partition_subalgoE5ElNS0_10empty_typeEbEEZZNS1_14partition_implILS5_5ELb0ES3_mN6hipcub16HIPCUB_304000_NS21CountingInputIteratorIllEEPS6_NSA_22TransformInputIteratorIbN2at6native12_GLOBAL__N_19NonZeroOpIaEEPKalEENS0_5tupleIJPlS6_EEENSN_IJSD_SD_EEES6_PiJS6_EEE10hipError_tPvRmT3_T4_T5_T6_T7_T9_mT8_P12ihipStream_tbDpT10_ENKUlT_T0_E_clISt17integral_constantIbLb0EES1B_EEDaS16_S17_EUlS16_E_NS1_11comp_targetILNS1_3genE5ELNS1_11target_archE942ELNS1_3gpuE9ELNS1_3repE0EEENS1_30default_config_static_selectorELNS0_4arch9wavefront6targetE0EEEvT1_.uses_vcc, 0
	.set _ZN7rocprim17ROCPRIM_400000_NS6detail17trampoline_kernelINS0_14default_configENS1_25partition_config_selectorILNS1_17partition_subalgoE5ElNS0_10empty_typeEbEEZZNS1_14partition_implILS5_5ELb0ES3_mN6hipcub16HIPCUB_304000_NS21CountingInputIteratorIllEEPS6_NSA_22TransformInputIteratorIbN2at6native12_GLOBAL__N_19NonZeroOpIaEEPKalEENS0_5tupleIJPlS6_EEENSN_IJSD_SD_EEES6_PiJS6_EEE10hipError_tPvRmT3_T4_T5_T6_T7_T9_mT8_P12ihipStream_tbDpT10_ENKUlT_T0_E_clISt17integral_constantIbLb0EES1B_EEDaS16_S17_EUlS16_E_NS1_11comp_targetILNS1_3genE5ELNS1_11target_archE942ELNS1_3gpuE9ELNS1_3repE0EEENS1_30default_config_static_selectorELNS0_4arch9wavefront6targetE0EEEvT1_.uses_flat_scratch, 0
	.set _ZN7rocprim17ROCPRIM_400000_NS6detail17trampoline_kernelINS0_14default_configENS1_25partition_config_selectorILNS1_17partition_subalgoE5ElNS0_10empty_typeEbEEZZNS1_14partition_implILS5_5ELb0ES3_mN6hipcub16HIPCUB_304000_NS21CountingInputIteratorIllEEPS6_NSA_22TransformInputIteratorIbN2at6native12_GLOBAL__N_19NonZeroOpIaEEPKalEENS0_5tupleIJPlS6_EEENSN_IJSD_SD_EEES6_PiJS6_EEE10hipError_tPvRmT3_T4_T5_T6_T7_T9_mT8_P12ihipStream_tbDpT10_ENKUlT_T0_E_clISt17integral_constantIbLb0EES1B_EEDaS16_S17_EUlS16_E_NS1_11comp_targetILNS1_3genE5ELNS1_11target_archE942ELNS1_3gpuE9ELNS1_3repE0EEENS1_30default_config_static_selectorELNS0_4arch9wavefront6targetE0EEEvT1_.has_dyn_sized_stack, 0
	.set _ZN7rocprim17ROCPRIM_400000_NS6detail17trampoline_kernelINS0_14default_configENS1_25partition_config_selectorILNS1_17partition_subalgoE5ElNS0_10empty_typeEbEEZZNS1_14partition_implILS5_5ELb0ES3_mN6hipcub16HIPCUB_304000_NS21CountingInputIteratorIllEEPS6_NSA_22TransformInputIteratorIbN2at6native12_GLOBAL__N_19NonZeroOpIaEEPKalEENS0_5tupleIJPlS6_EEENSN_IJSD_SD_EEES6_PiJS6_EEE10hipError_tPvRmT3_T4_T5_T6_T7_T9_mT8_P12ihipStream_tbDpT10_ENKUlT_T0_E_clISt17integral_constantIbLb0EES1B_EEDaS16_S17_EUlS16_E_NS1_11comp_targetILNS1_3genE5ELNS1_11target_archE942ELNS1_3gpuE9ELNS1_3repE0EEENS1_30default_config_static_selectorELNS0_4arch9wavefront6targetE0EEEvT1_.has_recursion, 0
	.set _ZN7rocprim17ROCPRIM_400000_NS6detail17trampoline_kernelINS0_14default_configENS1_25partition_config_selectorILNS1_17partition_subalgoE5ElNS0_10empty_typeEbEEZZNS1_14partition_implILS5_5ELb0ES3_mN6hipcub16HIPCUB_304000_NS21CountingInputIteratorIllEEPS6_NSA_22TransformInputIteratorIbN2at6native12_GLOBAL__N_19NonZeroOpIaEEPKalEENS0_5tupleIJPlS6_EEENSN_IJSD_SD_EEES6_PiJS6_EEE10hipError_tPvRmT3_T4_T5_T6_T7_T9_mT8_P12ihipStream_tbDpT10_ENKUlT_T0_E_clISt17integral_constantIbLb0EES1B_EEDaS16_S17_EUlS16_E_NS1_11comp_targetILNS1_3genE5ELNS1_11target_archE942ELNS1_3gpuE9ELNS1_3repE0EEENS1_30default_config_static_selectorELNS0_4arch9wavefront6targetE0EEEvT1_.has_indirect_call, 0
	.section	.AMDGPU.csdata,"",@progbits
; Kernel info:
; codeLenInByte = 0
; TotalNumSgprs: 0
; NumVgprs: 0
; ScratchSize: 0
; MemoryBound: 0
; FloatMode: 240
; IeeeMode: 1
; LDSByteSize: 0 bytes/workgroup (compile time only)
; SGPRBlocks: 0
; VGPRBlocks: 0
; NumSGPRsForWavesPerEU: 1
; NumVGPRsForWavesPerEU: 1
; Occupancy: 16
; WaveLimiterHint : 0
; COMPUTE_PGM_RSRC2:SCRATCH_EN: 0
; COMPUTE_PGM_RSRC2:USER_SGPR: 2
; COMPUTE_PGM_RSRC2:TRAP_HANDLER: 0
; COMPUTE_PGM_RSRC2:TGID_X_EN: 1
; COMPUTE_PGM_RSRC2:TGID_Y_EN: 0
; COMPUTE_PGM_RSRC2:TGID_Z_EN: 0
; COMPUTE_PGM_RSRC2:TIDIG_COMP_CNT: 0
	.section	.text._ZN7rocprim17ROCPRIM_400000_NS6detail17trampoline_kernelINS0_14default_configENS1_25partition_config_selectorILNS1_17partition_subalgoE5ElNS0_10empty_typeEbEEZZNS1_14partition_implILS5_5ELb0ES3_mN6hipcub16HIPCUB_304000_NS21CountingInputIteratorIllEEPS6_NSA_22TransformInputIteratorIbN2at6native12_GLOBAL__N_19NonZeroOpIaEEPKalEENS0_5tupleIJPlS6_EEENSN_IJSD_SD_EEES6_PiJS6_EEE10hipError_tPvRmT3_T4_T5_T6_T7_T9_mT8_P12ihipStream_tbDpT10_ENKUlT_T0_E_clISt17integral_constantIbLb0EES1B_EEDaS16_S17_EUlS16_E_NS1_11comp_targetILNS1_3genE4ELNS1_11target_archE910ELNS1_3gpuE8ELNS1_3repE0EEENS1_30default_config_static_selectorELNS0_4arch9wavefront6targetE0EEEvT1_,"axG",@progbits,_ZN7rocprim17ROCPRIM_400000_NS6detail17trampoline_kernelINS0_14default_configENS1_25partition_config_selectorILNS1_17partition_subalgoE5ElNS0_10empty_typeEbEEZZNS1_14partition_implILS5_5ELb0ES3_mN6hipcub16HIPCUB_304000_NS21CountingInputIteratorIllEEPS6_NSA_22TransformInputIteratorIbN2at6native12_GLOBAL__N_19NonZeroOpIaEEPKalEENS0_5tupleIJPlS6_EEENSN_IJSD_SD_EEES6_PiJS6_EEE10hipError_tPvRmT3_T4_T5_T6_T7_T9_mT8_P12ihipStream_tbDpT10_ENKUlT_T0_E_clISt17integral_constantIbLb0EES1B_EEDaS16_S17_EUlS16_E_NS1_11comp_targetILNS1_3genE4ELNS1_11target_archE910ELNS1_3gpuE8ELNS1_3repE0EEENS1_30default_config_static_selectorELNS0_4arch9wavefront6targetE0EEEvT1_,comdat
	.globl	_ZN7rocprim17ROCPRIM_400000_NS6detail17trampoline_kernelINS0_14default_configENS1_25partition_config_selectorILNS1_17partition_subalgoE5ElNS0_10empty_typeEbEEZZNS1_14partition_implILS5_5ELb0ES3_mN6hipcub16HIPCUB_304000_NS21CountingInputIteratorIllEEPS6_NSA_22TransformInputIteratorIbN2at6native12_GLOBAL__N_19NonZeroOpIaEEPKalEENS0_5tupleIJPlS6_EEENSN_IJSD_SD_EEES6_PiJS6_EEE10hipError_tPvRmT3_T4_T5_T6_T7_T9_mT8_P12ihipStream_tbDpT10_ENKUlT_T0_E_clISt17integral_constantIbLb0EES1B_EEDaS16_S17_EUlS16_E_NS1_11comp_targetILNS1_3genE4ELNS1_11target_archE910ELNS1_3gpuE8ELNS1_3repE0EEENS1_30default_config_static_selectorELNS0_4arch9wavefront6targetE0EEEvT1_ ; -- Begin function _ZN7rocprim17ROCPRIM_400000_NS6detail17trampoline_kernelINS0_14default_configENS1_25partition_config_selectorILNS1_17partition_subalgoE5ElNS0_10empty_typeEbEEZZNS1_14partition_implILS5_5ELb0ES3_mN6hipcub16HIPCUB_304000_NS21CountingInputIteratorIllEEPS6_NSA_22TransformInputIteratorIbN2at6native12_GLOBAL__N_19NonZeroOpIaEEPKalEENS0_5tupleIJPlS6_EEENSN_IJSD_SD_EEES6_PiJS6_EEE10hipError_tPvRmT3_T4_T5_T6_T7_T9_mT8_P12ihipStream_tbDpT10_ENKUlT_T0_E_clISt17integral_constantIbLb0EES1B_EEDaS16_S17_EUlS16_E_NS1_11comp_targetILNS1_3genE4ELNS1_11target_archE910ELNS1_3gpuE8ELNS1_3repE0EEENS1_30default_config_static_selectorELNS0_4arch9wavefront6targetE0EEEvT1_
	.p2align	8
	.type	_ZN7rocprim17ROCPRIM_400000_NS6detail17trampoline_kernelINS0_14default_configENS1_25partition_config_selectorILNS1_17partition_subalgoE5ElNS0_10empty_typeEbEEZZNS1_14partition_implILS5_5ELb0ES3_mN6hipcub16HIPCUB_304000_NS21CountingInputIteratorIllEEPS6_NSA_22TransformInputIteratorIbN2at6native12_GLOBAL__N_19NonZeroOpIaEEPKalEENS0_5tupleIJPlS6_EEENSN_IJSD_SD_EEES6_PiJS6_EEE10hipError_tPvRmT3_T4_T5_T6_T7_T9_mT8_P12ihipStream_tbDpT10_ENKUlT_T0_E_clISt17integral_constantIbLb0EES1B_EEDaS16_S17_EUlS16_E_NS1_11comp_targetILNS1_3genE4ELNS1_11target_archE910ELNS1_3gpuE8ELNS1_3repE0EEENS1_30default_config_static_selectorELNS0_4arch9wavefront6targetE0EEEvT1_,@function
_ZN7rocprim17ROCPRIM_400000_NS6detail17trampoline_kernelINS0_14default_configENS1_25partition_config_selectorILNS1_17partition_subalgoE5ElNS0_10empty_typeEbEEZZNS1_14partition_implILS5_5ELb0ES3_mN6hipcub16HIPCUB_304000_NS21CountingInputIteratorIllEEPS6_NSA_22TransformInputIteratorIbN2at6native12_GLOBAL__N_19NonZeroOpIaEEPKalEENS0_5tupleIJPlS6_EEENSN_IJSD_SD_EEES6_PiJS6_EEE10hipError_tPvRmT3_T4_T5_T6_T7_T9_mT8_P12ihipStream_tbDpT10_ENKUlT_T0_E_clISt17integral_constantIbLb0EES1B_EEDaS16_S17_EUlS16_E_NS1_11comp_targetILNS1_3genE4ELNS1_11target_archE910ELNS1_3gpuE8ELNS1_3repE0EEENS1_30default_config_static_selectorELNS0_4arch9wavefront6targetE0EEEvT1_: ; @_ZN7rocprim17ROCPRIM_400000_NS6detail17trampoline_kernelINS0_14default_configENS1_25partition_config_selectorILNS1_17partition_subalgoE5ElNS0_10empty_typeEbEEZZNS1_14partition_implILS5_5ELb0ES3_mN6hipcub16HIPCUB_304000_NS21CountingInputIteratorIllEEPS6_NSA_22TransformInputIteratorIbN2at6native12_GLOBAL__N_19NonZeroOpIaEEPKalEENS0_5tupleIJPlS6_EEENSN_IJSD_SD_EEES6_PiJS6_EEE10hipError_tPvRmT3_T4_T5_T6_T7_T9_mT8_P12ihipStream_tbDpT10_ENKUlT_T0_E_clISt17integral_constantIbLb0EES1B_EEDaS16_S17_EUlS16_E_NS1_11comp_targetILNS1_3genE4ELNS1_11target_archE910ELNS1_3gpuE8ELNS1_3repE0EEENS1_30default_config_static_selectorELNS0_4arch9wavefront6targetE0EEEvT1_
; %bb.0:
	.section	.rodata,"a",@progbits
	.p2align	6, 0x0
	.amdhsa_kernel _ZN7rocprim17ROCPRIM_400000_NS6detail17trampoline_kernelINS0_14default_configENS1_25partition_config_selectorILNS1_17partition_subalgoE5ElNS0_10empty_typeEbEEZZNS1_14partition_implILS5_5ELb0ES3_mN6hipcub16HIPCUB_304000_NS21CountingInputIteratorIllEEPS6_NSA_22TransformInputIteratorIbN2at6native12_GLOBAL__N_19NonZeroOpIaEEPKalEENS0_5tupleIJPlS6_EEENSN_IJSD_SD_EEES6_PiJS6_EEE10hipError_tPvRmT3_T4_T5_T6_T7_T9_mT8_P12ihipStream_tbDpT10_ENKUlT_T0_E_clISt17integral_constantIbLb0EES1B_EEDaS16_S17_EUlS16_E_NS1_11comp_targetILNS1_3genE4ELNS1_11target_archE910ELNS1_3gpuE8ELNS1_3repE0EEENS1_30default_config_static_selectorELNS0_4arch9wavefront6targetE0EEEvT1_
		.amdhsa_group_segment_fixed_size 0
		.amdhsa_private_segment_fixed_size 0
		.amdhsa_kernarg_size 120
		.amdhsa_user_sgpr_count 2
		.amdhsa_user_sgpr_dispatch_ptr 0
		.amdhsa_user_sgpr_queue_ptr 0
		.amdhsa_user_sgpr_kernarg_segment_ptr 1
		.amdhsa_user_sgpr_dispatch_id 0
		.amdhsa_user_sgpr_private_segment_size 0
		.amdhsa_wavefront_size32 1
		.amdhsa_uses_dynamic_stack 0
		.amdhsa_enable_private_segment 0
		.amdhsa_system_sgpr_workgroup_id_x 1
		.amdhsa_system_sgpr_workgroup_id_y 0
		.amdhsa_system_sgpr_workgroup_id_z 0
		.amdhsa_system_sgpr_workgroup_info 0
		.amdhsa_system_vgpr_workitem_id 0
		.amdhsa_next_free_vgpr 1
		.amdhsa_next_free_sgpr 1
		.amdhsa_reserve_vcc 0
		.amdhsa_float_round_mode_32 0
		.amdhsa_float_round_mode_16_64 0
		.amdhsa_float_denorm_mode_32 3
		.amdhsa_float_denorm_mode_16_64 3
		.amdhsa_fp16_overflow 0
		.amdhsa_workgroup_processor_mode 1
		.amdhsa_memory_ordered 1
		.amdhsa_forward_progress 1
		.amdhsa_inst_pref_size 0
		.amdhsa_round_robin_scheduling 0
		.amdhsa_exception_fp_ieee_invalid_op 0
		.amdhsa_exception_fp_denorm_src 0
		.amdhsa_exception_fp_ieee_div_zero 0
		.amdhsa_exception_fp_ieee_overflow 0
		.amdhsa_exception_fp_ieee_underflow 0
		.amdhsa_exception_fp_ieee_inexact 0
		.amdhsa_exception_int_div_zero 0
	.end_amdhsa_kernel
	.section	.text._ZN7rocprim17ROCPRIM_400000_NS6detail17trampoline_kernelINS0_14default_configENS1_25partition_config_selectorILNS1_17partition_subalgoE5ElNS0_10empty_typeEbEEZZNS1_14partition_implILS5_5ELb0ES3_mN6hipcub16HIPCUB_304000_NS21CountingInputIteratorIllEEPS6_NSA_22TransformInputIteratorIbN2at6native12_GLOBAL__N_19NonZeroOpIaEEPKalEENS0_5tupleIJPlS6_EEENSN_IJSD_SD_EEES6_PiJS6_EEE10hipError_tPvRmT3_T4_T5_T6_T7_T9_mT8_P12ihipStream_tbDpT10_ENKUlT_T0_E_clISt17integral_constantIbLb0EES1B_EEDaS16_S17_EUlS16_E_NS1_11comp_targetILNS1_3genE4ELNS1_11target_archE910ELNS1_3gpuE8ELNS1_3repE0EEENS1_30default_config_static_selectorELNS0_4arch9wavefront6targetE0EEEvT1_,"axG",@progbits,_ZN7rocprim17ROCPRIM_400000_NS6detail17trampoline_kernelINS0_14default_configENS1_25partition_config_selectorILNS1_17partition_subalgoE5ElNS0_10empty_typeEbEEZZNS1_14partition_implILS5_5ELb0ES3_mN6hipcub16HIPCUB_304000_NS21CountingInputIteratorIllEEPS6_NSA_22TransformInputIteratorIbN2at6native12_GLOBAL__N_19NonZeroOpIaEEPKalEENS0_5tupleIJPlS6_EEENSN_IJSD_SD_EEES6_PiJS6_EEE10hipError_tPvRmT3_T4_T5_T6_T7_T9_mT8_P12ihipStream_tbDpT10_ENKUlT_T0_E_clISt17integral_constantIbLb0EES1B_EEDaS16_S17_EUlS16_E_NS1_11comp_targetILNS1_3genE4ELNS1_11target_archE910ELNS1_3gpuE8ELNS1_3repE0EEENS1_30default_config_static_selectorELNS0_4arch9wavefront6targetE0EEEvT1_,comdat
.Lfunc_end120:
	.size	_ZN7rocprim17ROCPRIM_400000_NS6detail17trampoline_kernelINS0_14default_configENS1_25partition_config_selectorILNS1_17partition_subalgoE5ElNS0_10empty_typeEbEEZZNS1_14partition_implILS5_5ELb0ES3_mN6hipcub16HIPCUB_304000_NS21CountingInputIteratorIllEEPS6_NSA_22TransformInputIteratorIbN2at6native12_GLOBAL__N_19NonZeroOpIaEEPKalEENS0_5tupleIJPlS6_EEENSN_IJSD_SD_EEES6_PiJS6_EEE10hipError_tPvRmT3_T4_T5_T6_T7_T9_mT8_P12ihipStream_tbDpT10_ENKUlT_T0_E_clISt17integral_constantIbLb0EES1B_EEDaS16_S17_EUlS16_E_NS1_11comp_targetILNS1_3genE4ELNS1_11target_archE910ELNS1_3gpuE8ELNS1_3repE0EEENS1_30default_config_static_selectorELNS0_4arch9wavefront6targetE0EEEvT1_, .Lfunc_end120-_ZN7rocprim17ROCPRIM_400000_NS6detail17trampoline_kernelINS0_14default_configENS1_25partition_config_selectorILNS1_17partition_subalgoE5ElNS0_10empty_typeEbEEZZNS1_14partition_implILS5_5ELb0ES3_mN6hipcub16HIPCUB_304000_NS21CountingInputIteratorIllEEPS6_NSA_22TransformInputIteratorIbN2at6native12_GLOBAL__N_19NonZeroOpIaEEPKalEENS0_5tupleIJPlS6_EEENSN_IJSD_SD_EEES6_PiJS6_EEE10hipError_tPvRmT3_T4_T5_T6_T7_T9_mT8_P12ihipStream_tbDpT10_ENKUlT_T0_E_clISt17integral_constantIbLb0EES1B_EEDaS16_S17_EUlS16_E_NS1_11comp_targetILNS1_3genE4ELNS1_11target_archE910ELNS1_3gpuE8ELNS1_3repE0EEENS1_30default_config_static_selectorELNS0_4arch9wavefront6targetE0EEEvT1_
                                        ; -- End function
	.set _ZN7rocprim17ROCPRIM_400000_NS6detail17trampoline_kernelINS0_14default_configENS1_25partition_config_selectorILNS1_17partition_subalgoE5ElNS0_10empty_typeEbEEZZNS1_14partition_implILS5_5ELb0ES3_mN6hipcub16HIPCUB_304000_NS21CountingInputIteratorIllEEPS6_NSA_22TransformInputIteratorIbN2at6native12_GLOBAL__N_19NonZeroOpIaEEPKalEENS0_5tupleIJPlS6_EEENSN_IJSD_SD_EEES6_PiJS6_EEE10hipError_tPvRmT3_T4_T5_T6_T7_T9_mT8_P12ihipStream_tbDpT10_ENKUlT_T0_E_clISt17integral_constantIbLb0EES1B_EEDaS16_S17_EUlS16_E_NS1_11comp_targetILNS1_3genE4ELNS1_11target_archE910ELNS1_3gpuE8ELNS1_3repE0EEENS1_30default_config_static_selectorELNS0_4arch9wavefront6targetE0EEEvT1_.num_vgpr, 0
	.set _ZN7rocprim17ROCPRIM_400000_NS6detail17trampoline_kernelINS0_14default_configENS1_25partition_config_selectorILNS1_17partition_subalgoE5ElNS0_10empty_typeEbEEZZNS1_14partition_implILS5_5ELb0ES3_mN6hipcub16HIPCUB_304000_NS21CountingInputIteratorIllEEPS6_NSA_22TransformInputIteratorIbN2at6native12_GLOBAL__N_19NonZeroOpIaEEPKalEENS0_5tupleIJPlS6_EEENSN_IJSD_SD_EEES6_PiJS6_EEE10hipError_tPvRmT3_T4_T5_T6_T7_T9_mT8_P12ihipStream_tbDpT10_ENKUlT_T0_E_clISt17integral_constantIbLb0EES1B_EEDaS16_S17_EUlS16_E_NS1_11comp_targetILNS1_3genE4ELNS1_11target_archE910ELNS1_3gpuE8ELNS1_3repE0EEENS1_30default_config_static_selectorELNS0_4arch9wavefront6targetE0EEEvT1_.num_agpr, 0
	.set _ZN7rocprim17ROCPRIM_400000_NS6detail17trampoline_kernelINS0_14default_configENS1_25partition_config_selectorILNS1_17partition_subalgoE5ElNS0_10empty_typeEbEEZZNS1_14partition_implILS5_5ELb0ES3_mN6hipcub16HIPCUB_304000_NS21CountingInputIteratorIllEEPS6_NSA_22TransformInputIteratorIbN2at6native12_GLOBAL__N_19NonZeroOpIaEEPKalEENS0_5tupleIJPlS6_EEENSN_IJSD_SD_EEES6_PiJS6_EEE10hipError_tPvRmT3_T4_T5_T6_T7_T9_mT8_P12ihipStream_tbDpT10_ENKUlT_T0_E_clISt17integral_constantIbLb0EES1B_EEDaS16_S17_EUlS16_E_NS1_11comp_targetILNS1_3genE4ELNS1_11target_archE910ELNS1_3gpuE8ELNS1_3repE0EEENS1_30default_config_static_selectorELNS0_4arch9wavefront6targetE0EEEvT1_.numbered_sgpr, 0
	.set _ZN7rocprim17ROCPRIM_400000_NS6detail17trampoline_kernelINS0_14default_configENS1_25partition_config_selectorILNS1_17partition_subalgoE5ElNS0_10empty_typeEbEEZZNS1_14partition_implILS5_5ELb0ES3_mN6hipcub16HIPCUB_304000_NS21CountingInputIteratorIllEEPS6_NSA_22TransformInputIteratorIbN2at6native12_GLOBAL__N_19NonZeroOpIaEEPKalEENS0_5tupleIJPlS6_EEENSN_IJSD_SD_EEES6_PiJS6_EEE10hipError_tPvRmT3_T4_T5_T6_T7_T9_mT8_P12ihipStream_tbDpT10_ENKUlT_T0_E_clISt17integral_constantIbLb0EES1B_EEDaS16_S17_EUlS16_E_NS1_11comp_targetILNS1_3genE4ELNS1_11target_archE910ELNS1_3gpuE8ELNS1_3repE0EEENS1_30default_config_static_selectorELNS0_4arch9wavefront6targetE0EEEvT1_.num_named_barrier, 0
	.set _ZN7rocprim17ROCPRIM_400000_NS6detail17trampoline_kernelINS0_14default_configENS1_25partition_config_selectorILNS1_17partition_subalgoE5ElNS0_10empty_typeEbEEZZNS1_14partition_implILS5_5ELb0ES3_mN6hipcub16HIPCUB_304000_NS21CountingInputIteratorIllEEPS6_NSA_22TransformInputIteratorIbN2at6native12_GLOBAL__N_19NonZeroOpIaEEPKalEENS0_5tupleIJPlS6_EEENSN_IJSD_SD_EEES6_PiJS6_EEE10hipError_tPvRmT3_T4_T5_T6_T7_T9_mT8_P12ihipStream_tbDpT10_ENKUlT_T0_E_clISt17integral_constantIbLb0EES1B_EEDaS16_S17_EUlS16_E_NS1_11comp_targetILNS1_3genE4ELNS1_11target_archE910ELNS1_3gpuE8ELNS1_3repE0EEENS1_30default_config_static_selectorELNS0_4arch9wavefront6targetE0EEEvT1_.private_seg_size, 0
	.set _ZN7rocprim17ROCPRIM_400000_NS6detail17trampoline_kernelINS0_14default_configENS1_25partition_config_selectorILNS1_17partition_subalgoE5ElNS0_10empty_typeEbEEZZNS1_14partition_implILS5_5ELb0ES3_mN6hipcub16HIPCUB_304000_NS21CountingInputIteratorIllEEPS6_NSA_22TransformInputIteratorIbN2at6native12_GLOBAL__N_19NonZeroOpIaEEPKalEENS0_5tupleIJPlS6_EEENSN_IJSD_SD_EEES6_PiJS6_EEE10hipError_tPvRmT3_T4_T5_T6_T7_T9_mT8_P12ihipStream_tbDpT10_ENKUlT_T0_E_clISt17integral_constantIbLb0EES1B_EEDaS16_S17_EUlS16_E_NS1_11comp_targetILNS1_3genE4ELNS1_11target_archE910ELNS1_3gpuE8ELNS1_3repE0EEENS1_30default_config_static_selectorELNS0_4arch9wavefront6targetE0EEEvT1_.uses_vcc, 0
	.set _ZN7rocprim17ROCPRIM_400000_NS6detail17trampoline_kernelINS0_14default_configENS1_25partition_config_selectorILNS1_17partition_subalgoE5ElNS0_10empty_typeEbEEZZNS1_14partition_implILS5_5ELb0ES3_mN6hipcub16HIPCUB_304000_NS21CountingInputIteratorIllEEPS6_NSA_22TransformInputIteratorIbN2at6native12_GLOBAL__N_19NonZeroOpIaEEPKalEENS0_5tupleIJPlS6_EEENSN_IJSD_SD_EEES6_PiJS6_EEE10hipError_tPvRmT3_T4_T5_T6_T7_T9_mT8_P12ihipStream_tbDpT10_ENKUlT_T0_E_clISt17integral_constantIbLb0EES1B_EEDaS16_S17_EUlS16_E_NS1_11comp_targetILNS1_3genE4ELNS1_11target_archE910ELNS1_3gpuE8ELNS1_3repE0EEENS1_30default_config_static_selectorELNS0_4arch9wavefront6targetE0EEEvT1_.uses_flat_scratch, 0
	.set _ZN7rocprim17ROCPRIM_400000_NS6detail17trampoline_kernelINS0_14default_configENS1_25partition_config_selectorILNS1_17partition_subalgoE5ElNS0_10empty_typeEbEEZZNS1_14partition_implILS5_5ELb0ES3_mN6hipcub16HIPCUB_304000_NS21CountingInputIteratorIllEEPS6_NSA_22TransformInputIteratorIbN2at6native12_GLOBAL__N_19NonZeroOpIaEEPKalEENS0_5tupleIJPlS6_EEENSN_IJSD_SD_EEES6_PiJS6_EEE10hipError_tPvRmT3_T4_T5_T6_T7_T9_mT8_P12ihipStream_tbDpT10_ENKUlT_T0_E_clISt17integral_constantIbLb0EES1B_EEDaS16_S17_EUlS16_E_NS1_11comp_targetILNS1_3genE4ELNS1_11target_archE910ELNS1_3gpuE8ELNS1_3repE0EEENS1_30default_config_static_selectorELNS0_4arch9wavefront6targetE0EEEvT1_.has_dyn_sized_stack, 0
	.set _ZN7rocprim17ROCPRIM_400000_NS6detail17trampoline_kernelINS0_14default_configENS1_25partition_config_selectorILNS1_17partition_subalgoE5ElNS0_10empty_typeEbEEZZNS1_14partition_implILS5_5ELb0ES3_mN6hipcub16HIPCUB_304000_NS21CountingInputIteratorIllEEPS6_NSA_22TransformInputIteratorIbN2at6native12_GLOBAL__N_19NonZeroOpIaEEPKalEENS0_5tupleIJPlS6_EEENSN_IJSD_SD_EEES6_PiJS6_EEE10hipError_tPvRmT3_T4_T5_T6_T7_T9_mT8_P12ihipStream_tbDpT10_ENKUlT_T0_E_clISt17integral_constantIbLb0EES1B_EEDaS16_S17_EUlS16_E_NS1_11comp_targetILNS1_3genE4ELNS1_11target_archE910ELNS1_3gpuE8ELNS1_3repE0EEENS1_30default_config_static_selectorELNS0_4arch9wavefront6targetE0EEEvT1_.has_recursion, 0
	.set _ZN7rocprim17ROCPRIM_400000_NS6detail17trampoline_kernelINS0_14default_configENS1_25partition_config_selectorILNS1_17partition_subalgoE5ElNS0_10empty_typeEbEEZZNS1_14partition_implILS5_5ELb0ES3_mN6hipcub16HIPCUB_304000_NS21CountingInputIteratorIllEEPS6_NSA_22TransformInputIteratorIbN2at6native12_GLOBAL__N_19NonZeroOpIaEEPKalEENS0_5tupleIJPlS6_EEENSN_IJSD_SD_EEES6_PiJS6_EEE10hipError_tPvRmT3_T4_T5_T6_T7_T9_mT8_P12ihipStream_tbDpT10_ENKUlT_T0_E_clISt17integral_constantIbLb0EES1B_EEDaS16_S17_EUlS16_E_NS1_11comp_targetILNS1_3genE4ELNS1_11target_archE910ELNS1_3gpuE8ELNS1_3repE0EEENS1_30default_config_static_selectorELNS0_4arch9wavefront6targetE0EEEvT1_.has_indirect_call, 0
	.section	.AMDGPU.csdata,"",@progbits
; Kernel info:
; codeLenInByte = 0
; TotalNumSgprs: 0
; NumVgprs: 0
; ScratchSize: 0
; MemoryBound: 0
; FloatMode: 240
; IeeeMode: 1
; LDSByteSize: 0 bytes/workgroup (compile time only)
; SGPRBlocks: 0
; VGPRBlocks: 0
; NumSGPRsForWavesPerEU: 1
; NumVGPRsForWavesPerEU: 1
; Occupancy: 16
; WaveLimiterHint : 0
; COMPUTE_PGM_RSRC2:SCRATCH_EN: 0
; COMPUTE_PGM_RSRC2:USER_SGPR: 2
; COMPUTE_PGM_RSRC2:TRAP_HANDLER: 0
; COMPUTE_PGM_RSRC2:TGID_X_EN: 1
; COMPUTE_PGM_RSRC2:TGID_Y_EN: 0
; COMPUTE_PGM_RSRC2:TGID_Z_EN: 0
; COMPUTE_PGM_RSRC2:TIDIG_COMP_CNT: 0
	.section	.text._ZN7rocprim17ROCPRIM_400000_NS6detail17trampoline_kernelINS0_14default_configENS1_25partition_config_selectorILNS1_17partition_subalgoE5ElNS0_10empty_typeEbEEZZNS1_14partition_implILS5_5ELb0ES3_mN6hipcub16HIPCUB_304000_NS21CountingInputIteratorIllEEPS6_NSA_22TransformInputIteratorIbN2at6native12_GLOBAL__N_19NonZeroOpIaEEPKalEENS0_5tupleIJPlS6_EEENSN_IJSD_SD_EEES6_PiJS6_EEE10hipError_tPvRmT3_T4_T5_T6_T7_T9_mT8_P12ihipStream_tbDpT10_ENKUlT_T0_E_clISt17integral_constantIbLb0EES1B_EEDaS16_S17_EUlS16_E_NS1_11comp_targetILNS1_3genE3ELNS1_11target_archE908ELNS1_3gpuE7ELNS1_3repE0EEENS1_30default_config_static_selectorELNS0_4arch9wavefront6targetE0EEEvT1_,"axG",@progbits,_ZN7rocprim17ROCPRIM_400000_NS6detail17trampoline_kernelINS0_14default_configENS1_25partition_config_selectorILNS1_17partition_subalgoE5ElNS0_10empty_typeEbEEZZNS1_14partition_implILS5_5ELb0ES3_mN6hipcub16HIPCUB_304000_NS21CountingInputIteratorIllEEPS6_NSA_22TransformInputIteratorIbN2at6native12_GLOBAL__N_19NonZeroOpIaEEPKalEENS0_5tupleIJPlS6_EEENSN_IJSD_SD_EEES6_PiJS6_EEE10hipError_tPvRmT3_T4_T5_T6_T7_T9_mT8_P12ihipStream_tbDpT10_ENKUlT_T0_E_clISt17integral_constantIbLb0EES1B_EEDaS16_S17_EUlS16_E_NS1_11comp_targetILNS1_3genE3ELNS1_11target_archE908ELNS1_3gpuE7ELNS1_3repE0EEENS1_30default_config_static_selectorELNS0_4arch9wavefront6targetE0EEEvT1_,comdat
	.globl	_ZN7rocprim17ROCPRIM_400000_NS6detail17trampoline_kernelINS0_14default_configENS1_25partition_config_selectorILNS1_17partition_subalgoE5ElNS0_10empty_typeEbEEZZNS1_14partition_implILS5_5ELb0ES3_mN6hipcub16HIPCUB_304000_NS21CountingInputIteratorIllEEPS6_NSA_22TransformInputIteratorIbN2at6native12_GLOBAL__N_19NonZeroOpIaEEPKalEENS0_5tupleIJPlS6_EEENSN_IJSD_SD_EEES6_PiJS6_EEE10hipError_tPvRmT3_T4_T5_T6_T7_T9_mT8_P12ihipStream_tbDpT10_ENKUlT_T0_E_clISt17integral_constantIbLb0EES1B_EEDaS16_S17_EUlS16_E_NS1_11comp_targetILNS1_3genE3ELNS1_11target_archE908ELNS1_3gpuE7ELNS1_3repE0EEENS1_30default_config_static_selectorELNS0_4arch9wavefront6targetE0EEEvT1_ ; -- Begin function _ZN7rocprim17ROCPRIM_400000_NS6detail17trampoline_kernelINS0_14default_configENS1_25partition_config_selectorILNS1_17partition_subalgoE5ElNS0_10empty_typeEbEEZZNS1_14partition_implILS5_5ELb0ES3_mN6hipcub16HIPCUB_304000_NS21CountingInputIteratorIllEEPS6_NSA_22TransformInputIteratorIbN2at6native12_GLOBAL__N_19NonZeroOpIaEEPKalEENS0_5tupleIJPlS6_EEENSN_IJSD_SD_EEES6_PiJS6_EEE10hipError_tPvRmT3_T4_T5_T6_T7_T9_mT8_P12ihipStream_tbDpT10_ENKUlT_T0_E_clISt17integral_constantIbLb0EES1B_EEDaS16_S17_EUlS16_E_NS1_11comp_targetILNS1_3genE3ELNS1_11target_archE908ELNS1_3gpuE7ELNS1_3repE0EEENS1_30default_config_static_selectorELNS0_4arch9wavefront6targetE0EEEvT1_
	.p2align	8
	.type	_ZN7rocprim17ROCPRIM_400000_NS6detail17trampoline_kernelINS0_14default_configENS1_25partition_config_selectorILNS1_17partition_subalgoE5ElNS0_10empty_typeEbEEZZNS1_14partition_implILS5_5ELb0ES3_mN6hipcub16HIPCUB_304000_NS21CountingInputIteratorIllEEPS6_NSA_22TransformInputIteratorIbN2at6native12_GLOBAL__N_19NonZeroOpIaEEPKalEENS0_5tupleIJPlS6_EEENSN_IJSD_SD_EEES6_PiJS6_EEE10hipError_tPvRmT3_T4_T5_T6_T7_T9_mT8_P12ihipStream_tbDpT10_ENKUlT_T0_E_clISt17integral_constantIbLb0EES1B_EEDaS16_S17_EUlS16_E_NS1_11comp_targetILNS1_3genE3ELNS1_11target_archE908ELNS1_3gpuE7ELNS1_3repE0EEENS1_30default_config_static_selectorELNS0_4arch9wavefront6targetE0EEEvT1_,@function
_ZN7rocprim17ROCPRIM_400000_NS6detail17trampoline_kernelINS0_14default_configENS1_25partition_config_selectorILNS1_17partition_subalgoE5ElNS0_10empty_typeEbEEZZNS1_14partition_implILS5_5ELb0ES3_mN6hipcub16HIPCUB_304000_NS21CountingInputIteratorIllEEPS6_NSA_22TransformInputIteratorIbN2at6native12_GLOBAL__N_19NonZeroOpIaEEPKalEENS0_5tupleIJPlS6_EEENSN_IJSD_SD_EEES6_PiJS6_EEE10hipError_tPvRmT3_T4_T5_T6_T7_T9_mT8_P12ihipStream_tbDpT10_ENKUlT_T0_E_clISt17integral_constantIbLb0EES1B_EEDaS16_S17_EUlS16_E_NS1_11comp_targetILNS1_3genE3ELNS1_11target_archE908ELNS1_3gpuE7ELNS1_3repE0EEENS1_30default_config_static_selectorELNS0_4arch9wavefront6targetE0EEEvT1_: ; @_ZN7rocprim17ROCPRIM_400000_NS6detail17trampoline_kernelINS0_14default_configENS1_25partition_config_selectorILNS1_17partition_subalgoE5ElNS0_10empty_typeEbEEZZNS1_14partition_implILS5_5ELb0ES3_mN6hipcub16HIPCUB_304000_NS21CountingInputIteratorIllEEPS6_NSA_22TransformInputIteratorIbN2at6native12_GLOBAL__N_19NonZeroOpIaEEPKalEENS0_5tupleIJPlS6_EEENSN_IJSD_SD_EEES6_PiJS6_EEE10hipError_tPvRmT3_T4_T5_T6_T7_T9_mT8_P12ihipStream_tbDpT10_ENKUlT_T0_E_clISt17integral_constantIbLb0EES1B_EEDaS16_S17_EUlS16_E_NS1_11comp_targetILNS1_3genE3ELNS1_11target_archE908ELNS1_3gpuE7ELNS1_3repE0EEENS1_30default_config_static_selectorELNS0_4arch9wavefront6targetE0EEEvT1_
; %bb.0:
	.section	.rodata,"a",@progbits
	.p2align	6, 0x0
	.amdhsa_kernel _ZN7rocprim17ROCPRIM_400000_NS6detail17trampoline_kernelINS0_14default_configENS1_25partition_config_selectorILNS1_17partition_subalgoE5ElNS0_10empty_typeEbEEZZNS1_14partition_implILS5_5ELb0ES3_mN6hipcub16HIPCUB_304000_NS21CountingInputIteratorIllEEPS6_NSA_22TransformInputIteratorIbN2at6native12_GLOBAL__N_19NonZeroOpIaEEPKalEENS0_5tupleIJPlS6_EEENSN_IJSD_SD_EEES6_PiJS6_EEE10hipError_tPvRmT3_T4_T5_T6_T7_T9_mT8_P12ihipStream_tbDpT10_ENKUlT_T0_E_clISt17integral_constantIbLb0EES1B_EEDaS16_S17_EUlS16_E_NS1_11comp_targetILNS1_3genE3ELNS1_11target_archE908ELNS1_3gpuE7ELNS1_3repE0EEENS1_30default_config_static_selectorELNS0_4arch9wavefront6targetE0EEEvT1_
		.amdhsa_group_segment_fixed_size 0
		.amdhsa_private_segment_fixed_size 0
		.amdhsa_kernarg_size 120
		.amdhsa_user_sgpr_count 2
		.amdhsa_user_sgpr_dispatch_ptr 0
		.amdhsa_user_sgpr_queue_ptr 0
		.amdhsa_user_sgpr_kernarg_segment_ptr 1
		.amdhsa_user_sgpr_dispatch_id 0
		.amdhsa_user_sgpr_private_segment_size 0
		.amdhsa_wavefront_size32 1
		.amdhsa_uses_dynamic_stack 0
		.amdhsa_enable_private_segment 0
		.amdhsa_system_sgpr_workgroup_id_x 1
		.amdhsa_system_sgpr_workgroup_id_y 0
		.amdhsa_system_sgpr_workgroup_id_z 0
		.amdhsa_system_sgpr_workgroup_info 0
		.amdhsa_system_vgpr_workitem_id 0
		.amdhsa_next_free_vgpr 1
		.amdhsa_next_free_sgpr 1
		.amdhsa_reserve_vcc 0
		.amdhsa_float_round_mode_32 0
		.amdhsa_float_round_mode_16_64 0
		.amdhsa_float_denorm_mode_32 3
		.amdhsa_float_denorm_mode_16_64 3
		.amdhsa_fp16_overflow 0
		.amdhsa_workgroup_processor_mode 1
		.amdhsa_memory_ordered 1
		.amdhsa_forward_progress 1
		.amdhsa_inst_pref_size 0
		.amdhsa_round_robin_scheduling 0
		.amdhsa_exception_fp_ieee_invalid_op 0
		.amdhsa_exception_fp_denorm_src 0
		.amdhsa_exception_fp_ieee_div_zero 0
		.amdhsa_exception_fp_ieee_overflow 0
		.amdhsa_exception_fp_ieee_underflow 0
		.amdhsa_exception_fp_ieee_inexact 0
		.amdhsa_exception_int_div_zero 0
	.end_amdhsa_kernel
	.section	.text._ZN7rocprim17ROCPRIM_400000_NS6detail17trampoline_kernelINS0_14default_configENS1_25partition_config_selectorILNS1_17partition_subalgoE5ElNS0_10empty_typeEbEEZZNS1_14partition_implILS5_5ELb0ES3_mN6hipcub16HIPCUB_304000_NS21CountingInputIteratorIllEEPS6_NSA_22TransformInputIteratorIbN2at6native12_GLOBAL__N_19NonZeroOpIaEEPKalEENS0_5tupleIJPlS6_EEENSN_IJSD_SD_EEES6_PiJS6_EEE10hipError_tPvRmT3_T4_T5_T6_T7_T9_mT8_P12ihipStream_tbDpT10_ENKUlT_T0_E_clISt17integral_constantIbLb0EES1B_EEDaS16_S17_EUlS16_E_NS1_11comp_targetILNS1_3genE3ELNS1_11target_archE908ELNS1_3gpuE7ELNS1_3repE0EEENS1_30default_config_static_selectorELNS0_4arch9wavefront6targetE0EEEvT1_,"axG",@progbits,_ZN7rocprim17ROCPRIM_400000_NS6detail17trampoline_kernelINS0_14default_configENS1_25partition_config_selectorILNS1_17partition_subalgoE5ElNS0_10empty_typeEbEEZZNS1_14partition_implILS5_5ELb0ES3_mN6hipcub16HIPCUB_304000_NS21CountingInputIteratorIllEEPS6_NSA_22TransformInputIteratorIbN2at6native12_GLOBAL__N_19NonZeroOpIaEEPKalEENS0_5tupleIJPlS6_EEENSN_IJSD_SD_EEES6_PiJS6_EEE10hipError_tPvRmT3_T4_T5_T6_T7_T9_mT8_P12ihipStream_tbDpT10_ENKUlT_T0_E_clISt17integral_constantIbLb0EES1B_EEDaS16_S17_EUlS16_E_NS1_11comp_targetILNS1_3genE3ELNS1_11target_archE908ELNS1_3gpuE7ELNS1_3repE0EEENS1_30default_config_static_selectorELNS0_4arch9wavefront6targetE0EEEvT1_,comdat
.Lfunc_end121:
	.size	_ZN7rocprim17ROCPRIM_400000_NS6detail17trampoline_kernelINS0_14default_configENS1_25partition_config_selectorILNS1_17partition_subalgoE5ElNS0_10empty_typeEbEEZZNS1_14partition_implILS5_5ELb0ES3_mN6hipcub16HIPCUB_304000_NS21CountingInputIteratorIllEEPS6_NSA_22TransformInputIteratorIbN2at6native12_GLOBAL__N_19NonZeroOpIaEEPKalEENS0_5tupleIJPlS6_EEENSN_IJSD_SD_EEES6_PiJS6_EEE10hipError_tPvRmT3_T4_T5_T6_T7_T9_mT8_P12ihipStream_tbDpT10_ENKUlT_T0_E_clISt17integral_constantIbLb0EES1B_EEDaS16_S17_EUlS16_E_NS1_11comp_targetILNS1_3genE3ELNS1_11target_archE908ELNS1_3gpuE7ELNS1_3repE0EEENS1_30default_config_static_selectorELNS0_4arch9wavefront6targetE0EEEvT1_, .Lfunc_end121-_ZN7rocprim17ROCPRIM_400000_NS6detail17trampoline_kernelINS0_14default_configENS1_25partition_config_selectorILNS1_17partition_subalgoE5ElNS0_10empty_typeEbEEZZNS1_14partition_implILS5_5ELb0ES3_mN6hipcub16HIPCUB_304000_NS21CountingInputIteratorIllEEPS6_NSA_22TransformInputIteratorIbN2at6native12_GLOBAL__N_19NonZeroOpIaEEPKalEENS0_5tupleIJPlS6_EEENSN_IJSD_SD_EEES6_PiJS6_EEE10hipError_tPvRmT3_T4_T5_T6_T7_T9_mT8_P12ihipStream_tbDpT10_ENKUlT_T0_E_clISt17integral_constantIbLb0EES1B_EEDaS16_S17_EUlS16_E_NS1_11comp_targetILNS1_3genE3ELNS1_11target_archE908ELNS1_3gpuE7ELNS1_3repE0EEENS1_30default_config_static_selectorELNS0_4arch9wavefront6targetE0EEEvT1_
                                        ; -- End function
	.set _ZN7rocprim17ROCPRIM_400000_NS6detail17trampoline_kernelINS0_14default_configENS1_25partition_config_selectorILNS1_17partition_subalgoE5ElNS0_10empty_typeEbEEZZNS1_14partition_implILS5_5ELb0ES3_mN6hipcub16HIPCUB_304000_NS21CountingInputIteratorIllEEPS6_NSA_22TransformInputIteratorIbN2at6native12_GLOBAL__N_19NonZeroOpIaEEPKalEENS0_5tupleIJPlS6_EEENSN_IJSD_SD_EEES6_PiJS6_EEE10hipError_tPvRmT3_T4_T5_T6_T7_T9_mT8_P12ihipStream_tbDpT10_ENKUlT_T0_E_clISt17integral_constantIbLb0EES1B_EEDaS16_S17_EUlS16_E_NS1_11comp_targetILNS1_3genE3ELNS1_11target_archE908ELNS1_3gpuE7ELNS1_3repE0EEENS1_30default_config_static_selectorELNS0_4arch9wavefront6targetE0EEEvT1_.num_vgpr, 0
	.set _ZN7rocprim17ROCPRIM_400000_NS6detail17trampoline_kernelINS0_14default_configENS1_25partition_config_selectorILNS1_17partition_subalgoE5ElNS0_10empty_typeEbEEZZNS1_14partition_implILS5_5ELb0ES3_mN6hipcub16HIPCUB_304000_NS21CountingInputIteratorIllEEPS6_NSA_22TransformInputIteratorIbN2at6native12_GLOBAL__N_19NonZeroOpIaEEPKalEENS0_5tupleIJPlS6_EEENSN_IJSD_SD_EEES6_PiJS6_EEE10hipError_tPvRmT3_T4_T5_T6_T7_T9_mT8_P12ihipStream_tbDpT10_ENKUlT_T0_E_clISt17integral_constantIbLb0EES1B_EEDaS16_S17_EUlS16_E_NS1_11comp_targetILNS1_3genE3ELNS1_11target_archE908ELNS1_3gpuE7ELNS1_3repE0EEENS1_30default_config_static_selectorELNS0_4arch9wavefront6targetE0EEEvT1_.num_agpr, 0
	.set _ZN7rocprim17ROCPRIM_400000_NS6detail17trampoline_kernelINS0_14default_configENS1_25partition_config_selectorILNS1_17partition_subalgoE5ElNS0_10empty_typeEbEEZZNS1_14partition_implILS5_5ELb0ES3_mN6hipcub16HIPCUB_304000_NS21CountingInputIteratorIllEEPS6_NSA_22TransformInputIteratorIbN2at6native12_GLOBAL__N_19NonZeroOpIaEEPKalEENS0_5tupleIJPlS6_EEENSN_IJSD_SD_EEES6_PiJS6_EEE10hipError_tPvRmT3_T4_T5_T6_T7_T9_mT8_P12ihipStream_tbDpT10_ENKUlT_T0_E_clISt17integral_constantIbLb0EES1B_EEDaS16_S17_EUlS16_E_NS1_11comp_targetILNS1_3genE3ELNS1_11target_archE908ELNS1_3gpuE7ELNS1_3repE0EEENS1_30default_config_static_selectorELNS0_4arch9wavefront6targetE0EEEvT1_.numbered_sgpr, 0
	.set _ZN7rocprim17ROCPRIM_400000_NS6detail17trampoline_kernelINS0_14default_configENS1_25partition_config_selectorILNS1_17partition_subalgoE5ElNS0_10empty_typeEbEEZZNS1_14partition_implILS5_5ELb0ES3_mN6hipcub16HIPCUB_304000_NS21CountingInputIteratorIllEEPS6_NSA_22TransformInputIteratorIbN2at6native12_GLOBAL__N_19NonZeroOpIaEEPKalEENS0_5tupleIJPlS6_EEENSN_IJSD_SD_EEES6_PiJS6_EEE10hipError_tPvRmT3_T4_T5_T6_T7_T9_mT8_P12ihipStream_tbDpT10_ENKUlT_T0_E_clISt17integral_constantIbLb0EES1B_EEDaS16_S17_EUlS16_E_NS1_11comp_targetILNS1_3genE3ELNS1_11target_archE908ELNS1_3gpuE7ELNS1_3repE0EEENS1_30default_config_static_selectorELNS0_4arch9wavefront6targetE0EEEvT1_.num_named_barrier, 0
	.set _ZN7rocprim17ROCPRIM_400000_NS6detail17trampoline_kernelINS0_14default_configENS1_25partition_config_selectorILNS1_17partition_subalgoE5ElNS0_10empty_typeEbEEZZNS1_14partition_implILS5_5ELb0ES3_mN6hipcub16HIPCUB_304000_NS21CountingInputIteratorIllEEPS6_NSA_22TransformInputIteratorIbN2at6native12_GLOBAL__N_19NonZeroOpIaEEPKalEENS0_5tupleIJPlS6_EEENSN_IJSD_SD_EEES6_PiJS6_EEE10hipError_tPvRmT3_T4_T5_T6_T7_T9_mT8_P12ihipStream_tbDpT10_ENKUlT_T0_E_clISt17integral_constantIbLb0EES1B_EEDaS16_S17_EUlS16_E_NS1_11comp_targetILNS1_3genE3ELNS1_11target_archE908ELNS1_3gpuE7ELNS1_3repE0EEENS1_30default_config_static_selectorELNS0_4arch9wavefront6targetE0EEEvT1_.private_seg_size, 0
	.set _ZN7rocprim17ROCPRIM_400000_NS6detail17trampoline_kernelINS0_14default_configENS1_25partition_config_selectorILNS1_17partition_subalgoE5ElNS0_10empty_typeEbEEZZNS1_14partition_implILS5_5ELb0ES3_mN6hipcub16HIPCUB_304000_NS21CountingInputIteratorIllEEPS6_NSA_22TransformInputIteratorIbN2at6native12_GLOBAL__N_19NonZeroOpIaEEPKalEENS0_5tupleIJPlS6_EEENSN_IJSD_SD_EEES6_PiJS6_EEE10hipError_tPvRmT3_T4_T5_T6_T7_T9_mT8_P12ihipStream_tbDpT10_ENKUlT_T0_E_clISt17integral_constantIbLb0EES1B_EEDaS16_S17_EUlS16_E_NS1_11comp_targetILNS1_3genE3ELNS1_11target_archE908ELNS1_3gpuE7ELNS1_3repE0EEENS1_30default_config_static_selectorELNS0_4arch9wavefront6targetE0EEEvT1_.uses_vcc, 0
	.set _ZN7rocprim17ROCPRIM_400000_NS6detail17trampoline_kernelINS0_14default_configENS1_25partition_config_selectorILNS1_17partition_subalgoE5ElNS0_10empty_typeEbEEZZNS1_14partition_implILS5_5ELb0ES3_mN6hipcub16HIPCUB_304000_NS21CountingInputIteratorIllEEPS6_NSA_22TransformInputIteratorIbN2at6native12_GLOBAL__N_19NonZeroOpIaEEPKalEENS0_5tupleIJPlS6_EEENSN_IJSD_SD_EEES6_PiJS6_EEE10hipError_tPvRmT3_T4_T5_T6_T7_T9_mT8_P12ihipStream_tbDpT10_ENKUlT_T0_E_clISt17integral_constantIbLb0EES1B_EEDaS16_S17_EUlS16_E_NS1_11comp_targetILNS1_3genE3ELNS1_11target_archE908ELNS1_3gpuE7ELNS1_3repE0EEENS1_30default_config_static_selectorELNS0_4arch9wavefront6targetE0EEEvT1_.uses_flat_scratch, 0
	.set _ZN7rocprim17ROCPRIM_400000_NS6detail17trampoline_kernelINS0_14default_configENS1_25partition_config_selectorILNS1_17partition_subalgoE5ElNS0_10empty_typeEbEEZZNS1_14partition_implILS5_5ELb0ES3_mN6hipcub16HIPCUB_304000_NS21CountingInputIteratorIllEEPS6_NSA_22TransformInputIteratorIbN2at6native12_GLOBAL__N_19NonZeroOpIaEEPKalEENS0_5tupleIJPlS6_EEENSN_IJSD_SD_EEES6_PiJS6_EEE10hipError_tPvRmT3_T4_T5_T6_T7_T9_mT8_P12ihipStream_tbDpT10_ENKUlT_T0_E_clISt17integral_constantIbLb0EES1B_EEDaS16_S17_EUlS16_E_NS1_11comp_targetILNS1_3genE3ELNS1_11target_archE908ELNS1_3gpuE7ELNS1_3repE0EEENS1_30default_config_static_selectorELNS0_4arch9wavefront6targetE0EEEvT1_.has_dyn_sized_stack, 0
	.set _ZN7rocprim17ROCPRIM_400000_NS6detail17trampoline_kernelINS0_14default_configENS1_25partition_config_selectorILNS1_17partition_subalgoE5ElNS0_10empty_typeEbEEZZNS1_14partition_implILS5_5ELb0ES3_mN6hipcub16HIPCUB_304000_NS21CountingInputIteratorIllEEPS6_NSA_22TransformInputIteratorIbN2at6native12_GLOBAL__N_19NonZeroOpIaEEPKalEENS0_5tupleIJPlS6_EEENSN_IJSD_SD_EEES6_PiJS6_EEE10hipError_tPvRmT3_T4_T5_T6_T7_T9_mT8_P12ihipStream_tbDpT10_ENKUlT_T0_E_clISt17integral_constantIbLb0EES1B_EEDaS16_S17_EUlS16_E_NS1_11comp_targetILNS1_3genE3ELNS1_11target_archE908ELNS1_3gpuE7ELNS1_3repE0EEENS1_30default_config_static_selectorELNS0_4arch9wavefront6targetE0EEEvT1_.has_recursion, 0
	.set _ZN7rocprim17ROCPRIM_400000_NS6detail17trampoline_kernelINS0_14default_configENS1_25partition_config_selectorILNS1_17partition_subalgoE5ElNS0_10empty_typeEbEEZZNS1_14partition_implILS5_5ELb0ES3_mN6hipcub16HIPCUB_304000_NS21CountingInputIteratorIllEEPS6_NSA_22TransformInputIteratorIbN2at6native12_GLOBAL__N_19NonZeroOpIaEEPKalEENS0_5tupleIJPlS6_EEENSN_IJSD_SD_EEES6_PiJS6_EEE10hipError_tPvRmT3_T4_T5_T6_T7_T9_mT8_P12ihipStream_tbDpT10_ENKUlT_T0_E_clISt17integral_constantIbLb0EES1B_EEDaS16_S17_EUlS16_E_NS1_11comp_targetILNS1_3genE3ELNS1_11target_archE908ELNS1_3gpuE7ELNS1_3repE0EEENS1_30default_config_static_selectorELNS0_4arch9wavefront6targetE0EEEvT1_.has_indirect_call, 0
	.section	.AMDGPU.csdata,"",@progbits
; Kernel info:
; codeLenInByte = 0
; TotalNumSgprs: 0
; NumVgprs: 0
; ScratchSize: 0
; MemoryBound: 0
; FloatMode: 240
; IeeeMode: 1
; LDSByteSize: 0 bytes/workgroup (compile time only)
; SGPRBlocks: 0
; VGPRBlocks: 0
; NumSGPRsForWavesPerEU: 1
; NumVGPRsForWavesPerEU: 1
; Occupancy: 16
; WaveLimiterHint : 0
; COMPUTE_PGM_RSRC2:SCRATCH_EN: 0
; COMPUTE_PGM_RSRC2:USER_SGPR: 2
; COMPUTE_PGM_RSRC2:TRAP_HANDLER: 0
; COMPUTE_PGM_RSRC2:TGID_X_EN: 1
; COMPUTE_PGM_RSRC2:TGID_Y_EN: 0
; COMPUTE_PGM_RSRC2:TGID_Z_EN: 0
; COMPUTE_PGM_RSRC2:TIDIG_COMP_CNT: 0
	.section	.text._ZN7rocprim17ROCPRIM_400000_NS6detail17trampoline_kernelINS0_14default_configENS1_25partition_config_selectorILNS1_17partition_subalgoE5ElNS0_10empty_typeEbEEZZNS1_14partition_implILS5_5ELb0ES3_mN6hipcub16HIPCUB_304000_NS21CountingInputIteratorIllEEPS6_NSA_22TransformInputIteratorIbN2at6native12_GLOBAL__N_19NonZeroOpIaEEPKalEENS0_5tupleIJPlS6_EEENSN_IJSD_SD_EEES6_PiJS6_EEE10hipError_tPvRmT3_T4_T5_T6_T7_T9_mT8_P12ihipStream_tbDpT10_ENKUlT_T0_E_clISt17integral_constantIbLb0EES1B_EEDaS16_S17_EUlS16_E_NS1_11comp_targetILNS1_3genE2ELNS1_11target_archE906ELNS1_3gpuE6ELNS1_3repE0EEENS1_30default_config_static_selectorELNS0_4arch9wavefront6targetE0EEEvT1_,"axG",@progbits,_ZN7rocprim17ROCPRIM_400000_NS6detail17trampoline_kernelINS0_14default_configENS1_25partition_config_selectorILNS1_17partition_subalgoE5ElNS0_10empty_typeEbEEZZNS1_14partition_implILS5_5ELb0ES3_mN6hipcub16HIPCUB_304000_NS21CountingInputIteratorIllEEPS6_NSA_22TransformInputIteratorIbN2at6native12_GLOBAL__N_19NonZeroOpIaEEPKalEENS0_5tupleIJPlS6_EEENSN_IJSD_SD_EEES6_PiJS6_EEE10hipError_tPvRmT3_T4_T5_T6_T7_T9_mT8_P12ihipStream_tbDpT10_ENKUlT_T0_E_clISt17integral_constantIbLb0EES1B_EEDaS16_S17_EUlS16_E_NS1_11comp_targetILNS1_3genE2ELNS1_11target_archE906ELNS1_3gpuE6ELNS1_3repE0EEENS1_30default_config_static_selectorELNS0_4arch9wavefront6targetE0EEEvT1_,comdat
	.globl	_ZN7rocprim17ROCPRIM_400000_NS6detail17trampoline_kernelINS0_14default_configENS1_25partition_config_selectorILNS1_17partition_subalgoE5ElNS0_10empty_typeEbEEZZNS1_14partition_implILS5_5ELb0ES3_mN6hipcub16HIPCUB_304000_NS21CountingInputIteratorIllEEPS6_NSA_22TransformInputIteratorIbN2at6native12_GLOBAL__N_19NonZeroOpIaEEPKalEENS0_5tupleIJPlS6_EEENSN_IJSD_SD_EEES6_PiJS6_EEE10hipError_tPvRmT3_T4_T5_T6_T7_T9_mT8_P12ihipStream_tbDpT10_ENKUlT_T0_E_clISt17integral_constantIbLb0EES1B_EEDaS16_S17_EUlS16_E_NS1_11comp_targetILNS1_3genE2ELNS1_11target_archE906ELNS1_3gpuE6ELNS1_3repE0EEENS1_30default_config_static_selectorELNS0_4arch9wavefront6targetE0EEEvT1_ ; -- Begin function _ZN7rocprim17ROCPRIM_400000_NS6detail17trampoline_kernelINS0_14default_configENS1_25partition_config_selectorILNS1_17partition_subalgoE5ElNS0_10empty_typeEbEEZZNS1_14partition_implILS5_5ELb0ES3_mN6hipcub16HIPCUB_304000_NS21CountingInputIteratorIllEEPS6_NSA_22TransformInputIteratorIbN2at6native12_GLOBAL__N_19NonZeroOpIaEEPKalEENS0_5tupleIJPlS6_EEENSN_IJSD_SD_EEES6_PiJS6_EEE10hipError_tPvRmT3_T4_T5_T6_T7_T9_mT8_P12ihipStream_tbDpT10_ENKUlT_T0_E_clISt17integral_constantIbLb0EES1B_EEDaS16_S17_EUlS16_E_NS1_11comp_targetILNS1_3genE2ELNS1_11target_archE906ELNS1_3gpuE6ELNS1_3repE0EEENS1_30default_config_static_selectorELNS0_4arch9wavefront6targetE0EEEvT1_
	.p2align	8
	.type	_ZN7rocprim17ROCPRIM_400000_NS6detail17trampoline_kernelINS0_14default_configENS1_25partition_config_selectorILNS1_17partition_subalgoE5ElNS0_10empty_typeEbEEZZNS1_14partition_implILS5_5ELb0ES3_mN6hipcub16HIPCUB_304000_NS21CountingInputIteratorIllEEPS6_NSA_22TransformInputIteratorIbN2at6native12_GLOBAL__N_19NonZeroOpIaEEPKalEENS0_5tupleIJPlS6_EEENSN_IJSD_SD_EEES6_PiJS6_EEE10hipError_tPvRmT3_T4_T5_T6_T7_T9_mT8_P12ihipStream_tbDpT10_ENKUlT_T0_E_clISt17integral_constantIbLb0EES1B_EEDaS16_S17_EUlS16_E_NS1_11comp_targetILNS1_3genE2ELNS1_11target_archE906ELNS1_3gpuE6ELNS1_3repE0EEENS1_30default_config_static_selectorELNS0_4arch9wavefront6targetE0EEEvT1_,@function
_ZN7rocprim17ROCPRIM_400000_NS6detail17trampoline_kernelINS0_14default_configENS1_25partition_config_selectorILNS1_17partition_subalgoE5ElNS0_10empty_typeEbEEZZNS1_14partition_implILS5_5ELb0ES3_mN6hipcub16HIPCUB_304000_NS21CountingInputIteratorIllEEPS6_NSA_22TransformInputIteratorIbN2at6native12_GLOBAL__N_19NonZeroOpIaEEPKalEENS0_5tupleIJPlS6_EEENSN_IJSD_SD_EEES6_PiJS6_EEE10hipError_tPvRmT3_T4_T5_T6_T7_T9_mT8_P12ihipStream_tbDpT10_ENKUlT_T0_E_clISt17integral_constantIbLb0EES1B_EEDaS16_S17_EUlS16_E_NS1_11comp_targetILNS1_3genE2ELNS1_11target_archE906ELNS1_3gpuE6ELNS1_3repE0EEENS1_30default_config_static_selectorELNS0_4arch9wavefront6targetE0EEEvT1_: ; @_ZN7rocprim17ROCPRIM_400000_NS6detail17trampoline_kernelINS0_14default_configENS1_25partition_config_selectorILNS1_17partition_subalgoE5ElNS0_10empty_typeEbEEZZNS1_14partition_implILS5_5ELb0ES3_mN6hipcub16HIPCUB_304000_NS21CountingInputIteratorIllEEPS6_NSA_22TransformInputIteratorIbN2at6native12_GLOBAL__N_19NonZeroOpIaEEPKalEENS0_5tupleIJPlS6_EEENSN_IJSD_SD_EEES6_PiJS6_EEE10hipError_tPvRmT3_T4_T5_T6_T7_T9_mT8_P12ihipStream_tbDpT10_ENKUlT_T0_E_clISt17integral_constantIbLb0EES1B_EEDaS16_S17_EUlS16_E_NS1_11comp_targetILNS1_3genE2ELNS1_11target_archE906ELNS1_3gpuE6ELNS1_3repE0EEENS1_30default_config_static_selectorELNS0_4arch9wavefront6targetE0EEEvT1_
; %bb.0:
	.section	.rodata,"a",@progbits
	.p2align	6, 0x0
	.amdhsa_kernel _ZN7rocprim17ROCPRIM_400000_NS6detail17trampoline_kernelINS0_14default_configENS1_25partition_config_selectorILNS1_17partition_subalgoE5ElNS0_10empty_typeEbEEZZNS1_14partition_implILS5_5ELb0ES3_mN6hipcub16HIPCUB_304000_NS21CountingInputIteratorIllEEPS6_NSA_22TransformInputIteratorIbN2at6native12_GLOBAL__N_19NonZeroOpIaEEPKalEENS0_5tupleIJPlS6_EEENSN_IJSD_SD_EEES6_PiJS6_EEE10hipError_tPvRmT3_T4_T5_T6_T7_T9_mT8_P12ihipStream_tbDpT10_ENKUlT_T0_E_clISt17integral_constantIbLb0EES1B_EEDaS16_S17_EUlS16_E_NS1_11comp_targetILNS1_3genE2ELNS1_11target_archE906ELNS1_3gpuE6ELNS1_3repE0EEENS1_30default_config_static_selectorELNS0_4arch9wavefront6targetE0EEEvT1_
		.amdhsa_group_segment_fixed_size 0
		.amdhsa_private_segment_fixed_size 0
		.amdhsa_kernarg_size 120
		.amdhsa_user_sgpr_count 2
		.amdhsa_user_sgpr_dispatch_ptr 0
		.amdhsa_user_sgpr_queue_ptr 0
		.amdhsa_user_sgpr_kernarg_segment_ptr 1
		.amdhsa_user_sgpr_dispatch_id 0
		.amdhsa_user_sgpr_private_segment_size 0
		.amdhsa_wavefront_size32 1
		.amdhsa_uses_dynamic_stack 0
		.amdhsa_enable_private_segment 0
		.amdhsa_system_sgpr_workgroup_id_x 1
		.amdhsa_system_sgpr_workgroup_id_y 0
		.amdhsa_system_sgpr_workgroup_id_z 0
		.amdhsa_system_sgpr_workgroup_info 0
		.amdhsa_system_vgpr_workitem_id 0
		.amdhsa_next_free_vgpr 1
		.amdhsa_next_free_sgpr 1
		.amdhsa_reserve_vcc 0
		.amdhsa_float_round_mode_32 0
		.amdhsa_float_round_mode_16_64 0
		.amdhsa_float_denorm_mode_32 3
		.amdhsa_float_denorm_mode_16_64 3
		.amdhsa_fp16_overflow 0
		.amdhsa_workgroup_processor_mode 1
		.amdhsa_memory_ordered 1
		.amdhsa_forward_progress 1
		.amdhsa_inst_pref_size 0
		.amdhsa_round_robin_scheduling 0
		.amdhsa_exception_fp_ieee_invalid_op 0
		.amdhsa_exception_fp_denorm_src 0
		.amdhsa_exception_fp_ieee_div_zero 0
		.amdhsa_exception_fp_ieee_overflow 0
		.amdhsa_exception_fp_ieee_underflow 0
		.amdhsa_exception_fp_ieee_inexact 0
		.amdhsa_exception_int_div_zero 0
	.end_amdhsa_kernel
	.section	.text._ZN7rocprim17ROCPRIM_400000_NS6detail17trampoline_kernelINS0_14default_configENS1_25partition_config_selectorILNS1_17partition_subalgoE5ElNS0_10empty_typeEbEEZZNS1_14partition_implILS5_5ELb0ES3_mN6hipcub16HIPCUB_304000_NS21CountingInputIteratorIllEEPS6_NSA_22TransformInputIteratorIbN2at6native12_GLOBAL__N_19NonZeroOpIaEEPKalEENS0_5tupleIJPlS6_EEENSN_IJSD_SD_EEES6_PiJS6_EEE10hipError_tPvRmT3_T4_T5_T6_T7_T9_mT8_P12ihipStream_tbDpT10_ENKUlT_T0_E_clISt17integral_constantIbLb0EES1B_EEDaS16_S17_EUlS16_E_NS1_11comp_targetILNS1_3genE2ELNS1_11target_archE906ELNS1_3gpuE6ELNS1_3repE0EEENS1_30default_config_static_selectorELNS0_4arch9wavefront6targetE0EEEvT1_,"axG",@progbits,_ZN7rocprim17ROCPRIM_400000_NS6detail17trampoline_kernelINS0_14default_configENS1_25partition_config_selectorILNS1_17partition_subalgoE5ElNS0_10empty_typeEbEEZZNS1_14partition_implILS5_5ELb0ES3_mN6hipcub16HIPCUB_304000_NS21CountingInputIteratorIllEEPS6_NSA_22TransformInputIteratorIbN2at6native12_GLOBAL__N_19NonZeroOpIaEEPKalEENS0_5tupleIJPlS6_EEENSN_IJSD_SD_EEES6_PiJS6_EEE10hipError_tPvRmT3_T4_T5_T6_T7_T9_mT8_P12ihipStream_tbDpT10_ENKUlT_T0_E_clISt17integral_constantIbLb0EES1B_EEDaS16_S17_EUlS16_E_NS1_11comp_targetILNS1_3genE2ELNS1_11target_archE906ELNS1_3gpuE6ELNS1_3repE0EEENS1_30default_config_static_selectorELNS0_4arch9wavefront6targetE0EEEvT1_,comdat
.Lfunc_end122:
	.size	_ZN7rocprim17ROCPRIM_400000_NS6detail17trampoline_kernelINS0_14default_configENS1_25partition_config_selectorILNS1_17partition_subalgoE5ElNS0_10empty_typeEbEEZZNS1_14partition_implILS5_5ELb0ES3_mN6hipcub16HIPCUB_304000_NS21CountingInputIteratorIllEEPS6_NSA_22TransformInputIteratorIbN2at6native12_GLOBAL__N_19NonZeroOpIaEEPKalEENS0_5tupleIJPlS6_EEENSN_IJSD_SD_EEES6_PiJS6_EEE10hipError_tPvRmT3_T4_T5_T6_T7_T9_mT8_P12ihipStream_tbDpT10_ENKUlT_T0_E_clISt17integral_constantIbLb0EES1B_EEDaS16_S17_EUlS16_E_NS1_11comp_targetILNS1_3genE2ELNS1_11target_archE906ELNS1_3gpuE6ELNS1_3repE0EEENS1_30default_config_static_selectorELNS0_4arch9wavefront6targetE0EEEvT1_, .Lfunc_end122-_ZN7rocprim17ROCPRIM_400000_NS6detail17trampoline_kernelINS0_14default_configENS1_25partition_config_selectorILNS1_17partition_subalgoE5ElNS0_10empty_typeEbEEZZNS1_14partition_implILS5_5ELb0ES3_mN6hipcub16HIPCUB_304000_NS21CountingInputIteratorIllEEPS6_NSA_22TransformInputIteratorIbN2at6native12_GLOBAL__N_19NonZeroOpIaEEPKalEENS0_5tupleIJPlS6_EEENSN_IJSD_SD_EEES6_PiJS6_EEE10hipError_tPvRmT3_T4_T5_T6_T7_T9_mT8_P12ihipStream_tbDpT10_ENKUlT_T0_E_clISt17integral_constantIbLb0EES1B_EEDaS16_S17_EUlS16_E_NS1_11comp_targetILNS1_3genE2ELNS1_11target_archE906ELNS1_3gpuE6ELNS1_3repE0EEENS1_30default_config_static_selectorELNS0_4arch9wavefront6targetE0EEEvT1_
                                        ; -- End function
	.set _ZN7rocprim17ROCPRIM_400000_NS6detail17trampoline_kernelINS0_14default_configENS1_25partition_config_selectorILNS1_17partition_subalgoE5ElNS0_10empty_typeEbEEZZNS1_14partition_implILS5_5ELb0ES3_mN6hipcub16HIPCUB_304000_NS21CountingInputIteratorIllEEPS6_NSA_22TransformInputIteratorIbN2at6native12_GLOBAL__N_19NonZeroOpIaEEPKalEENS0_5tupleIJPlS6_EEENSN_IJSD_SD_EEES6_PiJS6_EEE10hipError_tPvRmT3_T4_T5_T6_T7_T9_mT8_P12ihipStream_tbDpT10_ENKUlT_T0_E_clISt17integral_constantIbLb0EES1B_EEDaS16_S17_EUlS16_E_NS1_11comp_targetILNS1_3genE2ELNS1_11target_archE906ELNS1_3gpuE6ELNS1_3repE0EEENS1_30default_config_static_selectorELNS0_4arch9wavefront6targetE0EEEvT1_.num_vgpr, 0
	.set _ZN7rocprim17ROCPRIM_400000_NS6detail17trampoline_kernelINS0_14default_configENS1_25partition_config_selectorILNS1_17partition_subalgoE5ElNS0_10empty_typeEbEEZZNS1_14partition_implILS5_5ELb0ES3_mN6hipcub16HIPCUB_304000_NS21CountingInputIteratorIllEEPS6_NSA_22TransformInputIteratorIbN2at6native12_GLOBAL__N_19NonZeroOpIaEEPKalEENS0_5tupleIJPlS6_EEENSN_IJSD_SD_EEES6_PiJS6_EEE10hipError_tPvRmT3_T4_T5_T6_T7_T9_mT8_P12ihipStream_tbDpT10_ENKUlT_T0_E_clISt17integral_constantIbLb0EES1B_EEDaS16_S17_EUlS16_E_NS1_11comp_targetILNS1_3genE2ELNS1_11target_archE906ELNS1_3gpuE6ELNS1_3repE0EEENS1_30default_config_static_selectorELNS0_4arch9wavefront6targetE0EEEvT1_.num_agpr, 0
	.set _ZN7rocprim17ROCPRIM_400000_NS6detail17trampoline_kernelINS0_14default_configENS1_25partition_config_selectorILNS1_17partition_subalgoE5ElNS0_10empty_typeEbEEZZNS1_14partition_implILS5_5ELb0ES3_mN6hipcub16HIPCUB_304000_NS21CountingInputIteratorIllEEPS6_NSA_22TransformInputIteratorIbN2at6native12_GLOBAL__N_19NonZeroOpIaEEPKalEENS0_5tupleIJPlS6_EEENSN_IJSD_SD_EEES6_PiJS6_EEE10hipError_tPvRmT3_T4_T5_T6_T7_T9_mT8_P12ihipStream_tbDpT10_ENKUlT_T0_E_clISt17integral_constantIbLb0EES1B_EEDaS16_S17_EUlS16_E_NS1_11comp_targetILNS1_3genE2ELNS1_11target_archE906ELNS1_3gpuE6ELNS1_3repE0EEENS1_30default_config_static_selectorELNS0_4arch9wavefront6targetE0EEEvT1_.numbered_sgpr, 0
	.set _ZN7rocprim17ROCPRIM_400000_NS6detail17trampoline_kernelINS0_14default_configENS1_25partition_config_selectorILNS1_17partition_subalgoE5ElNS0_10empty_typeEbEEZZNS1_14partition_implILS5_5ELb0ES3_mN6hipcub16HIPCUB_304000_NS21CountingInputIteratorIllEEPS6_NSA_22TransformInputIteratorIbN2at6native12_GLOBAL__N_19NonZeroOpIaEEPKalEENS0_5tupleIJPlS6_EEENSN_IJSD_SD_EEES6_PiJS6_EEE10hipError_tPvRmT3_T4_T5_T6_T7_T9_mT8_P12ihipStream_tbDpT10_ENKUlT_T0_E_clISt17integral_constantIbLb0EES1B_EEDaS16_S17_EUlS16_E_NS1_11comp_targetILNS1_3genE2ELNS1_11target_archE906ELNS1_3gpuE6ELNS1_3repE0EEENS1_30default_config_static_selectorELNS0_4arch9wavefront6targetE0EEEvT1_.num_named_barrier, 0
	.set _ZN7rocprim17ROCPRIM_400000_NS6detail17trampoline_kernelINS0_14default_configENS1_25partition_config_selectorILNS1_17partition_subalgoE5ElNS0_10empty_typeEbEEZZNS1_14partition_implILS5_5ELb0ES3_mN6hipcub16HIPCUB_304000_NS21CountingInputIteratorIllEEPS6_NSA_22TransformInputIteratorIbN2at6native12_GLOBAL__N_19NonZeroOpIaEEPKalEENS0_5tupleIJPlS6_EEENSN_IJSD_SD_EEES6_PiJS6_EEE10hipError_tPvRmT3_T4_T5_T6_T7_T9_mT8_P12ihipStream_tbDpT10_ENKUlT_T0_E_clISt17integral_constantIbLb0EES1B_EEDaS16_S17_EUlS16_E_NS1_11comp_targetILNS1_3genE2ELNS1_11target_archE906ELNS1_3gpuE6ELNS1_3repE0EEENS1_30default_config_static_selectorELNS0_4arch9wavefront6targetE0EEEvT1_.private_seg_size, 0
	.set _ZN7rocprim17ROCPRIM_400000_NS6detail17trampoline_kernelINS0_14default_configENS1_25partition_config_selectorILNS1_17partition_subalgoE5ElNS0_10empty_typeEbEEZZNS1_14partition_implILS5_5ELb0ES3_mN6hipcub16HIPCUB_304000_NS21CountingInputIteratorIllEEPS6_NSA_22TransformInputIteratorIbN2at6native12_GLOBAL__N_19NonZeroOpIaEEPKalEENS0_5tupleIJPlS6_EEENSN_IJSD_SD_EEES6_PiJS6_EEE10hipError_tPvRmT3_T4_T5_T6_T7_T9_mT8_P12ihipStream_tbDpT10_ENKUlT_T0_E_clISt17integral_constantIbLb0EES1B_EEDaS16_S17_EUlS16_E_NS1_11comp_targetILNS1_3genE2ELNS1_11target_archE906ELNS1_3gpuE6ELNS1_3repE0EEENS1_30default_config_static_selectorELNS0_4arch9wavefront6targetE0EEEvT1_.uses_vcc, 0
	.set _ZN7rocprim17ROCPRIM_400000_NS6detail17trampoline_kernelINS0_14default_configENS1_25partition_config_selectorILNS1_17partition_subalgoE5ElNS0_10empty_typeEbEEZZNS1_14partition_implILS5_5ELb0ES3_mN6hipcub16HIPCUB_304000_NS21CountingInputIteratorIllEEPS6_NSA_22TransformInputIteratorIbN2at6native12_GLOBAL__N_19NonZeroOpIaEEPKalEENS0_5tupleIJPlS6_EEENSN_IJSD_SD_EEES6_PiJS6_EEE10hipError_tPvRmT3_T4_T5_T6_T7_T9_mT8_P12ihipStream_tbDpT10_ENKUlT_T0_E_clISt17integral_constantIbLb0EES1B_EEDaS16_S17_EUlS16_E_NS1_11comp_targetILNS1_3genE2ELNS1_11target_archE906ELNS1_3gpuE6ELNS1_3repE0EEENS1_30default_config_static_selectorELNS0_4arch9wavefront6targetE0EEEvT1_.uses_flat_scratch, 0
	.set _ZN7rocprim17ROCPRIM_400000_NS6detail17trampoline_kernelINS0_14default_configENS1_25partition_config_selectorILNS1_17partition_subalgoE5ElNS0_10empty_typeEbEEZZNS1_14partition_implILS5_5ELb0ES3_mN6hipcub16HIPCUB_304000_NS21CountingInputIteratorIllEEPS6_NSA_22TransformInputIteratorIbN2at6native12_GLOBAL__N_19NonZeroOpIaEEPKalEENS0_5tupleIJPlS6_EEENSN_IJSD_SD_EEES6_PiJS6_EEE10hipError_tPvRmT3_T4_T5_T6_T7_T9_mT8_P12ihipStream_tbDpT10_ENKUlT_T0_E_clISt17integral_constantIbLb0EES1B_EEDaS16_S17_EUlS16_E_NS1_11comp_targetILNS1_3genE2ELNS1_11target_archE906ELNS1_3gpuE6ELNS1_3repE0EEENS1_30default_config_static_selectorELNS0_4arch9wavefront6targetE0EEEvT1_.has_dyn_sized_stack, 0
	.set _ZN7rocprim17ROCPRIM_400000_NS6detail17trampoline_kernelINS0_14default_configENS1_25partition_config_selectorILNS1_17partition_subalgoE5ElNS0_10empty_typeEbEEZZNS1_14partition_implILS5_5ELb0ES3_mN6hipcub16HIPCUB_304000_NS21CountingInputIteratorIllEEPS6_NSA_22TransformInputIteratorIbN2at6native12_GLOBAL__N_19NonZeroOpIaEEPKalEENS0_5tupleIJPlS6_EEENSN_IJSD_SD_EEES6_PiJS6_EEE10hipError_tPvRmT3_T4_T5_T6_T7_T9_mT8_P12ihipStream_tbDpT10_ENKUlT_T0_E_clISt17integral_constantIbLb0EES1B_EEDaS16_S17_EUlS16_E_NS1_11comp_targetILNS1_3genE2ELNS1_11target_archE906ELNS1_3gpuE6ELNS1_3repE0EEENS1_30default_config_static_selectorELNS0_4arch9wavefront6targetE0EEEvT1_.has_recursion, 0
	.set _ZN7rocprim17ROCPRIM_400000_NS6detail17trampoline_kernelINS0_14default_configENS1_25partition_config_selectorILNS1_17partition_subalgoE5ElNS0_10empty_typeEbEEZZNS1_14partition_implILS5_5ELb0ES3_mN6hipcub16HIPCUB_304000_NS21CountingInputIteratorIllEEPS6_NSA_22TransformInputIteratorIbN2at6native12_GLOBAL__N_19NonZeroOpIaEEPKalEENS0_5tupleIJPlS6_EEENSN_IJSD_SD_EEES6_PiJS6_EEE10hipError_tPvRmT3_T4_T5_T6_T7_T9_mT8_P12ihipStream_tbDpT10_ENKUlT_T0_E_clISt17integral_constantIbLb0EES1B_EEDaS16_S17_EUlS16_E_NS1_11comp_targetILNS1_3genE2ELNS1_11target_archE906ELNS1_3gpuE6ELNS1_3repE0EEENS1_30default_config_static_selectorELNS0_4arch9wavefront6targetE0EEEvT1_.has_indirect_call, 0
	.section	.AMDGPU.csdata,"",@progbits
; Kernel info:
; codeLenInByte = 0
; TotalNumSgprs: 0
; NumVgprs: 0
; ScratchSize: 0
; MemoryBound: 0
; FloatMode: 240
; IeeeMode: 1
; LDSByteSize: 0 bytes/workgroup (compile time only)
; SGPRBlocks: 0
; VGPRBlocks: 0
; NumSGPRsForWavesPerEU: 1
; NumVGPRsForWavesPerEU: 1
; Occupancy: 16
; WaveLimiterHint : 0
; COMPUTE_PGM_RSRC2:SCRATCH_EN: 0
; COMPUTE_PGM_RSRC2:USER_SGPR: 2
; COMPUTE_PGM_RSRC2:TRAP_HANDLER: 0
; COMPUTE_PGM_RSRC2:TGID_X_EN: 1
; COMPUTE_PGM_RSRC2:TGID_Y_EN: 0
; COMPUTE_PGM_RSRC2:TGID_Z_EN: 0
; COMPUTE_PGM_RSRC2:TIDIG_COMP_CNT: 0
	.section	.text._ZN7rocprim17ROCPRIM_400000_NS6detail17trampoline_kernelINS0_14default_configENS1_25partition_config_selectorILNS1_17partition_subalgoE5ElNS0_10empty_typeEbEEZZNS1_14partition_implILS5_5ELb0ES3_mN6hipcub16HIPCUB_304000_NS21CountingInputIteratorIllEEPS6_NSA_22TransformInputIteratorIbN2at6native12_GLOBAL__N_19NonZeroOpIaEEPKalEENS0_5tupleIJPlS6_EEENSN_IJSD_SD_EEES6_PiJS6_EEE10hipError_tPvRmT3_T4_T5_T6_T7_T9_mT8_P12ihipStream_tbDpT10_ENKUlT_T0_E_clISt17integral_constantIbLb0EES1B_EEDaS16_S17_EUlS16_E_NS1_11comp_targetILNS1_3genE10ELNS1_11target_archE1200ELNS1_3gpuE4ELNS1_3repE0EEENS1_30default_config_static_selectorELNS0_4arch9wavefront6targetE0EEEvT1_,"axG",@progbits,_ZN7rocprim17ROCPRIM_400000_NS6detail17trampoline_kernelINS0_14default_configENS1_25partition_config_selectorILNS1_17partition_subalgoE5ElNS0_10empty_typeEbEEZZNS1_14partition_implILS5_5ELb0ES3_mN6hipcub16HIPCUB_304000_NS21CountingInputIteratorIllEEPS6_NSA_22TransformInputIteratorIbN2at6native12_GLOBAL__N_19NonZeroOpIaEEPKalEENS0_5tupleIJPlS6_EEENSN_IJSD_SD_EEES6_PiJS6_EEE10hipError_tPvRmT3_T4_T5_T6_T7_T9_mT8_P12ihipStream_tbDpT10_ENKUlT_T0_E_clISt17integral_constantIbLb0EES1B_EEDaS16_S17_EUlS16_E_NS1_11comp_targetILNS1_3genE10ELNS1_11target_archE1200ELNS1_3gpuE4ELNS1_3repE0EEENS1_30default_config_static_selectorELNS0_4arch9wavefront6targetE0EEEvT1_,comdat
	.globl	_ZN7rocprim17ROCPRIM_400000_NS6detail17trampoline_kernelINS0_14default_configENS1_25partition_config_selectorILNS1_17partition_subalgoE5ElNS0_10empty_typeEbEEZZNS1_14partition_implILS5_5ELb0ES3_mN6hipcub16HIPCUB_304000_NS21CountingInputIteratorIllEEPS6_NSA_22TransformInputIteratorIbN2at6native12_GLOBAL__N_19NonZeroOpIaEEPKalEENS0_5tupleIJPlS6_EEENSN_IJSD_SD_EEES6_PiJS6_EEE10hipError_tPvRmT3_T4_T5_T6_T7_T9_mT8_P12ihipStream_tbDpT10_ENKUlT_T0_E_clISt17integral_constantIbLb0EES1B_EEDaS16_S17_EUlS16_E_NS1_11comp_targetILNS1_3genE10ELNS1_11target_archE1200ELNS1_3gpuE4ELNS1_3repE0EEENS1_30default_config_static_selectorELNS0_4arch9wavefront6targetE0EEEvT1_ ; -- Begin function _ZN7rocprim17ROCPRIM_400000_NS6detail17trampoline_kernelINS0_14default_configENS1_25partition_config_selectorILNS1_17partition_subalgoE5ElNS0_10empty_typeEbEEZZNS1_14partition_implILS5_5ELb0ES3_mN6hipcub16HIPCUB_304000_NS21CountingInputIteratorIllEEPS6_NSA_22TransformInputIteratorIbN2at6native12_GLOBAL__N_19NonZeroOpIaEEPKalEENS0_5tupleIJPlS6_EEENSN_IJSD_SD_EEES6_PiJS6_EEE10hipError_tPvRmT3_T4_T5_T6_T7_T9_mT8_P12ihipStream_tbDpT10_ENKUlT_T0_E_clISt17integral_constantIbLb0EES1B_EEDaS16_S17_EUlS16_E_NS1_11comp_targetILNS1_3genE10ELNS1_11target_archE1200ELNS1_3gpuE4ELNS1_3repE0EEENS1_30default_config_static_selectorELNS0_4arch9wavefront6targetE0EEEvT1_
	.p2align	8
	.type	_ZN7rocprim17ROCPRIM_400000_NS6detail17trampoline_kernelINS0_14default_configENS1_25partition_config_selectorILNS1_17partition_subalgoE5ElNS0_10empty_typeEbEEZZNS1_14partition_implILS5_5ELb0ES3_mN6hipcub16HIPCUB_304000_NS21CountingInputIteratorIllEEPS6_NSA_22TransformInputIteratorIbN2at6native12_GLOBAL__N_19NonZeroOpIaEEPKalEENS0_5tupleIJPlS6_EEENSN_IJSD_SD_EEES6_PiJS6_EEE10hipError_tPvRmT3_T4_T5_T6_T7_T9_mT8_P12ihipStream_tbDpT10_ENKUlT_T0_E_clISt17integral_constantIbLb0EES1B_EEDaS16_S17_EUlS16_E_NS1_11comp_targetILNS1_3genE10ELNS1_11target_archE1200ELNS1_3gpuE4ELNS1_3repE0EEENS1_30default_config_static_selectorELNS0_4arch9wavefront6targetE0EEEvT1_,@function
_ZN7rocprim17ROCPRIM_400000_NS6detail17trampoline_kernelINS0_14default_configENS1_25partition_config_selectorILNS1_17partition_subalgoE5ElNS0_10empty_typeEbEEZZNS1_14partition_implILS5_5ELb0ES3_mN6hipcub16HIPCUB_304000_NS21CountingInputIteratorIllEEPS6_NSA_22TransformInputIteratorIbN2at6native12_GLOBAL__N_19NonZeroOpIaEEPKalEENS0_5tupleIJPlS6_EEENSN_IJSD_SD_EEES6_PiJS6_EEE10hipError_tPvRmT3_T4_T5_T6_T7_T9_mT8_P12ihipStream_tbDpT10_ENKUlT_T0_E_clISt17integral_constantIbLb0EES1B_EEDaS16_S17_EUlS16_E_NS1_11comp_targetILNS1_3genE10ELNS1_11target_archE1200ELNS1_3gpuE4ELNS1_3repE0EEENS1_30default_config_static_selectorELNS0_4arch9wavefront6targetE0EEEvT1_: ; @_ZN7rocprim17ROCPRIM_400000_NS6detail17trampoline_kernelINS0_14default_configENS1_25partition_config_selectorILNS1_17partition_subalgoE5ElNS0_10empty_typeEbEEZZNS1_14partition_implILS5_5ELb0ES3_mN6hipcub16HIPCUB_304000_NS21CountingInputIteratorIllEEPS6_NSA_22TransformInputIteratorIbN2at6native12_GLOBAL__N_19NonZeroOpIaEEPKalEENS0_5tupleIJPlS6_EEENSN_IJSD_SD_EEES6_PiJS6_EEE10hipError_tPvRmT3_T4_T5_T6_T7_T9_mT8_P12ihipStream_tbDpT10_ENKUlT_T0_E_clISt17integral_constantIbLb0EES1B_EEDaS16_S17_EUlS16_E_NS1_11comp_targetILNS1_3genE10ELNS1_11target_archE1200ELNS1_3gpuE4ELNS1_3repE0EEENS1_30default_config_static_selectorELNS0_4arch9wavefront6targetE0EEEvT1_
; %bb.0:
	s_clause 0x3
	s_load_b128 s[8:11], s[0:1], 0x48
	s_load_b32 s16, s[0:1], 0x70
	s_load_b128 s[4:7], s[0:1], 0x8
	s_load_b64 s[2:3], s[0:1], 0x58
	s_mov_b32 s13, 0
	s_lshl_b32 s12, ttmp9, 10
	s_mov_b32 s15, s13
	v_lshrrev_b32_e32 v12, 2, v0
	v_or_b32_e32 v9, 0x200, v0
	v_or_b32_e32 v10, 0x300, v0
	v_and_b32_e32 v11, 0xf8, v0
	s_mov_b32 s19, -1
	s_wait_kmcnt 0x0
	s_load_b64 s[10:11], s[10:11], 0x0
	s_lshl_b32 s14, s16, 10
	s_add_co_i32 s16, s16, -1
	s_add_nc_u64 s[14:15], s[6:7], s[14:15]
	s_lshl_b32 s17, s16, 10
	v_cmp_le_u64_e64 s14, s[2:3], s[14:15]
	s_add_co_i32 s3, s6, s17
	s_cmp_eq_u32 ttmp9, s16
	s_add_nc_u64 s[4:5], s[6:7], s[4:5]
	s_cselect_b32 s16, -1, 0
	s_delay_alu instid0(SALU_CYCLE_1) | instskip(SKIP_2) | instid1(SALU_CYCLE_1)
	s_and_b32 s14, s16, s14
	s_wait_alu 0xfffe
	s_xor_b32 s17, s14, -1
	s_and_b32 vcc_lo, exec_lo, s17
	s_cbranch_vccz .LBB123_2
; %bb.1:
	v_or_b32_e32 v7, 0x100, v0
	v_or_b32_e32 v1, s12, v0
	v_lshrrev_b32_e32 v8, 2, v9
	v_lshrrev_b32_e32 v13, 2, v10
	v_and_b32_e32 v14, 56, v12
	v_lshrrev_b32_e32 v7, 2, v7
	v_add_co_u32 v1, s14, s4, v1
	s_wait_alu 0xf1ff
	v_add_co_ci_u32_e64 v2, null, s5, 0, s14
	v_lshlrev_b32_e32 v15, 3, v0
	v_and_b32_e32 v16, 0x78, v7
	v_add_co_u32 v3, vcc_lo, 0x100, v1
	v_and_b32_e32 v17, 0xb8, v8
	v_and_b32_e32 v13, 0xf8, v13
	v_add_co_ci_u32_e64 v4, null, 0, v2, vcc_lo
	v_add_co_u32 v5, vcc_lo, 0x200, v1
	v_add_nc_u32_e32 v14, v14, v15
	s_wait_alu 0xfffd
	v_add_co_ci_u32_e64 v6, null, 0, v2, vcc_lo
	v_add_co_u32 v7, vcc_lo, 0x300, v1
	v_add_nc_u32_e32 v16, v16, v15
	v_add_nc_u32_e32 v17, v17, v15
	s_wait_alu 0xfffd
	v_add_co_ci_u32_e64 v8, null, 0, v2, vcc_lo
	v_add_nc_u32_e32 v13, v13, v15
	ds_store_b64 v14, v[1:2]
	ds_store_b64 v16, v[3:4] offset:2048
	ds_store_b64 v17, v[5:6] offset:4096
	;; [unrolled: 1-line block ×3, first 2 shown]
	v_lshl_add_u32 v1, v0, 5, v11
	s_wait_dscnt 0x0
	s_barrier_signal -1
	s_barrier_wait -1
	global_inv scope:SCOPE_SE
	ds_load_2addr_b64 v[5:8], v1 offset1:1
	ds_load_2addr_b64 v[1:4], v1 offset0:2 offset1:3
	s_mov_b32 s19, s13
	s_branch .LBB123_3
.LBB123_2:
                                        ; implicit-def: $vgpr3_vgpr4
                                        ; implicit-def: $vgpr7_vgpr8
.LBB123_3:
	s_load_b64 s[14:15], s[0:1], 0x20
	s_sub_co_i32 s18, s2, s3
	s_and_not1_b32 vcc_lo, exec_lo, s19
	v_cmp_gt_u32_e64 s2, s18, v0
	s_wait_alu 0xfffe
	s_cbranch_vccnz .LBB123_5
; %bb.4:
	s_wait_dscnt 0x1
	v_or_b32_e32 v7, 0x100, v0
	s_add_nc_u64 s[4:5], s[4:5], s[12:13]
	v_lshrrev_b32_e32 v14, 2, v9
	s_wait_dscnt 0x0
	s_wait_alu 0xfffe
	v_add_co_u32 v1, s3, s4, v0
	s_wait_alu 0xf1ff
	v_add_co_ci_u32_e64 v2, null, s5, 0, s3
	v_add_co_u32 v3, s3, s4, v7
	s_wait_alu 0xf1ff
	v_add_co_ci_u32_e64 v4, null, s5, 0, s3
	v_cmp_gt_u32_e32 vcc_lo, s18, v7
	v_add_co_u32 v13, s3, s4, v10
	s_wait_alu 0xf1ff
	v_add_co_ci_u32_e64 v8, null, s5, 0, s3
	s_wait_alu 0xfffd
	v_dual_cndmask_b32 v4, 0, v4 :: v_dual_cndmask_b32 v3, 0, v3
	v_cmp_gt_u32_e32 vcc_lo, s18, v10
	v_lshrrev_b32_e32 v7, 2, v7
	v_lshrrev_b32_e32 v15, 2, v10
	v_cndmask_b32_e64 v2, 0, v2, s2
	v_cndmask_b32_e64 v1, 0, v1, s2
	v_add_co_u32 v5, s2, s4, v9
	v_and_b32_e32 v12, 56, v12
	v_lshlrev_b32_e32 v16, 3, v0
	s_wait_alu 0xfffd
	v_dual_cndmask_b32 v8, 0, v8 :: v_dual_and_b32 v17, 0x78, v7
	s_wait_alu 0xf1ff
	v_add_co_ci_u32_e64 v6, null, s5, 0, s2
	v_cmp_gt_u32_e64 s2, s18, v9
	v_and_b32_e32 v14, 0xb8, v14
	v_and_b32_e32 v15, 0xf8, v15
	v_dual_cndmask_b32 v7, 0, v13 :: v_dual_add_nc_u32 v12, v12, v16
	v_add_nc_u32_e32 v13, v17, v16
	s_wait_alu 0xf1ff
	v_cndmask_b32_e64 v6, 0, v6, s2
	v_cndmask_b32_e64 v5, 0, v5, s2
	v_add_nc_u32_e32 v14, v14, v16
	v_add_nc_u32_e32 v15, v15, v16
	ds_store_b64 v12, v[1:2]
	ds_store_b64 v13, v[3:4] offset:2048
	ds_store_b64 v14, v[5:6] offset:4096
	;; [unrolled: 1-line block ×3, first 2 shown]
	v_lshl_add_u32 v1, v0, 5, v11
	s_wait_loadcnt_dscnt 0x0
	s_barrier_signal -1
	s_barrier_wait -1
	global_inv scope:SCOPE_SE
	ds_load_2addr_b64 v[5:8], v1 offset1:1
	ds_load_2addr_b64 v[1:4], v1 offset0:2 offset1:3
.LBB123_5:
	v_lshrrev_b32_e32 v26, 5, v0
	s_wait_kmcnt 0x0
	s_add_nc_u64 s[2:3], s[14:15], s[6:7]
	s_and_b32 vcc_lo, exec_lo, s17
	s_wait_alu 0xfffe
	s_add_nc_u64 s[2:3], s[2:3], s[12:13]
	s_mov_b32 s4, -1
	s_wait_loadcnt_dscnt 0x0
	s_barrier_signal -1
	s_barrier_wait -1
	global_inv scope:SCOPE_SE
	s_cbranch_vccz .LBB123_7
; %bb.6:
	s_clause 0x3
	global_load_u8 v11, v0, s[2:3]
	global_load_u8 v12, v0, s[2:3] offset:256
	global_load_u8 v13, v0, s[2:3] offset:512
	;; [unrolled: 1-line block ×3, first 2 shown]
	v_or_b32_e32 v15, 0x100, v0
	v_lshrrev_b32_e32 v16, 5, v9
	v_lshrrev_b32_e32 v17, 5, v10
	v_and_b32_e32 v18, 4, v26
	s_mov_b32 s4, 0
	v_lshrrev_b32_e32 v15, 5, v15
	v_and_b32_e32 v16, 20, v16
	v_and_b32_e32 v17, 28, v17
	v_add_nc_u32_e32 v18, v18, v0
	s_delay_alu instid0(VALU_DEP_4) | instskip(NEXT) | instid1(VALU_DEP_4)
	v_and_b32_e32 v15, 12, v15
	v_add_nc_u32_e32 v16, v16, v0
	s_delay_alu instid0(VALU_DEP_4) | instskip(NEXT) | instid1(VALU_DEP_3)
	v_add_nc_u32_e32 v17, v17, v0
	v_add_nc_u32_e32 v15, v15, v0
	s_wait_loadcnt 0x3
	v_cmp_ne_u16_e32 vcc_lo, 0, v11
	s_wait_alu 0xfffd
	v_cndmask_b32_e64 v11, 0, 1, vcc_lo
	s_wait_loadcnt 0x2
	v_cmp_ne_u16_e32 vcc_lo, 0, v12
	s_wait_alu 0xfffd
	v_cndmask_b32_e64 v12, 0, 1, vcc_lo
	;; [unrolled: 4-line block ×4, first 2 shown]
	ds_store_b8 v18, v11
	ds_store_b8 v15, v12 offset:256
	ds_store_b8 v16, v13 offset:512
	;; [unrolled: 1-line block ×3, first 2 shown]
	s_wait_dscnt 0x0
	s_barrier_signal -1
	s_barrier_wait -1
.LBB123_7:
	s_wait_alu 0xfffe
	s_and_not1_b32 vcc_lo, exec_lo, s4
	s_wait_alu 0xfffe
	s_cbranch_vccnz .LBB123_15
; %bb.8:
	v_dual_mov_b32 v11, 0 :: v_dual_mov_b32 v12, 0
	s_mov_b32 s4, exec_lo
	v_cmpx_gt_u32_e64 s18, v0
	s_cbranch_execz .LBB123_10
; %bb.9:
	global_load_u8 v11, v0, s[2:3]
	s_wait_loadcnt 0x0
	v_cmp_ne_u16_e32 vcc_lo, 0, v11
	s_wait_alu 0xfffd
	v_cndmask_b32_e64 v11, 0, 1, vcc_lo
	v_cndmask_b32_e64 v12, 0, 1, vcc_lo
.LBB123_10:
	s_wait_alu 0xfffe
	s_or_b32 exec_lo, exec_lo, s4
	v_or_b32_e32 v13, 0x100, v0
	s_mov_b32 s4, exec_lo
	s_delay_alu instid0(VALU_DEP_1)
	v_cmpx_gt_u32_e64 s18, v13
	s_cbranch_execnz .LBB123_129
; %bb.11:
	s_wait_alu 0xfffe
	s_or_b32 exec_lo, exec_lo, s4
	s_delay_alu instid0(SALU_CYCLE_1)
	s_mov_b32 s4, exec_lo
	v_cmpx_gt_u32_e64 s18, v9
	s_cbranch_execnz .LBB123_130
.LBB123_12:
	s_wait_alu 0xfffe
	s_or_b32 exec_lo, exec_lo, s4
	s_delay_alu instid0(SALU_CYCLE_1)
	s_mov_b32 s4, exec_lo
	v_cmpx_gt_u32_e64 s18, v10
	s_cbranch_execz .LBB123_14
.LBB123_13:
	global_load_u8 v14, v0, s[2:3] offset:768
	v_lshrrev_b32_e32 v15, 16, v12
	s_wait_loadcnt 0x0
	v_cmp_ne_u16_e32 vcc_lo, 0, v14
	s_wait_alu 0xfffd
	v_cndmask_b32_e64 v14, 0, 1, vcc_lo
	s_delay_alu instid0(VALU_DEP_1) | instskip(NEXT) | instid1(VALU_DEP_1)
	v_lshlrev_b16 v14, 8, v14
	v_or_b32_e32 v14, v15, v14
	s_delay_alu instid0(VALU_DEP_1) | instskip(NEXT) | instid1(VALU_DEP_1)
	v_lshlrev_b32_e32 v14, 16, v14
	v_and_or_b32 v12, 0xffff, v12, v14
.LBB123_14:
	s_wait_alu 0xfffe
	s_or_b32 exec_lo, exec_lo, s4
	v_lshrrev_b32_e32 v13, 5, v13
	v_lshrrev_b32_e32 v9, 5, v9
	;; [unrolled: 1-line block ×3, first 2 shown]
	v_and_b32_e32 v14, 4, v26
	v_lshrrev_b32_e32 v15, 8, v12
	v_and_b32_e32 v13, 12, v13
	v_and_b32_e32 v9, 28, v9
	;; [unrolled: 1-line block ×3, first 2 shown]
	v_add_nc_u32_e32 v14, v14, v0
	v_lshrrev_b32_e32 v16, 24, v12
	v_add_nc_u32_e32 v13, v13, v0
	v_add_nc_u32_e32 v9, v9, v0
	;; [unrolled: 1-line block ×3, first 2 shown]
	ds_store_b8 v14, v11
	ds_store_b8 v13, v15 offset:256
	ds_store_b8_d16_hi v9, v12 offset:512
	ds_store_b8 v10, v16 offset:768
	s_wait_loadcnt_dscnt 0x0
	s_barrier_signal -1
	s_barrier_wait -1
.LBB123_15:
	v_lshrrev_b32_e32 v9, 3, v0
	s_wait_loadcnt 0x0
	global_inv scope:SCOPE_SE
	s_load_b64 s[6:7], s[0:1], 0x68
	v_mbcnt_lo_u32_b32 v31, -1, 0
	s_cmp_lg_u32 ttmp9, 0
	v_dual_mov_b32 v10, 0 :: v_dual_and_b32 v9, 28, v9
	s_mov_b32 s3, -1
	s_delay_alu instid0(VALU_DEP_2) | instskip(NEXT) | instid1(VALU_DEP_2)
	v_and_b32_e32 v32, 15, v31
	v_lshl_add_u32 v9, v0, 2, v9
	ds_load_b32 v27, v9
	s_wait_loadcnt_dscnt 0x0
	s_barrier_signal -1
	s_barrier_wait -1
	global_inv scope:SCOPE_SE
	v_and_b32_e32 v30, 0xff, v27
	v_bfe_u32 v29, v27, 8, 8
	v_bfe_u32 v28, v27, 16, 8
	v_lshrrev_b32_e32 v25, 24, v27
	s_delay_alu instid0(VALU_DEP_2) | instskip(NEXT) | instid1(VALU_DEP_1)
	v_add3_u32 v9, v29, v30, v28
	v_add_co_u32 v17, s2, v9, v25
	s_wait_alu 0xf1ff
	v_add_co_ci_u32_e64 v18, null, 0, 0, s2
	v_cmp_ne_u32_e64 s2, 0, v32
	s_cbranch_scc0 .LBB123_72
; %bb.16:
	v_mov_b32_e32 v11, v17
	v_mov_b32_dpp v9, v17 row_shr:1 row_mask:0xf bank_mask:0xf
	v_mov_b32_dpp v14, v10 row_shr:1 row_mask:0xf bank_mask:0xf
	v_dual_mov_b32 v13, v17 :: v_dual_mov_b32 v12, v18
	s_and_saveexec_b32 s3, s2
; %bb.17:
	s_delay_alu instid0(VALU_DEP_3) | instskip(SKIP_2) | instid1(VALU_DEP_2)
	v_add_co_u32 v13, vcc_lo, v17, v9
	s_wait_alu 0xfffd
	v_add_co_ci_u32_e64 v10, null, 0, v18, vcc_lo
	v_add_co_u32 v9, vcc_lo, 0, v13
	s_wait_alu 0xfffd
	s_delay_alu instid0(VALU_DEP_2) | instskip(NEXT) | instid1(VALU_DEP_1)
	v_add_co_ci_u32_e64 v10, null, v14, v10, vcc_lo
	v_dual_mov_b32 v12, v10 :: v_dual_mov_b32 v11, v9
; %bb.18:
	s_wait_alu 0xfffe
	s_or_b32 exec_lo, exec_lo, s3
	v_mov_b32_dpp v9, v13 row_shr:2 row_mask:0xf bank_mask:0xf
	v_mov_b32_dpp v14, v10 row_shr:2 row_mask:0xf bank_mask:0xf
	s_mov_b32 s3, exec_lo
	v_cmpx_lt_u32_e32 1, v32
; %bb.19:
	s_delay_alu instid0(VALU_DEP_3) | instskip(SKIP_2) | instid1(VALU_DEP_2)
	v_add_co_u32 v13, vcc_lo, v11, v9
	s_wait_alu 0xfffd
	v_add_co_ci_u32_e64 v10, null, 0, v12, vcc_lo
	v_add_co_u32 v9, vcc_lo, 0, v13
	s_wait_alu 0xfffd
	s_delay_alu instid0(VALU_DEP_2) | instskip(NEXT) | instid1(VALU_DEP_1)
	v_add_co_ci_u32_e64 v10, null, v14, v10, vcc_lo
	v_dual_mov_b32 v12, v10 :: v_dual_mov_b32 v11, v9
; %bb.20:
	s_wait_alu 0xfffe
	s_or_b32 exec_lo, exec_lo, s3
	v_mov_b32_dpp v9, v13 row_shr:4 row_mask:0xf bank_mask:0xf
	v_mov_b32_dpp v14, v10 row_shr:4 row_mask:0xf bank_mask:0xf
	s_mov_b32 s3, exec_lo
	v_cmpx_lt_u32_e32 3, v32
	;; [unrolled: 17-line block ×3, first 2 shown]
; %bb.23:
	s_delay_alu instid0(VALU_DEP_3) | instskip(SKIP_2) | instid1(VALU_DEP_2)
	v_add_co_u32 v13, vcc_lo, v11, v14
	s_wait_alu 0xfffd
	v_add_co_ci_u32_e64 v10, null, 0, v12, vcc_lo
	v_add_co_u32 v11, vcc_lo, 0, v13
	s_wait_alu 0xfffd
	s_delay_alu instid0(VALU_DEP_2) | instskip(NEXT) | instid1(VALU_DEP_1)
	v_add_co_ci_u32_e64 v12, null, v9, v10, vcc_lo
	v_mov_b32_e32 v10, v12
; %bb.24:
	s_wait_alu 0xfffe
	s_or_b32 exec_lo, exec_lo, s3
	ds_swizzle_b32 v9, v13 offset:swizzle(BROADCAST,32,15)
	ds_swizzle_b32 v14, v10 offset:swizzle(BROADCAST,32,15)
	v_and_b32_e32 v15, 16, v31
	s_mov_b32 s3, exec_lo
	s_delay_alu instid0(VALU_DEP_1)
	v_cmpx_ne_u32_e32 0, v15
	s_cbranch_execz .LBB123_26
; %bb.25:
	s_wait_dscnt 0x1
	v_add_co_u32 v13, vcc_lo, v11, v9
	s_wait_alu 0xfffd
	v_add_co_ci_u32_e64 v10, null, 0, v12, vcc_lo
	s_delay_alu instid0(VALU_DEP_2) | instskip(SKIP_2) | instid1(VALU_DEP_2)
	v_add_co_u32 v9, vcc_lo, 0, v13
	s_wait_dscnt 0x0
	s_wait_alu 0xfffd
	v_add_co_ci_u32_e64 v10, null, v14, v10, vcc_lo
	s_delay_alu instid0(VALU_DEP_1)
	v_dual_mov_b32 v12, v10 :: v_dual_mov_b32 v11, v9
.LBB123_26:
	s_wait_alu 0xfffe
	s_or_b32 exec_lo, exec_lo, s3
	s_wait_dscnt 0x1
	v_or_b32_e32 v9, 31, v0
	s_mov_b32 s3, exec_lo
	s_delay_alu instid0(VALU_DEP_1)
	v_cmpx_eq_u32_e64 v0, v9
; %bb.27:
	v_lshlrev_b32_e32 v9, 3, v26
	ds_store_b64 v9, v[11:12]
; %bb.28:
	s_wait_alu 0xfffe
	s_or_b32 exec_lo, exec_lo, s3
	s_delay_alu instid0(SALU_CYCLE_1)
	s_mov_b32 s3, exec_lo
	s_wait_loadcnt_dscnt 0x0
	s_barrier_signal -1
	s_barrier_wait -1
	global_inv scope:SCOPE_SE
	v_cmpx_gt_u32_e32 8, v0
	s_cbranch_execz .LBB123_36
; %bb.29:
	v_lshlrev_b32_e32 v9, 3, v0
	s_mov_b32 s4, exec_lo
	ds_load_b64 v[11:12], v9
	s_wait_dscnt 0x0
	v_dual_mov_b32 v15, v11 :: v_dual_and_b32 v14, 7, v31
	v_mov_b32_dpp v19, v11 row_shr:1 row_mask:0xf bank_mask:0xf
	v_mov_b32_dpp v16, v12 row_shr:1 row_mask:0xf bank_mask:0xf
	s_delay_alu instid0(VALU_DEP_3)
	v_cmpx_ne_u32_e32 0, v14
; %bb.30:
	s_delay_alu instid0(VALU_DEP_3) | instskip(SKIP_2) | instid1(VALU_DEP_2)
	v_add_co_u32 v15, vcc_lo, v11, v19
	s_wait_alu 0xfffd
	v_add_co_ci_u32_e64 v12, null, 0, v12, vcc_lo
	v_add_co_u32 v11, vcc_lo, 0, v15
	s_wait_alu 0xfffd
	s_delay_alu instid0(VALU_DEP_2)
	v_add_co_ci_u32_e64 v12, null, v16, v12, vcc_lo
; %bb.31:
	s_wait_alu 0xfffe
	s_or_b32 exec_lo, exec_lo, s4
	v_mov_b32_dpp v19, v15 row_shr:2 row_mask:0xf bank_mask:0xf
	s_delay_alu instid0(VALU_DEP_2)
	v_mov_b32_dpp v16, v12 row_shr:2 row_mask:0xf bank_mask:0xf
	s_mov_b32 s4, exec_lo
	v_cmpx_lt_u32_e32 1, v14
; %bb.32:
	s_delay_alu instid0(VALU_DEP_3) | instskip(SKIP_2) | instid1(VALU_DEP_2)
	v_add_co_u32 v15, vcc_lo, v11, v19
	s_wait_alu 0xfffd
	v_add_co_ci_u32_e64 v12, null, 0, v12, vcc_lo
	v_add_co_u32 v11, vcc_lo, 0, v15
	s_wait_alu 0xfffd
	s_delay_alu instid0(VALU_DEP_2)
	v_add_co_ci_u32_e64 v12, null, v16, v12, vcc_lo
; %bb.33:
	s_wait_alu 0xfffe
	s_or_b32 exec_lo, exec_lo, s4
	v_mov_b32_dpp v16, v15 row_shr:4 row_mask:0xf bank_mask:0xf
	s_delay_alu instid0(VALU_DEP_2)
	v_mov_b32_dpp v15, v12 row_shr:4 row_mask:0xf bank_mask:0xf
	s_mov_b32 s4, exec_lo
	v_cmpx_lt_u32_e32 3, v14
; %bb.34:
	s_delay_alu instid0(VALU_DEP_3) | instskip(SKIP_2) | instid1(VALU_DEP_2)
	v_add_co_u32 v11, vcc_lo, v11, v16
	s_wait_alu 0xfffd
	v_add_co_ci_u32_e64 v12, null, 0, v12, vcc_lo
	v_add_co_u32 v11, vcc_lo, v11, 0
	s_wait_alu 0xfffd
	s_delay_alu instid0(VALU_DEP_2)
	v_add_co_ci_u32_e64 v12, null, v12, v15, vcc_lo
; %bb.35:
	s_wait_alu 0xfffe
	s_or_b32 exec_lo, exec_lo, s4
	ds_store_b64 v9, v[11:12]
.LBB123_36:
	s_wait_alu 0xfffe
	s_or_b32 exec_lo, exec_lo, s3
	s_delay_alu instid0(SALU_CYCLE_1)
	s_mov_b32 s4, exec_lo
	v_cmp_gt_u32_e32 vcc_lo, 32, v0
	s_wait_loadcnt_dscnt 0x0
	s_barrier_signal -1
	s_barrier_wait -1
	global_inv scope:SCOPE_SE
                                        ; implicit-def: $vgpr19_vgpr20
	v_cmpx_lt_u32_e32 31, v0
	s_cbranch_execz .LBB123_38
; %bb.37:
	v_lshl_add_u32 v9, v26, 3, -8
	ds_load_b64 v[19:20], v9
	s_wait_dscnt 0x0
	v_add_co_u32 v13, s3, v13, v19
	s_wait_alu 0xf1ff
	v_add_co_ci_u32_e64 v10, null, v10, v20, s3
.LBB123_38:
	s_wait_alu 0xfffe
	s_or_b32 exec_lo, exec_lo, s4
	v_sub_co_u32 v9, s3, v31, 1
	s_delay_alu instid0(VALU_DEP_1) | instskip(SKIP_1) | instid1(VALU_DEP_1)
	v_cmp_gt_i32_e64 s4, 0, v9
	s_wait_alu 0xf1ff
	v_cndmask_b32_e64 v9, v9, v31, s4
	s_delay_alu instid0(VALU_DEP_1)
	v_lshlrev_b32_e32 v9, 2, v9
	ds_bpermute_b32 v33, v9, v13
	ds_bpermute_b32 v34, v9, v10
	s_and_saveexec_b32 s4, vcc_lo
	s_cbranch_execz .LBB123_77
; %bb.39:
	v_mov_b32_e32 v12, 0
	ds_load_b64 v[9:10], v12 offset:56
	s_and_saveexec_b32 s5, s3
	s_cbranch_execz .LBB123_41
; %bb.40:
	s_add_co_i32 s12, ttmp9, 32
	s_wait_alu 0xfffe
	s_lshl_b64 s[12:13], s[12:13], 4
	s_wait_kmcnt 0x0
	s_wait_alu 0xfffe
	s_add_nc_u64 s[12:13], s[6:7], s[12:13]
	s_wait_alu 0xfffe
	v_dual_mov_b32 v11, 1 :: v_dual_mov_b32 v14, s13
	v_mov_b32_e32 v13, s12
	s_wait_dscnt 0x0
	;;#ASMSTART
	global_store_b128 v[13:14], v[9:12] off scope:SCOPE_DEV	
s_wait_storecnt 0x0
	;;#ASMEND
.LBB123_41:
	s_wait_alu 0xfffe
	s_or_b32 exec_lo, exec_lo, s5
	v_xad_u32 v21, v31, -1, ttmp9
	s_mov_b32 s12, 0
	s_mov_b32 s5, exec_lo
	s_delay_alu instid0(VALU_DEP_1) | instskip(NEXT) | instid1(VALU_DEP_1)
	v_add_nc_u32_e32 v11, 32, v21
	v_lshlrev_b64_e32 v[11:12], 4, v[11:12]
	s_wait_kmcnt 0x0
	s_delay_alu instid0(VALU_DEP_1) | instskip(SKIP_1) | instid1(VALU_DEP_2)
	v_add_co_u32 v11, vcc_lo, s6, v11
	s_wait_alu 0xfffd
	v_add_co_ci_u32_e64 v12, null, s7, v12, vcc_lo
	;;#ASMSTART
	global_load_b128 v[13:16], v[11:12] off scope:SCOPE_DEV	
s_wait_loadcnt 0x0
	;;#ASMEND
	v_and_b32_e32 v16, 0xff, v15
	s_delay_alu instid0(VALU_DEP_1)
	v_cmpx_eq_u16_e32 0, v16
	s_cbranch_execz .LBB123_44
.LBB123_42:                             ; =>This Inner Loop Header: Depth=1
	;;#ASMSTART
	global_load_b128 v[13:16], v[11:12] off scope:SCOPE_DEV	
s_wait_loadcnt 0x0
	;;#ASMEND
	v_and_b32_e32 v16, 0xff, v15
	s_delay_alu instid0(VALU_DEP_1)
	v_cmp_ne_u16_e32 vcc_lo, 0, v16
	s_wait_alu 0xfffe
	s_or_b32 s12, vcc_lo, s12
	s_wait_alu 0xfffe
	s_and_not1_b32 exec_lo, exec_lo, s12
	s_cbranch_execnz .LBB123_42
; %bb.43:
	s_or_b32 exec_lo, exec_lo, s12
.LBB123_44:
	s_wait_alu 0xfffe
	s_or_b32 exec_lo, exec_lo, s5
	v_cmp_ne_u32_e32 vcc_lo, 31, v31
	v_and_b32_e32 v12, 0xff, v15
	v_lshlrev_b32_e64 v36, v31, -1
	s_mov_b32 s5, exec_lo
	s_wait_alu 0xfffd
	v_add_co_ci_u32_e64 v11, null, 0, v31, vcc_lo
	v_cmp_eq_u16_e32 vcc_lo, 2, v12
	s_delay_alu instid0(VALU_DEP_2)
	v_dual_mov_b32 v12, v13 :: v_dual_lshlrev_b32 v35, 2, v11
	s_wait_alu 0xfffd
	v_and_or_b32 v11, vcc_lo, v36, 0x80000000
	ds_bpermute_b32 v22, v35, v13
	ds_bpermute_b32 v16, v35, v14
	v_ctz_i32_b32_e32 v11, v11
	s_delay_alu instid0(VALU_DEP_1)
	v_cmpx_lt_u32_e64 v31, v11
	s_cbranch_execz .LBB123_46
; %bb.45:
	s_wait_dscnt 0x1
	v_add_co_u32 v12, vcc_lo, v13, v22
	s_wait_alu 0xfffd
	v_add_co_ci_u32_e64 v14, null, 0, v14, vcc_lo
	s_delay_alu instid0(VALU_DEP_2) | instskip(SKIP_2) | instid1(VALU_DEP_2)
	v_add_co_u32 v13, vcc_lo, 0, v12
	s_wait_dscnt 0x0
	s_wait_alu 0xfffd
	v_add_co_ci_u32_e64 v14, null, v16, v14, vcc_lo
.LBB123_46:
	s_wait_alu 0xfffe
	s_or_b32 exec_lo, exec_lo, s5
	v_cmp_gt_u32_e32 vcc_lo, 30, v31
	v_add_nc_u32_e32 v38, 2, v31
	s_mov_b32 s5, exec_lo
	s_wait_dscnt 0x0
	s_wait_alu 0xfffd
	v_cndmask_b32_e64 v16, 0, 2, vcc_lo
	s_delay_alu instid0(VALU_DEP_1)
	v_add_lshl_u32 v37, v16, v31, 2
	ds_bpermute_b32 v22, v37, v12
	ds_bpermute_b32 v16, v37, v14
	v_cmpx_le_u32_e64 v38, v11
	s_cbranch_execz .LBB123_48
; %bb.47:
	s_wait_dscnt 0x1
	v_add_co_u32 v12, vcc_lo, v13, v22
	s_wait_alu 0xfffd
	v_add_co_ci_u32_e64 v14, null, 0, v14, vcc_lo
	s_delay_alu instid0(VALU_DEP_2) | instskip(SKIP_2) | instid1(VALU_DEP_2)
	v_add_co_u32 v13, vcc_lo, 0, v12
	s_wait_dscnt 0x0
	s_wait_alu 0xfffd
	v_add_co_ci_u32_e64 v14, null, v16, v14, vcc_lo
.LBB123_48:
	s_wait_alu 0xfffe
	s_or_b32 exec_lo, exec_lo, s5
	v_cmp_gt_u32_e32 vcc_lo, 28, v31
	v_add_nc_u32_e32 v40, 4, v31
	s_mov_b32 s5, exec_lo
	s_wait_dscnt 0x0
	s_wait_alu 0xfffd
	v_cndmask_b32_e64 v16, 0, 4, vcc_lo
	s_delay_alu instid0(VALU_DEP_1)
	v_add_lshl_u32 v39, v16, v31, 2
	ds_bpermute_b32 v22, v39, v12
	ds_bpermute_b32 v16, v39, v14
	v_cmpx_le_u32_e64 v40, v11
	;; [unrolled: 25-line block ×3, first 2 shown]
	s_cbranch_execz .LBB123_52
; %bb.51:
	s_wait_dscnt 0x1
	v_add_co_u32 v12, vcc_lo, v13, v22
	s_wait_alu 0xfffd
	v_add_co_ci_u32_e64 v14, null, 0, v14, vcc_lo
	s_delay_alu instid0(VALU_DEP_2) | instskip(SKIP_2) | instid1(VALU_DEP_2)
	v_add_co_u32 v13, vcc_lo, 0, v12
	s_wait_dscnt 0x0
	s_wait_alu 0xfffd
	v_add_co_ci_u32_e64 v14, null, v16, v14, vcc_lo
.LBB123_52:
	s_wait_alu 0xfffe
	s_or_b32 exec_lo, exec_lo, s5
	v_lshl_or_b32 v43, v31, 2, 64
	v_add_nc_u32_e32 v44, 16, v31
	s_mov_b32 s5, exec_lo
	s_wait_dscnt 0x0
	ds_bpermute_b32 v16, v43, v12
	ds_bpermute_b32 v12, v43, v14
	v_cmpx_le_u32_e64 v44, v11
	s_cbranch_execz .LBB123_54
; %bb.53:
	s_wait_dscnt 0x1
	v_add_co_u32 v11, vcc_lo, v13, v16
	s_wait_alu 0xfffd
	v_add_co_ci_u32_e64 v14, null, 0, v14, vcc_lo
	s_delay_alu instid0(VALU_DEP_2) | instskip(SKIP_2) | instid1(VALU_DEP_2)
	v_add_co_u32 v13, vcc_lo, v11, 0
	s_wait_dscnt 0x0
	s_wait_alu 0xfffd
	v_add_co_ci_u32_e64 v14, null, v14, v12, vcc_lo
.LBB123_54:
	s_wait_alu 0xfffe
	s_or_b32 exec_lo, exec_lo, s5
	v_mov_b32_e32 v22, 0
	s_branch .LBB123_57
.LBB123_55:                             ;   in Loop: Header=BB123_57 Depth=1
	s_wait_alu 0xfffe
	s_or_b32 exec_lo, exec_lo, s5
	v_add_co_u32 v13, vcc_lo, v13, v11
	v_subrev_nc_u32_e32 v21, 32, v21
	s_wait_alu 0xfffd
	v_add_co_ci_u32_e64 v14, null, v14, v12, vcc_lo
	s_mov_b32 s5, 0
.LBB123_56:                             ;   in Loop: Header=BB123_57 Depth=1
	s_wait_alu 0xfffe
	s_and_b32 vcc_lo, exec_lo, s5
	s_wait_alu 0xfffe
	s_cbranch_vccnz .LBB123_73
.LBB123_57:                             ; =>This Loop Header: Depth=1
                                        ;     Child Loop BB123_60 Depth 2
	v_and_b32_e32 v11, 0xff, v15
	s_mov_b32 s5, -1
	s_delay_alu instid0(VALU_DEP_1)
	v_cmp_ne_u16_e32 vcc_lo, 2, v11
	s_wait_dscnt 0x0
	v_dual_mov_b32 v11, v13 :: v_dual_mov_b32 v12, v14
                                        ; implicit-def: $vgpr13_vgpr14
	s_cmp_lg_u32 vcc_lo, exec_lo
	s_cbranch_scc1 .LBB123_56
; %bb.58:                               ;   in Loop: Header=BB123_57 Depth=1
	v_lshlrev_b64_e32 v[13:14], 4, v[21:22]
	s_mov_b32 s5, exec_lo
	s_delay_alu instid0(VALU_DEP_1) | instskip(SKIP_1) | instid1(VALU_DEP_2)
	v_add_co_u32 v23, vcc_lo, s6, v13
	s_wait_alu 0xfffd
	v_add_co_ci_u32_e64 v24, null, s7, v14, vcc_lo
	;;#ASMSTART
	global_load_b128 v[13:16], v[23:24] off scope:SCOPE_DEV	
s_wait_loadcnt 0x0
	;;#ASMEND
	v_and_b32_e32 v16, 0xff, v15
	s_delay_alu instid0(VALU_DEP_1)
	v_cmpx_eq_u16_e32 0, v16
	s_cbranch_execz .LBB123_62
; %bb.59:                               ;   in Loop: Header=BB123_57 Depth=1
	s_mov_b32 s12, 0
.LBB123_60:                             ;   Parent Loop BB123_57 Depth=1
                                        ; =>  This Inner Loop Header: Depth=2
	;;#ASMSTART
	global_load_b128 v[13:16], v[23:24] off scope:SCOPE_DEV	
s_wait_loadcnt 0x0
	;;#ASMEND
	v_and_b32_e32 v16, 0xff, v15
	s_delay_alu instid0(VALU_DEP_1)
	v_cmp_ne_u16_e32 vcc_lo, 0, v16
	s_wait_alu 0xfffe
	s_or_b32 s12, vcc_lo, s12
	s_wait_alu 0xfffe
	s_and_not1_b32 exec_lo, exec_lo, s12
	s_cbranch_execnz .LBB123_60
; %bb.61:                               ;   in Loop: Header=BB123_57 Depth=1
	s_or_b32 exec_lo, exec_lo, s12
.LBB123_62:                             ;   in Loop: Header=BB123_57 Depth=1
	s_wait_alu 0xfffe
	s_or_b32 exec_lo, exec_lo, s5
	v_dual_mov_b32 v23, v13 :: v_dual_and_b32 v16, 0xff, v15
	ds_bpermute_b32 v45, v35, v13
	ds_bpermute_b32 v24, v35, v14
	s_mov_b32 s5, exec_lo
	v_cmp_eq_u16_e32 vcc_lo, 2, v16
	s_wait_alu 0xfffd
	v_and_or_b32 v16, vcc_lo, v36, 0x80000000
	s_delay_alu instid0(VALU_DEP_1) | instskip(NEXT) | instid1(VALU_DEP_1)
	v_ctz_i32_b32_e32 v16, v16
	v_cmpx_lt_u32_e64 v31, v16
	s_cbranch_execz .LBB123_64
; %bb.63:                               ;   in Loop: Header=BB123_57 Depth=1
	s_wait_dscnt 0x1
	v_add_co_u32 v23, vcc_lo, v13, v45
	s_wait_alu 0xfffd
	v_add_co_ci_u32_e64 v14, null, 0, v14, vcc_lo
	s_delay_alu instid0(VALU_DEP_2) | instskip(SKIP_2) | instid1(VALU_DEP_2)
	v_add_co_u32 v13, vcc_lo, 0, v23
	s_wait_dscnt 0x0
	s_wait_alu 0xfffd
	v_add_co_ci_u32_e64 v14, null, v24, v14, vcc_lo
.LBB123_64:                             ;   in Loop: Header=BB123_57 Depth=1
	s_wait_alu 0xfffe
	s_or_b32 exec_lo, exec_lo, s5
	s_wait_dscnt 0x1
	ds_bpermute_b32 v45, v37, v23
	s_wait_dscnt 0x1
	ds_bpermute_b32 v24, v37, v14
	s_mov_b32 s5, exec_lo
	v_cmpx_le_u32_e64 v38, v16
	s_cbranch_execz .LBB123_66
; %bb.65:                               ;   in Loop: Header=BB123_57 Depth=1
	s_wait_dscnt 0x1
	v_add_co_u32 v23, vcc_lo, v13, v45
	s_wait_alu 0xfffd
	v_add_co_ci_u32_e64 v14, null, 0, v14, vcc_lo
	s_delay_alu instid0(VALU_DEP_2) | instskip(SKIP_2) | instid1(VALU_DEP_2)
	v_add_co_u32 v13, vcc_lo, 0, v23
	s_wait_dscnt 0x0
	s_wait_alu 0xfffd
	v_add_co_ci_u32_e64 v14, null, v24, v14, vcc_lo
.LBB123_66:                             ;   in Loop: Header=BB123_57 Depth=1
	s_wait_alu 0xfffe
	s_or_b32 exec_lo, exec_lo, s5
	s_wait_dscnt 0x1
	ds_bpermute_b32 v45, v39, v23
	s_wait_dscnt 0x1
	ds_bpermute_b32 v24, v39, v14
	s_mov_b32 s5, exec_lo
	v_cmpx_le_u32_e64 v40, v16
	;; [unrolled: 20-line block ×3, first 2 shown]
	s_cbranch_execz .LBB123_70
; %bb.69:                               ;   in Loop: Header=BB123_57 Depth=1
	s_wait_dscnt 0x1
	v_add_co_u32 v23, vcc_lo, v13, v45
	s_wait_alu 0xfffd
	v_add_co_ci_u32_e64 v14, null, 0, v14, vcc_lo
	s_delay_alu instid0(VALU_DEP_2) | instskip(SKIP_2) | instid1(VALU_DEP_2)
	v_add_co_u32 v13, vcc_lo, 0, v23
	s_wait_dscnt 0x0
	s_wait_alu 0xfffd
	v_add_co_ci_u32_e64 v14, null, v24, v14, vcc_lo
.LBB123_70:                             ;   in Loop: Header=BB123_57 Depth=1
	s_wait_alu 0xfffe
	s_or_b32 exec_lo, exec_lo, s5
	s_wait_dscnt 0x0
	ds_bpermute_b32 v24, v43, v23
	ds_bpermute_b32 v23, v43, v14
	s_mov_b32 s5, exec_lo
	v_cmpx_le_u32_e64 v44, v16
	s_cbranch_execz .LBB123_55
; %bb.71:                               ;   in Loop: Header=BB123_57 Depth=1
	s_wait_dscnt 0x1
	v_add_co_u32 v13, vcc_lo, v13, v24
	s_wait_alu 0xfffd
	v_add_co_ci_u32_e64 v14, null, 0, v14, vcc_lo
	s_delay_alu instid0(VALU_DEP_2) | instskip(SKIP_2) | instid1(VALU_DEP_2)
	v_add_co_u32 v13, vcc_lo, v13, 0
	s_wait_dscnt 0x0
	s_wait_alu 0xfffd
	v_add_co_ci_u32_e64 v14, null, v14, v23, vcc_lo
	s_branch .LBB123_55
.LBB123_72:
                                        ; implicit-def: $vgpr15_vgpr16
                                        ; implicit-def: $vgpr13_vgpr14
                                        ; implicit-def: $vgpr19_vgpr20
                                        ; implicit-def: $vgpr21_vgpr22
                                        ; implicit-def: $vgpr11_vgpr12
	s_load_b64 s[4:5], s[0:1], 0x30
	s_and_b32 vcc_lo, exec_lo, s3
	s_wait_alu 0xfffe
	s_cbranch_vccnz .LBB123_78
	s_branch .LBB123_103
.LBB123_73:
	s_and_saveexec_b32 s5, s3
	s_cbranch_execz .LBB123_75
; %bb.74:
	s_add_co_i32 s12, ttmp9, 32
	s_mov_b32 s13, 0
	v_add_co_u32 v13, vcc_lo, v11, v9
	s_wait_alu 0xfffe
	s_lshl_b64 s[12:13], s[12:13], 4
	v_dual_mov_b32 v15, 2 :: v_dual_mov_b32 v16, 0
	s_wait_alu 0xfffe
	s_add_nc_u64 s[12:13], s[6:7], s[12:13]
	s_wait_alu 0xfffd
	v_add_co_ci_u32_e64 v14, null, v12, v10, vcc_lo
	s_wait_alu 0xfffe
	v_dual_mov_b32 v22, s13 :: v_dual_mov_b32 v21, s12
	;;#ASMSTART
	global_store_b128 v[21:22], v[13:16] off scope:SCOPE_DEV	
s_wait_storecnt 0x0
	;;#ASMEND
	ds_store_b128 v16, v[9:12] offset:8448
.LBB123_75:
	s_wait_alu 0xfffe
	s_or_b32 exec_lo, exec_lo, s5
	v_cmp_eq_u32_e32 vcc_lo, 0, v0
	s_and_b32 exec_lo, exec_lo, vcc_lo
; %bb.76:
	v_mov_b32_e32 v9, 0
	ds_store_b64 v9, v[11:12] offset:56
.LBB123_77:
	s_wait_alu 0xfffe
	s_or_b32 exec_lo, exec_lo, s4
	s_wait_dscnt 0x1
	v_cndmask_b32_e64 v10, v33, v19, s3
	v_cmp_ne_u32_e32 vcc_lo, 0, v0
	v_mov_b32_e32 v9, 0
	s_wait_loadcnt_dscnt 0x0
	s_barrier_signal -1
	s_barrier_wait -1
	global_inv scope:SCOPE_SE
	s_wait_alu 0xfffd
	v_cndmask_b32_e32 v16, 0, v10, vcc_lo
	ds_load_b64 v[13:14], v9 offset:56
	v_cndmask_b32_e64 v11, v34, v20, s3
	s_wait_loadcnt_dscnt 0x0
	s_barrier_signal -1
	s_barrier_wait -1
	global_inv scope:SCOPE_SE
	v_cndmask_b32_e32 v15, 0, v11, vcc_lo
	ds_load_b128 v[9:12], v9 offset:8448
	v_add_co_u32 v21, vcc_lo, v13, v16
	s_wait_alu 0xfffd
	v_add_co_ci_u32_e64 v22, null, v14, v15, vcc_lo
	s_delay_alu instid0(VALU_DEP_2) | instskip(SKIP_1) | instid1(VALU_DEP_2)
	v_add_co_u32 v19, vcc_lo, v21, v30
	s_wait_alu 0xfffd
	v_add_co_ci_u32_e64 v20, null, 0, v22, vcc_lo
	s_delay_alu instid0(VALU_DEP_2) | instskip(SKIP_1) | instid1(VALU_DEP_2)
	v_add_co_u32 v13, vcc_lo, v19, v29
	s_wait_alu 0xfffd
	v_add_co_ci_u32_e64 v14, null, 0, v20, vcc_lo
	s_delay_alu instid0(VALU_DEP_2) | instskip(SKIP_1) | instid1(VALU_DEP_2)
	v_add_co_u32 v15, vcc_lo, v13, v28
	s_wait_alu 0xfffd
	v_add_co_ci_u32_e64 v16, null, 0, v14, vcc_lo
	s_load_b64 s[4:5], s[0:1], 0x30
	s_branch .LBB123_103
.LBB123_78:
	s_wait_dscnt 0x0
	v_dual_mov_b32 v10, 0 :: v_dual_mov_b32 v11, v17
	v_mov_b32_dpp v12, v17 row_shr:1 row_mask:0xf bank_mask:0xf
	s_delay_alu instid0(VALU_DEP_2)
	v_mov_b32_dpp v9, v10 row_shr:1 row_mask:0xf bank_mask:0xf
	s_and_saveexec_b32 s0, s2
; %bb.79:
	s_delay_alu instid0(VALU_DEP_2) | instskip(SKIP_2) | instid1(VALU_DEP_2)
	v_add_co_u32 v11, vcc_lo, v17, v12
	s_wait_alu 0xfffd
	v_add_co_ci_u32_e64 v10, null, 0, v18, vcc_lo
	v_add_co_u32 v17, vcc_lo, 0, v11
	s_wait_alu 0xfffd
	s_delay_alu instid0(VALU_DEP_2) | instskip(NEXT) | instid1(VALU_DEP_1)
	v_add_co_ci_u32_e64 v18, null, v9, v10, vcc_lo
	v_mov_b32_e32 v10, v18
; %bb.80:
	s_or_b32 exec_lo, exec_lo, s0
	v_mov_b32_dpp v9, v11 row_shr:2 row_mask:0xf bank_mask:0xf
	s_delay_alu instid0(VALU_DEP_2)
	v_mov_b32_dpp v12, v10 row_shr:2 row_mask:0xf bank_mask:0xf
	s_mov_b32 s0, exec_lo
	v_cmpx_lt_u32_e32 1, v32
; %bb.81:
	s_delay_alu instid0(VALU_DEP_3) | instskip(SKIP_2) | instid1(VALU_DEP_2)
	v_add_co_u32 v11, vcc_lo, v17, v9
	s_wait_alu 0xfffd
	v_add_co_ci_u32_e64 v10, null, 0, v18, vcc_lo
	v_add_co_u32 v9, vcc_lo, 0, v11
	s_wait_alu 0xfffd
	s_delay_alu instid0(VALU_DEP_2) | instskip(NEXT) | instid1(VALU_DEP_1)
	v_add_co_ci_u32_e64 v10, null, v12, v10, vcc_lo
	v_dual_mov_b32 v18, v10 :: v_dual_mov_b32 v17, v9
; %bb.82:
	s_or_b32 exec_lo, exec_lo, s0
	v_mov_b32_dpp v9, v11 row_shr:4 row_mask:0xf bank_mask:0xf
	v_mov_b32_dpp v12, v10 row_shr:4 row_mask:0xf bank_mask:0xf
	s_mov_b32 s0, exec_lo
	v_cmpx_lt_u32_e32 3, v32
; %bb.83:
	s_delay_alu instid0(VALU_DEP_3) | instskip(SKIP_2) | instid1(VALU_DEP_2)
	v_add_co_u32 v11, vcc_lo, v17, v9
	s_wait_alu 0xfffd
	v_add_co_ci_u32_e64 v10, null, 0, v18, vcc_lo
	v_add_co_u32 v9, vcc_lo, 0, v11
	s_wait_alu 0xfffd
	s_delay_alu instid0(VALU_DEP_2) | instskip(NEXT) | instid1(VALU_DEP_1)
	v_add_co_ci_u32_e64 v10, null, v12, v10, vcc_lo
	v_dual_mov_b32 v18, v10 :: v_dual_mov_b32 v17, v9
; %bb.84:
	s_or_b32 exec_lo, exec_lo, s0
	v_mov_b32_dpp v12, v11 row_shr:8 row_mask:0xf bank_mask:0xf
	v_mov_b32_dpp v9, v10 row_shr:8 row_mask:0xf bank_mask:0xf
	s_mov_b32 s0, exec_lo
	v_cmpx_lt_u32_e32 7, v32
; %bb.85:
	s_delay_alu instid0(VALU_DEP_3) | instskip(SKIP_2) | instid1(VALU_DEP_2)
	v_add_co_u32 v11, vcc_lo, v17, v12
	s_wait_alu 0xfffd
	v_add_co_ci_u32_e64 v10, null, 0, v18, vcc_lo
	v_add_co_u32 v17, vcc_lo, 0, v11
	s_wait_alu 0xfffd
	s_delay_alu instid0(VALU_DEP_2) | instskip(NEXT) | instid1(VALU_DEP_1)
	v_add_co_ci_u32_e64 v18, null, v9, v10, vcc_lo
	v_mov_b32_e32 v10, v18
; %bb.86:
	s_or_b32 exec_lo, exec_lo, s0
	ds_swizzle_b32 v11, v11 offset:swizzle(BROADCAST,32,15)
	ds_swizzle_b32 v9, v10 offset:swizzle(BROADCAST,32,15)
	v_and_b32_e32 v10, 16, v31
	s_mov_b32 s0, exec_lo
	s_delay_alu instid0(VALU_DEP_1)
	v_cmpx_ne_u32_e32 0, v10
	s_cbranch_execz .LBB123_88
; %bb.87:
	s_wait_dscnt 0x1
	v_add_co_u32 v10, vcc_lo, v17, v11
	s_wait_alu 0xfffd
	v_add_co_ci_u32_e64 v11, null, 0, v18, vcc_lo
	s_delay_alu instid0(VALU_DEP_2) | instskip(SKIP_2) | instid1(VALU_DEP_2)
	v_add_co_u32 v17, vcc_lo, v10, 0
	s_wait_dscnt 0x0
	s_wait_alu 0xfffd
	v_add_co_ci_u32_e64 v18, null, v11, v9, vcc_lo
.LBB123_88:
	s_or_b32 exec_lo, exec_lo, s0
	s_wait_dscnt 0x0
	v_or_b32_e32 v9, 31, v0
	s_mov_b32 s0, exec_lo
	s_delay_alu instid0(VALU_DEP_1)
	v_cmpx_eq_u32_e64 v0, v9
; %bb.89:
	v_lshlrev_b32_e32 v9, 3, v26
	ds_store_b64 v9, v[17:18]
; %bb.90:
	s_or_b32 exec_lo, exec_lo, s0
	s_delay_alu instid0(SALU_CYCLE_1)
	s_mov_b32 s0, exec_lo
	s_wait_loadcnt_dscnt 0x0
	s_barrier_signal -1
	s_barrier_wait -1
	global_inv scope:SCOPE_SE
	v_cmpx_gt_u32_e32 8, v0
	s_cbranch_execz .LBB123_98
; %bb.91:
	v_lshlrev_b32_e32 v11, 3, v0
	s_mov_b32 s1, exec_lo
	ds_load_b64 v[9:10], v11
	s_wait_dscnt 0x0
	v_dual_mov_b32 v13, v9 :: v_dual_and_b32 v12, 7, v31
	v_mov_b32_dpp v15, v9 row_shr:1 row_mask:0xf bank_mask:0xf
	v_mov_b32_dpp v14, v10 row_shr:1 row_mask:0xf bank_mask:0xf
	s_delay_alu instid0(VALU_DEP_3)
	v_cmpx_ne_u32_e32 0, v12
; %bb.92:
	s_delay_alu instid0(VALU_DEP_3) | instskip(SKIP_2) | instid1(VALU_DEP_2)
	v_add_co_u32 v13, vcc_lo, v9, v15
	s_wait_alu 0xfffd
	v_add_co_ci_u32_e64 v10, null, 0, v10, vcc_lo
	v_add_co_u32 v9, vcc_lo, 0, v13
	s_wait_alu 0xfffd
	s_delay_alu instid0(VALU_DEP_2)
	v_add_co_ci_u32_e64 v10, null, v14, v10, vcc_lo
; %bb.93:
	s_or_b32 exec_lo, exec_lo, s1
	v_mov_b32_dpp v15, v13 row_shr:2 row_mask:0xf bank_mask:0xf
	s_delay_alu instid0(VALU_DEP_2)
	v_mov_b32_dpp v14, v10 row_shr:2 row_mask:0xf bank_mask:0xf
	s_mov_b32 s1, exec_lo
	v_cmpx_lt_u32_e32 1, v12
; %bb.94:
	s_delay_alu instid0(VALU_DEP_3) | instskip(SKIP_2) | instid1(VALU_DEP_2)
	v_add_co_u32 v13, vcc_lo, v9, v15
	s_wait_alu 0xfffd
	v_add_co_ci_u32_e64 v10, null, 0, v10, vcc_lo
	v_add_co_u32 v9, vcc_lo, 0, v13
	s_wait_alu 0xfffd
	s_delay_alu instid0(VALU_DEP_2)
	v_add_co_ci_u32_e64 v10, null, v14, v10, vcc_lo
; %bb.95:
	s_or_b32 exec_lo, exec_lo, s1
	v_mov_b32_dpp v14, v13 row_shr:4 row_mask:0xf bank_mask:0xf
	s_delay_alu instid0(VALU_DEP_2)
	v_mov_b32_dpp v13, v10 row_shr:4 row_mask:0xf bank_mask:0xf
	s_mov_b32 s1, exec_lo
	v_cmpx_lt_u32_e32 3, v12
; %bb.96:
	s_delay_alu instid0(VALU_DEP_3) | instskip(SKIP_2) | instid1(VALU_DEP_2)
	v_add_co_u32 v9, vcc_lo, v9, v14
	s_wait_alu 0xfffd
	v_add_co_ci_u32_e64 v10, null, 0, v10, vcc_lo
	v_add_co_u32 v9, vcc_lo, v9, 0
	s_wait_alu 0xfffd
	s_delay_alu instid0(VALU_DEP_2)
	v_add_co_ci_u32_e64 v10, null, v10, v13, vcc_lo
; %bb.97:
	s_or_b32 exec_lo, exec_lo, s1
	ds_store_b64 v11, v[9:10]
.LBB123_98:
	s_or_b32 exec_lo, exec_lo, s0
	v_mov_b32_e32 v13, 0
	v_mov_b32_e32 v14, 0
	s_mov_b32 s0, exec_lo
	s_wait_loadcnt_dscnt 0x0
	s_barrier_signal -1
	s_barrier_wait -1
	global_inv scope:SCOPE_SE
	v_cmpx_lt_u32_e32 31, v0
; %bb.99:
	v_lshl_add_u32 v9, v26, 3, -8
	ds_load_b64 v[13:14], v9
; %bb.100:
	s_or_b32 exec_lo, exec_lo, s0
	v_sub_co_u32 v9, vcc_lo, v31, 1
	v_mov_b32_e32 v12, 0
	s_delay_alu instid0(VALU_DEP_2) | instskip(NEXT) | instid1(VALU_DEP_1)
	v_cmp_gt_i32_e64 s0, 0, v9
	v_cndmask_b32_e64 v9, v9, v31, s0
	s_wait_dscnt 0x0
	v_add_co_u32 v10, s0, v13, v17
	s_wait_alu 0xf1ff
	v_add_co_ci_u32_e64 v11, null, v14, v18, s0
	v_lshlrev_b32_e32 v9, 2, v9
	v_cmp_eq_u32_e64 s0, 0, v0
	ds_bpermute_b32 v15, v9, v10
	ds_bpermute_b32 v16, v9, v11
	ds_load_b64 v[9:10], v12 offset:56
	s_and_saveexec_b32 s1, s0
	s_cbranch_execz .LBB123_102
; %bb.101:
	s_wait_kmcnt 0x0
	s_add_nc_u64 s[2:3], s[6:7], 0x200
	s_wait_alu 0xfffe
	v_dual_mov_b32 v11, 2 :: v_dual_mov_b32 v18, s3
	v_mov_b32_e32 v17, s2
	s_wait_dscnt 0x0
	;;#ASMSTART
	global_store_b128 v[17:18], v[9:12] off scope:SCOPE_DEV	
s_wait_storecnt 0x0
	;;#ASMEND
.LBB123_102:
	s_wait_alu 0xfffe
	s_or_b32 exec_lo, exec_lo, s1
	s_wait_dscnt 0x1
	s_wait_alu 0xfffd
	v_dual_cndmask_b32 v11, v15, v13 :: v_dual_cndmask_b32 v12, v16, v14
	s_wait_loadcnt_dscnt 0x0
	s_barrier_signal -1
	s_barrier_wait -1
	s_delay_alu instid0(VALU_DEP_1)
	v_cndmask_b32_e64 v21, v11, 0, s0
	v_cndmask_b32_e64 v22, v12, 0, s0
	v_mov_b32_e32 v11, 0
	v_mov_b32_e32 v12, 0
	global_inv scope:SCOPE_SE
	v_add_co_u32 v19, vcc_lo, v21, v30
	s_wait_alu 0xfffd
	v_add_co_ci_u32_e64 v20, null, 0, v22, vcc_lo
	s_delay_alu instid0(VALU_DEP_2) | instskip(SKIP_1) | instid1(VALU_DEP_2)
	v_add_co_u32 v13, vcc_lo, v19, v29
	s_wait_alu 0xfffd
	v_add_co_ci_u32_e64 v14, null, 0, v20, vcc_lo
	s_delay_alu instid0(VALU_DEP_2) | instskip(SKIP_1) | instid1(VALU_DEP_2)
	v_add_co_u32 v15, vcc_lo, v13, v28
	s_wait_alu 0xfffd
	v_add_co_ci_u32_e64 v16, null, 0, v14, vcc_lo
.LBB123_103:
	v_and_b32_e32 v26, 1, v27
	s_wait_dscnt 0x0
	v_cmp_gt_u64_e32 vcc_lo, 0x101, v[9:10]
	v_lshrrev_b32_e32 v23, 16, v27
	v_lshrrev_b32_e32 v24, 8, v27
	s_mov_b32 s1, -1
	v_cmp_eq_u32_e64 s0, 1, v26
	s_cbranch_vccnz .LBB123_107
; %bb.104:
	s_wait_alu 0xfffe
	s_and_b32 vcc_lo, exec_lo, s1
	s_wait_alu 0xfffe
	s_cbranch_vccnz .LBB123_116
.LBB123_105:
	v_cmp_eq_u32_e32 vcc_lo, 0, v0
	s_and_b32 s0, vcc_lo, s16
	s_wait_alu 0xfffe
	s_and_saveexec_b32 s1, s0
	s_cbranch_execnz .LBB123_128
.LBB123_106:
	s_endpgm
.LBB123_107:
	v_add_co_u32 v17, vcc_lo, v11, v9
	s_wait_alu 0xfffd
	v_add_co_ci_u32_e64 v18, null, v12, v10, vcc_lo
	s_delay_alu instid0(VALU_DEP_1)
	v_cmp_lt_u64_e32 vcc_lo, v[21:22], v[17:18]
	s_or_b32 s1, s17, vcc_lo
	s_wait_alu 0xfffe
	s_and_b32 s1, s1, s0
	s_wait_alu 0xfffe
	s_and_saveexec_b32 s0, s1
	s_cbranch_execz .LBB123_109
; %bb.108:
	v_lshlrev_b64_e32 v[27:28], 3, v[21:22]
	s_lshl_b64 s[2:3], s[10:11], 3
	s_wait_kmcnt 0x0
	s_wait_alu 0xfffe
	s_add_nc_u64 s[2:3], s[4:5], s[2:3]
	s_wait_alu 0xfffe
	v_add_co_u32 v27, vcc_lo, s2, v27
	s_wait_alu 0xfffd
	v_add_co_ci_u32_e64 v28, null, s3, v28, vcc_lo
	global_store_b64 v[27:28], v[5:6], off
.LBB123_109:
	s_wait_alu 0xfffe
	s_or_b32 exec_lo, exec_lo, s0
	v_and_b32_e32 v22, 1, v24
	v_cmp_lt_u64_e32 vcc_lo, v[19:20], v[17:18]
	s_delay_alu instid0(VALU_DEP_2)
	v_cmp_eq_u32_e64 s0, 1, v22
	s_or_b32 s1, s17, vcc_lo
	s_wait_alu 0xfffe
	s_and_b32 s1, s1, s0
	s_wait_alu 0xfffe
	s_and_saveexec_b32 s0, s1
	s_cbranch_execz .LBB123_111
; %bb.110:
	v_lshlrev_b64_e32 v[27:28], 3, v[19:20]
	s_lshl_b64 s[2:3], s[10:11], 3
	s_wait_kmcnt 0x0
	s_wait_alu 0xfffe
	s_add_nc_u64 s[2:3], s[4:5], s[2:3]
	s_wait_alu 0xfffe
	v_add_co_u32 v27, vcc_lo, s2, v27
	s_wait_alu 0xfffd
	v_add_co_ci_u32_e64 v28, null, s3, v28, vcc_lo
	global_store_b64 v[27:28], v[7:8], off
.LBB123_111:
	s_wait_alu 0xfffe
	s_or_b32 exec_lo, exec_lo, s0
	v_and_b32_e32 v20, 1, v23
	v_cmp_lt_u64_e32 vcc_lo, v[13:14], v[17:18]
	s_delay_alu instid0(VALU_DEP_2)
	v_cmp_eq_u32_e64 s0, 1, v20
	s_or_b32 s1, s17, vcc_lo
	s_wait_alu 0xfffe
	s_and_b32 s1, s1, s0
	s_wait_alu 0xfffe
	s_and_saveexec_b32 s0, s1
	s_cbranch_execz .LBB123_113
; %bb.112:
	v_lshlrev_b64_e32 v[27:28], 3, v[13:14]
	s_lshl_b64 s[2:3], s[10:11], 3
	s_wait_kmcnt 0x0
	s_wait_alu 0xfffe
	s_add_nc_u64 s[2:3], s[4:5], s[2:3]
	s_wait_alu 0xfffe
	v_add_co_u32 v27, vcc_lo, s2, v27
	s_wait_alu 0xfffd
	v_add_co_ci_u32_e64 v28, null, s3, v28, vcc_lo
	global_store_b64 v[27:28], v[1:2], off
.LBB123_113:
	s_wait_alu 0xfffe
	s_or_b32 exec_lo, exec_lo, s0
	v_and_b32_e32 v14, 1, v25
	v_cmp_lt_u64_e32 vcc_lo, v[15:16], v[17:18]
	s_delay_alu instid0(VALU_DEP_2)
	v_cmp_eq_u32_e64 s0, 1, v14
	s_or_b32 s1, s17, vcc_lo
	s_wait_alu 0xfffe
	s_and_b32 s1, s1, s0
	s_wait_alu 0xfffe
	s_and_saveexec_b32 s0, s1
	s_cbranch_execz .LBB123_115
; %bb.114:
	v_lshlrev_b64_e32 v[16:17], 3, v[15:16]
	s_lshl_b64 s[2:3], s[10:11], 3
	s_wait_kmcnt 0x0
	s_wait_alu 0xfffe
	s_add_nc_u64 s[2:3], s[4:5], s[2:3]
	s_wait_alu 0xfffe
	v_add_co_u32 v16, vcc_lo, s2, v16
	s_wait_alu 0xfffd
	v_add_co_ci_u32_e64 v17, null, s3, v17, vcc_lo
	global_store_b64 v[16:17], v[3:4], off
.LBB123_115:
	s_wait_alu 0xfffe
	s_or_b32 exec_lo, exec_lo, s0
	s_branch .LBB123_105
.LBB123_116:
	s_mov_b32 s0, exec_lo
	v_cmpx_eq_u32_e32 1, v26
; %bb.117:
	v_sub_nc_u32_e32 v14, v21, v11
	s_delay_alu instid0(VALU_DEP_1)
	v_lshlrev_b32_e32 v14, 3, v14
	ds_store_b64 v14, v[5:6]
; %bb.118:
	s_wait_alu 0xfffe
	s_or_b32 exec_lo, exec_lo, s0
	v_and_b32_e32 v5, 1, v24
	s_mov_b32 s0, exec_lo
	s_delay_alu instid0(VALU_DEP_1)
	v_cmpx_eq_u32_e32 1, v5
; %bb.119:
	v_sub_nc_u32_e32 v5, v19, v11
	s_delay_alu instid0(VALU_DEP_1)
	v_lshlrev_b32_e32 v5, 3, v5
	ds_store_b64 v5, v[7:8]
; %bb.120:
	s_wait_alu 0xfffe
	s_or_b32 exec_lo, exec_lo, s0
	v_and_b32_e32 v5, 1, v23
	s_mov_b32 s0, exec_lo
	s_delay_alu instid0(VALU_DEP_1)
	;; [unrolled: 12-line block ×3, first 2 shown]
	v_cmpx_eq_u32_e32 1, v1
; %bb.123:
	v_sub_nc_u32_e32 v1, v15, v11
	s_delay_alu instid0(VALU_DEP_1)
	v_lshlrev_b32_e32 v1, 3, v1
	ds_store_b64 v1, v[3:4]
; %bb.124:
	s_wait_alu 0xfffe
	s_or_b32 exec_lo, exec_lo, s0
	v_mov_b32_e32 v3, 0
	s_mov_b32 s1, exec_lo
	s_wait_storecnt 0x0
	s_wait_loadcnt_dscnt 0x0
	s_barrier_signal -1
	s_barrier_wait -1
	v_mov_b32_e32 v1, v3
	global_inv scope:SCOPE_SE
	v_cmpx_gt_u64_e64 v[9:10], v[0:1]
	s_cbranch_execz .LBB123_127
; %bb.125:
	v_lshlrev_b64_e32 v[4:5], 3, v[11:12]
	s_lshl_b64 s[2:3], s[10:11], 3
	v_or_b32_e32 v2, 0x100, v0
	s_wait_kmcnt 0x0
	s_delay_alu instid0(VALU_DEP_2) | instskip(SKIP_3) | instid1(VALU_DEP_2)
	v_add_co_u32 v4, vcc_lo, s4, v4
	s_wait_alu 0xfffd
	v_add_co_ci_u32_e64 v5, null, s5, v5, vcc_lo
	s_wait_alu 0xfffe
	v_add_co_u32 v6, vcc_lo, v4, s2
	s_wait_alu 0xfffd
	s_delay_alu instid0(VALU_DEP_2)
	v_add_co_ci_u32_e64 v7, null, s3, v5, vcc_lo
	v_dual_mov_b32 v5, v1 :: v_dual_mov_b32 v4, v0
	s_mov_b32 s2, 0
.LBB123_126:                            ; =>This Inner Loop Header: Depth=1
	s_delay_alu instid0(VALU_DEP_1) | instskip(NEXT) | instid1(VALU_DEP_2)
	v_lshlrev_b32_e32 v1, 3, v4
	v_lshlrev_b64_e32 v[15:16], 3, v[4:5]
	v_dual_mov_b32 v5, v3 :: v_dual_mov_b32 v4, v2
	v_cmp_le_u64_e32 vcc_lo, v[9:10], v[2:3]
	ds_load_b64 v[13:14], v1
	v_add_nc_u32_e32 v2, 0x100, v2
	v_add_co_u32 v15, s0, v6, v15
	s_wait_alu 0xf1ff
	v_add_co_ci_u32_e64 v16, null, v7, v16, s0
	s_wait_alu 0xfffe
	s_or_b32 s2, vcc_lo, s2
	s_wait_dscnt 0x0
	global_store_b64 v[15:16], v[13:14], off
	s_wait_alu 0xfffe
	s_and_not1_b32 exec_lo, exec_lo, s2
	s_cbranch_execnz .LBB123_126
.LBB123_127:
	s_wait_alu 0xfffe
	s_or_b32 exec_lo, exec_lo, s1
	v_cmp_eq_u32_e32 vcc_lo, 0, v0
	s_and_b32 s0, vcc_lo, s16
	s_wait_alu 0xfffe
	s_and_saveexec_b32 s1, s0
	s_cbranch_execz .LBB123_106
.LBB123_128:
	v_add_co_u32 v0, vcc_lo, v11, v9
	s_wait_alu 0xfffd
	v_add_co_ci_u32_e64 v1, null, v12, v10, vcc_lo
	v_mov_b32_e32 v2, 0
	s_delay_alu instid0(VALU_DEP_3) | instskip(SKIP_1) | instid1(VALU_DEP_3)
	v_add_co_u32 v0, vcc_lo, v0, s10
	s_wait_alu 0xfffd
	v_add_co_ci_u32_e64 v1, null, s11, v1, vcc_lo
	global_store_b64 v2, v[0:1], s[8:9]
	s_endpgm
.LBB123_129:
	global_load_u8 v14, v0, s[2:3] offset:256
	s_wait_loadcnt 0x0
	v_cmp_ne_u16_e32 vcc_lo, 0, v14
	s_wait_alu 0xfffd
	v_cndmask_b32_e64 v14, 0, 1, vcc_lo
	s_delay_alu instid0(VALU_DEP_1) | instskip(NEXT) | instid1(VALU_DEP_1)
	v_lshlrev_b16 v14, 8, v14
	v_or_b32_e32 v12, v12, v14
	s_delay_alu instid0(VALU_DEP_1) | instskip(SKIP_2) | instid1(SALU_CYCLE_1)
	v_and_b32_e32 v12, 0xffff, v12
	s_wait_alu 0xfffe
	s_or_b32 exec_lo, exec_lo, s4
	s_mov_b32 s4, exec_lo
	v_cmpx_gt_u32_e64 s18, v9
	s_cbranch_execz .LBB123_12
.LBB123_130:
	global_load_u8 v14, v0, s[2:3] offset:512
	s_wait_loadcnt 0x0
	v_cmp_ne_u16_e32 vcc_lo, 0, v14
	s_wait_alu 0xfffd
	v_cndmask_b32_e64 v14, 0, 1, vcc_lo
	s_delay_alu instid0(VALU_DEP_1) | instskip(SKIP_2) | instid1(SALU_CYCLE_1)
	v_lshl_or_b32 v12, v14, 16, v12
	s_wait_alu 0xfffe
	s_or_b32 exec_lo, exec_lo, s4
	s_mov_b32 s4, exec_lo
	v_cmpx_gt_u32_e64 s18, v10
	s_cbranch_execnz .LBB123_13
	s_branch .LBB123_14
	.section	.rodata,"a",@progbits
	.p2align	6, 0x0
	.amdhsa_kernel _ZN7rocprim17ROCPRIM_400000_NS6detail17trampoline_kernelINS0_14default_configENS1_25partition_config_selectorILNS1_17partition_subalgoE5ElNS0_10empty_typeEbEEZZNS1_14partition_implILS5_5ELb0ES3_mN6hipcub16HIPCUB_304000_NS21CountingInputIteratorIllEEPS6_NSA_22TransformInputIteratorIbN2at6native12_GLOBAL__N_19NonZeroOpIaEEPKalEENS0_5tupleIJPlS6_EEENSN_IJSD_SD_EEES6_PiJS6_EEE10hipError_tPvRmT3_T4_T5_T6_T7_T9_mT8_P12ihipStream_tbDpT10_ENKUlT_T0_E_clISt17integral_constantIbLb0EES1B_EEDaS16_S17_EUlS16_E_NS1_11comp_targetILNS1_3genE10ELNS1_11target_archE1200ELNS1_3gpuE4ELNS1_3repE0EEENS1_30default_config_static_selectorELNS0_4arch9wavefront6targetE0EEEvT1_
		.amdhsa_group_segment_fixed_size 8464
		.amdhsa_private_segment_fixed_size 0
		.amdhsa_kernarg_size 120
		.amdhsa_user_sgpr_count 2
		.amdhsa_user_sgpr_dispatch_ptr 0
		.amdhsa_user_sgpr_queue_ptr 0
		.amdhsa_user_sgpr_kernarg_segment_ptr 1
		.amdhsa_user_sgpr_dispatch_id 0
		.amdhsa_user_sgpr_private_segment_size 0
		.amdhsa_wavefront_size32 1
		.amdhsa_uses_dynamic_stack 0
		.amdhsa_enable_private_segment 0
		.amdhsa_system_sgpr_workgroup_id_x 1
		.amdhsa_system_sgpr_workgroup_id_y 0
		.amdhsa_system_sgpr_workgroup_id_z 0
		.amdhsa_system_sgpr_workgroup_info 0
		.amdhsa_system_vgpr_workitem_id 0
		.amdhsa_next_free_vgpr 46
		.amdhsa_next_free_sgpr 20
		.amdhsa_reserve_vcc 1
		.amdhsa_float_round_mode_32 0
		.amdhsa_float_round_mode_16_64 0
		.amdhsa_float_denorm_mode_32 3
		.amdhsa_float_denorm_mode_16_64 3
		.amdhsa_fp16_overflow 0
		.amdhsa_workgroup_processor_mode 1
		.amdhsa_memory_ordered 1
		.amdhsa_forward_progress 1
		.amdhsa_inst_pref_size 54
		.amdhsa_round_robin_scheduling 0
		.amdhsa_exception_fp_ieee_invalid_op 0
		.amdhsa_exception_fp_denorm_src 0
		.amdhsa_exception_fp_ieee_div_zero 0
		.amdhsa_exception_fp_ieee_overflow 0
		.amdhsa_exception_fp_ieee_underflow 0
		.amdhsa_exception_fp_ieee_inexact 0
		.amdhsa_exception_int_div_zero 0
	.end_amdhsa_kernel
	.section	.text._ZN7rocprim17ROCPRIM_400000_NS6detail17trampoline_kernelINS0_14default_configENS1_25partition_config_selectorILNS1_17partition_subalgoE5ElNS0_10empty_typeEbEEZZNS1_14partition_implILS5_5ELb0ES3_mN6hipcub16HIPCUB_304000_NS21CountingInputIteratorIllEEPS6_NSA_22TransformInputIteratorIbN2at6native12_GLOBAL__N_19NonZeroOpIaEEPKalEENS0_5tupleIJPlS6_EEENSN_IJSD_SD_EEES6_PiJS6_EEE10hipError_tPvRmT3_T4_T5_T6_T7_T9_mT8_P12ihipStream_tbDpT10_ENKUlT_T0_E_clISt17integral_constantIbLb0EES1B_EEDaS16_S17_EUlS16_E_NS1_11comp_targetILNS1_3genE10ELNS1_11target_archE1200ELNS1_3gpuE4ELNS1_3repE0EEENS1_30default_config_static_selectorELNS0_4arch9wavefront6targetE0EEEvT1_,"axG",@progbits,_ZN7rocprim17ROCPRIM_400000_NS6detail17trampoline_kernelINS0_14default_configENS1_25partition_config_selectorILNS1_17partition_subalgoE5ElNS0_10empty_typeEbEEZZNS1_14partition_implILS5_5ELb0ES3_mN6hipcub16HIPCUB_304000_NS21CountingInputIteratorIllEEPS6_NSA_22TransformInputIteratorIbN2at6native12_GLOBAL__N_19NonZeroOpIaEEPKalEENS0_5tupleIJPlS6_EEENSN_IJSD_SD_EEES6_PiJS6_EEE10hipError_tPvRmT3_T4_T5_T6_T7_T9_mT8_P12ihipStream_tbDpT10_ENKUlT_T0_E_clISt17integral_constantIbLb0EES1B_EEDaS16_S17_EUlS16_E_NS1_11comp_targetILNS1_3genE10ELNS1_11target_archE1200ELNS1_3gpuE4ELNS1_3repE0EEENS1_30default_config_static_selectorELNS0_4arch9wavefront6targetE0EEEvT1_,comdat
.Lfunc_end123:
	.size	_ZN7rocprim17ROCPRIM_400000_NS6detail17trampoline_kernelINS0_14default_configENS1_25partition_config_selectorILNS1_17partition_subalgoE5ElNS0_10empty_typeEbEEZZNS1_14partition_implILS5_5ELb0ES3_mN6hipcub16HIPCUB_304000_NS21CountingInputIteratorIllEEPS6_NSA_22TransformInputIteratorIbN2at6native12_GLOBAL__N_19NonZeroOpIaEEPKalEENS0_5tupleIJPlS6_EEENSN_IJSD_SD_EEES6_PiJS6_EEE10hipError_tPvRmT3_T4_T5_T6_T7_T9_mT8_P12ihipStream_tbDpT10_ENKUlT_T0_E_clISt17integral_constantIbLb0EES1B_EEDaS16_S17_EUlS16_E_NS1_11comp_targetILNS1_3genE10ELNS1_11target_archE1200ELNS1_3gpuE4ELNS1_3repE0EEENS1_30default_config_static_selectorELNS0_4arch9wavefront6targetE0EEEvT1_, .Lfunc_end123-_ZN7rocprim17ROCPRIM_400000_NS6detail17trampoline_kernelINS0_14default_configENS1_25partition_config_selectorILNS1_17partition_subalgoE5ElNS0_10empty_typeEbEEZZNS1_14partition_implILS5_5ELb0ES3_mN6hipcub16HIPCUB_304000_NS21CountingInputIteratorIllEEPS6_NSA_22TransformInputIteratorIbN2at6native12_GLOBAL__N_19NonZeroOpIaEEPKalEENS0_5tupleIJPlS6_EEENSN_IJSD_SD_EEES6_PiJS6_EEE10hipError_tPvRmT3_T4_T5_T6_T7_T9_mT8_P12ihipStream_tbDpT10_ENKUlT_T0_E_clISt17integral_constantIbLb0EES1B_EEDaS16_S17_EUlS16_E_NS1_11comp_targetILNS1_3genE10ELNS1_11target_archE1200ELNS1_3gpuE4ELNS1_3repE0EEENS1_30default_config_static_selectorELNS0_4arch9wavefront6targetE0EEEvT1_
                                        ; -- End function
	.set _ZN7rocprim17ROCPRIM_400000_NS6detail17trampoline_kernelINS0_14default_configENS1_25partition_config_selectorILNS1_17partition_subalgoE5ElNS0_10empty_typeEbEEZZNS1_14partition_implILS5_5ELb0ES3_mN6hipcub16HIPCUB_304000_NS21CountingInputIteratorIllEEPS6_NSA_22TransformInputIteratorIbN2at6native12_GLOBAL__N_19NonZeroOpIaEEPKalEENS0_5tupleIJPlS6_EEENSN_IJSD_SD_EEES6_PiJS6_EEE10hipError_tPvRmT3_T4_T5_T6_T7_T9_mT8_P12ihipStream_tbDpT10_ENKUlT_T0_E_clISt17integral_constantIbLb0EES1B_EEDaS16_S17_EUlS16_E_NS1_11comp_targetILNS1_3genE10ELNS1_11target_archE1200ELNS1_3gpuE4ELNS1_3repE0EEENS1_30default_config_static_selectorELNS0_4arch9wavefront6targetE0EEEvT1_.num_vgpr, 46
	.set _ZN7rocprim17ROCPRIM_400000_NS6detail17trampoline_kernelINS0_14default_configENS1_25partition_config_selectorILNS1_17partition_subalgoE5ElNS0_10empty_typeEbEEZZNS1_14partition_implILS5_5ELb0ES3_mN6hipcub16HIPCUB_304000_NS21CountingInputIteratorIllEEPS6_NSA_22TransformInputIteratorIbN2at6native12_GLOBAL__N_19NonZeroOpIaEEPKalEENS0_5tupleIJPlS6_EEENSN_IJSD_SD_EEES6_PiJS6_EEE10hipError_tPvRmT3_T4_T5_T6_T7_T9_mT8_P12ihipStream_tbDpT10_ENKUlT_T0_E_clISt17integral_constantIbLb0EES1B_EEDaS16_S17_EUlS16_E_NS1_11comp_targetILNS1_3genE10ELNS1_11target_archE1200ELNS1_3gpuE4ELNS1_3repE0EEENS1_30default_config_static_selectorELNS0_4arch9wavefront6targetE0EEEvT1_.num_agpr, 0
	.set _ZN7rocprim17ROCPRIM_400000_NS6detail17trampoline_kernelINS0_14default_configENS1_25partition_config_selectorILNS1_17partition_subalgoE5ElNS0_10empty_typeEbEEZZNS1_14partition_implILS5_5ELb0ES3_mN6hipcub16HIPCUB_304000_NS21CountingInputIteratorIllEEPS6_NSA_22TransformInputIteratorIbN2at6native12_GLOBAL__N_19NonZeroOpIaEEPKalEENS0_5tupleIJPlS6_EEENSN_IJSD_SD_EEES6_PiJS6_EEE10hipError_tPvRmT3_T4_T5_T6_T7_T9_mT8_P12ihipStream_tbDpT10_ENKUlT_T0_E_clISt17integral_constantIbLb0EES1B_EEDaS16_S17_EUlS16_E_NS1_11comp_targetILNS1_3genE10ELNS1_11target_archE1200ELNS1_3gpuE4ELNS1_3repE0EEENS1_30default_config_static_selectorELNS0_4arch9wavefront6targetE0EEEvT1_.numbered_sgpr, 20
	.set _ZN7rocprim17ROCPRIM_400000_NS6detail17trampoline_kernelINS0_14default_configENS1_25partition_config_selectorILNS1_17partition_subalgoE5ElNS0_10empty_typeEbEEZZNS1_14partition_implILS5_5ELb0ES3_mN6hipcub16HIPCUB_304000_NS21CountingInputIteratorIllEEPS6_NSA_22TransformInputIteratorIbN2at6native12_GLOBAL__N_19NonZeroOpIaEEPKalEENS0_5tupleIJPlS6_EEENSN_IJSD_SD_EEES6_PiJS6_EEE10hipError_tPvRmT3_T4_T5_T6_T7_T9_mT8_P12ihipStream_tbDpT10_ENKUlT_T0_E_clISt17integral_constantIbLb0EES1B_EEDaS16_S17_EUlS16_E_NS1_11comp_targetILNS1_3genE10ELNS1_11target_archE1200ELNS1_3gpuE4ELNS1_3repE0EEENS1_30default_config_static_selectorELNS0_4arch9wavefront6targetE0EEEvT1_.num_named_barrier, 0
	.set _ZN7rocprim17ROCPRIM_400000_NS6detail17trampoline_kernelINS0_14default_configENS1_25partition_config_selectorILNS1_17partition_subalgoE5ElNS0_10empty_typeEbEEZZNS1_14partition_implILS5_5ELb0ES3_mN6hipcub16HIPCUB_304000_NS21CountingInputIteratorIllEEPS6_NSA_22TransformInputIteratorIbN2at6native12_GLOBAL__N_19NonZeroOpIaEEPKalEENS0_5tupleIJPlS6_EEENSN_IJSD_SD_EEES6_PiJS6_EEE10hipError_tPvRmT3_T4_T5_T6_T7_T9_mT8_P12ihipStream_tbDpT10_ENKUlT_T0_E_clISt17integral_constantIbLb0EES1B_EEDaS16_S17_EUlS16_E_NS1_11comp_targetILNS1_3genE10ELNS1_11target_archE1200ELNS1_3gpuE4ELNS1_3repE0EEENS1_30default_config_static_selectorELNS0_4arch9wavefront6targetE0EEEvT1_.private_seg_size, 0
	.set _ZN7rocprim17ROCPRIM_400000_NS6detail17trampoline_kernelINS0_14default_configENS1_25partition_config_selectorILNS1_17partition_subalgoE5ElNS0_10empty_typeEbEEZZNS1_14partition_implILS5_5ELb0ES3_mN6hipcub16HIPCUB_304000_NS21CountingInputIteratorIllEEPS6_NSA_22TransformInputIteratorIbN2at6native12_GLOBAL__N_19NonZeroOpIaEEPKalEENS0_5tupleIJPlS6_EEENSN_IJSD_SD_EEES6_PiJS6_EEE10hipError_tPvRmT3_T4_T5_T6_T7_T9_mT8_P12ihipStream_tbDpT10_ENKUlT_T0_E_clISt17integral_constantIbLb0EES1B_EEDaS16_S17_EUlS16_E_NS1_11comp_targetILNS1_3genE10ELNS1_11target_archE1200ELNS1_3gpuE4ELNS1_3repE0EEENS1_30default_config_static_selectorELNS0_4arch9wavefront6targetE0EEEvT1_.uses_vcc, 1
	.set _ZN7rocprim17ROCPRIM_400000_NS6detail17trampoline_kernelINS0_14default_configENS1_25partition_config_selectorILNS1_17partition_subalgoE5ElNS0_10empty_typeEbEEZZNS1_14partition_implILS5_5ELb0ES3_mN6hipcub16HIPCUB_304000_NS21CountingInputIteratorIllEEPS6_NSA_22TransformInputIteratorIbN2at6native12_GLOBAL__N_19NonZeroOpIaEEPKalEENS0_5tupleIJPlS6_EEENSN_IJSD_SD_EEES6_PiJS6_EEE10hipError_tPvRmT3_T4_T5_T6_T7_T9_mT8_P12ihipStream_tbDpT10_ENKUlT_T0_E_clISt17integral_constantIbLb0EES1B_EEDaS16_S17_EUlS16_E_NS1_11comp_targetILNS1_3genE10ELNS1_11target_archE1200ELNS1_3gpuE4ELNS1_3repE0EEENS1_30default_config_static_selectorELNS0_4arch9wavefront6targetE0EEEvT1_.uses_flat_scratch, 0
	.set _ZN7rocprim17ROCPRIM_400000_NS6detail17trampoline_kernelINS0_14default_configENS1_25partition_config_selectorILNS1_17partition_subalgoE5ElNS0_10empty_typeEbEEZZNS1_14partition_implILS5_5ELb0ES3_mN6hipcub16HIPCUB_304000_NS21CountingInputIteratorIllEEPS6_NSA_22TransformInputIteratorIbN2at6native12_GLOBAL__N_19NonZeroOpIaEEPKalEENS0_5tupleIJPlS6_EEENSN_IJSD_SD_EEES6_PiJS6_EEE10hipError_tPvRmT3_T4_T5_T6_T7_T9_mT8_P12ihipStream_tbDpT10_ENKUlT_T0_E_clISt17integral_constantIbLb0EES1B_EEDaS16_S17_EUlS16_E_NS1_11comp_targetILNS1_3genE10ELNS1_11target_archE1200ELNS1_3gpuE4ELNS1_3repE0EEENS1_30default_config_static_selectorELNS0_4arch9wavefront6targetE0EEEvT1_.has_dyn_sized_stack, 0
	.set _ZN7rocprim17ROCPRIM_400000_NS6detail17trampoline_kernelINS0_14default_configENS1_25partition_config_selectorILNS1_17partition_subalgoE5ElNS0_10empty_typeEbEEZZNS1_14partition_implILS5_5ELb0ES3_mN6hipcub16HIPCUB_304000_NS21CountingInputIteratorIllEEPS6_NSA_22TransformInputIteratorIbN2at6native12_GLOBAL__N_19NonZeroOpIaEEPKalEENS0_5tupleIJPlS6_EEENSN_IJSD_SD_EEES6_PiJS6_EEE10hipError_tPvRmT3_T4_T5_T6_T7_T9_mT8_P12ihipStream_tbDpT10_ENKUlT_T0_E_clISt17integral_constantIbLb0EES1B_EEDaS16_S17_EUlS16_E_NS1_11comp_targetILNS1_3genE10ELNS1_11target_archE1200ELNS1_3gpuE4ELNS1_3repE0EEENS1_30default_config_static_selectorELNS0_4arch9wavefront6targetE0EEEvT1_.has_recursion, 0
	.set _ZN7rocprim17ROCPRIM_400000_NS6detail17trampoline_kernelINS0_14default_configENS1_25partition_config_selectorILNS1_17partition_subalgoE5ElNS0_10empty_typeEbEEZZNS1_14partition_implILS5_5ELb0ES3_mN6hipcub16HIPCUB_304000_NS21CountingInputIteratorIllEEPS6_NSA_22TransformInputIteratorIbN2at6native12_GLOBAL__N_19NonZeroOpIaEEPKalEENS0_5tupleIJPlS6_EEENSN_IJSD_SD_EEES6_PiJS6_EEE10hipError_tPvRmT3_T4_T5_T6_T7_T9_mT8_P12ihipStream_tbDpT10_ENKUlT_T0_E_clISt17integral_constantIbLb0EES1B_EEDaS16_S17_EUlS16_E_NS1_11comp_targetILNS1_3genE10ELNS1_11target_archE1200ELNS1_3gpuE4ELNS1_3repE0EEENS1_30default_config_static_selectorELNS0_4arch9wavefront6targetE0EEEvT1_.has_indirect_call, 0
	.section	.AMDGPU.csdata,"",@progbits
; Kernel info:
; codeLenInByte = 6796
; TotalNumSgprs: 22
; NumVgprs: 46
; ScratchSize: 0
; MemoryBound: 0
; FloatMode: 240
; IeeeMode: 1
; LDSByteSize: 8464 bytes/workgroup (compile time only)
; SGPRBlocks: 0
; VGPRBlocks: 5
; NumSGPRsForWavesPerEU: 22
; NumVGPRsForWavesPerEU: 46
; Occupancy: 16
; WaveLimiterHint : 1
; COMPUTE_PGM_RSRC2:SCRATCH_EN: 0
; COMPUTE_PGM_RSRC2:USER_SGPR: 2
; COMPUTE_PGM_RSRC2:TRAP_HANDLER: 0
; COMPUTE_PGM_RSRC2:TGID_X_EN: 1
; COMPUTE_PGM_RSRC2:TGID_Y_EN: 0
; COMPUTE_PGM_RSRC2:TGID_Z_EN: 0
; COMPUTE_PGM_RSRC2:TIDIG_COMP_CNT: 0
	.section	.text._ZN7rocprim17ROCPRIM_400000_NS6detail17trampoline_kernelINS0_14default_configENS1_25partition_config_selectorILNS1_17partition_subalgoE5ElNS0_10empty_typeEbEEZZNS1_14partition_implILS5_5ELb0ES3_mN6hipcub16HIPCUB_304000_NS21CountingInputIteratorIllEEPS6_NSA_22TransformInputIteratorIbN2at6native12_GLOBAL__N_19NonZeroOpIaEEPKalEENS0_5tupleIJPlS6_EEENSN_IJSD_SD_EEES6_PiJS6_EEE10hipError_tPvRmT3_T4_T5_T6_T7_T9_mT8_P12ihipStream_tbDpT10_ENKUlT_T0_E_clISt17integral_constantIbLb0EES1B_EEDaS16_S17_EUlS16_E_NS1_11comp_targetILNS1_3genE9ELNS1_11target_archE1100ELNS1_3gpuE3ELNS1_3repE0EEENS1_30default_config_static_selectorELNS0_4arch9wavefront6targetE0EEEvT1_,"axG",@progbits,_ZN7rocprim17ROCPRIM_400000_NS6detail17trampoline_kernelINS0_14default_configENS1_25partition_config_selectorILNS1_17partition_subalgoE5ElNS0_10empty_typeEbEEZZNS1_14partition_implILS5_5ELb0ES3_mN6hipcub16HIPCUB_304000_NS21CountingInputIteratorIllEEPS6_NSA_22TransformInputIteratorIbN2at6native12_GLOBAL__N_19NonZeroOpIaEEPKalEENS0_5tupleIJPlS6_EEENSN_IJSD_SD_EEES6_PiJS6_EEE10hipError_tPvRmT3_T4_T5_T6_T7_T9_mT8_P12ihipStream_tbDpT10_ENKUlT_T0_E_clISt17integral_constantIbLb0EES1B_EEDaS16_S17_EUlS16_E_NS1_11comp_targetILNS1_3genE9ELNS1_11target_archE1100ELNS1_3gpuE3ELNS1_3repE0EEENS1_30default_config_static_selectorELNS0_4arch9wavefront6targetE0EEEvT1_,comdat
	.globl	_ZN7rocprim17ROCPRIM_400000_NS6detail17trampoline_kernelINS0_14default_configENS1_25partition_config_selectorILNS1_17partition_subalgoE5ElNS0_10empty_typeEbEEZZNS1_14partition_implILS5_5ELb0ES3_mN6hipcub16HIPCUB_304000_NS21CountingInputIteratorIllEEPS6_NSA_22TransformInputIteratorIbN2at6native12_GLOBAL__N_19NonZeroOpIaEEPKalEENS0_5tupleIJPlS6_EEENSN_IJSD_SD_EEES6_PiJS6_EEE10hipError_tPvRmT3_T4_T5_T6_T7_T9_mT8_P12ihipStream_tbDpT10_ENKUlT_T0_E_clISt17integral_constantIbLb0EES1B_EEDaS16_S17_EUlS16_E_NS1_11comp_targetILNS1_3genE9ELNS1_11target_archE1100ELNS1_3gpuE3ELNS1_3repE0EEENS1_30default_config_static_selectorELNS0_4arch9wavefront6targetE0EEEvT1_ ; -- Begin function _ZN7rocprim17ROCPRIM_400000_NS6detail17trampoline_kernelINS0_14default_configENS1_25partition_config_selectorILNS1_17partition_subalgoE5ElNS0_10empty_typeEbEEZZNS1_14partition_implILS5_5ELb0ES3_mN6hipcub16HIPCUB_304000_NS21CountingInputIteratorIllEEPS6_NSA_22TransformInputIteratorIbN2at6native12_GLOBAL__N_19NonZeroOpIaEEPKalEENS0_5tupleIJPlS6_EEENSN_IJSD_SD_EEES6_PiJS6_EEE10hipError_tPvRmT3_T4_T5_T6_T7_T9_mT8_P12ihipStream_tbDpT10_ENKUlT_T0_E_clISt17integral_constantIbLb0EES1B_EEDaS16_S17_EUlS16_E_NS1_11comp_targetILNS1_3genE9ELNS1_11target_archE1100ELNS1_3gpuE3ELNS1_3repE0EEENS1_30default_config_static_selectorELNS0_4arch9wavefront6targetE0EEEvT1_
	.p2align	8
	.type	_ZN7rocprim17ROCPRIM_400000_NS6detail17trampoline_kernelINS0_14default_configENS1_25partition_config_selectorILNS1_17partition_subalgoE5ElNS0_10empty_typeEbEEZZNS1_14partition_implILS5_5ELb0ES3_mN6hipcub16HIPCUB_304000_NS21CountingInputIteratorIllEEPS6_NSA_22TransformInputIteratorIbN2at6native12_GLOBAL__N_19NonZeroOpIaEEPKalEENS0_5tupleIJPlS6_EEENSN_IJSD_SD_EEES6_PiJS6_EEE10hipError_tPvRmT3_T4_T5_T6_T7_T9_mT8_P12ihipStream_tbDpT10_ENKUlT_T0_E_clISt17integral_constantIbLb0EES1B_EEDaS16_S17_EUlS16_E_NS1_11comp_targetILNS1_3genE9ELNS1_11target_archE1100ELNS1_3gpuE3ELNS1_3repE0EEENS1_30default_config_static_selectorELNS0_4arch9wavefront6targetE0EEEvT1_,@function
_ZN7rocprim17ROCPRIM_400000_NS6detail17trampoline_kernelINS0_14default_configENS1_25partition_config_selectorILNS1_17partition_subalgoE5ElNS0_10empty_typeEbEEZZNS1_14partition_implILS5_5ELb0ES3_mN6hipcub16HIPCUB_304000_NS21CountingInputIteratorIllEEPS6_NSA_22TransformInputIteratorIbN2at6native12_GLOBAL__N_19NonZeroOpIaEEPKalEENS0_5tupleIJPlS6_EEENSN_IJSD_SD_EEES6_PiJS6_EEE10hipError_tPvRmT3_T4_T5_T6_T7_T9_mT8_P12ihipStream_tbDpT10_ENKUlT_T0_E_clISt17integral_constantIbLb0EES1B_EEDaS16_S17_EUlS16_E_NS1_11comp_targetILNS1_3genE9ELNS1_11target_archE1100ELNS1_3gpuE3ELNS1_3repE0EEENS1_30default_config_static_selectorELNS0_4arch9wavefront6targetE0EEEvT1_: ; @_ZN7rocprim17ROCPRIM_400000_NS6detail17trampoline_kernelINS0_14default_configENS1_25partition_config_selectorILNS1_17partition_subalgoE5ElNS0_10empty_typeEbEEZZNS1_14partition_implILS5_5ELb0ES3_mN6hipcub16HIPCUB_304000_NS21CountingInputIteratorIllEEPS6_NSA_22TransformInputIteratorIbN2at6native12_GLOBAL__N_19NonZeroOpIaEEPKalEENS0_5tupleIJPlS6_EEENSN_IJSD_SD_EEES6_PiJS6_EEE10hipError_tPvRmT3_T4_T5_T6_T7_T9_mT8_P12ihipStream_tbDpT10_ENKUlT_T0_E_clISt17integral_constantIbLb0EES1B_EEDaS16_S17_EUlS16_E_NS1_11comp_targetILNS1_3genE9ELNS1_11target_archE1100ELNS1_3gpuE3ELNS1_3repE0EEENS1_30default_config_static_selectorELNS0_4arch9wavefront6targetE0EEEvT1_
; %bb.0:
	.section	.rodata,"a",@progbits
	.p2align	6, 0x0
	.amdhsa_kernel _ZN7rocprim17ROCPRIM_400000_NS6detail17trampoline_kernelINS0_14default_configENS1_25partition_config_selectorILNS1_17partition_subalgoE5ElNS0_10empty_typeEbEEZZNS1_14partition_implILS5_5ELb0ES3_mN6hipcub16HIPCUB_304000_NS21CountingInputIteratorIllEEPS6_NSA_22TransformInputIteratorIbN2at6native12_GLOBAL__N_19NonZeroOpIaEEPKalEENS0_5tupleIJPlS6_EEENSN_IJSD_SD_EEES6_PiJS6_EEE10hipError_tPvRmT3_T4_T5_T6_T7_T9_mT8_P12ihipStream_tbDpT10_ENKUlT_T0_E_clISt17integral_constantIbLb0EES1B_EEDaS16_S17_EUlS16_E_NS1_11comp_targetILNS1_3genE9ELNS1_11target_archE1100ELNS1_3gpuE3ELNS1_3repE0EEENS1_30default_config_static_selectorELNS0_4arch9wavefront6targetE0EEEvT1_
		.amdhsa_group_segment_fixed_size 0
		.amdhsa_private_segment_fixed_size 0
		.amdhsa_kernarg_size 120
		.amdhsa_user_sgpr_count 2
		.amdhsa_user_sgpr_dispatch_ptr 0
		.amdhsa_user_sgpr_queue_ptr 0
		.amdhsa_user_sgpr_kernarg_segment_ptr 1
		.amdhsa_user_sgpr_dispatch_id 0
		.amdhsa_user_sgpr_private_segment_size 0
		.amdhsa_wavefront_size32 1
		.amdhsa_uses_dynamic_stack 0
		.amdhsa_enable_private_segment 0
		.amdhsa_system_sgpr_workgroup_id_x 1
		.amdhsa_system_sgpr_workgroup_id_y 0
		.amdhsa_system_sgpr_workgroup_id_z 0
		.amdhsa_system_sgpr_workgroup_info 0
		.amdhsa_system_vgpr_workitem_id 0
		.amdhsa_next_free_vgpr 1
		.amdhsa_next_free_sgpr 1
		.amdhsa_reserve_vcc 0
		.amdhsa_float_round_mode_32 0
		.amdhsa_float_round_mode_16_64 0
		.amdhsa_float_denorm_mode_32 3
		.amdhsa_float_denorm_mode_16_64 3
		.amdhsa_fp16_overflow 0
		.amdhsa_workgroup_processor_mode 1
		.amdhsa_memory_ordered 1
		.amdhsa_forward_progress 1
		.amdhsa_inst_pref_size 0
		.amdhsa_round_robin_scheduling 0
		.amdhsa_exception_fp_ieee_invalid_op 0
		.amdhsa_exception_fp_denorm_src 0
		.amdhsa_exception_fp_ieee_div_zero 0
		.amdhsa_exception_fp_ieee_overflow 0
		.amdhsa_exception_fp_ieee_underflow 0
		.amdhsa_exception_fp_ieee_inexact 0
		.amdhsa_exception_int_div_zero 0
	.end_amdhsa_kernel
	.section	.text._ZN7rocprim17ROCPRIM_400000_NS6detail17trampoline_kernelINS0_14default_configENS1_25partition_config_selectorILNS1_17partition_subalgoE5ElNS0_10empty_typeEbEEZZNS1_14partition_implILS5_5ELb0ES3_mN6hipcub16HIPCUB_304000_NS21CountingInputIteratorIllEEPS6_NSA_22TransformInputIteratorIbN2at6native12_GLOBAL__N_19NonZeroOpIaEEPKalEENS0_5tupleIJPlS6_EEENSN_IJSD_SD_EEES6_PiJS6_EEE10hipError_tPvRmT3_T4_T5_T6_T7_T9_mT8_P12ihipStream_tbDpT10_ENKUlT_T0_E_clISt17integral_constantIbLb0EES1B_EEDaS16_S17_EUlS16_E_NS1_11comp_targetILNS1_3genE9ELNS1_11target_archE1100ELNS1_3gpuE3ELNS1_3repE0EEENS1_30default_config_static_selectorELNS0_4arch9wavefront6targetE0EEEvT1_,"axG",@progbits,_ZN7rocprim17ROCPRIM_400000_NS6detail17trampoline_kernelINS0_14default_configENS1_25partition_config_selectorILNS1_17partition_subalgoE5ElNS0_10empty_typeEbEEZZNS1_14partition_implILS5_5ELb0ES3_mN6hipcub16HIPCUB_304000_NS21CountingInputIteratorIllEEPS6_NSA_22TransformInputIteratorIbN2at6native12_GLOBAL__N_19NonZeroOpIaEEPKalEENS0_5tupleIJPlS6_EEENSN_IJSD_SD_EEES6_PiJS6_EEE10hipError_tPvRmT3_T4_T5_T6_T7_T9_mT8_P12ihipStream_tbDpT10_ENKUlT_T0_E_clISt17integral_constantIbLb0EES1B_EEDaS16_S17_EUlS16_E_NS1_11comp_targetILNS1_3genE9ELNS1_11target_archE1100ELNS1_3gpuE3ELNS1_3repE0EEENS1_30default_config_static_selectorELNS0_4arch9wavefront6targetE0EEEvT1_,comdat
.Lfunc_end124:
	.size	_ZN7rocprim17ROCPRIM_400000_NS6detail17trampoline_kernelINS0_14default_configENS1_25partition_config_selectorILNS1_17partition_subalgoE5ElNS0_10empty_typeEbEEZZNS1_14partition_implILS5_5ELb0ES3_mN6hipcub16HIPCUB_304000_NS21CountingInputIteratorIllEEPS6_NSA_22TransformInputIteratorIbN2at6native12_GLOBAL__N_19NonZeroOpIaEEPKalEENS0_5tupleIJPlS6_EEENSN_IJSD_SD_EEES6_PiJS6_EEE10hipError_tPvRmT3_T4_T5_T6_T7_T9_mT8_P12ihipStream_tbDpT10_ENKUlT_T0_E_clISt17integral_constantIbLb0EES1B_EEDaS16_S17_EUlS16_E_NS1_11comp_targetILNS1_3genE9ELNS1_11target_archE1100ELNS1_3gpuE3ELNS1_3repE0EEENS1_30default_config_static_selectorELNS0_4arch9wavefront6targetE0EEEvT1_, .Lfunc_end124-_ZN7rocprim17ROCPRIM_400000_NS6detail17trampoline_kernelINS0_14default_configENS1_25partition_config_selectorILNS1_17partition_subalgoE5ElNS0_10empty_typeEbEEZZNS1_14partition_implILS5_5ELb0ES3_mN6hipcub16HIPCUB_304000_NS21CountingInputIteratorIllEEPS6_NSA_22TransformInputIteratorIbN2at6native12_GLOBAL__N_19NonZeroOpIaEEPKalEENS0_5tupleIJPlS6_EEENSN_IJSD_SD_EEES6_PiJS6_EEE10hipError_tPvRmT3_T4_T5_T6_T7_T9_mT8_P12ihipStream_tbDpT10_ENKUlT_T0_E_clISt17integral_constantIbLb0EES1B_EEDaS16_S17_EUlS16_E_NS1_11comp_targetILNS1_3genE9ELNS1_11target_archE1100ELNS1_3gpuE3ELNS1_3repE0EEENS1_30default_config_static_selectorELNS0_4arch9wavefront6targetE0EEEvT1_
                                        ; -- End function
	.set _ZN7rocprim17ROCPRIM_400000_NS6detail17trampoline_kernelINS0_14default_configENS1_25partition_config_selectorILNS1_17partition_subalgoE5ElNS0_10empty_typeEbEEZZNS1_14partition_implILS5_5ELb0ES3_mN6hipcub16HIPCUB_304000_NS21CountingInputIteratorIllEEPS6_NSA_22TransformInputIteratorIbN2at6native12_GLOBAL__N_19NonZeroOpIaEEPKalEENS0_5tupleIJPlS6_EEENSN_IJSD_SD_EEES6_PiJS6_EEE10hipError_tPvRmT3_T4_T5_T6_T7_T9_mT8_P12ihipStream_tbDpT10_ENKUlT_T0_E_clISt17integral_constantIbLb0EES1B_EEDaS16_S17_EUlS16_E_NS1_11comp_targetILNS1_3genE9ELNS1_11target_archE1100ELNS1_3gpuE3ELNS1_3repE0EEENS1_30default_config_static_selectorELNS0_4arch9wavefront6targetE0EEEvT1_.num_vgpr, 0
	.set _ZN7rocprim17ROCPRIM_400000_NS6detail17trampoline_kernelINS0_14default_configENS1_25partition_config_selectorILNS1_17partition_subalgoE5ElNS0_10empty_typeEbEEZZNS1_14partition_implILS5_5ELb0ES3_mN6hipcub16HIPCUB_304000_NS21CountingInputIteratorIllEEPS6_NSA_22TransformInputIteratorIbN2at6native12_GLOBAL__N_19NonZeroOpIaEEPKalEENS0_5tupleIJPlS6_EEENSN_IJSD_SD_EEES6_PiJS6_EEE10hipError_tPvRmT3_T4_T5_T6_T7_T9_mT8_P12ihipStream_tbDpT10_ENKUlT_T0_E_clISt17integral_constantIbLb0EES1B_EEDaS16_S17_EUlS16_E_NS1_11comp_targetILNS1_3genE9ELNS1_11target_archE1100ELNS1_3gpuE3ELNS1_3repE0EEENS1_30default_config_static_selectorELNS0_4arch9wavefront6targetE0EEEvT1_.num_agpr, 0
	.set _ZN7rocprim17ROCPRIM_400000_NS6detail17trampoline_kernelINS0_14default_configENS1_25partition_config_selectorILNS1_17partition_subalgoE5ElNS0_10empty_typeEbEEZZNS1_14partition_implILS5_5ELb0ES3_mN6hipcub16HIPCUB_304000_NS21CountingInputIteratorIllEEPS6_NSA_22TransformInputIteratorIbN2at6native12_GLOBAL__N_19NonZeroOpIaEEPKalEENS0_5tupleIJPlS6_EEENSN_IJSD_SD_EEES6_PiJS6_EEE10hipError_tPvRmT3_T4_T5_T6_T7_T9_mT8_P12ihipStream_tbDpT10_ENKUlT_T0_E_clISt17integral_constantIbLb0EES1B_EEDaS16_S17_EUlS16_E_NS1_11comp_targetILNS1_3genE9ELNS1_11target_archE1100ELNS1_3gpuE3ELNS1_3repE0EEENS1_30default_config_static_selectorELNS0_4arch9wavefront6targetE0EEEvT1_.numbered_sgpr, 0
	.set _ZN7rocprim17ROCPRIM_400000_NS6detail17trampoline_kernelINS0_14default_configENS1_25partition_config_selectorILNS1_17partition_subalgoE5ElNS0_10empty_typeEbEEZZNS1_14partition_implILS5_5ELb0ES3_mN6hipcub16HIPCUB_304000_NS21CountingInputIteratorIllEEPS6_NSA_22TransformInputIteratorIbN2at6native12_GLOBAL__N_19NonZeroOpIaEEPKalEENS0_5tupleIJPlS6_EEENSN_IJSD_SD_EEES6_PiJS6_EEE10hipError_tPvRmT3_T4_T5_T6_T7_T9_mT8_P12ihipStream_tbDpT10_ENKUlT_T0_E_clISt17integral_constantIbLb0EES1B_EEDaS16_S17_EUlS16_E_NS1_11comp_targetILNS1_3genE9ELNS1_11target_archE1100ELNS1_3gpuE3ELNS1_3repE0EEENS1_30default_config_static_selectorELNS0_4arch9wavefront6targetE0EEEvT1_.num_named_barrier, 0
	.set _ZN7rocprim17ROCPRIM_400000_NS6detail17trampoline_kernelINS0_14default_configENS1_25partition_config_selectorILNS1_17partition_subalgoE5ElNS0_10empty_typeEbEEZZNS1_14partition_implILS5_5ELb0ES3_mN6hipcub16HIPCUB_304000_NS21CountingInputIteratorIllEEPS6_NSA_22TransformInputIteratorIbN2at6native12_GLOBAL__N_19NonZeroOpIaEEPKalEENS0_5tupleIJPlS6_EEENSN_IJSD_SD_EEES6_PiJS6_EEE10hipError_tPvRmT3_T4_T5_T6_T7_T9_mT8_P12ihipStream_tbDpT10_ENKUlT_T0_E_clISt17integral_constantIbLb0EES1B_EEDaS16_S17_EUlS16_E_NS1_11comp_targetILNS1_3genE9ELNS1_11target_archE1100ELNS1_3gpuE3ELNS1_3repE0EEENS1_30default_config_static_selectorELNS0_4arch9wavefront6targetE0EEEvT1_.private_seg_size, 0
	.set _ZN7rocprim17ROCPRIM_400000_NS6detail17trampoline_kernelINS0_14default_configENS1_25partition_config_selectorILNS1_17partition_subalgoE5ElNS0_10empty_typeEbEEZZNS1_14partition_implILS5_5ELb0ES3_mN6hipcub16HIPCUB_304000_NS21CountingInputIteratorIllEEPS6_NSA_22TransformInputIteratorIbN2at6native12_GLOBAL__N_19NonZeroOpIaEEPKalEENS0_5tupleIJPlS6_EEENSN_IJSD_SD_EEES6_PiJS6_EEE10hipError_tPvRmT3_T4_T5_T6_T7_T9_mT8_P12ihipStream_tbDpT10_ENKUlT_T0_E_clISt17integral_constantIbLb0EES1B_EEDaS16_S17_EUlS16_E_NS1_11comp_targetILNS1_3genE9ELNS1_11target_archE1100ELNS1_3gpuE3ELNS1_3repE0EEENS1_30default_config_static_selectorELNS0_4arch9wavefront6targetE0EEEvT1_.uses_vcc, 0
	.set _ZN7rocprim17ROCPRIM_400000_NS6detail17trampoline_kernelINS0_14default_configENS1_25partition_config_selectorILNS1_17partition_subalgoE5ElNS0_10empty_typeEbEEZZNS1_14partition_implILS5_5ELb0ES3_mN6hipcub16HIPCUB_304000_NS21CountingInputIteratorIllEEPS6_NSA_22TransformInputIteratorIbN2at6native12_GLOBAL__N_19NonZeroOpIaEEPKalEENS0_5tupleIJPlS6_EEENSN_IJSD_SD_EEES6_PiJS6_EEE10hipError_tPvRmT3_T4_T5_T6_T7_T9_mT8_P12ihipStream_tbDpT10_ENKUlT_T0_E_clISt17integral_constantIbLb0EES1B_EEDaS16_S17_EUlS16_E_NS1_11comp_targetILNS1_3genE9ELNS1_11target_archE1100ELNS1_3gpuE3ELNS1_3repE0EEENS1_30default_config_static_selectorELNS0_4arch9wavefront6targetE0EEEvT1_.uses_flat_scratch, 0
	.set _ZN7rocprim17ROCPRIM_400000_NS6detail17trampoline_kernelINS0_14default_configENS1_25partition_config_selectorILNS1_17partition_subalgoE5ElNS0_10empty_typeEbEEZZNS1_14partition_implILS5_5ELb0ES3_mN6hipcub16HIPCUB_304000_NS21CountingInputIteratorIllEEPS6_NSA_22TransformInputIteratorIbN2at6native12_GLOBAL__N_19NonZeroOpIaEEPKalEENS0_5tupleIJPlS6_EEENSN_IJSD_SD_EEES6_PiJS6_EEE10hipError_tPvRmT3_T4_T5_T6_T7_T9_mT8_P12ihipStream_tbDpT10_ENKUlT_T0_E_clISt17integral_constantIbLb0EES1B_EEDaS16_S17_EUlS16_E_NS1_11comp_targetILNS1_3genE9ELNS1_11target_archE1100ELNS1_3gpuE3ELNS1_3repE0EEENS1_30default_config_static_selectorELNS0_4arch9wavefront6targetE0EEEvT1_.has_dyn_sized_stack, 0
	.set _ZN7rocprim17ROCPRIM_400000_NS6detail17trampoline_kernelINS0_14default_configENS1_25partition_config_selectorILNS1_17partition_subalgoE5ElNS0_10empty_typeEbEEZZNS1_14partition_implILS5_5ELb0ES3_mN6hipcub16HIPCUB_304000_NS21CountingInputIteratorIllEEPS6_NSA_22TransformInputIteratorIbN2at6native12_GLOBAL__N_19NonZeroOpIaEEPKalEENS0_5tupleIJPlS6_EEENSN_IJSD_SD_EEES6_PiJS6_EEE10hipError_tPvRmT3_T4_T5_T6_T7_T9_mT8_P12ihipStream_tbDpT10_ENKUlT_T0_E_clISt17integral_constantIbLb0EES1B_EEDaS16_S17_EUlS16_E_NS1_11comp_targetILNS1_3genE9ELNS1_11target_archE1100ELNS1_3gpuE3ELNS1_3repE0EEENS1_30default_config_static_selectorELNS0_4arch9wavefront6targetE0EEEvT1_.has_recursion, 0
	.set _ZN7rocprim17ROCPRIM_400000_NS6detail17trampoline_kernelINS0_14default_configENS1_25partition_config_selectorILNS1_17partition_subalgoE5ElNS0_10empty_typeEbEEZZNS1_14partition_implILS5_5ELb0ES3_mN6hipcub16HIPCUB_304000_NS21CountingInputIteratorIllEEPS6_NSA_22TransformInputIteratorIbN2at6native12_GLOBAL__N_19NonZeroOpIaEEPKalEENS0_5tupleIJPlS6_EEENSN_IJSD_SD_EEES6_PiJS6_EEE10hipError_tPvRmT3_T4_T5_T6_T7_T9_mT8_P12ihipStream_tbDpT10_ENKUlT_T0_E_clISt17integral_constantIbLb0EES1B_EEDaS16_S17_EUlS16_E_NS1_11comp_targetILNS1_3genE9ELNS1_11target_archE1100ELNS1_3gpuE3ELNS1_3repE0EEENS1_30default_config_static_selectorELNS0_4arch9wavefront6targetE0EEEvT1_.has_indirect_call, 0
	.section	.AMDGPU.csdata,"",@progbits
; Kernel info:
; codeLenInByte = 0
; TotalNumSgprs: 0
; NumVgprs: 0
; ScratchSize: 0
; MemoryBound: 0
; FloatMode: 240
; IeeeMode: 1
; LDSByteSize: 0 bytes/workgroup (compile time only)
; SGPRBlocks: 0
; VGPRBlocks: 0
; NumSGPRsForWavesPerEU: 1
; NumVGPRsForWavesPerEU: 1
; Occupancy: 16
; WaveLimiterHint : 0
; COMPUTE_PGM_RSRC2:SCRATCH_EN: 0
; COMPUTE_PGM_RSRC2:USER_SGPR: 2
; COMPUTE_PGM_RSRC2:TRAP_HANDLER: 0
; COMPUTE_PGM_RSRC2:TGID_X_EN: 1
; COMPUTE_PGM_RSRC2:TGID_Y_EN: 0
; COMPUTE_PGM_RSRC2:TGID_Z_EN: 0
; COMPUTE_PGM_RSRC2:TIDIG_COMP_CNT: 0
	.section	.text._ZN7rocprim17ROCPRIM_400000_NS6detail17trampoline_kernelINS0_14default_configENS1_25partition_config_selectorILNS1_17partition_subalgoE5ElNS0_10empty_typeEbEEZZNS1_14partition_implILS5_5ELb0ES3_mN6hipcub16HIPCUB_304000_NS21CountingInputIteratorIllEEPS6_NSA_22TransformInputIteratorIbN2at6native12_GLOBAL__N_19NonZeroOpIaEEPKalEENS0_5tupleIJPlS6_EEENSN_IJSD_SD_EEES6_PiJS6_EEE10hipError_tPvRmT3_T4_T5_T6_T7_T9_mT8_P12ihipStream_tbDpT10_ENKUlT_T0_E_clISt17integral_constantIbLb0EES1B_EEDaS16_S17_EUlS16_E_NS1_11comp_targetILNS1_3genE8ELNS1_11target_archE1030ELNS1_3gpuE2ELNS1_3repE0EEENS1_30default_config_static_selectorELNS0_4arch9wavefront6targetE0EEEvT1_,"axG",@progbits,_ZN7rocprim17ROCPRIM_400000_NS6detail17trampoline_kernelINS0_14default_configENS1_25partition_config_selectorILNS1_17partition_subalgoE5ElNS0_10empty_typeEbEEZZNS1_14partition_implILS5_5ELb0ES3_mN6hipcub16HIPCUB_304000_NS21CountingInputIteratorIllEEPS6_NSA_22TransformInputIteratorIbN2at6native12_GLOBAL__N_19NonZeroOpIaEEPKalEENS0_5tupleIJPlS6_EEENSN_IJSD_SD_EEES6_PiJS6_EEE10hipError_tPvRmT3_T4_T5_T6_T7_T9_mT8_P12ihipStream_tbDpT10_ENKUlT_T0_E_clISt17integral_constantIbLb0EES1B_EEDaS16_S17_EUlS16_E_NS1_11comp_targetILNS1_3genE8ELNS1_11target_archE1030ELNS1_3gpuE2ELNS1_3repE0EEENS1_30default_config_static_selectorELNS0_4arch9wavefront6targetE0EEEvT1_,comdat
	.globl	_ZN7rocprim17ROCPRIM_400000_NS6detail17trampoline_kernelINS0_14default_configENS1_25partition_config_selectorILNS1_17partition_subalgoE5ElNS0_10empty_typeEbEEZZNS1_14partition_implILS5_5ELb0ES3_mN6hipcub16HIPCUB_304000_NS21CountingInputIteratorIllEEPS6_NSA_22TransformInputIteratorIbN2at6native12_GLOBAL__N_19NonZeroOpIaEEPKalEENS0_5tupleIJPlS6_EEENSN_IJSD_SD_EEES6_PiJS6_EEE10hipError_tPvRmT3_T4_T5_T6_T7_T9_mT8_P12ihipStream_tbDpT10_ENKUlT_T0_E_clISt17integral_constantIbLb0EES1B_EEDaS16_S17_EUlS16_E_NS1_11comp_targetILNS1_3genE8ELNS1_11target_archE1030ELNS1_3gpuE2ELNS1_3repE0EEENS1_30default_config_static_selectorELNS0_4arch9wavefront6targetE0EEEvT1_ ; -- Begin function _ZN7rocprim17ROCPRIM_400000_NS6detail17trampoline_kernelINS0_14default_configENS1_25partition_config_selectorILNS1_17partition_subalgoE5ElNS0_10empty_typeEbEEZZNS1_14partition_implILS5_5ELb0ES3_mN6hipcub16HIPCUB_304000_NS21CountingInputIteratorIllEEPS6_NSA_22TransformInputIteratorIbN2at6native12_GLOBAL__N_19NonZeroOpIaEEPKalEENS0_5tupleIJPlS6_EEENSN_IJSD_SD_EEES6_PiJS6_EEE10hipError_tPvRmT3_T4_T5_T6_T7_T9_mT8_P12ihipStream_tbDpT10_ENKUlT_T0_E_clISt17integral_constantIbLb0EES1B_EEDaS16_S17_EUlS16_E_NS1_11comp_targetILNS1_3genE8ELNS1_11target_archE1030ELNS1_3gpuE2ELNS1_3repE0EEENS1_30default_config_static_selectorELNS0_4arch9wavefront6targetE0EEEvT1_
	.p2align	8
	.type	_ZN7rocprim17ROCPRIM_400000_NS6detail17trampoline_kernelINS0_14default_configENS1_25partition_config_selectorILNS1_17partition_subalgoE5ElNS0_10empty_typeEbEEZZNS1_14partition_implILS5_5ELb0ES3_mN6hipcub16HIPCUB_304000_NS21CountingInputIteratorIllEEPS6_NSA_22TransformInputIteratorIbN2at6native12_GLOBAL__N_19NonZeroOpIaEEPKalEENS0_5tupleIJPlS6_EEENSN_IJSD_SD_EEES6_PiJS6_EEE10hipError_tPvRmT3_T4_T5_T6_T7_T9_mT8_P12ihipStream_tbDpT10_ENKUlT_T0_E_clISt17integral_constantIbLb0EES1B_EEDaS16_S17_EUlS16_E_NS1_11comp_targetILNS1_3genE8ELNS1_11target_archE1030ELNS1_3gpuE2ELNS1_3repE0EEENS1_30default_config_static_selectorELNS0_4arch9wavefront6targetE0EEEvT1_,@function
_ZN7rocprim17ROCPRIM_400000_NS6detail17trampoline_kernelINS0_14default_configENS1_25partition_config_selectorILNS1_17partition_subalgoE5ElNS0_10empty_typeEbEEZZNS1_14partition_implILS5_5ELb0ES3_mN6hipcub16HIPCUB_304000_NS21CountingInputIteratorIllEEPS6_NSA_22TransformInputIteratorIbN2at6native12_GLOBAL__N_19NonZeroOpIaEEPKalEENS0_5tupleIJPlS6_EEENSN_IJSD_SD_EEES6_PiJS6_EEE10hipError_tPvRmT3_T4_T5_T6_T7_T9_mT8_P12ihipStream_tbDpT10_ENKUlT_T0_E_clISt17integral_constantIbLb0EES1B_EEDaS16_S17_EUlS16_E_NS1_11comp_targetILNS1_3genE8ELNS1_11target_archE1030ELNS1_3gpuE2ELNS1_3repE0EEENS1_30default_config_static_selectorELNS0_4arch9wavefront6targetE0EEEvT1_: ; @_ZN7rocprim17ROCPRIM_400000_NS6detail17trampoline_kernelINS0_14default_configENS1_25partition_config_selectorILNS1_17partition_subalgoE5ElNS0_10empty_typeEbEEZZNS1_14partition_implILS5_5ELb0ES3_mN6hipcub16HIPCUB_304000_NS21CountingInputIteratorIllEEPS6_NSA_22TransformInputIteratorIbN2at6native12_GLOBAL__N_19NonZeroOpIaEEPKalEENS0_5tupleIJPlS6_EEENSN_IJSD_SD_EEES6_PiJS6_EEE10hipError_tPvRmT3_T4_T5_T6_T7_T9_mT8_P12ihipStream_tbDpT10_ENKUlT_T0_E_clISt17integral_constantIbLb0EES1B_EEDaS16_S17_EUlS16_E_NS1_11comp_targetILNS1_3genE8ELNS1_11target_archE1030ELNS1_3gpuE2ELNS1_3repE0EEENS1_30default_config_static_selectorELNS0_4arch9wavefront6targetE0EEEvT1_
; %bb.0:
	.section	.rodata,"a",@progbits
	.p2align	6, 0x0
	.amdhsa_kernel _ZN7rocprim17ROCPRIM_400000_NS6detail17trampoline_kernelINS0_14default_configENS1_25partition_config_selectorILNS1_17partition_subalgoE5ElNS0_10empty_typeEbEEZZNS1_14partition_implILS5_5ELb0ES3_mN6hipcub16HIPCUB_304000_NS21CountingInputIteratorIllEEPS6_NSA_22TransformInputIteratorIbN2at6native12_GLOBAL__N_19NonZeroOpIaEEPKalEENS0_5tupleIJPlS6_EEENSN_IJSD_SD_EEES6_PiJS6_EEE10hipError_tPvRmT3_T4_T5_T6_T7_T9_mT8_P12ihipStream_tbDpT10_ENKUlT_T0_E_clISt17integral_constantIbLb0EES1B_EEDaS16_S17_EUlS16_E_NS1_11comp_targetILNS1_3genE8ELNS1_11target_archE1030ELNS1_3gpuE2ELNS1_3repE0EEENS1_30default_config_static_selectorELNS0_4arch9wavefront6targetE0EEEvT1_
		.amdhsa_group_segment_fixed_size 0
		.amdhsa_private_segment_fixed_size 0
		.amdhsa_kernarg_size 120
		.amdhsa_user_sgpr_count 2
		.amdhsa_user_sgpr_dispatch_ptr 0
		.amdhsa_user_sgpr_queue_ptr 0
		.amdhsa_user_sgpr_kernarg_segment_ptr 1
		.amdhsa_user_sgpr_dispatch_id 0
		.amdhsa_user_sgpr_private_segment_size 0
		.amdhsa_wavefront_size32 1
		.amdhsa_uses_dynamic_stack 0
		.amdhsa_enable_private_segment 0
		.amdhsa_system_sgpr_workgroup_id_x 1
		.amdhsa_system_sgpr_workgroup_id_y 0
		.amdhsa_system_sgpr_workgroup_id_z 0
		.amdhsa_system_sgpr_workgroup_info 0
		.amdhsa_system_vgpr_workitem_id 0
		.amdhsa_next_free_vgpr 1
		.amdhsa_next_free_sgpr 1
		.amdhsa_reserve_vcc 0
		.amdhsa_float_round_mode_32 0
		.amdhsa_float_round_mode_16_64 0
		.amdhsa_float_denorm_mode_32 3
		.amdhsa_float_denorm_mode_16_64 3
		.amdhsa_fp16_overflow 0
		.amdhsa_workgroup_processor_mode 1
		.amdhsa_memory_ordered 1
		.amdhsa_forward_progress 1
		.amdhsa_inst_pref_size 0
		.amdhsa_round_robin_scheduling 0
		.amdhsa_exception_fp_ieee_invalid_op 0
		.amdhsa_exception_fp_denorm_src 0
		.amdhsa_exception_fp_ieee_div_zero 0
		.amdhsa_exception_fp_ieee_overflow 0
		.amdhsa_exception_fp_ieee_underflow 0
		.amdhsa_exception_fp_ieee_inexact 0
		.amdhsa_exception_int_div_zero 0
	.end_amdhsa_kernel
	.section	.text._ZN7rocprim17ROCPRIM_400000_NS6detail17trampoline_kernelINS0_14default_configENS1_25partition_config_selectorILNS1_17partition_subalgoE5ElNS0_10empty_typeEbEEZZNS1_14partition_implILS5_5ELb0ES3_mN6hipcub16HIPCUB_304000_NS21CountingInputIteratorIllEEPS6_NSA_22TransformInputIteratorIbN2at6native12_GLOBAL__N_19NonZeroOpIaEEPKalEENS0_5tupleIJPlS6_EEENSN_IJSD_SD_EEES6_PiJS6_EEE10hipError_tPvRmT3_T4_T5_T6_T7_T9_mT8_P12ihipStream_tbDpT10_ENKUlT_T0_E_clISt17integral_constantIbLb0EES1B_EEDaS16_S17_EUlS16_E_NS1_11comp_targetILNS1_3genE8ELNS1_11target_archE1030ELNS1_3gpuE2ELNS1_3repE0EEENS1_30default_config_static_selectorELNS0_4arch9wavefront6targetE0EEEvT1_,"axG",@progbits,_ZN7rocprim17ROCPRIM_400000_NS6detail17trampoline_kernelINS0_14default_configENS1_25partition_config_selectorILNS1_17partition_subalgoE5ElNS0_10empty_typeEbEEZZNS1_14partition_implILS5_5ELb0ES3_mN6hipcub16HIPCUB_304000_NS21CountingInputIteratorIllEEPS6_NSA_22TransformInputIteratorIbN2at6native12_GLOBAL__N_19NonZeroOpIaEEPKalEENS0_5tupleIJPlS6_EEENSN_IJSD_SD_EEES6_PiJS6_EEE10hipError_tPvRmT3_T4_T5_T6_T7_T9_mT8_P12ihipStream_tbDpT10_ENKUlT_T0_E_clISt17integral_constantIbLb0EES1B_EEDaS16_S17_EUlS16_E_NS1_11comp_targetILNS1_3genE8ELNS1_11target_archE1030ELNS1_3gpuE2ELNS1_3repE0EEENS1_30default_config_static_selectorELNS0_4arch9wavefront6targetE0EEEvT1_,comdat
.Lfunc_end125:
	.size	_ZN7rocprim17ROCPRIM_400000_NS6detail17trampoline_kernelINS0_14default_configENS1_25partition_config_selectorILNS1_17partition_subalgoE5ElNS0_10empty_typeEbEEZZNS1_14partition_implILS5_5ELb0ES3_mN6hipcub16HIPCUB_304000_NS21CountingInputIteratorIllEEPS6_NSA_22TransformInputIteratorIbN2at6native12_GLOBAL__N_19NonZeroOpIaEEPKalEENS0_5tupleIJPlS6_EEENSN_IJSD_SD_EEES6_PiJS6_EEE10hipError_tPvRmT3_T4_T5_T6_T7_T9_mT8_P12ihipStream_tbDpT10_ENKUlT_T0_E_clISt17integral_constantIbLb0EES1B_EEDaS16_S17_EUlS16_E_NS1_11comp_targetILNS1_3genE8ELNS1_11target_archE1030ELNS1_3gpuE2ELNS1_3repE0EEENS1_30default_config_static_selectorELNS0_4arch9wavefront6targetE0EEEvT1_, .Lfunc_end125-_ZN7rocprim17ROCPRIM_400000_NS6detail17trampoline_kernelINS0_14default_configENS1_25partition_config_selectorILNS1_17partition_subalgoE5ElNS0_10empty_typeEbEEZZNS1_14partition_implILS5_5ELb0ES3_mN6hipcub16HIPCUB_304000_NS21CountingInputIteratorIllEEPS6_NSA_22TransformInputIteratorIbN2at6native12_GLOBAL__N_19NonZeroOpIaEEPKalEENS0_5tupleIJPlS6_EEENSN_IJSD_SD_EEES6_PiJS6_EEE10hipError_tPvRmT3_T4_T5_T6_T7_T9_mT8_P12ihipStream_tbDpT10_ENKUlT_T0_E_clISt17integral_constantIbLb0EES1B_EEDaS16_S17_EUlS16_E_NS1_11comp_targetILNS1_3genE8ELNS1_11target_archE1030ELNS1_3gpuE2ELNS1_3repE0EEENS1_30default_config_static_selectorELNS0_4arch9wavefront6targetE0EEEvT1_
                                        ; -- End function
	.set _ZN7rocprim17ROCPRIM_400000_NS6detail17trampoline_kernelINS0_14default_configENS1_25partition_config_selectorILNS1_17partition_subalgoE5ElNS0_10empty_typeEbEEZZNS1_14partition_implILS5_5ELb0ES3_mN6hipcub16HIPCUB_304000_NS21CountingInputIteratorIllEEPS6_NSA_22TransformInputIteratorIbN2at6native12_GLOBAL__N_19NonZeroOpIaEEPKalEENS0_5tupleIJPlS6_EEENSN_IJSD_SD_EEES6_PiJS6_EEE10hipError_tPvRmT3_T4_T5_T6_T7_T9_mT8_P12ihipStream_tbDpT10_ENKUlT_T0_E_clISt17integral_constantIbLb0EES1B_EEDaS16_S17_EUlS16_E_NS1_11comp_targetILNS1_3genE8ELNS1_11target_archE1030ELNS1_3gpuE2ELNS1_3repE0EEENS1_30default_config_static_selectorELNS0_4arch9wavefront6targetE0EEEvT1_.num_vgpr, 0
	.set _ZN7rocprim17ROCPRIM_400000_NS6detail17trampoline_kernelINS0_14default_configENS1_25partition_config_selectorILNS1_17partition_subalgoE5ElNS0_10empty_typeEbEEZZNS1_14partition_implILS5_5ELb0ES3_mN6hipcub16HIPCUB_304000_NS21CountingInputIteratorIllEEPS6_NSA_22TransformInputIteratorIbN2at6native12_GLOBAL__N_19NonZeroOpIaEEPKalEENS0_5tupleIJPlS6_EEENSN_IJSD_SD_EEES6_PiJS6_EEE10hipError_tPvRmT3_T4_T5_T6_T7_T9_mT8_P12ihipStream_tbDpT10_ENKUlT_T0_E_clISt17integral_constantIbLb0EES1B_EEDaS16_S17_EUlS16_E_NS1_11comp_targetILNS1_3genE8ELNS1_11target_archE1030ELNS1_3gpuE2ELNS1_3repE0EEENS1_30default_config_static_selectorELNS0_4arch9wavefront6targetE0EEEvT1_.num_agpr, 0
	.set _ZN7rocprim17ROCPRIM_400000_NS6detail17trampoline_kernelINS0_14default_configENS1_25partition_config_selectorILNS1_17partition_subalgoE5ElNS0_10empty_typeEbEEZZNS1_14partition_implILS5_5ELb0ES3_mN6hipcub16HIPCUB_304000_NS21CountingInputIteratorIllEEPS6_NSA_22TransformInputIteratorIbN2at6native12_GLOBAL__N_19NonZeroOpIaEEPKalEENS0_5tupleIJPlS6_EEENSN_IJSD_SD_EEES6_PiJS6_EEE10hipError_tPvRmT3_T4_T5_T6_T7_T9_mT8_P12ihipStream_tbDpT10_ENKUlT_T0_E_clISt17integral_constantIbLb0EES1B_EEDaS16_S17_EUlS16_E_NS1_11comp_targetILNS1_3genE8ELNS1_11target_archE1030ELNS1_3gpuE2ELNS1_3repE0EEENS1_30default_config_static_selectorELNS0_4arch9wavefront6targetE0EEEvT1_.numbered_sgpr, 0
	.set _ZN7rocprim17ROCPRIM_400000_NS6detail17trampoline_kernelINS0_14default_configENS1_25partition_config_selectorILNS1_17partition_subalgoE5ElNS0_10empty_typeEbEEZZNS1_14partition_implILS5_5ELb0ES3_mN6hipcub16HIPCUB_304000_NS21CountingInputIteratorIllEEPS6_NSA_22TransformInputIteratorIbN2at6native12_GLOBAL__N_19NonZeroOpIaEEPKalEENS0_5tupleIJPlS6_EEENSN_IJSD_SD_EEES6_PiJS6_EEE10hipError_tPvRmT3_T4_T5_T6_T7_T9_mT8_P12ihipStream_tbDpT10_ENKUlT_T0_E_clISt17integral_constantIbLb0EES1B_EEDaS16_S17_EUlS16_E_NS1_11comp_targetILNS1_3genE8ELNS1_11target_archE1030ELNS1_3gpuE2ELNS1_3repE0EEENS1_30default_config_static_selectorELNS0_4arch9wavefront6targetE0EEEvT1_.num_named_barrier, 0
	.set _ZN7rocprim17ROCPRIM_400000_NS6detail17trampoline_kernelINS0_14default_configENS1_25partition_config_selectorILNS1_17partition_subalgoE5ElNS0_10empty_typeEbEEZZNS1_14partition_implILS5_5ELb0ES3_mN6hipcub16HIPCUB_304000_NS21CountingInputIteratorIllEEPS6_NSA_22TransformInputIteratorIbN2at6native12_GLOBAL__N_19NonZeroOpIaEEPKalEENS0_5tupleIJPlS6_EEENSN_IJSD_SD_EEES6_PiJS6_EEE10hipError_tPvRmT3_T4_T5_T6_T7_T9_mT8_P12ihipStream_tbDpT10_ENKUlT_T0_E_clISt17integral_constantIbLb0EES1B_EEDaS16_S17_EUlS16_E_NS1_11comp_targetILNS1_3genE8ELNS1_11target_archE1030ELNS1_3gpuE2ELNS1_3repE0EEENS1_30default_config_static_selectorELNS0_4arch9wavefront6targetE0EEEvT1_.private_seg_size, 0
	.set _ZN7rocprim17ROCPRIM_400000_NS6detail17trampoline_kernelINS0_14default_configENS1_25partition_config_selectorILNS1_17partition_subalgoE5ElNS0_10empty_typeEbEEZZNS1_14partition_implILS5_5ELb0ES3_mN6hipcub16HIPCUB_304000_NS21CountingInputIteratorIllEEPS6_NSA_22TransformInputIteratorIbN2at6native12_GLOBAL__N_19NonZeroOpIaEEPKalEENS0_5tupleIJPlS6_EEENSN_IJSD_SD_EEES6_PiJS6_EEE10hipError_tPvRmT3_T4_T5_T6_T7_T9_mT8_P12ihipStream_tbDpT10_ENKUlT_T0_E_clISt17integral_constantIbLb0EES1B_EEDaS16_S17_EUlS16_E_NS1_11comp_targetILNS1_3genE8ELNS1_11target_archE1030ELNS1_3gpuE2ELNS1_3repE0EEENS1_30default_config_static_selectorELNS0_4arch9wavefront6targetE0EEEvT1_.uses_vcc, 0
	.set _ZN7rocprim17ROCPRIM_400000_NS6detail17trampoline_kernelINS0_14default_configENS1_25partition_config_selectorILNS1_17partition_subalgoE5ElNS0_10empty_typeEbEEZZNS1_14partition_implILS5_5ELb0ES3_mN6hipcub16HIPCUB_304000_NS21CountingInputIteratorIllEEPS6_NSA_22TransformInputIteratorIbN2at6native12_GLOBAL__N_19NonZeroOpIaEEPKalEENS0_5tupleIJPlS6_EEENSN_IJSD_SD_EEES6_PiJS6_EEE10hipError_tPvRmT3_T4_T5_T6_T7_T9_mT8_P12ihipStream_tbDpT10_ENKUlT_T0_E_clISt17integral_constantIbLb0EES1B_EEDaS16_S17_EUlS16_E_NS1_11comp_targetILNS1_3genE8ELNS1_11target_archE1030ELNS1_3gpuE2ELNS1_3repE0EEENS1_30default_config_static_selectorELNS0_4arch9wavefront6targetE0EEEvT1_.uses_flat_scratch, 0
	.set _ZN7rocprim17ROCPRIM_400000_NS6detail17trampoline_kernelINS0_14default_configENS1_25partition_config_selectorILNS1_17partition_subalgoE5ElNS0_10empty_typeEbEEZZNS1_14partition_implILS5_5ELb0ES3_mN6hipcub16HIPCUB_304000_NS21CountingInputIteratorIllEEPS6_NSA_22TransformInputIteratorIbN2at6native12_GLOBAL__N_19NonZeroOpIaEEPKalEENS0_5tupleIJPlS6_EEENSN_IJSD_SD_EEES6_PiJS6_EEE10hipError_tPvRmT3_T4_T5_T6_T7_T9_mT8_P12ihipStream_tbDpT10_ENKUlT_T0_E_clISt17integral_constantIbLb0EES1B_EEDaS16_S17_EUlS16_E_NS1_11comp_targetILNS1_3genE8ELNS1_11target_archE1030ELNS1_3gpuE2ELNS1_3repE0EEENS1_30default_config_static_selectorELNS0_4arch9wavefront6targetE0EEEvT1_.has_dyn_sized_stack, 0
	.set _ZN7rocprim17ROCPRIM_400000_NS6detail17trampoline_kernelINS0_14default_configENS1_25partition_config_selectorILNS1_17partition_subalgoE5ElNS0_10empty_typeEbEEZZNS1_14partition_implILS5_5ELb0ES3_mN6hipcub16HIPCUB_304000_NS21CountingInputIteratorIllEEPS6_NSA_22TransformInputIteratorIbN2at6native12_GLOBAL__N_19NonZeroOpIaEEPKalEENS0_5tupleIJPlS6_EEENSN_IJSD_SD_EEES6_PiJS6_EEE10hipError_tPvRmT3_T4_T5_T6_T7_T9_mT8_P12ihipStream_tbDpT10_ENKUlT_T0_E_clISt17integral_constantIbLb0EES1B_EEDaS16_S17_EUlS16_E_NS1_11comp_targetILNS1_3genE8ELNS1_11target_archE1030ELNS1_3gpuE2ELNS1_3repE0EEENS1_30default_config_static_selectorELNS0_4arch9wavefront6targetE0EEEvT1_.has_recursion, 0
	.set _ZN7rocprim17ROCPRIM_400000_NS6detail17trampoline_kernelINS0_14default_configENS1_25partition_config_selectorILNS1_17partition_subalgoE5ElNS0_10empty_typeEbEEZZNS1_14partition_implILS5_5ELb0ES3_mN6hipcub16HIPCUB_304000_NS21CountingInputIteratorIllEEPS6_NSA_22TransformInputIteratorIbN2at6native12_GLOBAL__N_19NonZeroOpIaEEPKalEENS0_5tupleIJPlS6_EEENSN_IJSD_SD_EEES6_PiJS6_EEE10hipError_tPvRmT3_T4_T5_T6_T7_T9_mT8_P12ihipStream_tbDpT10_ENKUlT_T0_E_clISt17integral_constantIbLb0EES1B_EEDaS16_S17_EUlS16_E_NS1_11comp_targetILNS1_3genE8ELNS1_11target_archE1030ELNS1_3gpuE2ELNS1_3repE0EEENS1_30default_config_static_selectorELNS0_4arch9wavefront6targetE0EEEvT1_.has_indirect_call, 0
	.section	.AMDGPU.csdata,"",@progbits
; Kernel info:
; codeLenInByte = 0
; TotalNumSgprs: 0
; NumVgprs: 0
; ScratchSize: 0
; MemoryBound: 0
; FloatMode: 240
; IeeeMode: 1
; LDSByteSize: 0 bytes/workgroup (compile time only)
; SGPRBlocks: 0
; VGPRBlocks: 0
; NumSGPRsForWavesPerEU: 1
; NumVGPRsForWavesPerEU: 1
; Occupancy: 16
; WaveLimiterHint : 0
; COMPUTE_PGM_RSRC2:SCRATCH_EN: 0
; COMPUTE_PGM_RSRC2:USER_SGPR: 2
; COMPUTE_PGM_RSRC2:TRAP_HANDLER: 0
; COMPUTE_PGM_RSRC2:TGID_X_EN: 1
; COMPUTE_PGM_RSRC2:TGID_Y_EN: 0
; COMPUTE_PGM_RSRC2:TGID_Z_EN: 0
; COMPUTE_PGM_RSRC2:TIDIG_COMP_CNT: 0
	.section	.text._ZN7rocprim17ROCPRIM_400000_NS6detail17trampoline_kernelINS0_14default_configENS1_25partition_config_selectorILNS1_17partition_subalgoE5ElNS0_10empty_typeEbEEZZNS1_14partition_implILS5_5ELb0ES3_mN6hipcub16HIPCUB_304000_NS21CountingInputIteratorIllEEPS6_NSA_22TransformInputIteratorIbN2at6native12_GLOBAL__N_19NonZeroOpIaEEPKalEENS0_5tupleIJPlS6_EEENSN_IJSD_SD_EEES6_PiJS6_EEE10hipError_tPvRmT3_T4_T5_T6_T7_T9_mT8_P12ihipStream_tbDpT10_ENKUlT_T0_E_clISt17integral_constantIbLb1EES1B_EEDaS16_S17_EUlS16_E_NS1_11comp_targetILNS1_3genE0ELNS1_11target_archE4294967295ELNS1_3gpuE0ELNS1_3repE0EEENS1_30default_config_static_selectorELNS0_4arch9wavefront6targetE0EEEvT1_,"axG",@progbits,_ZN7rocprim17ROCPRIM_400000_NS6detail17trampoline_kernelINS0_14default_configENS1_25partition_config_selectorILNS1_17partition_subalgoE5ElNS0_10empty_typeEbEEZZNS1_14partition_implILS5_5ELb0ES3_mN6hipcub16HIPCUB_304000_NS21CountingInputIteratorIllEEPS6_NSA_22TransformInputIteratorIbN2at6native12_GLOBAL__N_19NonZeroOpIaEEPKalEENS0_5tupleIJPlS6_EEENSN_IJSD_SD_EEES6_PiJS6_EEE10hipError_tPvRmT3_T4_T5_T6_T7_T9_mT8_P12ihipStream_tbDpT10_ENKUlT_T0_E_clISt17integral_constantIbLb1EES1B_EEDaS16_S17_EUlS16_E_NS1_11comp_targetILNS1_3genE0ELNS1_11target_archE4294967295ELNS1_3gpuE0ELNS1_3repE0EEENS1_30default_config_static_selectorELNS0_4arch9wavefront6targetE0EEEvT1_,comdat
	.globl	_ZN7rocprim17ROCPRIM_400000_NS6detail17trampoline_kernelINS0_14default_configENS1_25partition_config_selectorILNS1_17partition_subalgoE5ElNS0_10empty_typeEbEEZZNS1_14partition_implILS5_5ELb0ES3_mN6hipcub16HIPCUB_304000_NS21CountingInputIteratorIllEEPS6_NSA_22TransformInputIteratorIbN2at6native12_GLOBAL__N_19NonZeroOpIaEEPKalEENS0_5tupleIJPlS6_EEENSN_IJSD_SD_EEES6_PiJS6_EEE10hipError_tPvRmT3_T4_T5_T6_T7_T9_mT8_P12ihipStream_tbDpT10_ENKUlT_T0_E_clISt17integral_constantIbLb1EES1B_EEDaS16_S17_EUlS16_E_NS1_11comp_targetILNS1_3genE0ELNS1_11target_archE4294967295ELNS1_3gpuE0ELNS1_3repE0EEENS1_30default_config_static_selectorELNS0_4arch9wavefront6targetE0EEEvT1_ ; -- Begin function _ZN7rocprim17ROCPRIM_400000_NS6detail17trampoline_kernelINS0_14default_configENS1_25partition_config_selectorILNS1_17partition_subalgoE5ElNS0_10empty_typeEbEEZZNS1_14partition_implILS5_5ELb0ES3_mN6hipcub16HIPCUB_304000_NS21CountingInputIteratorIllEEPS6_NSA_22TransformInputIteratorIbN2at6native12_GLOBAL__N_19NonZeroOpIaEEPKalEENS0_5tupleIJPlS6_EEENSN_IJSD_SD_EEES6_PiJS6_EEE10hipError_tPvRmT3_T4_T5_T6_T7_T9_mT8_P12ihipStream_tbDpT10_ENKUlT_T0_E_clISt17integral_constantIbLb1EES1B_EEDaS16_S17_EUlS16_E_NS1_11comp_targetILNS1_3genE0ELNS1_11target_archE4294967295ELNS1_3gpuE0ELNS1_3repE0EEENS1_30default_config_static_selectorELNS0_4arch9wavefront6targetE0EEEvT1_
	.p2align	8
	.type	_ZN7rocprim17ROCPRIM_400000_NS6detail17trampoline_kernelINS0_14default_configENS1_25partition_config_selectorILNS1_17partition_subalgoE5ElNS0_10empty_typeEbEEZZNS1_14partition_implILS5_5ELb0ES3_mN6hipcub16HIPCUB_304000_NS21CountingInputIteratorIllEEPS6_NSA_22TransformInputIteratorIbN2at6native12_GLOBAL__N_19NonZeroOpIaEEPKalEENS0_5tupleIJPlS6_EEENSN_IJSD_SD_EEES6_PiJS6_EEE10hipError_tPvRmT3_T4_T5_T6_T7_T9_mT8_P12ihipStream_tbDpT10_ENKUlT_T0_E_clISt17integral_constantIbLb1EES1B_EEDaS16_S17_EUlS16_E_NS1_11comp_targetILNS1_3genE0ELNS1_11target_archE4294967295ELNS1_3gpuE0ELNS1_3repE0EEENS1_30default_config_static_selectorELNS0_4arch9wavefront6targetE0EEEvT1_,@function
_ZN7rocprim17ROCPRIM_400000_NS6detail17trampoline_kernelINS0_14default_configENS1_25partition_config_selectorILNS1_17partition_subalgoE5ElNS0_10empty_typeEbEEZZNS1_14partition_implILS5_5ELb0ES3_mN6hipcub16HIPCUB_304000_NS21CountingInputIteratorIllEEPS6_NSA_22TransformInputIteratorIbN2at6native12_GLOBAL__N_19NonZeroOpIaEEPKalEENS0_5tupleIJPlS6_EEENSN_IJSD_SD_EEES6_PiJS6_EEE10hipError_tPvRmT3_T4_T5_T6_T7_T9_mT8_P12ihipStream_tbDpT10_ENKUlT_T0_E_clISt17integral_constantIbLb1EES1B_EEDaS16_S17_EUlS16_E_NS1_11comp_targetILNS1_3genE0ELNS1_11target_archE4294967295ELNS1_3gpuE0ELNS1_3repE0EEENS1_30default_config_static_selectorELNS0_4arch9wavefront6targetE0EEEvT1_: ; @_ZN7rocprim17ROCPRIM_400000_NS6detail17trampoline_kernelINS0_14default_configENS1_25partition_config_selectorILNS1_17partition_subalgoE5ElNS0_10empty_typeEbEEZZNS1_14partition_implILS5_5ELb0ES3_mN6hipcub16HIPCUB_304000_NS21CountingInputIteratorIllEEPS6_NSA_22TransformInputIteratorIbN2at6native12_GLOBAL__N_19NonZeroOpIaEEPKalEENS0_5tupleIJPlS6_EEENSN_IJSD_SD_EEES6_PiJS6_EEE10hipError_tPvRmT3_T4_T5_T6_T7_T9_mT8_P12ihipStream_tbDpT10_ENKUlT_T0_E_clISt17integral_constantIbLb1EES1B_EEDaS16_S17_EUlS16_E_NS1_11comp_targetILNS1_3genE0ELNS1_11target_archE4294967295ELNS1_3gpuE0ELNS1_3repE0EEENS1_30default_config_static_selectorELNS0_4arch9wavefront6targetE0EEEvT1_
; %bb.0:
	.section	.rodata,"a",@progbits
	.p2align	6, 0x0
	.amdhsa_kernel _ZN7rocprim17ROCPRIM_400000_NS6detail17trampoline_kernelINS0_14default_configENS1_25partition_config_selectorILNS1_17partition_subalgoE5ElNS0_10empty_typeEbEEZZNS1_14partition_implILS5_5ELb0ES3_mN6hipcub16HIPCUB_304000_NS21CountingInputIteratorIllEEPS6_NSA_22TransformInputIteratorIbN2at6native12_GLOBAL__N_19NonZeroOpIaEEPKalEENS0_5tupleIJPlS6_EEENSN_IJSD_SD_EEES6_PiJS6_EEE10hipError_tPvRmT3_T4_T5_T6_T7_T9_mT8_P12ihipStream_tbDpT10_ENKUlT_T0_E_clISt17integral_constantIbLb1EES1B_EEDaS16_S17_EUlS16_E_NS1_11comp_targetILNS1_3genE0ELNS1_11target_archE4294967295ELNS1_3gpuE0ELNS1_3repE0EEENS1_30default_config_static_selectorELNS0_4arch9wavefront6targetE0EEEvT1_
		.amdhsa_group_segment_fixed_size 0
		.amdhsa_private_segment_fixed_size 0
		.amdhsa_kernarg_size 136
		.amdhsa_user_sgpr_count 2
		.amdhsa_user_sgpr_dispatch_ptr 0
		.amdhsa_user_sgpr_queue_ptr 0
		.amdhsa_user_sgpr_kernarg_segment_ptr 1
		.amdhsa_user_sgpr_dispatch_id 0
		.amdhsa_user_sgpr_private_segment_size 0
		.amdhsa_wavefront_size32 1
		.amdhsa_uses_dynamic_stack 0
		.amdhsa_enable_private_segment 0
		.amdhsa_system_sgpr_workgroup_id_x 1
		.amdhsa_system_sgpr_workgroup_id_y 0
		.amdhsa_system_sgpr_workgroup_id_z 0
		.amdhsa_system_sgpr_workgroup_info 0
		.amdhsa_system_vgpr_workitem_id 0
		.amdhsa_next_free_vgpr 1
		.amdhsa_next_free_sgpr 1
		.amdhsa_reserve_vcc 0
		.amdhsa_float_round_mode_32 0
		.amdhsa_float_round_mode_16_64 0
		.amdhsa_float_denorm_mode_32 3
		.amdhsa_float_denorm_mode_16_64 3
		.amdhsa_fp16_overflow 0
		.amdhsa_workgroup_processor_mode 1
		.amdhsa_memory_ordered 1
		.amdhsa_forward_progress 1
		.amdhsa_inst_pref_size 0
		.amdhsa_round_robin_scheduling 0
		.amdhsa_exception_fp_ieee_invalid_op 0
		.amdhsa_exception_fp_denorm_src 0
		.amdhsa_exception_fp_ieee_div_zero 0
		.amdhsa_exception_fp_ieee_overflow 0
		.amdhsa_exception_fp_ieee_underflow 0
		.amdhsa_exception_fp_ieee_inexact 0
		.amdhsa_exception_int_div_zero 0
	.end_amdhsa_kernel
	.section	.text._ZN7rocprim17ROCPRIM_400000_NS6detail17trampoline_kernelINS0_14default_configENS1_25partition_config_selectorILNS1_17partition_subalgoE5ElNS0_10empty_typeEbEEZZNS1_14partition_implILS5_5ELb0ES3_mN6hipcub16HIPCUB_304000_NS21CountingInputIteratorIllEEPS6_NSA_22TransformInputIteratorIbN2at6native12_GLOBAL__N_19NonZeroOpIaEEPKalEENS0_5tupleIJPlS6_EEENSN_IJSD_SD_EEES6_PiJS6_EEE10hipError_tPvRmT3_T4_T5_T6_T7_T9_mT8_P12ihipStream_tbDpT10_ENKUlT_T0_E_clISt17integral_constantIbLb1EES1B_EEDaS16_S17_EUlS16_E_NS1_11comp_targetILNS1_3genE0ELNS1_11target_archE4294967295ELNS1_3gpuE0ELNS1_3repE0EEENS1_30default_config_static_selectorELNS0_4arch9wavefront6targetE0EEEvT1_,"axG",@progbits,_ZN7rocprim17ROCPRIM_400000_NS6detail17trampoline_kernelINS0_14default_configENS1_25partition_config_selectorILNS1_17partition_subalgoE5ElNS0_10empty_typeEbEEZZNS1_14partition_implILS5_5ELb0ES3_mN6hipcub16HIPCUB_304000_NS21CountingInputIteratorIllEEPS6_NSA_22TransformInputIteratorIbN2at6native12_GLOBAL__N_19NonZeroOpIaEEPKalEENS0_5tupleIJPlS6_EEENSN_IJSD_SD_EEES6_PiJS6_EEE10hipError_tPvRmT3_T4_T5_T6_T7_T9_mT8_P12ihipStream_tbDpT10_ENKUlT_T0_E_clISt17integral_constantIbLb1EES1B_EEDaS16_S17_EUlS16_E_NS1_11comp_targetILNS1_3genE0ELNS1_11target_archE4294967295ELNS1_3gpuE0ELNS1_3repE0EEENS1_30default_config_static_selectorELNS0_4arch9wavefront6targetE0EEEvT1_,comdat
.Lfunc_end126:
	.size	_ZN7rocprim17ROCPRIM_400000_NS6detail17trampoline_kernelINS0_14default_configENS1_25partition_config_selectorILNS1_17partition_subalgoE5ElNS0_10empty_typeEbEEZZNS1_14partition_implILS5_5ELb0ES3_mN6hipcub16HIPCUB_304000_NS21CountingInputIteratorIllEEPS6_NSA_22TransformInputIteratorIbN2at6native12_GLOBAL__N_19NonZeroOpIaEEPKalEENS0_5tupleIJPlS6_EEENSN_IJSD_SD_EEES6_PiJS6_EEE10hipError_tPvRmT3_T4_T5_T6_T7_T9_mT8_P12ihipStream_tbDpT10_ENKUlT_T0_E_clISt17integral_constantIbLb1EES1B_EEDaS16_S17_EUlS16_E_NS1_11comp_targetILNS1_3genE0ELNS1_11target_archE4294967295ELNS1_3gpuE0ELNS1_3repE0EEENS1_30default_config_static_selectorELNS0_4arch9wavefront6targetE0EEEvT1_, .Lfunc_end126-_ZN7rocprim17ROCPRIM_400000_NS6detail17trampoline_kernelINS0_14default_configENS1_25partition_config_selectorILNS1_17partition_subalgoE5ElNS0_10empty_typeEbEEZZNS1_14partition_implILS5_5ELb0ES3_mN6hipcub16HIPCUB_304000_NS21CountingInputIteratorIllEEPS6_NSA_22TransformInputIteratorIbN2at6native12_GLOBAL__N_19NonZeroOpIaEEPKalEENS0_5tupleIJPlS6_EEENSN_IJSD_SD_EEES6_PiJS6_EEE10hipError_tPvRmT3_T4_T5_T6_T7_T9_mT8_P12ihipStream_tbDpT10_ENKUlT_T0_E_clISt17integral_constantIbLb1EES1B_EEDaS16_S17_EUlS16_E_NS1_11comp_targetILNS1_3genE0ELNS1_11target_archE4294967295ELNS1_3gpuE0ELNS1_3repE0EEENS1_30default_config_static_selectorELNS0_4arch9wavefront6targetE0EEEvT1_
                                        ; -- End function
	.set _ZN7rocprim17ROCPRIM_400000_NS6detail17trampoline_kernelINS0_14default_configENS1_25partition_config_selectorILNS1_17partition_subalgoE5ElNS0_10empty_typeEbEEZZNS1_14partition_implILS5_5ELb0ES3_mN6hipcub16HIPCUB_304000_NS21CountingInputIteratorIllEEPS6_NSA_22TransformInputIteratorIbN2at6native12_GLOBAL__N_19NonZeroOpIaEEPKalEENS0_5tupleIJPlS6_EEENSN_IJSD_SD_EEES6_PiJS6_EEE10hipError_tPvRmT3_T4_T5_T6_T7_T9_mT8_P12ihipStream_tbDpT10_ENKUlT_T0_E_clISt17integral_constantIbLb1EES1B_EEDaS16_S17_EUlS16_E_NS1_11comp_targetILNS1_3genE0ELNS1_11target_archE4294967295ELNS1_3gpuE0ELNS1_3repE0EEENS1_30default_config_static_selectorELNS0_4arch9wavefront6targetE0EEEvT1_.num_vgpr, 0
	.set _ZN7rocprim17ROCPRIM_400000_NS6detail17trampoline_kernelINS0_14default_configENS1_25partition_config_selectorILNS1_17partition_subalgoE5ElNS0_10empty_typeEbEEZZNS1_14partition_implILS5_5ELb0ES3_mN6hipcub16HIPCUB_304000_NS21CountingInputIteratorIllEEPS6_NSA_22TransformInputIteratorIbN2at6native12_GLOBAL__N_19NonZeroOpIaEEPKalEENS0_5tupleIJPlS6_EEENSN_IJSD_SD_EEES6_PiJS6_EEE10hipError_tPvRmT3_T4_T5_T6_T7_T9_mT8_P12ihipStream_tbDpT10_ENKUlT_T0_E_clISt17integral_constantIbLb1EES1B_EEDaS16_S17_EUlS16_E_NS1_11comp_targetILNS1_3genE0ELNS1_11target_archE4294967295ELNS1_3gpuE0ELNS1_3repE0EEENS1_30default_config_static_selectorELNS0_4arch9wavefront6targetE0EEEvT1_.num_agpr, 0
	.set _ZN7rocprim17ROCPRIM_400000_NS6detail17trampoline_kernelINS0_14default_configENS1_25partition_config_selectorILNS1_17partition_subalgoE5ElNS0_10empty_typeEbEEZZNS1_14partition_implILS5_5ELb0ES3_mN6hipcub16HIPCUB_304000_NS21CountingInputIteratorIllEEPS6_NSA_22TransformInputIteratorIbN2at6native12_GLOBAL__N_19NonZeroOpIaEEPKalEENS0_5tupleIJPlS6_EEENSN_IJSD_SD_EEES6_PiJS6_EEE10hipError_tPvRmT3_T4_T5_T6_T7_T9_mT8_P12ihipStream_tbDpT10_ENKUlT_T0_E_clISt17integral_constantIbLb1EES1B_EEDaS16_S17_EUlS16_E_NS1_11comp_targetILNS1_3genE0ELNS1_11target_archE4294967295ELNS1_3gpuE0ELNS1_3repE0EEENS1_30default_config_static_selectorELNS0_4arch9wavefront6targetE0EEEvT1_.numbered_sgpr, 0
	.set _ZN7rocprim17ROCPRIM_400000_NS6detail17trampoline_kernelINS0_14default_configENS1_25partition_config_selectorILNS1_17partition_subalgoE5ElNS0_10empty_typeEbEEZZNS1_14partition_implILS5_5ELb0ES3_mN6hipcub16HIPCUB_304000_NS21CountingInputIteratorIllEEPS6_NSA_22TransformInputIteratorIbN2at6native12_GLOBAL__N_19NonZeroOpIaEEPKalEENS0_5tupleIJPlS6_EEENSN_IJSD_SD_EEES6_PiJS6_EEE10hipError_tPvRmT3_T4_T5_T6_T7_T9_mT8_P12ihipStream_tbDpT10_ENKUlT_T0_E_clISt17integral_constantIbLb1EES1B_EEDaS16_S17_EUlS16_E_NS1_11comp_targetILNS1_3genE0ELNS1_11target_archE4294967295ELNS1_3gpuE0ELNS1_3repE0EEENS1_30default_config_static_selectorELNS0_4arch9wavefront6targetE0EEEvT1_.num_named_barrier, 0
	.set _ZN7rocprim17ROCPRIM_400000_NS6detail17trampoline_kernelINS0_14default_configENS1_25partition_config_selectorILNS1_17partition_subalgoE5ElNS0_10empty_typeEbEEZZNS1_14partition_implILS5_5ELb0ES3_mN6hipcub16HIPCUB_304000_NS21CountingInputIteratorIllEEPS6_NSA_22TransformInputIteratorIbN2at6native12_GLOBAL__N_19NonZeroOpIaEEPKalEENS0_5tupleIJPlS6_EEENSN_IJSD_SD_EEES6_PiJS6_EEE10hipError_tPvRmT3_T4_T5_T6_T7_T9_mT8_P12ihipStream_tbDpT10_ENKUlT_T0_E_clISt17integral_constantIbLb1EES1B_EEDaS16_S17_EUlS16_E_NS1_11comp_targetILNS1_3genE0ELNS1_11target_archE4294967295ELNS1_3gpuE0ELNS1_3repE0EEENS1_30default_config_static_selectorELNS0_4arch9wavefront6targetE0EEEvT1_.private_seg_size, 0
	.set _ZN7rocprim17ROCPRIM_400000_NS6detail17trampoline_kernelINS0_14default_configENS1_25partition_config_selectorILNS1_17partition_subalgoE5ElNS0_10empty_typeEbEEZZNS1_14partition_implILS5_5ELb0ES3_mN6hipcub16HIPCUB_304000_NS21CountingInputIteratorIllEEPS6_NSA_22TransformInputIteratorIbN2at6native12_GLOBAL__N_19NonZeroOpIaEEPKalEENS0_5tupleIJPlS6_EEENSN_IJSD_SD_EEES6_PiJS6_EEE10hipError_tPvRmT3_T4_T5_T6_T7_T9_mT8_P12ihipStream_tbDpT10_ENKUlT_T0_E_clISt17integral_constantIbLb1EES1B_EEDaS16_S17_EUlS16_E_NS1_11comp_targetILNS1_3genE0ELNS1_11target_archE4294967295ELNS1_3gpuE0ELNS1_3repE0EEENS1_30default_config_static_selectorELNS0_4arch9wavefront6targetE0EEEvT1_.uses_vcc, 0
	.set _ZN7rocprim17ROCPRIM_400000_NS6detail17trampoline_kernelINS0_14default_configENS1_25partition_config_selectorILNS1_17partition_subalgoE5ElNS0_10empty_typeEbEEZZNS1_14partition_implILS5_5ELb0ES3_mN6hipcub16HIPCUB_304000_NS21CountingInputIteratorIllEEPS6_NSA_22TransformInputIteratorIbN2at6native12_GLOBAL__N_19NonZeroOpIaEEPKalEENS0_5tupleIJPlS6_EEENSN_IJSD_SD_EEES6_PiJS6_EEE10hipError_tPvRmT3_T4_T5_T6_T7_T9_mT8_P12ihipStream_tbDpT10_ENKUlT_T0_E_clISt17integral_constantIbLb1EES1B_EEDaS16_S17_EUlS16_E_NS1_11comp_targetILNS1_3genE0ELNS1_11target_archE4294967295ELNS1_3gpuE0ELNS1_3repE0EEENS1_30default_config_static_selectorELNS0_4arch9wavefront6targetE0EEEvT1_.uses_flat_scratch, 0
	.set _ZN7rocprim17ROCPRIM_400000_NS6detail17trampoline_kernelINS0_14default_configENS1_25partition_config_selectorILNS1_17partition_subalgoE5ElNS0_10empty_typeEbEEZZNS1_14partition_implILS5_5ELb0ES3_mN6hipcub16HIPCUB_304000_NS21CountingInputIteratorIllEEPS6_NSA_22TransformInputIteratorIbN2at6native12_GLOBAL__N_19NonZeroOpIaEEPKalEENS0_5tupleIJPlS6_EEENSN_IJSD_SD_EEES6_PiJS6_EEE10hipError_tPvRmT3_T4_T5_T6_T7_T9_mT8_P12ihipStream_tbDpT10_ENKUlT_T0_E_clISt17integral_constantIbLb1EES1B_EEDaS16_S17_EUlS16_E_NS1_11comp_targetILNS1_3genE0ELNS1_11target_archE4294967295ELNS1_3gpuE0ELNS1_3repE0EEENS1_30default_config_static_selectorELNS0_4arch9wavefront6targetE0EEEvT1_.has_dyn_sized_stack, 0
	.set _ZN7rocprim17ROCPRIM_400000_NS6detail17trampoline_kernelINS0_14default_configENS1_25partition_config_selectorILNS1_17partition_subalgoE5ElNS0_10empty_typeEbEEZZNS1_14partition_implILS5_5ELb0ES3_mN6hipcub16HIPCUB_304000_NS21CountingInputIteratorIllEEPS6_NSA_22TransformInputIteratorIbN2at6native12_GLOBAL__N_19NonZeroOpIaEEPKalEENS0_5tupleIJPlS6_EEENSN_IJSD_SD_EEES6_PiJS6_EEE10hipError_tPvRmT3_T4_T5_T6_T7_T9_mT8_P12ihipStream_tbDpT10_ENKUlT_T0_E_clISt17integral_constantIbLb1EES1B_EEDaS16_S17_EUlS16_E_NS1_11comp_targetILNS1_3genE0ELNS1_11target_archE4294967295ELNS1_3gpuE0ELNS1_3repE0EEENS1_30default_config_static_selectorELNS0_4arch9wavefront6targetE0EEEvT1_.has_recursion, 0
	.set _ZN7rocprim17ROCPRIM_400000_NS6detail17trampoline_kernelINS0_14default_configENS1_25partition_config_selectorILNS1_17partition_subalgoE5ElNS0_10empty_typeEbEEZZNS1_14partition_implILS5_5ELb0ES3_mN6hipcub16HIPCUB_304000_NS21CountingInputIteratorIllEEPS6_NSA_22TransformInputIteratorIbN2at6native12_GLOBAL__N_19NonZeroOpIaEEPKalEENS0_5tupleIJPlS6_EEENSN_IJSD_SD_EEES6_PiJS6_EEE10hipError_tPvRmT3_T4_T5_T6_T7_T9_mT8_P12ihipStream_tbDpT10_ENKUlT_T0_E_clISt17integral_constantIbLb1EES1B_EEDaS16_S17_EUlS16_E_NS1_11comp_targetILNS1_3genE0ELNS1_11target_archE4294967295ELNS1_3gpuE0ELNS1_3repE0EEENS1_30default_config_static_selectorELNS0_4arch9wavefront6targetE0EEEvT1_.has_indirect_call, 0
	.section	.AMDGPU.csdata,"",@progbits
; Kernel info:
; codeLenInByte = 0
; TotalNumSgprs: 0
; NumVgprs: 0
; ScratchSize: 0
; MemoryBound: 0
; FloatMode: 240
; IeeeMode: 1
; LDSByteSize: 0 bytes/workgroup (compile time only)
; SGPRBlocks: 0
; VGPRBlocks: 0
; NumSGPRsForWavesPerEU: 1
; NumVGPRsForWavesPerEU: 1
; Occupancy: 16
; WaveLimiterHint : 0
; COMPUTE_PGM_RSRC2:SCRATCH_EN: 0
; COMPUTE_PGM_RSRC2:USER_SGPR: 2
; COMPUTE_PGM_RSRC2:TRAP_HANDLER: 0
; COMPUTE_PGM_RSRC2:TGID_X_EN: 1
; COMPUTE_PGM_RSRC2:TGID_Y_EN: 0
; COMPUTE_PGM_RSRC2:TGID_Z_EN: 0
; COMPUTE_PGM_RSRC2:TIDIG_COMP_CNT: 0
	.section	.text._ZN7rocprim17ROCPRIM_400000_NS6detail17trampoline_kernelINS0_14default_configENS1_25partition_config_selectorILNS1_17partition_subalgoE5ElNS0_10empty_typeEbEEZZNS1_14partition_implILS5_5ELb0ES3_mN6hipcub16HIPCUB_304000_NS21CountingInputIteratorIllEEPS6_NSA_22TransformInputIteratorIbN2at6native12_GLOBAL__N_19NonZeroOpIaEEPKalEENS0_5tupleIJPlS6_EEENSN_IJSD_SD_EEES6_PiJS6_EEE10hipError_tPvRmT3_T4_T5_T6_T7_T9_mT8_P12ihipStream_tbDpT10_ENKUlT_T0_E_clISt17integral_constantIbLb1EES1B_EEDaS16_S17_EUlS16_E_NS1_11comp_targetILNS1_3genE5ELNS1_11target_archE942ELNS1_3gpuE9ELNS1_3repE0EEENS1_30default_config_static_selectorELNS0_4arch9wavefront6targetE0EEEvT1_,"axG",@progbits,_ZN7rocprim17ROCPRIM_400000_NS6detail17trampoline_kernelINS0_14default_configENS1_25partition_config_selectorILNS1_17partition_subalgoE5ElNS0_10empty_typeEbEEZZNS1_14partition_implILS5_5ELb0ES3_mN6hipcub16HIPCUB_304000_NS21CountingInputIteratorIllEEPS6_NSA_22TransformInputIteratorIbN2at6native12_GLOBAL__N_19NonZeroOpIaEEPKalEENS0_5tupleIJPlS6_EEENSN_IJSD_SD_EEES6_PiJS6_EEE10hipError_tPvRmT3_T4_T5_T6_T7_T9_mT8_P12ihipStream_tbDpT10_ENKUlT_T0_E_clISt17integral_constantIbLb1EES1B_EEDaS16_S17_EUlS16_E_NS1_11comp_targetILNS1_3genE5ELNS1_11target_archE942ELNS1_3gpuE9ELNS1_3repE0EEENS1_30default_config_static_selectorELNS0_4arch9wavefront6targetE0EEEvT1_,comdat
	.globl	_ZN7rocprim17ROCPRIM_400000_NS6detail17trampoline_kernelINS0_14default_configENS1_25partition_config_selectorILNS1_17partition_subalgoE5ElNS0_10empty_typeEbEEZZNS1_14partition_implILS5_5ELb0ES3_mN6hipcub16HIPCUB_304000_NS21CountingInputIteratorIllEEPS6_NSA_22TransformInputIteratorIbN2at6native12_GLOBAL__N_19NonZeroOpIaEEPKalEENS0_5tupleIJPlS6_EEENSN_IJSD_SD_EEES6_PiJS6_EEE10hipError_tPvRmT3_T4_T5_T6_T7_T9_mT8_P12ihipStream_tbDpT10_ENKUlT_T0_E_clISt17integral_constantIbLb1EES1B_EEDaS16_S17_EUlS16_E_NS1_11comp_targetILNS1_3genE5ELNS1_11target_archE942ELNS1_3gpuE9ELNS1_3repE0EEENS1_30default_config_static_selectorELNS0_4arch9wavefront6targetE0EEEvT1_ ; -- Begin function _ZN7rocprim17ROCPRIM_400000_NS6detail17trampoline_kernelINS0_14default_configENS1_25partition_config_selectorILNS1_17partition_subalgoE5ElNS0_10empty_typeEbEEZZNS1_14partition_implILS5_5ELb0ES3_mN6hipcub16HIPCUB_304000_NS21CountingInputIteratorIllEEPS6_NSA_22TransformInputIteratorIbN2at6native12_GLOBAL__N_19NonZeroOpIaEEPKalEENS0_5tupleIJPlS6_EEENSN_IJSD_SD_EEES6_PiJS6_EEE10hipError_tPvRmT3_T4_T5_T6_T7_T9_mT8_P12ihipStream_tbDpT10_ENKUlT_T0_E_clISt17integral_constantIbLb1EES1B_EEDaS16_S17_EUlS16_E_NS1_11comp_targetILNS1_3genE5ELNS1_11target_archE942ELNS1_3gpuE9ELNS1_3repE0EEENS1_30default_config_static_selectorELNS0_4arch9wavefront6targetE0EEEvT1_
	.p2align	8
	.type	_ZN7rocprim17ROCPRIM_400000_NS6detail17trampoline_kernelINS0_14default_configENS1_25partition_config_selectorILNS1_17partition_subalgoE5ElNS0_10empty_typeEbEEZZNS1_14partition_implILS5_5ELb0ES3_mN6hipcub16HIPCUB_304000_NS21CountingInputIteratorIllEEPS6_NSA_22TransformInputIteratorIbN2at6native12_GLOBAL__N_19NonZeroOpIaEEPKalEENS0_5tupleIJPlS6_EEENSN_IJSD_SD_EEES6_PiJS6_EEE10hipError_tPvRmT3_T4_T5_T6_T7_T9_mT8_P12ihipStream_tbDpT10_ENKUlT_T0_E_clISt17integral_constantIbLb1EES1B_EEDaS16_S17_EUlS16_E_NS1_11comp_targetILNS1_3genE5ELNS1_11target_archE942ELNS1_3gpuE9ELNS1_3repE0EEENS1_30default_config_static_selectorELNS0_4arch9wavefront6targetE0EEEvT1_,@function
_ZN7rocprim17ROCPRIM_400000_NS6detail17trampoline_kernelINS0_14default_configENS1_25partition_config_selectorILNS1_17partition_subalgoE5ElNS0_10empty_typeEbEEZZNS1_14partition_implILS5_5ELb0ES3_mN6hipcub16HIPCUB_304000_NS21CountingInputIteratorIllEEPS6_NSA_22TransformInputIteratorIbN2at6native12_GLOBAL__N_19NonZeroOpIaEEPKalEENS0_5tupleIJPlS6_EEENSN_IJSD_SD_EEES6_PiJS6_EEE10hipError_tPvRmT3_T4_T5_T6_T7_T9_mT8_P12ihipStream_tbDpT10_ENKUlT_T0_E_clISt17integral_constantIbLb1EES1B_EEDaS16_S17_EUlS16_E_NS1_11comp_targetILNS1_3genE5ELNS1_11target_archE942ELNS1_3gpuE9ELNS1_3repE0EEENS1_30default_config_static_selectorELNS0_4arch9wavefront6targetE0EEEvT1_: ; @_ZN7rocprim17ROCPRIM_400000_NS6detail17trampoline_kernelINS0_14default_configENS1_25partition_config_selectorILNS1_17partition_subalgoE5ElNS0_10empty_typeEbEEZZNS1_14partition_implILS5_5ELb0ES3_mN6hipcub16HIPCUB_304000_NS21CountingInputIteratorIllEEPS6_NSA_22TransformInputIteratorIbN2at6native12_GLOBAL__N_19NonZeroOpIaEEPKalEENS0_5tupleIJPlS6_EEENSN_IJSD_SD_EEES6_PiJS6_EEE10hipError_tPvRmT3_T4_T5_T6_T7_T9_mT8_P12ihipStream_tbDpT10_ENKUlT_T0_E_clISt17integral_constantIbLb1EES1B_EEDaS16_S17_EUlS16_E_NS1_11comp_targetILNS1_3genE5ELNS1_11target_archE942ELNS1_3gpuE9ELNS1_3repE0EEENS1_30default_config_static_selectorELNS0_4arch9wavefront6targetE0EEEvT1_
; %bb.0:
	.section	.rodata,"a",@progbits
	.p2align	6, 0x0
	.amdhsa_kernel _ZN7rocprim17ROCPRIM_400000_NS6detail17trampoline_kernelINS0_14default_configENS1_25partition_config_selectorILNS1_17partition_subalgoE5ElNS0_10empty_typeEbEEZZNS1_14partition_implILS5_5ELb0ES3_mN6hipcub16HIPCUB_304000_NS21CountingInputIteratorIllEEPS6_NSA_22TransformInputIteratorIbN2at6native12_GLOBAL__N_19NonZeroOpIaEEPKalEENS0_5tupleIJPlS6_EEENSN_IJSD_SD_EEES6_PiJS6_EEE10hipError_tPvRmT3_T4_T5_T6_T7_T9_mT8_P12ihipStream_tbDpT10_ENKUlT_T0_E_clISt17integral_constantIbLb1EES1B_EEDaS16_S17_EUlS16_E_NS1_11comp_targetILNS1_3genE5ELNS1_11target_archE942ELNS1_3gpuE9ELNS1_3repE0EEENS1_30default_config_static_selectorELNS0_4arch9wavefront6targetE0EEEvT1_
		.amdhsa_group_segment_fixed_size 0
		.amdhsa_private_segment_fixed_size 0
		.amdhsa_kernarg_size 136
		.amdhsa_user_sgpr_count 2
		.amdhsa_user_sgpr_dispatch_ptr 0
		.amdhsa_user_sgpr_queue_ptr 0
		.amdhsa_user_sgpr_kernarg_segment_ptr 1
		.amdhsa_user_sgpr_dispatch_id 0
		.amdhsa_user_sgpr_private_segment_size 0
		.amdhsa_wavefront_size32 1
		.amdhsa_uses_dynamic_stack 0
		.amdhsa_enable_private_segment 0
		.amdhsa_system_sgpr_workgroup_id_x 1
		.amdhsa_system_sgpr_workgroup_id_y 0
		.amdhsa_system_sgpr_workgroup_id_z 0
		.amdhsa_system_sgpr_workgroup_info 0
		.amdhsa_system_vgpr_workitem_id 0
		.amdhsa_next_free_vgpr 1
		.amdhsa_next_free_sgpr 1
		.amdhsa_reserve_vcc 0
		.amdhsa_float_round_mode_32 0
		.amdhsa_float_round_mode_16_64 0
		.amdhsa_float_denorm_mode_32 3
		.amdhsa_float_denorm_mode_16_64 3
		.amdhsa_fp16_overflow 0
		.amdhsa_workgroup_processor_mode 1
		.amdhsa_memory_ordered 1
		.amdhsa_forward_progress 1
		.amdhsa_inst_pref_size 0
		.amdhsa_round_robin_scheduling 0
		.amdhsa_exception_fp_ieee_invalid_op 0
		.amdhsa_exception_fp_denorm_src 0
		.amdhsa_exception_fp_ieee_div_zero 0
		.amdhsa_exception_fp_ieee_overflow 0
		.amdhsa_exception_fp_ieee_underflow 0
		.amdhsa_exception_fp_ieee_inexact 0
		.amdhsa_exception_int_div_zero 0
	.end_amdhsa_kernel
	.section	.text._ZN7rocprim17ROCPRIM_400000_NS6detail17trampoline_kernelINS0_14default_configENS1_25partition_config_selectorILNS1_17partition_subalgoE5ElNS0_10empty_typeEbEEZZNS1_14partition_implILS5_5ELb0ES3_mN6hipcub16HIPCUB_304000_NS21CountingInputIteratorIllEEPS6_NSA_22TransformInputIteratorIbN2at6native12_GLOBAL__N_19NonZeroOpIaEEPKalEENS0_5tupleIJPlS6_EEENSN_IJSD_SD_EEES6_PiJS6_EEE10hipError_tPvRmT3_T4_T5_T6_T7_T9_mT8_P12ihipStream_tbDpT10_ENKUlT_T0_E_clISt17integral_constantIbLb1EES1B_EEDaS16_S17_EUlS16_E_NS1_11comp_targetILNS1_3genE5ELNS1_11target_archE942ELNS1_3gpuE9ELNS1_3repE0EEENS1_30default_config_static_selectorELNS0_4arch9wavefront6targetE0EEEvT1_,"axG",@progbits,_ZN7rocprim17ROCPRIM_400000_NS6detail17trampoline_kernelINS0_14default_configENS1_25partition_config_selectorILNS1_17partition_subalgoE5ElNS0_10empty_typeEbEEZZNS1_14partition_implILS5_5ELb0ES3_mN6hipcub16HIPCUB_304000_NS21CountingInputIteratorIllEEPS6_NSA_22TransformInputIteratorIbN2at6native12_GLOBAL__N_19NonZeroOpIaEEPKalEENS0_5tupleIJPlS6_EEENSN_IJSD_SD_EEES6_PiJS6_EEE10hipError_tPvRmT3_T4_T5_T6_T7_T9_mT8_P12ihipStream_tbDpT10_ENKUlT_T0_E_clISt17integral_constantIbLb1EES1B_EEDaS16_S17_EUlS16_E_NS1_11comp_targetILNS1_3genE5ELNS1_11target_archE942ELNS1_3gpuE9ELNS1_3repE0EEENS1_30default_config_static_selectorELNS0_4arch9wavefront6targetE0EEEvT1_,comdat
.Lfunc_end127:
	.size	_ZN7rocprim17ROCPRIM_400000_NS6detail17trampoline_kernelINS0_14default_configENS1_25partition_config_selectorILNS1_17partition_subalgoE5ElNS0_10empty_typeEbEEZZNS1_14partition_implILS5_5ELb0ES3_mN6hipcub16HIPCUB_304000_NS21CountingInputIteratorIllEEPS6_NSA_22TransformInputIteratorIbN2at6native12_GLOBAL__N_19NonZeroOpIaEEPKalEENS0_5tupleIJPlS6_EEENSN_IJSD_SD_EEES6_PiJS6_EEE10hipError_tPvRmT3_T4_T5_T6_T7_T9_mT8_P12ihipStream_tbDpT10_ENKUlT_T0_E_clISt17integral_constantIbLb1EES1B_EEDaS16_S17_EUlS16_E_NS1_11comp_targetILNS1_3genE5ELNS1_11target_archE942ELNS1_3gpuE9ELNS1_3repE0EEENS1_30default_config_static_selectorELNS0_4arch9wavefront6targetE0EEEvT1_, .Lfunc_end127-_ZN7rocprim17ROCPRIM_400000_NS6detail17trampoline_kernelINS0_14default_configENS1_25partition_config_selectorILNS1_17partition_subalgoE5ElNS0_10empty_typeEbEEZZNS1_14partition_implILS5_5ELb0ES3_mN6hipcub16HIPCUB_304000_NS21CountingInputIteratorIllEEPS6_NSA_22TransformInputIteratorIbN2at6native12_GLOBAL__N_19NonZeroOpIaEEPKalEENS0_5tupleIJPlS6_EEENSN_IJSD_SD_EEES6_PiJS6_EEE10hipError_tPvRmT3_T4_T5_T6_T7_T9_mT8_P12ihipStream_tbDpT10_ENKUlT_T0_E_clISt17integral_constantIbLb1EES1B_EEDaS16_S17_EUlS16_E_NS1_11comp_targetILNS1_3genE5ELNS1_11target_archE942ELNS1_3gpuE9ELNS1_3repE0EEENS1_30default_config_static_selectorELNS0_4arch9wavefront6targetE0EEEvT1_
                                        ; -- End function
	.set _ZN7rocprim17ROCPRIM_400000_NS6detail17trampoline_kernelINS0_14default_configENS1_25partition_config_selectorILNS1_17partition_subalgoE5ElNS0_10empty_typeEbEEZZNS1_14partition_implILS5_5ELb0ES3_mN6hipcub16HIPCUB_304000_NS21CountingInputIteratorIllEEPS6_NSA_22TransformInputIteratorIbN2at6native12_GLOBAL__N_19NonZeroOpIaEEPKalEENS0_5tupleIJPlS6_EEENSN_IJSD_SD_EEES6_PiJS6_EEE10hipError_tPvRmT3_T4_T5_T6_T7_T9_mT8_P12ihipStream_tbDpT10_ENKUlT_T0_E_clISt17integral_constantIbLb1EES1B_EEDaS16_S17_EUlS16_E_NS1_11comp_targetILNS1_3genE5ELNS1_11target_archE942ELNS1_3gpuE9ELNS1_3repE0EEENS1_30default_config_static_selectorELNS0_4arch9wavefront6targetE0EEEvT1_.num_vgpr, 0
	.set _ZN7rocprim17ROCPRIM_400000_NS6detail17trampoline_kernelINS0_14default_configENS1_25partition_config_selectorILNS1_17partition_subalgoE5ElNS0_10empty_typeEbEEZZNS1_14partition_implILS5_5ELb0ES3_mN6hipcub16HIPCUB_304000_NS21CountingInputIteratorIllEEPS6_NSA_22TransformInputIteratorIbN2at6native12_GLOBAL__N_19NonZeroOpIaEEPKalEENS0_5tupleIJPlS6_EEENSN_IJSD_SD_EEES6_PiJS6_EEE10hipError_tPvRmT3_T4_T5_T6_T7_T9_mT8_P12ihipStream_tbDpT10_ENKUlT_T0_E_clISt17integral_constantIbLb1EES1B_EEDaS16_S17_EUlS16_E_NS1_11comp_targetILNS1_3genE5ELNS1_11target_archE942ELNS1_3gpuE9ELNS1_3repE0EEENS1_30default_config_static_selectorELNS0_4arch9wavefront6targetE0EEEvT1_.num_agpr, 0
	.set _ZN7rocprim17ROCPRIM_400000_NS6detail17trampoline_kernelINS0_14default_configENS1_25partition_config_selectorILNS1_17partition_subalgoE5ElNS0_10empty_typeEbEEZZNS1_14partition_implILS5_5ELb0ES3_mN6hipcub16HIPCUB_304000_NS21CountingInputIteratorIllEEPS6_NSA_22TransformInputIteratorIbN2at6native12_GLOBAL__N_19NonZeroOpIaEEPKalEENS0_5tupleIJPlS6_EEENSN_IJSD_SD_EEES6_PiJS6_EEE10hipError_tPvRmT3_T4_T5_T6_T7_T9_mT8_P12ihipStream_tbDpT10_ENKUlT_T0_E_clISt17integral_constantIbLb1EES1B_EEDaS16_S17_EUlS16_E_NS1_11comp_targetILNS1_3genE5ELNS1_11target_archE942ELNS1_3gpuE9ELNS1_3repE0EEENS1_30default_config_static_selectorELNS0_4arch9wavefront6targetE0EEEvT1_.numbered_sgpr, 0
	.set _ZN7rocprim17ROCPRIM_400000_NS6detail17trampoline_kernelINS0_14default_configENS1_25partition_config_selectorILNS1_17partition_subalgoE5ElNS0_10empty_typeEbEEZZNS1_14partition_implILS5_5ELb0ES3_mN6hipcub16HIPCUB_304000_NS21CountingInputIteratorIllEEPS6_NSA_22TransformInputIteratorIbN2at6native12_GLOBAL__N_19NonZeroOpIaEEPKalEENS0_5tupleIJPlS6_EEENSN_IJSD_SD_EEES6_PiJS6_EEE10hipError_tPvRmT3_T4_T5_T6_T7_T9_mT8_P12ihipStream_tbDpT10_ENKUlT_T0_E_clISt17integral_constantIbLb1EES1B_EEDaS16_S17_EUlS16_E_NS1_11comp_targetILNS1_3genE5ELNS1_11target_archE942ELNS1_3gpuE9ELNS1_3repE0EEENS1_30default_config_static_selectorELNS0_4arch9wavefront6targetE0EEEvT1_.num_named_barrier, 0
	.set _ZN7rocprim17ROCPRIM_400000_NS6detail17trampoline_kernelINS0_14default_configENS1_25partition_config_selectorILNS1_17partition_subalgoE5ElNS0_10empty_typeEbEEZZNS1_14partition_implILS5_5ELb0ES3_mN6hipcub16HIPCUB_304000_NS21CountingInputIteratorIllEEPS6_NSA_22TransformInputIteratorIbN2at6native12_GLOBAL__N_19NonZeroOpIaEEPKalEENS0_5tupleIJPlS6_EEENSN_IJSD_SD_EEES6_PiJS6_EEE10hipError_tPvRmT3_T4_T5_T6_T7_T9_mT8_P12ihipStream_tbDpT10_ENKUlT_T0_E_clISt17integral_constantIbLb1EES1B_EEDaS16_S17_EUlS16_E_NS1_11comp_targetILNS1_3genE5ELNS1_11target_archE942ELNS1_3gpuE9ELNS1_3repE0EEENS1_30default_config_static_selectorELNS0_4arch9wavefront6targetE0EEEvT1_.private_seg_size, 0
	.set _ZN7rocprim17ROCPRIM_400000_NS6detail17trampoline_kernelINS0_14default_configENS1_25partition_config_selectorILNS1_17partition_subalgoE5ElNS0_10empty_typeEbEEZZNS1_14partition_implILS5_5ELb0ES3_mN6hipcub16HIPCUB_304000_NS21CountingInputIteratorIllEEPS6_NSA_22TransformInputIteratorIbN2at6native12_GLOBAL__N_19NonZeroOpIaEEPKalEENS0_5tupleIJPlS6_EEENSN_IJSD_SD_EEES6_PiJS6_EEE10hipError_tPvRmT3_T4_T5_T6_T7_T9_mT8_P12ihipStream_tbDpT10_ENKUlT_T0_E_clISt17integral_constantIbLb1EES1B_EEDaS16_S17_EUlS16_E_NS1_11comp_targetILNS1_3genE5ELNS1_11target_archE942ELNS1_3gpuE9ELNS1_3repE0EEENS1_30default_config_static_selectorELNS0_4arch9wavefront6targetE0EEEvT1_.uses_vcc, 0
	.set _ZN7rocprim17ROCPRIM_400000_NS6detail17trampoline_kernelINS0_14default_configENS1_25partition_config_selectorILNS1_17partition_subalgoE5ElNS0_10empty_typeEbEEZZNS1_14partition_implILS5_5ELb0ES3_mN6hipcub16HIPCUB_304000_NS21CountingInputIteratorIllEEPS6_NSA_22TransformInputIteratorIbN2at6native12_GLOBAL__N_19NonZeroOpIaEEPKalEENS0_5tupleIJPlS6_EEENSN_IJSD_SD_EEES6_PiJS6_EEE10hipError_tPvRmT3_T4_T5_T6_T7_T9_mT8_P12ihipStream_tbDpT10_ENKUlT_T0_E_clISt17integral_constantIbLb1EES1B_EEDaS16_S17_EUlS16_E_NS1_11comp_targetILNS1_3genE5ELNS1_11target_archE942ELNS1_3gpuE9ELNS1_3repE0EEENS1_30default_config_static_selectorELNS0_4arch9wavefront6targetE0EEEvT1_.uses_flat_scratch, 0
	.set _ZN7rocprim17ROCPRIM_400000_NS6detail17trampoline_kernelINS0_14default_configENS1_25partition_config_selectorILNS1_17partition_subalgoE5ElNS0_10empty_typeEbEEZZNS1_14partition_implILS5_5ELb0ES3_mN6hipcub16HIPCUB_304000_NS21CountingInputIteratorIllEEPS6_NSA_22TransformInputIteratorIbN2at6native12_GLOBAL__N_19NonZeroOpIaEEPKalEENS0_5tupleIJPlS6_EEENSN_IJSD_SD_EEES6_PiJS6_EEE10hipError_tPvRmT3_T4_T5_T6_T7_T9_mT8_P12ihipStream_tbDpT10_ENKUlT_T0_E_clISt17integral_constantIbLb1EES1B_EEDaS16_S17_EUlS16_E_NS1_11comp_targetILNS1_3genE5ELNS1_11target_archE942ELNS1_3gpuE9ELNS1_3repE0EEENS1_30default_config_static_selectorELNS0_4arch9wavefront6targetE0EEEvT1_.has_dyn_sized_stack, 0
	.set _ZN7rocprim17ROCPRIM_400000_NS6detail17trampoline_kernelINS0_14default_configENS1_25partition_config_selectorILNS1_17partition_subalgoE5ElNS0_10empty_typeEbEEZZNS1_14partition_implILS5_5ELb0ES3_mN6hipcub16HIPCUB_304000_NS21CountingInputIteratorIllEEPS6_NSA_22TransformInputIteratorIbN2at6native12_GLOBAL__N_19NonZeroOpIaEEPKalEENS0_5tupleIJPlS6_EEENSN_IJSD_SD_EEES6_PiJS6_EEE10hipError_tPvRmT3_T4_T5_T6_T7_T9_mT8_P12ihipStream_tbDpT10_ENKUlT_T0_E_clISt17integral_constantIbLb1EES1B_EEDaS16_S17_EUlS16_E_NS1_11comp_targetILNS1_3genE5ELNS1_11target_archE942ELNS1_3gpuE9ELNS1_3repE0EEENS1_30default_config_static_selectorELNS0_4arch9wavefront6targetE0EEEvT1_.has_recursion, 0
	.set _ZN7rocprim17ROCPRIM_400000_NS6detail17trampoline_kernelINS0_14default_configENS1_25partition_config_selectorILNS1_17partition_subalgoE5ElNS0_10empty_typeEbEEZZNS1_14partition_implILS5_5ELb0ES3_mN6hipcub16HIPCUB_304000_NS21CountingInputIteratorIllEEPS6_NSA_22TransformInputIteratorIbN2at6native12_GLOBAL__N_19NonZeroOpIaEEPKalEENS0_5tupleIJPlS6_EEENSN_IJSD_SD_EEES6_PiJS6_EEE10hipError_tPvRmT3_T4_T5_T6_T7_T9_mT8_P12ihipStream_tbDpT10_ENKUlT_T0_E_clISt17integral_constantIbLb1EES1B_EEDaS16_S17_EUlS16_E_NS1_11comp_targetILNS1_3genE5ELNS1_11target_archE942ELNS1_3gpuE9ELNS1_3repE0EEENS1_30default_config_static_selectorELNS0_4arch9wavefront6targetE0EEEvT1_.has_indirect_call, 0
	.section	.AMDGPU.csdata,"",@progbits
; Kernel info:
; codeLenInByte = 0
; TotalNumSgprs: 0
; NumVgprs: 0
; ScratchSize: 0
; MemoryBound: 0
; FloatMode: 240
; IeeeMode: 1
; LDSByteSize: 0 bytes/workgroup (compile time only)
; SGPRBlocks: 0
; VGPRBlocks: 0
; NumSGPRsForWavesPerEU: 1
; NumVGPRsForWavesPerEU: 1
; Occupancy: 16
; WaveLimiterHint : 0
; COMPUTE_PGM_RSRC2:SCRATCH_EN: 0
; COMPUTE_PGM_RSRC2:USER_SGPR: 2
; COMPUTE_PGM_RSRC2:TRAP_HANDLER: 0
; COMPUTE_PGM_RSRC2:TGID_X_EN: 1
; COMPUTE_PGM_RSRC2:TGID_Y_EN: 0
; COMPUTE_PGM_RSRC2:TGID_Z_EN: 0
; COMPUTE_PGM_RSRC2:TIDIG_COMP_CNT: 0
	.section	.text._ZN7rocprim17ROCPRIM_400000_NS6detail17trampoline_kernelINS0_14default_configENS1_25partition_config_selectorILNS1_17partition_subalgoE5ElNS0_10empty_typeEbEEZZNS1_14partition_implILS5_5ELb0ES3_mN6hipcub16HIPCUB_304000_NS21CountingInputIteratorIllEEPS6_NSA_22TransformInputIteratorIbN2at6native12_GLOBAL__N_19NonZeroOpIaEEPKalEENS0_5tupleIJPlS6_EEENSN_IJSD_SD_EEES6_PiJS6_EEE10hipError_tPvRmT3_T4_T5_T6_T7_T9_mT8_P12ihipStream_tbDpT10_ENKUlT_T0_E_clISt17integral_constantIbLb1EES1B_EEDaS16_S17_EUlS16_E_NS1_11comp_targetILNS1_3genE4ELNS1_11target_archE910ELNS1_3gpuE8ELNS1_3repE0EEENS1_30default_config_static_selectorELNS0_4arch9wavefront6targetE0EEEvT1_,"axG",@progbits,_ZN7rocprim17ROCPRIM_400000_NS6detail17trampoline_kernelINS0_14default_configENS1_25partition_config_selectorILNS1_17partition_subalgoE5ElNS0_10empty_typeEbEEZZNS1_14partition_implILS5_5ELb0ES3_mN6hipcub16HIPCUB_304000_NS21CountingInputIteratorIllEEPS6_NSA_22TransformInputIteratorIbN2at6native12_GLOBAL__N_19NonZeroOpIaEEPKalEENS0_5tupleIJPlS6_EEENSN_IJSD_SD_EEES6_PiJS6_EEE10hipError_tPvRmT3_T4_T5_T6_T7_T9_mT8_P12ihipStream_tbDpT10_ENKUlT_T0_E_clISt17integral_constantIbLb1EES1B_EEDaS16_S17_EUlS16_E_NS1_11comp_targetILNS1_3genE4ELNS1_11target_archE910ELNS1_3gpuE8ELNS1_3repE0EEENS1_30default_config_static_selectorELNS0_4arch9wavefront6targetE0EEEvT1_,comdat
	.globl	_ZN7rocprim17ROCPRIM_400000_NS6detail17trampoline_kernelINS0_14default_configENS1_25partition_config_selectorILNS1_17partition_subalgoE5ElNS0_10empty_typeEbEEZZNS1_14partition_implILS5_5ELb0ES3_mN6hipcub16HIPCUB_304000_NS21CountingInputIteratorIllEEPS6_NSA_22TransformInputIteratorIbN2at6native12_GLOBAL__N_19NonZeroOpIaEEPKalEENS0_5tupleIJPlS6_EEENSN_IJSD_SD_EEES6_PiJS6_EEE10hipError_tPvRmT3_T4_T5_T6_T7_T9_mT8_P12ihipStream_tbDpT10_ENKUlT_T0_E_clISt17integral_constantIbLb1EES1B_EEDaS16_S17_EUlS16_E_NS1_11comp_targetILNS1_3genE4ELNS1_11target_archE910ELNS1_3gpuE8ELNS1_3repE0EEENS1_30default_config_static_selectorELNS0_4arch9wavefront6targetE0EEEvT1_ ; -- Begin function _ZN7rocprim17ROCPRIM_400000_NS6detail17trampoline_kernelINS0_14default_configENS1_25partition_config_selectorILNS1_17partition_subalgoE5ElNS0_10empty_typeEbEEZZNS1_14partition_implILS5_5ELb0ES3_mN6hipcub16HIPCUB_304000_NS21CountingInputIteratorIllEEPS6_NSA_22TransformInputIteratorIbN2at6native12_GLOBAL__N_19NonZeroOpIaEEPKalEENS0_5tupleIJPlS6_EEENSN_IJSD_SD_EEES6_PiJS6_EEE10hipError_tPvRmT3_T4_T5_T6_T7_T9_mT8_P12ihipStream_tbDpT10_ENKUlT_T0_E_clISt17integral_constantIbLb1EES1B_EEDaS16_S17_EUlS16_E_NS1_11comp_targetILNS1_3genE4ELNS1_11target_archE910ELNS1_3gpuE8ELNS1_3repE0EEENS1_30default_config_static_selectorELNS0_4arch9wavefront6targetE0EEEvT1_
	.p2align	8
	.type	_ZN7rocprim17ROCPRIM_400000_NS6detail17trampoline_kernelINS0_14default_configENS1_25partition_config_selectorILNS1_17partition_subalgoE5ElNS0_10empty_typeEbEEZZNS1_14partition_implILS5_5ELb0ES3_mN6hipcub16HIPCUB_304000_NS21CountingInputIteratorIllEEPS6_NSA_22TransformInputIteratorIbN2at6native12_GLOBAL__N_19NonZeroOpIaEEPKalEENS0_5tupleIJPlS6_EEENSN_IJSD_SD_EEES6_PiJS6_EEE10hipError_tPvRmT3_T4_T5_T6_T7_T9_mT8_P12ihipStream_tbDpT10_ENKUlT_T0_E_clISt17integral_constantIbLb1EES1B_EEDaS16_S17_EUlS16_E_NS1_11comp_targetILNS1_3genE4ELNS1_11target_archE910ELNS1_3gpuE8ELNS1_3repE0EEENS1_30default_config_static_selectorELNS0_4arch9wavefront6targetE0EEEvT1_,@function
_ZN7rocprim17ROCPRIM_400000_NS6detail17trampoline_kernelINS0_14default_configENS1_25partition_config_selectorILNS1_17partition_subalgoE5ElNS0_10empty_typeEbEEZZNS1_14partition_implILS5_5ELb0ES3_mN6hipcub16HIPCUB_304000_NS21CountingInputIteratorIllEEPS6_NSA_22TransformInputIteratorIbN2at6native12_GLOBAL__N_19NonZeroOpIaEEPKalEENS0_5tupleIJPlS6_EEENSN_IJSD_SD_EEES6_PiJS6_EEE10hipError_tPvRmT3_T4_T5_T6_T7_T9_mT8_P12ihipStream_tbDpT10_ENKUlT_T0_E_clISt17integral_constantIbLb1EES1B_EEDaS16_S17_EUlS16_E_NS1_11comp_targetILNS1_3genE4ELNS1_11target_archE910ELNS1_3gpuE8ELNS1_3repE0EEENS1_30default_config_static_selectorELNS0_4arch9wavefront6targetE0EEEvT1_: ; @_ZN7rocprim17ROCPRIM_400000_NS6detail17trampoline_kernelINS0_14default_configENS1_25partition_config_selectorILNS1_17partition_subalgoE5ElNS0_10empty_typeEbEEZZNS1_14partition_implILS5_5ELb0ES3_mN6hipcub16HIPCUB_304000_NS21CountingInputIteratorIllEEPS6_NSA_22TransformInputIteratorIbN2at6native12_GLOBAL__N_19NonZeroOpIaEEPKalEENS0_5tupleIJPlS6_EEENSN_IJSD_SD_EEES6_PiJS6_EEE10hipError_tPvRmT3_T4_T5_T6_T7_T9_mT8_P12ihipStream_tbDpT10_ENKUlT_T0_E_clISt17integral_constantIbLb1EES1B_EEDaS16_S17_EUlS16_E_NS1_11comp_targetILNS1_3genE4ELNS1_11target_archE910ELNS1_3gpuE8ELNS1_3repE0EEENS1_30default_config_static_selectorELNS0_4arch9wavefront6targetE0EEEvT1_
; %bb.0:
	.section	.rodata,"a",@progbits
	.p2align	6, 0x0
	.amdhsa_kernel _ZN7rocprim17ROCPRIM_400000_NS6detail17trampoline_kernelINS0_14default_configENS1_25partition_config_selectorILNS1_17partition_subalgoE5ElNS0_10empty_typeEbEEZZNS1_14partition_implILS5_5ELb0ES3_mN6hipcub16HIPCUB_304000_NS21CountingInputIteratorIllEEPS6_NSA_22TransformInputIteratorIbN2at6native12_GLOBAL__N_19NonZeroOpIaEEPKalEENS0_5tupleIJPlS6_EEENSN_IJSD_SD_EEES6_PiJS6_EEE10hipError_tPvRmT3_T4_T5_T6_T7_T9_mT8_P12ihipStream_tbDpT10_ENKUlT_T0_E_clISt17integral_constantIbLb1EES1B_EEDaS16_S17_EUlS16_E_NS1_11comp_targetILNS1_3genE4ELNS1_11target_archE910ELNS1_3gpuE8ELNS1_3repE0EEENS1_30default_config_static_selectorELNS0_4arch9wavefront6targetE0EEEvT1_
		.amdhsa_group_segment_fixed_size 0
		.amdhsa_private_segment_fixed_size 0
		.amdhsa_kernarg_size 136
		.amdhsa_user_sgpr_count 2
		.amdhsa_user_sgpr_dispatch_ptr 0
		.amdhsa_user_sgpr_queue_ptr 0
		.amdhsa_user_sgpr_kernarg_segment_ptr 1
		.amdhsa_user_sgpr_dispatch_id 0
		.amdhsa_user_sgpr_private_segment_size 0
		.amdhsa_wavefront_size32 1
		.amdhsa_uses_dynamic_stack 0
		.amdhsa_enable_private_segment 0
		.amdhsa_system_sgpr_workgroup_id_x 1
		.amdhsa_system_sgpr_workgroup_id_y 0
		.amdhsa_system_sgpr_workgroup_id_z 0
		.amdhsa_system_sgpr_workgroup_info 0
		.amdhsa_system_vgpr_workitem_id 0
		.amdhsa_next_free_vgpr 1
		.amdhsa_next_free_sgpr 1
		.amdhsa_reserve_vcc 0
		.amdhsa_float_round_mode_32 0
		.amdhsa_float_round_mode_16_64 0
		.amdhsa_float_denorm_mode_32 3
		.amdhsa_float_denorm_mode_16_64 3
		.amdhsa_fp16_overflow 0
		.amdhsa_workgroup_processor_mode 1
		.amdhsa_memory_ordered 1
		.amdhsa_forward_progress 1
		.amdhsa_inst_pref_size 0
		.amdhsa_round_robin_scheduling 0
		.amdhsa_exception_fp_ieee_invalid_op 0
		.amdhsa_exception_fp_denorm_src 0
		.amdhsa_exception_fp_ieee_div_zero 0
		.amdhsa_exception_fp_ieee_overflow 0
		.amdhsa_exception_fp_ieee_underflow 0
		.amdhsa_exception_fp_ieee_inexact 0
		.amdhsa_exception_int_div_zero 0
	.end_amdhsa_kernel
	.section	.text._ZN7rocprim17ROCPRIM_400000_NS6detail17trampoline_kernelINS0_14default_configENS1_25partition_config_selectorILNS1_17partition_subalgoE5ElNS0_10empty_typeEbEEZZNS1_14partition_implILS5_5ELb0ES3_mN6hipcub16HIPCUB_304000_NS21CountingInputIteratorIllEEPS6_NSA_22TransformInputIteratorIbN2at6native12_GLOBAL__N_19NonZeroOpIaEEPKalEENS0_5tupleIJPlS6_EEENSN_IJSD_SD_EEES6_PiJS6_EEE10hipError_tPvRmT3_T4_T5_T6_T7_T9_mT8_P12ihipStream_tbDpT10_ENKUlT_T0_E_clISt17integral_constantIbLb1EES1B_EEDaS16_S17_EUlS16_E_NS1_11comp_targetILNS1_3genE4ELNS1_11target_archE910ELNS1_3gpuE8ELNS1_3repE0EEENS1_30default_config_static_selectorELNS0_4arch9wavefront6targetE0EEEvT1_,"axG",@progbits,_ZN7rocprim17ROCPRIM_400000_NS6detail17trampoline_kernelINS0_14default_configENS1_25partition_config_selectorILNS1_17partition_subalgoE5ElNS0_10empty_typeEbEEZZNS1_14partition_implILS5_5ELb0ES3_mN6hipcub16HIPCUB_304000_NS21CountingInputIteratorIllEEPS6_NSA_22TransformInputIteratorIbN2at6native12_GLOBAL__N_19NonZeroOpIaEEPKalEENS0_5tupleIJPlS6_EEENSN_IJSD_SD_EEES6_PiJS6_EEE10hipError_tPvRmT3_T4_T5_T6_T7_T9_mT8_P12ihipStream_tbDpT10_ENKUlT_T0_E_clISt17integral_constantIbLb1EES1B_EEDaS16_S17_EUlS16_E_NS1_11comp_targetILNS1_3genE4ELNS1_11target_archE910ELNS1_3gpuE8ELNS1_3repE0EEENS1_30default_config_static_selectorELNS0_4arch9wavefront6targetE0EEEvT1_,comdat
.Lfunc_end128:
	.size	_ZN7rocprim17ROCPRIM_400000_NS6detail17trampoline_kernelINS0_14default_configENS1_25partition_config_selectorILNS1_17partition_subalgoE5ElNS0_10empty_typeEbEEZZNS1_14partition_implILS5_5ELb0ES3_mN6hipcub16HIPCUB_304000_NS21CountingInputIteratorIllEEPS6_NSA_22TransformInputIteratorIbN2at6native12_GLOBAL__N_19NonZeroOpIaEEPKalEENS0_5tupleIJPlS6_EEENSN_IJSD_SD_EEES6_PiJS6_EEE10hipError_tPvRmT3_T4_T5_T6_T7_T9_mT8_P12ihipStream_tbDpT10_ENKUlT_T0_E_clISt17integral_constantIbLb1EES1B_EEDaS16_S17_EUlS16_E_NS1_11comp_targetILNS1_3genE4ELNS1_11target_archE910ELNS1_3gpuE8ELNS1_3repE0EEENS1_30default_config_static_selectorELNS0_4arch9wavefront6targetE0EEEvT1_, .Lfunc_end128-_ZN7rocprim17ROCPRIM_400000_NS6detail17trampoline_kernelINS0_14default_configENS1_25partition_config_selectorILNS1_17partition_subalgoE5ElNS0_10empty_typeEbEEZZNS1_14partition_implILS5_5ELb0ES3_mN6hipcub16HIPCUB_304000_NS21CountingInputIteratorIllEEPS6_NSA_22TransformInputIteratorIbN2at6native12_GLOBAL__N_19NonZeroOpIaEEPKalEENS0_5tupleIJPlS6_EEENSN_IJSD_SD_EEES6_PiJS6_EEE10hipError_tPvRmT3_T4_T5_T6_T7_T9_mT8_P12ihipStream_tbDpT10_ENKUlT_T0_E_clISt17integral_constantIbLb1EES1B_EEDaS16_S17_EUlS16_E_NS1_11comp_targetILNS1_3genE4ELNS1_11target_archE910ELNS1_3gpuE8ELNS1_3repE0EEENS1_30default_config_static_selectorELNS0_4arch9wavefront6targetE0EEEvT1_
                                        ; -- End function
	.set _ZN7rocprim17ROCPRIM_400000_NS6detail17trampoline_kernelINS0_14default_configENS1_25partition_config_selectorILNS1_17partition_subalgoE5ElNS0_10empty_typeEbEEZZNS1_14partition_implILS5_5ELb0ES3_mN6hipcub16HIPCUB_304000_NS21CountingInputIteratorIllEEPS6_NSA_22TransformInputIteratorIbN2at6native12_GLOBAL__N_19NonZeroOpIaEEPKalEENS0_5tupleIJPlS6_EEENSN_IJSD_SD_EEES6_PiJS6_EEE10hipError_tPvRmT3_T4_T5_T6_T7_T9_mT8_P12ihipStream_tbDpT10_ENKUlT_T0_E_clISt17integral_constantIbLb1EES1B_EEDaS16_S17_EUlS16_E_NS1_11comp_targetILNS1_3genE4ELNS1_11target_archE910ELNS1_3gpuE8ELNS1_3repE0EEENS1_30default_config_static_selectorELNS0_4arch9wavefront6targetE0EEEvT1_.num_vgpr, 0
	.set _ZN7rocprim17ROCPRIM_400000_NS6detail17trampoline_kernelINS0_14default_configENS1_25partition_config_selectorILNS1_17partition_subalgoE5ElNS0_10empty_typeEbEEZZNS1_14partition_implILS5_5ELb0ES3_mN6hipcub16HIPCUB_304000_NS21CountingInputIteratorIllEEPS6_NSA_22TransformInputIteratorIbN2at6native12_GLOBAL__N_19NonZeroOpIaEEPKalEENS0_5tupleIJPlS6_EEENSN_IJSD_SD_EEES6_PiJS6_EEE10hipError_tPvRmT3_T4_T5_T6_T7_T9_mT8_P12ihipStream_tbDpT10_ENKUlT_T0_E_clISt17integral_constantIbLb1EES1B_EEDaS16_S17_EUlS16_E_NS1_11comp_targetILNS1_3genE4ELNS1_11target_archE910ELNS1_3gpuE8ELNS1_3repE0EEENS1_30default_config_static_selectorELNS0_4arch9wavefront6targetE0EEEvT1_.num_agpr, 0
	.set _ZN7rocprim17ROCPRIM_400000_NS6detail17trampoline_kernelINS0_14default_configENS1_25partition_config_selectorILNS1_17partition_subalgoE5ElNS0_10empty_typeEbEEZZNS1_14partition_implILS5_5ELb0ES3_mN6hipcub16HIPCUB_304000_NS21CountingInputIteratorIllEEPS6_NSA_22TransformInputIteratorIbN2at6native12_GLOBAL__N_19NonZeroOpIaEEPKalEENS0_5tupleIJPlS6_EEENSN_IJSD_SD_EEES6_PiJS6_EEE10hipError_tPvRmT3_T4_T5_T6_T7_T9_mT8_P12ihipStream_tbDpT10_ENKUlT_T0_E_clISt17integral_constantIbLb1EES1B_EEDaS16_S17_EUlS16_E_NS1_11comp_targetILNS1_3genE4ELNS1_11target_archE910ELNS1_3gpuE8ELNS1_3repE0EEENS1_30default_config_static_selectorELNS0_4arch9wavefront6targetE0EEEvT1_.numbered_sgpr, 0
	.set _ZN7rocprim17ROCPRIM_400000_NS6detail17trampoline_kernelINS0_14default_configENS1_25partition_config_selectorILNS1_17partition_subalgoE5ElNS0_10empty_typeEbEEZZNS1_14partition_implILS5_5ELb0ES3_mN6hipcub16HIPCUB_304000_NS21CountingInputIteratorIllEEPS6_NSA_22TransformInputIteratorIbN2at6native12_GLOBAL__N_19NonZeroOpIaEEPKalEENS0_5tupleIJPlS6_EEENSN_IJSD_SD_EEES6_PiJS6_EEE10hipError_tPvRmT3_T4_T5_T6_T7_T9_mT8_P12ihipStream_tbDpT10_ENKUlT_T0_E_clISt17integral_constantIbLb1EES1B_EEDaS16_S17_EUlS16_E_NS1_11comp_targetILNS1_3genE4ELNS1_11target_archE910ELNS1_3gpuE8ELNS1_3repE0EEENS1_30default_config_static_selectorELNS0_4arch9wavefront6targetE0EEEvT1_.num_named_barrier, 0
	.set _ZN7rocprim17ROCPRIM_400000_NS6detail17trampoline_kernelINS0_14default_configENS1_25partition_config_selectorILNS1_17partition_subalgoE5ElNS0_10empty_typeEbEEZZNS1_14partition_implILS5_5ELb0ES3_mN6hipcub16HIPCUB_304000_NS21CountingInputIteratorIllEEPS6_NSA_22TransformInputIteratorIbN2at6native12_GLOBAL__N_19NonZeroOpIaEEPKalEENS0_5tupleIJPlS6_EEENSN_IJSD_SD_EEES6_PiJS6_EEE10hipError_tPvRmT3_T4_T5_T6_T7_T9_mT8_P12ihipStream_tbDpT10_ENKUlT_T0_E_clISt17integral_constantIbLb1EES1B_EEDaS16_S17_EUlS16_E_NS1_11comp_targetILNS1_3genE4ELNS1_11target_archE910ELNS1_3gpuE8ELNS1_3repE0EEENS1_30default_config_static_selectorELNS0_4arch9wavefront6targetE0EEEvT1_.private_seg_size, 0
	.set _ZN7rocprim17ROCPRIM_400000_NS6detail17trampoline_kernelINS0_14default_configENS1_25partition_config_selectorILNS1_17partition_subalgoE5ElNS0_10empty_typeEbEEZZNS1_14partition_implILS5_5ELb0ES3_mN6hipcub16HIPCUB_304000_NS21CountingInputIteratorIllEEPS6_NSA_22TransformInputIteratorIbN2at6native12_GLOBAL__N_19NonZeroOpIaEEPKalEENS0_5tupleIJPlS6_EEENSN_IJSD_SD_EEES6_PiJS6_EEE10hipError_tPvRmT3_T4_T5_T6_T7_T9_mT8_P12ihipStream_tbDpT10_ENKUlT_T0_E_clISt17integral_constantIbLb1EES1B_EEDaS16_S17_EUlS16_E_NS1_11comp_targetILNS1_3genE4ELNS1_11target_archE910ELNS1_3gpuE8ELNS1_3repE0EEENS1_30default_config_static_selectorELNS0_4arch9wavefront6targetE0EEEvT1_.uses_vcc, 0
	.set _ZN7rocprim17ROCPRIM_400000_NS6detail17trampoline_kernelINS0_14default_configENS1_25partition_config_selectorILNS1_17partition_subalgoE5ElNS0_10empty_typeEbEEZZNS1_14partition_implILS5_5ELb0ES3_mN6hipcub16HIPCUB_304000_NS21CountingInputIteratorIllEEPS6_NSA_22TransformInputIteratorIbN2at6native12_GLOBAL__N_19NonZeroOpIaEEPKalEENS0_5tupleIJPlS6_EEENSN_IJSD_SD_EEES6_PiJS6_EEE10hipError_tPvRmT3_T4_T5_T6_T7_T9_mT8_P12ihipStream_tbDpT10_ENKUlT_T0_E_clISt17integral_constantIbLb1EES1B_EEDaS16_S17_EUlS16_E_NS1_11comp_targetILNS1_3genE4ELNS1_11target_archE910ELNS1_3gpuE8ELNS1_3repE0EEENS1_30default_config_static_selectorELNS0_4arch9wavefront6targetE0EEEvT1_.uses_flat_scratch, 0
	.set _ZN7rocprim17ROCPRIM_400000_NS6detail17trampoline_kernelINS0_14default_configENS1_25partition_config_selectorILNS1_17partition_subalgoE5ElNS0_10empty_typeEbEEZZNS1_14partition_implILS5_5ELb0ES3_mN6hipcub16HIPCUB_304000_NS21CountingInputIteratorIllEEPS6_NSA_22TransformInputIteratorIbN2at6native12_GLOBAL__N_19NonZeroOpIaEEPKalEENS0_5tupleIJPlS6_EEENSN_IJSD_SD_EEES6_PiJS6_EEE10hipError_tPvRmT3_T4_T5_T6_T7_T9_mT8_P12ihipStream_tbDpT10_ENKUlT_T0_E_clISt17integral_constantIbLb1EES1B_EEDaS16_S17_EUlS16_E_NS1_11comp_targetILNS1_3genE4ELNS1_11target_archE910ELNS1_3gpuE8ELNS1_3repE0EEENS1_30default_config_static_selectorELNS0_4arch9wavefront6targetE0EEEvT1_.has_dyn_sized_stack, 0
	.set _ZN7rocprim17ROCPRIM_400000_NS6detail17trampoline_kernelINS0_14default_configENS1_25partition_config_selectorILNS1_17partition_subalgoE5ElNS0_10empty_typeEbEEZZNS1_14partition_implILS5_5ELb0ES3_mN6hipcub16HIPCUB_304000_NS21CountingInputIteratorIllEEPS6_NSA_22TransformInputIteratorIbN2at6native12_GLOBAL__N_19NonZeroOpIaEEPKalEENS0_5tupleIJPlS6_EEENSN_IJSD_SD_EEES6_PiJS6_EEE10hipError_tPvRmT3_T4_T5_T6_T7_T9_mT8_P12ihipStream_tbDpT10_ENKUlT_T0_E_clISt17integral_constantIbLb1EES1B_EEDaS16_S17_EUlS16_E_NS1_11comp_targetILNS1_3genE4ELNS1_11target_archE910ELNS1_3gpuE8ELNS1_3repE0EEENS1_30default_config_static_selectorELNS0_4arch9wavefront6targetE0EEEvT1_.has_recursion, 0
	.set _ZN7rocprim17ROCPRIM_400000_NS6detail17trampoline_kernelINS0_14default_configENS1_25partition_config_selectorILNS1_17partition_subalgoE5ElNS0_10empty_typeEbEEZZNS1_14partition_implILS5_5ELb0ES3_mN6hipcub16HIPCUB_304000_NS21CountingInputIteratorIllEEPS6_NSA_22TransformInputIteratorIbN2at6native12_GLOBAL__N_19NonZeroOpIaEEPKalEENS0_5tupleIJPlS6_EEENSN_IJSD_SD_EEES6_PiJS6_EEE10hipError_tPvRmT3_T4_T5_T6_T7_T9_mT8_P12ihipStream_tbDpT10_ENKUlT_T0_E_clISt17integral_constantIbLb1EES1B_EEDaS16_S17_EUlS16_E_NS1_11comp_targetILNS1_3genE4ELNS1_11target_archE910ELNS1_3gpuE8ELNS1_3repE0EEENS1_30default_config_static_selectorELNS0_4arch9wavefront6targetE0EEEvT1_.has_indirect_call, 0
	.section	.AMDGPU.csdata,"",@progbits
; Kernel info:
; codeLenInByte = 0
; TotalNumSgprs: 0
; NumVgprs: 0
; ScratchSize: 0
; MemoryBound: 0
; FloatMode: 240
; IeeeMode: 1
; LDSByteSize: 0 bytes/workgroup (compile time only)
; SGPRBlocks: 0
; VGPRBlocks: 0
; NumSGPRsForWavesPerEU: 1
; NumVGPRsForWavesPerEU: 1
; Occupancy: 16
; WaveLimiterHint : 0
; COMPUTE_PGM_RSRC2:SCRATCH_EN: 0
; COMPUTE_PGM_RSRC2:USER_SGPR: 2
; COMPUTE_PGM_RSRC2:TRAP_HANDLER: 0
; COMPUTE_PGM_RSRC2:TGID_X_EN: 1
; COMPUTE_PGM_RSRC2:TGID_Y_EN: 0
; COMPUTE_PGM_RSRC2:TGID_Z_EN: 0
; COMPUTE_PGM_RSRC2:TIDIG_COMP_CNT: 0
	.section	.text._ZN7rocprim17ROCPRIM_400000_NS6detail17trampoline_kernelINS0_14default_configENS1_25partition_config_selectorILNS1_17partition_subalgoE5ElNS0_10empty_typeEbEEZZNS1_14partition_implILS5_5ELb0ES3_mN6hipcub16HIPCUB_304000_NS21CountingInputIteratorIllEEPS6_NSA_22TransformInputIteratorIbN2at6native12_GLOBAL__N_19NonZeroOpIaEEPKalEENS0_5tupleIJPlS6_EEENSN_IJSD_SD_EEES6_PiJS6_EEE10hipError_tPvRmT3_T4_T5_T6_T7_T9_mT8_P12ihipStream_tbDpT10_ENKUlT_T0_E_clISt17integral_constantIbLb1EES1B_EEDaS16_S17_EUlS16_E_NS1_11comp_targetILNS1_3genE3ELNS1_11target_archE908ELNS1_3gpuE7ELNS1_3repE0EEENS1_30default_config_static_selectorELNS0_4arch9wavefront6targetE0EEEvT1_,"axG",@progbits,_ZN7rocprim17ROCPRIM_400000_NS6detail17trampoline_kernelINS0_14default_configENS1_25partition_config_selectorILNS1_17partition_subalgoE5ElNS0_10empty_typeEbEEZZNS1_14partition_implILS5_5ELb0ES3_mN6hipcub16HIPCUB_304000_NS21CountingInputIteratorIllEEPS6_NSA_22TransformInputIteratorIbN2at6native12_GLOBAL__N_19NonZeroOpIaEEPKalEENS0_5tupleIJPlS6_EEENSN_IJSD_SD_EEES6_PiJS6_EEE10hipError_tPvRmT3_T4_T5_T6_T7_T9_mT8_P12ihipStream_tbDpT10_ENKUlT_T0_E_clISt17integral_constantIbLb1EES1B_EEDaS16_S17_EUlS16_E_NS1_11comp_targetILNS1_3genE3ELNS1_11target_archE908ELNS1_3gpuE7ELNS1_3repE0EEENS1_30default_config_static_selectorELNS0_4arch9wavefront6targetE0EEEvT1_,comdat
	.globl	_ZN7rocprim17ROCPRIM_400000_NS6detail17trampoline_kernelINS0_14default_configENS1_25partition_config_selectorILNS1_17partition_subalgoE5ElNS0_10empty_typeEbEEZZNS1_14partition_implILS5_5ELb0ES3_mN6hipcub16HIPCUB_304000_NS21CountingInputIteratorIllEEPS6_NSA_22TransformInputIteratorIbN2at6native12_GLOBAL__N_19NonZeroOpIaEEPKalEENS0_5tupleIJPlS6_EEENSN_IJSD_SD_EEES6_PiJS6_EEE10hipError_tPvRmT3_T4_T5_T6_T7_T9_mT8_P12ihipStream_tbDpT10_ENKUlT_T0_E_clISt17integral_constantIbLb1EES1B_EEDaS16_S17_EUlS16_E_NS1_11comp_targetILNS1_3genE3ELNS1_11target_archE908ELNS1_3gpuE7ELNS1_3repE0EEENS1_30default_config_static_selectorELNS0_4arch9wavefront6targetE0EEEvT1_ ; -- Begin function _ZN7rocprim17ROCPRIM_400000_NS6detail17trampoline_kernelINS0_14default_configENS1_25partition_config_selectorILNS1_17partition_subalgoE5ElNS0_10empty_typeEbEEZZNS1_14partition_implILS5_5ELb0ES3_mN6hipcub16HIPCUB_304000_NS21CountingInputIteratorIllEEPS6_NSA_22TransformInputIteratorIbN2at6native12_GLOBAL__N_19NonZeroOpIaEEPKalEENS0_5tupleIJPlS6_EEENSN_IJSD_SD_EEES6_PiJS6_EEE10hipError_tPvRmT3_T4_T5_T6_T7_T9_mT8_P12ihipStream_tbDpT10_ENKUlT_T0_E_clISt17integral_constantIbLb1EES1B_EEDaS16_S17_EUlS16_E_NS1_11comp_targetILNS1_3genE3ELNS1_11target_archE908ELNS1_3gpuE7ELNS1_3repE0EEENS1_30default_config_static_selectorELNS0_4arch9wavefront6targetE0EEEvT1_
	.p2align	8
	.type	_ZN7rocprim17ROCPRIM_400000_NS6detail17trampoline_kernelINS0_14default_configENS1_25partition_config_selectorILNS1_17partition_subalgoE5ElNS0_10empty_typeEbEEZZNS1_14partition_implILS5_5ELb0ES3_mN6hipcub16HIPCUB_304000_NS21CountingInputIteratorIllEEPS6_NSA_22TransformInputIteratorIbN2at6native12_GLOBAL__N_19NonZeroOpIaEEPKalEENS0_5tupleIJPlS6_EEENSN_IJSD_SD_EEES6_PiJS6_EEE10hipError_tPvRmT3_T4_T5_T6_T7_T9_mT8_P12ihipStream_tbDpT10_ENKUlT_T0_E_clISt17integral_constantIbLb1EES1B_EEDaS16_S17_EUlS16_E_NS1_11comp_targetILNS1_3genE3ELNS1_11target_archE908ELNS1_3gpuE7ELNS1_3repE0EEENS1_30default_config_static_selectorELNS0_4arch9wavefront6targetE0EEEvT1_,@function
_ZN7rocprim17ROCPRIM_400000_NS6detail17trampoline_kernelINS0_14default_configENS1_25partition_config_selectorILNS1_17partition_subalgoE5ElNS0_10empty_typeEbEEZZNS1_14partition_implILS5_5ELb0ES3_mN6hipcub16HIPCUB_304000_NS21CountingInputIteratorIllEEPS6_NSA_22TransformInputIteratorIbN2at6native12_GLOBAL__N_19NonZeroOpIaEEPKalEENS0_5tupleIJPlS6_EEENSN_IJSD_SD_EEES6_PiJS6_EEE10hipError_tPvRmT3_T4_T5_T6_T7_T9_mT8_P12ihipStream_tbDpT10_ENKUlT_T0_E_clISt17integral_constantIbLb1EES1B_EEDaS16_S17_EUlS16_E_NS1_11comp_targetILNS1_3genE3ELNS1_11target_archE908ELNS1_3gpuE7ELNS1_3repE0EEENS1_30default_config_static_selectorELNS0_4arch9wavefront6targetE0EEEvT1_: ; @_ZN7rocprim17ROCPRIM_400000_NS6detail17trampoline_kernelINS0_14default_configENS1_25partition_config_selectorILNS1_17partition_subalgoE5ElNS0_10empty_typeEbEEZZNS1_14partition_implILS5_5ELb0ES3_mN6hipcub16HIPCUB_304000_NS21CountingInputIteratorIllEEPS6_NSA_22TransformInputIteratorIbN2at6native12_GLOBAL__N_19NonZeroOpIaEEPKalEENS0_5tupleIJPlS6_EEENSN_IJSD_SD_EEES6_PiJS6_EEE10hipError_tPvRmT3_T4_T5_T6_T7_T9_mT8_P12ihipStream_tbDpT10_ENKUlT_T0_E_clISt17integral_constantIbLb1EES1B_EEDaS16_S17_EUlS16_E_NS1_11comp_targetILNS1_3genE3ELNS1_11target_archE908ELNS1_3gpuE7ELNS1_3repE0EEENS1_30default_config_static_selectorELNS0_4arch9wavefront6targetE0EEEvT1_
; %bb.0:
	.section	.rodata,"a",@progbits
	.p2align	6, 0x0
	.amdhsa_kernel _ZN7rocprim17ROCPRIM_400000_NS6detail17trampoline_kernelINS0_14default_configENS1_25partition_config_selectorILNS1_17partition_subalgoE5ElNS0_10empty_typeEbEEZZNS1_14partition_implILS5_5ELb0ES3_mN6hipcub16HIPCUB_304000_NS21CountingInputIteratorIllEEPS6_NSA_22TransformInputIteratorIbN2at6native12_GLOBAL__N_19NonZeroOpIaEEPKalEENS0_5tupleIJPlS6_EEENSN_IJSD_SD_EEES6_PiJS6_EEE10hipError_tPvRmT3_T4_T5_T6_T7_T9_mT8_P12ihipStream_tbDpT10_ENKUlT_T0_E_clISt17integral_constantIbLb1EES1B_EEDaS16_S17_EUlS16_E_NS1_11comp_targetILNS1_3genE3ELNS1_11target_archE908ELNS1_3gpuE7ELNS1_3repE0EEENS1_30default_config_static_selectorELNS0_4arch9wavefront6targetE0EEEvT1_
		.amdhsa_group_segment_fixed_size 0
		.amdhsa_private_segment_fixed_size 0
		.amdhsa_kernarg_size 136
		.amdhsa_user_sgpr_count 2
		.amdhsa_user_sgpr_dispatch_ptr 0
		.amdhsa_user_sgpr_queue_ptr 0
		.amdhsa_user_sgpr_kernarg_segment_ptr 1
		.amdhsa_user_sgpr_dispatch_id 0
		.amdhsa_user_sgpr_private_segment_size 0
		.amdhsa_wavefront_size32 1
		.amdhsa_uses_dynamic_stack 0
		.amdhsa_enable_private_segment 0
		.amdhsa_system_sgpr_workgroup_id_x 1
		.amdhsa_system_sgpr_workgroup_id_y 0
		.amdhsa_system_sgpr_workgroup_id_z 0
		.amdhsa_system_sgpr_workgroup_info 0
		.amdhsa_system_vgpr_workitem_id 0
		.amdhsa_next_free_vgpr 1
		.amdhsa_next_free_sgpr 1
		.amdhsa_reserve_vcc 0
		.amdhsa_float_round_mode_32 0
		.amdhsa_float_round_mode_16_64 0
		.amdhsa_float_denorm_mode_32 3
		.amdhsa_float_denorm_mode_16_64 3
		.amdhsa_fp16_overflow 0
		.amdhsa_workgroup_processor_mode 1
		.amdhsa_memory_ordered 1
		.amdhsa_forward_progress 1
		.amdhsa_inst_pref_size 0
		.amdhsa_round_robin_scheduling 0
		.amdhsa_exception_fp_ieee_invalid_op 0
		.amdhsa_exception_fp_denorm_src 0
		.amdhsa_exception_fp_ieee_div_zero 0
		.amdhsa_exception_fp_ieee_overflow 0
		.amdhsa_exception_fp_ieee_underflow 0
		.amdhsa_exception_fp_ieee_inexact 0
		.amdhsa_exception_int_div_zero 0
	.end_amdhsa_kernel
	.section	.text._ZN7rocprim17ROCPRIM_400000_NS6detail17trampoline_kernelINS0_14default_configENS1_25partition_config_selectorILNS1_17partition_subalgoE5ElNS0_10empty_typeEbEEZZNS1_14partition_implILS5_5ELb0ES3_mN6hipcub16HIPCUB_304000_NS21CountingInputIteratorIllEEPS6_NSA_22TransformInputIteratorIbN2at6native12_GLOBAL__N_19NonZeroOpIaEEPKalEENS0_5tupleIJPlS6_EEENSN_IJSD_SD_EEES6_PiJS6_EEE10hipError_tPvRmT3_T4_T5_T6_T7_T9_mT8_P12ihipStream_tbDpT10_ENKUlT_T0_E_clISt17integral_constantIbLb1EES1B_EEDaS16_S17_EUlS16_E_NS1_11comp_targetILNS1_3genE3ELNS1_11target_archE908ELNS1_3gpuE7ELNS1_3repE0EEENS1_30default_config_static_selectorELNS0_4arch9wavefront6targetE0EEEvT1_,"axG",@progbits,_ZN7rocprim17ROCPRIM_400000_NS6detail17trampoline_kernelINS0_14default_configENS1_25partition_config_selectorILNS1_17partition_subalgoE5ElNS0_10empty_typeEbEEZZNS1_14partition_implILS5_5ELb0ES3_mN6hipcub16HIPCUB_304000_NS21CountingInputIteratorIllEEPS6_NSA_22TransformInputIteratorIbN2at6native12_GLOBAL__N_19NonZeroOpIaEEPKalEENS0_5tupleIJPlS6_EEENSN_IJSD_SD_EEES6_PiJS6_EEE10hipError_tPvRmT3_T4_T5_T6_T7_T9_mT8_P12ihipStream_tbDpT10_ENKUlT_T0_E_clISt17integral_constantIbLb1EES1B_EEDaS16_S17_EUlS16_E_NS1_11comp_targetILNS1_3genE3ELNS1_11target_archE908ELNS1_3gpuE7ELNS1_3repE0EEENS1_30default_config_static_selectorELNS0_4arch9wavefront6targetE0EEEvT1_,comdat
.Lfunc_end129:
	.size	_ZN7rocprim17ROCPRIM_400000_NS6detail17trampoline_kernelINS0_14default_configENS1_25partition_config_selectorILNS1_17partition_subalgoE5ElNS0_10empty_typeEbEEZZNS1_14partition_implILS5_5ELb0ES3_mN6hipcub16HIPCUB_304000_NS21CountingInputIteratorIllEEPS6_NSA_22TransformInputIteratorIbN2at6native12_GLOBAL__N_19NonZeroOpIaEEPKalEENS0_5tupleIJPlS6_EEENSN_IJSD_SD_EEES6_PiJS6_EEE10hipError_tPvRmT3_T4_T5_T6_T7_T9_mT8_P12ihipStream_tbDpT10_ENKUlT_T0_E_clISt17integral_constantIbLb1EES1B_EEDaS16_S17_EUlS16_E_NS1_11comp_targetILNS1_3genE3ELNS1_11target_archE908ELNS1_3gpuE7ELNS1_3repE0EEENS1_30default_config_static_selectorELNS0_4arch9wavefront6targetE0EEEvT1_, .Lfunc_end129-_ZN7rocprim17ROCPRIM_400000_NS6detail17trampoline_kernelINS0_14default_configENS1_25partition_config_selectorILNS1_17partition_subalgoE5ElNS0_10empty_typeEbEEZZNS1_14partition_implILS5_5ELb0ES3_mN6hipcub16HIPCUB_304000_NS21CountingInputIteratorIllEEPS6_NSA_22TransformInputIteratorIbN2at6native12_GLOBAL__N_19NonZeroOpIaEEPKalEENS0_5tupleIJPlS6_EEENSN_IJSD_SD_EEES6_PiJS6_EEE10hipError_tPvRmT3_T4_T5_T6_T7_T9_mT8_P12ihipStream_tbDpT10_ENKUlT_T0_E_clISt17integral_constantIbLb1EES1B_EEDaS16_S17_EUlS16_E_NS1_11comp_targetILNS1_3genE3ELNS1_11target_archE908ELNS1_3gpuE7ELNS1_3repE0EEENS1_30default_config_static_selectorELNS0_4arch9wavefront6targetE0EEEvT1_
                                        ; -- End function
	.set _ZN7rocprim17ROCPRIM_400000_NS6detail17trampoline_kernelINS0_14default_configENS1_25partition_config_selectorILNS1_17partition_subalgoE5ElNS0_10empty_typeEbEEZZNS1_14partition_implILS5_5ELb0ES3_mN6hipcub16HIPCUB_304000_NS21CountingInputIteratorIllEEPS6_NSA_22TransformInputIteratorIbN2at6native12_GLOBAL__N_19NonZeroOpIaEEPKalEENS0_5tupleIJPlS6_EEENSN_IJSD_SD_EEES6_PiJS6_EEE10hipError_tPvRmT3_T4_T5_T6_T7_T9_mT8_P12ihipStream_tbDpT10_ENKUlT_T0_E_clISt17integral_constantIbLb1EES1B_EEDaS16_S17_EUlS16_E_NS1_11comp_targetILNS1_3genE3ELNS1_11target_archE908ELNS1_3gpuE7ELNS1_3repE0EEENS1_30default_config_static_selectorELNS0_4arch9wavefront6targetE0EEEvT1_.num_vgpr, 0
	.set _ZN7rocprim17ROCPRIM_400000_NS6detail17trampoline_kernelINS0_14default_configENS1_25partition_config_selectorILNS1_17partition_subalgoE5ElNS0_10empty_typeEbEEZZNS1_14partition_implILS5_5ELb0ES3_mN6hipcub16HIPCUB_304000_NS21CountingInputIteratorIllEEPS6_NSA_22TransformInputIteratorIbN2at6native12_GLOBAL__N_19NonZeroOpIaEEPKalEENS0_5tupleIJPlS6_EEENSN_IJSD_SD_EEES6_PiJS6_EEE10hipError_tPvRmT3_T4_T5_T6_T7_T9_mT8_P12ihipStream_tbDpT10_ENKUlT_T0_E_clISt17integral_constantIbLb1EES1B_EEDaS16_S17_EUlS16_E_NS1_11comp_targetILNS1_3genE3ELNS1_11target_archE908ELNS1_3gpuE7ELNS1_3repE0EEENS1_30default_config_static_selectorELNS0_4arch9wavefront6targetE0EEEvT1_.num_agpr, 0
	.set _ZN7rocprim17ROCPRIM_400000_NS6detail17trampoline_kernelINS0_14default_configENS1_25partition_config_selectorILNS1_17partition_subalgoE5ElNS0_10empty_typeEbEEZZNS1_14partition_implILS5_5ELb0ES3_mN6hipcub16HIPCUB_304000_NS21CountingInputIteratorIllEEPS6_NSA_22TransformInputIteratorIbN2at6native12_GLOBAL__N_19NonZeroOpIaEEPKalEENS0_5tupleIJPlS6_EEENSN_IJSD_SD_EEES6_PiJS6_EEE10hipError_tPvRmT3_T4_T5_T6_T7_T9_mT8_P12ihipStream_tbDpT10_ENKUlT_T0_E_clISt17integral_constantIbLb1EES1B_EEDaS16_S17_EUlS16_E_NS1_11comp_targetILNS1_3genE3ELNS1_11target_archE908ELNS1_3gpuE7ELNS1_3repE0EEENS1_30default_config_static_selectorELNS0_4arch9wavefront6targetE0EEEvT1_.numbered_sgpr, 0
	.set _ZN7rocprim17ROCPRIM_400000_NS6detail17trampoline_kernelINS0_14default_configENS1_25partition_config_selectorILNS1_17partition_subalgoE5ElNS0_10empty_typeEbEEZZNS1_14partition_implILS5_5ELb0ES3_mN6hipcub16HIPCUB_304000_NS21CountingInputIteratorIllEEPS6_NSA_22TransformInputIteratorIbN2at6native12_GLOBAL__N_19NonZeroOpIaEEPKalEENS0_5tupleIJPlS6_EEENSN_IJSD_SD_EEES6_PiJS6_EEE10hipError_tPvRmT3_T4_T5_T6_T7_T9_mT8_P12ihipStream_tbDpT10_ENKUlT_T0_E_clISt17integral_constantIbLb1EES1B_EEDaS16_S17_EUlS16_E_NS1_11comp_targetILNS1_3genE3ELNS1_11target_archE908ELNS1_3gpuE7ELNS1_3repE0EEENS1_30default_config_static_selectorELNS0_4arch9wavefront6targetE0EEEvT1_.num_named_barrier, 0
	.set _ZN7rocprim17ROCPRIM_400000_NS6detail17trampoline_kernelINS0_14default_configENS1_25partition_config_selectorILNS1_17partition_subalgoE5ElNS0_10empty_typeEbEEZZNS1_14partition_implILS5_5ELb0ES3_mN6hipcub16HIPCUB_304000_NS21CountingInputIteratorIllEEPS6_NSA_22TransformInputIteratorIbN2at6native12_GLOBAL__N_19NonZeroOpIaEEPKalEENS0_5tupleIJPlS6_EEENSN_IJSD_SD_EEES6_PiJS6_EEE10hipError_tPvRmT3_T4_T5_T6_T7_T9_mT8_P12ihipStream_tbDpT10_ENKUlT_T0_E_clISt17integral_constantIbLb1EES1B_EEDaS16_S17_EUlS16_E_NS1_11comp_targetILNS1_3genE3ELNS1_11target_archE908ELNS1_3gpuE7ELNS1_3repE0EEENS1_30default_config_static_selectorELNS0_4arch9wavefront6targetE0EEEvT1_.private_seg_size, 0
	.set _ZN7rocprim17ROCPRIM_400000_NS6detail17trampoline_kernelINS0_14default_configENS1_25partition_config_selectorILNS1_17partition_subalgoE5ElNS0_10empty_typeEbEEZZNS1_14partition_implILS5_5ELb0ES3_mN6hipcub16HIPCUB_304000_NS21CountingInputIteratorIllEEPS6_NSA_22TransformInputIteratorIbN2at6native12_GLOBAL__N_19NonZeroOpIaEEPKalEENS0_5tupleIJPlS6_EEENSN_IJSD_SD_EEES6_PiJS6_EEE10hipError_tPvRmT3_T4_T5_T6_T7_T9_mT8_P12ihipStream_tbDpT10_ENKUlT_T0_E_clISt17integral_constantIbLb1EES1B_EEDaS16_S17_EUlS16_E_NS1_11comp_targetILNS1_3genE3ELNS1_11target_archE908ELNS1_3gpuE7ELNS1_3repE0EEENS1_30default_config_static_selectorELNS0_4arch9wavefront6targetE0EEEvT1_.uses_vcc, 0
	.set _ZN7rocprim17ROCPRIM_400000_NS6detail17trampoline_kernelINS0_14default_configENS1_25partition_config_selectorILNS1_17partition_subalgoE5ElNS0_10empty_typeEbEEZZNS1_14partition_implILS5_5ELb0ES3_mN6hipcub16HIPCUB_304000_NS21CountingInputIteratorIllEEPS6_NSA_22TransformInputIteratorIbN2at6native12_GLOBAL__N_19NonZeroOpIaEEPKalEENS0_5tupleIJPlS6_EEENSN_IJSD_SD_EEES6_PiJS6_EEE10hipError_tPvRmT3_T4_T5_T6_T7_T9_mT8_P12ihipStream_tbDpT10_ENKUlT_T0_E_clISt17integral_constantIbLb1EES1B_EEDaS16_S17_EUlS16_E_NS1_11comp_targetILNS1_3genE3ELNS1_11target_archE908ELNS1_3gpuE7ELNS1_3repE0EEENS1_30default_config_static_selectorELNS0_4arch9wavefront6targetE0EEEvT1_.uses_flat_scratch, 0
	.set _ZN7rocprim17ROCPRIM_400000_NS6detail17trampoline_kernelINS0_14default_configENS1_25partition_config_selectorILNS1_17partition_subalgoE5ElNS0_10empty_typeEbEEZZNS1_14partition_implILS5_5ELb0ES3_mN6hipcub16HIPCUB_304000_NS21CountingInputIteratorIllEEPS6_NSA_22TransformInputIteratorIbN2at6native12_GLOBAL__N_19NonZeroOpIaEEPKalEENS0_5tupleIJPlS6_EEENSN_IJSD_SD_EEES6_PiJS6_EEE10hipError_tPvRmT3_T4_T5_T6_T7_T9_mT8_P12ihipStream_tbDpT10_ENKUlT_T0_E_clISt17integral_constantIbLb1EES1B_EEDaS16_S17_EUlS16_E_NS1_11comp_targetILNS1_3genE3ELNS1_11target_archE908ELNS1_3gpuE7ELNS1_3repE0EEENS1_30default_config_static_selectorELNS0_4arch9wavefront6targetE0EEEvT1_.has_dyn_sized_stack, 0
	.set _ZN7rocprim17ROCPRIM_400000_NS6detail17trampoline_kernelINS0_14default_configENS1_25partition_config_selectorILNS1_17partition_subalgoE5ElNS0_10empty_typeEbEEZZNS1_14partition_implILS5_5ELb0ES3_mN6hipcub16HIPCUB_304000_NS21CountingInputIteratorIllEEPS6_NSA_22TransformInputIteratorIbN2at6native12_GLOBAL__N_19NonZeroOpIaEEPKalEENS0_5tupleIJPlS6_EEENSN_IJSD_SD_EEES6_PiJS6_EEE10hipError_tPvRmT3_T4_T5_T6_T7_T9_mT8_P12ihipStream_tbDpT10_ENKUlT_T0_E_clISt17integral_constantIbLb1EES1B_EEDaS16_S17_EUlS16_E_NS1_11comp_targetILNS1_3genE3ELNS1_11target_archE908ELNS1_3gpuE7ELNS1_3repE0EEENS1_30default_config_static_selectorELNS0_4arch9wavefront6targetE0EEEvT1_.has_recursion, 0
	.set _ZN7rocprim17ROCPRIM_400000_NS6detail17trampoline_kernelINS0_14default_configENS1_25partition_config_selectorILNS1_17partition_subalgoE5ElNS0_10empty_typeEbEEZZNS1_14partition_implILS5_5ELb0ES3_mN6hipcub16HIPCUB_304000_NS21CountingInputIteratorIllEEPS6_NSA_22TransformInputIteratorIbN2at6native12_GLOBAL__N_19NonZeroOpIaEEPKalEENS0_5tupleIJPlS6_EEENSN_IJSD_SD_EEES6_PiJS6_EEE10hipError_tPvRmT3_T4_T5_T6_T7_T9_mT8_P12ihipStream_tbDpT10_ENKUlT_T0_E_clISt17integral_constantIbLb1EES1B_EEDaS16_S17_EUlS16_E_NS1_11comp_targetILNS1_3genE3ELNS1_11target_archE908ELNS1_3gpuE7ELNS1_3repE0EEENS1_30default_config_static_selectorELNS0_4arch9wavefront6targetE0EEEvT1_.has_indirect_call, 0
	.section	.AMDGPU.csdata,"",@progbits
; Kernel info:
; codeLenInByte = 0
; TotalNumSgprs: 0
; NumVgprs: 0
; ScratchSize: 0
; MemoryBound: 0
; FloatMode: 240
; IeeeMode: 1
; LDSByteSize: 0 bytes/workgroup (compile time only)
; SGPRBlocks: 0
; VGPRBlocks: 0
; NumSGPRsForWavesPerEU: 1
; NumVGPRsForWavesPerEU: 1
; Occupancy: 16
; WaveLimiterHint : 0
; COMPUTE_PGM_RSRC2:SCRATCH_EN: 0
; COMPUTE_PGM_RSRC2:USER_SGPR: 2
; COMPUTE_PGM_RSRC2:TRAP_HANDLER: 0
; COMPUTE_PGM_RSRC2:TGID_X_EN: 1
; COMPUTE_PGM_RSRC2:TGID_Y_EN: 0
; COMPUTE_PGM_RSRC2:TGID_Z_EN: 0
; COMPUTE_PGM_RSRC2:TIDIG_COMP_CNT: 0
	.section	.text._ZN7rocprim17ROCPRIM_400000_NS6detail17trampoline_kernelINS0_14default_configENS1_25partition_config_selectorILNS1_17partition_subalgoE5ElNS0_10empty_typeEbEEZZNS1_14partition_implILS5_5ELb0ES3_mN6hipcub16HIPCUB_304000_NS21CountingInputIteratorIllEEPS6_NSA_22TransformInputIteratorIbN2at6native12_GLOBAL__N_19NonZeroOpIaEEPKalEENS0_5tupleIJPlS6_EEENSN_IJSD_SD_EEES6_PiJS6_EEE10hipError_tPvRmT3_T4_T5_T6_T7_T9_mT8_P12ihipStream_tbDpT10_ENKUlT_T0_E_clISt17integral_constantIbLb1EES1B_EEDaS16_S17_EUlS16_E_NS1_11comp_targetILNS1_3genE2ELNS1_11target_archE906ELNS1_3gpuE6ELNS1_3repE0EEENS1_30default_config_static_selectorELNS0_4arch9wavefront6targetE0EEEvT1_,"axG",@progbits,_ZN7rocprim17ROCPRIM_400000_NS6detail17trampoline_kernelINS0_14default_configENS1_25partition_config_selectorILNS1_17partition_subalgoE5ElNS0_10empty_typeEbEEZZNS1_14partition_implILS5_5ELb0ES3_mN6hipcub16HIPCUB_304000_NS21CountingInputIteratorIllEEPS6_NSA_22TransformInputIteratorIbN2at6native12_GLOBAL__N_19NonZeroOpIaEEPKalEENS0_5tupleIJPlS6_EEENSN_IJSD_SD_EEES6_PiJS6_EEE10hipError_tPvRmT3_T4_T5_T6_T7_T9_mT8_P12ihipStream_tbDpT10_ENKUlT_T0_E_clISt17integral_constantIbLb1EES1B_EEDaS16_S17_EUlS16_E_NS1_11comp_targetILNS1_3genE2ELNS1_11target_archE906ELNS1_3gpuE6ELNS1_3repE0EEENS1_30default_config_static_selectorELNS0_4arch9wavefront6targetE0EEEvT1_,comdat
	.globl	_ZN7rocprim17ROCPRIM_400000_NS6detail17trampoline_kernelINS0_14default_configENS1_25partition_config_selectorILNS1_17partition_subalgoE5ElNS0_10empty_typeEbEEZZNS1_14partition_implILS5_5ELb0ES3_mN6hipcub16HIPCUB_304000_NS21CountingInputIteratorIllEEPS6_NSA_22TransformInputIteratorIbN2at6native12_GLOBAL__N_19NonZeroOpIaEEPKalEENS0_5tupleIJPlS6_EEENSN_IJSD_SD_EEES6_PiJS6_EEE10hipError_tPvRmT3_T4_T5_T6_T7_T9_mT8_P12ihipStream_tbDpT10_ENKUlT_T0_E_clISt17integral_constantIbLb1EES1B_EEDaS16_S17_EUlS16_E_NS1_11comp_targetILNS1_3genE2ELNS1_11target_archE906ELNS1_3gpuE6ELNS1_3repE0EEENS1_30default_config_static_selectorELNS0_4arch9wavefront6targetE0EEEvT1_ ; -- Begin function _ZN7rocprim17ROCPRIM_400000_NS6detail17trampoline_kernelINS0_14default_configENS1_25partition_config_selectorILNS1_17partition_subalgoE5ElNS0_10empty_typeEbEEZZNS1_14partition_implILS5_5ELb0ES3_mN6hipcub16HIPCUB_304000_NS21CountingInputIteratorIllEEPS6_NSA_22TransformInputIteratorIbN2at6native12_GLOBAL__N_19NonZeroOpIaEEPKalEENS0_5tupleIJPlS6_EEENSN_IJSD_SD_EEES6_PiJS6_EEE10hipError_tPvRmT3_T4_T5_T6_T7_T9_mT8_P12ihipStream_tbDpT10_ENKUlT_T0_E_clISt17integral_constantIbLb1EES1B_EEDaS16_S17_EUlS16_E_NS1_11comp_targetILNS1_3genE2ELNS1_11target_archE906ELNS1_3gpuE6ELNS1_3repE0EEENS1_30default_config_static_selectorELNS0_4arch9wavefront6targetE0EEEvT1_
	.p2align	8
	.type	_ZN7rocprim17ROCPRIM_400000_NS6detail17trampoline_kernelINS0_14default_configENS1_25partition_config_selectorILNS1_17partition_subalgoE5ElNS0_10empty_typeEbEEZZNS1_14partition_implILS5_5ELb0ES3_mN6hipcub16HIPCUB_304000_NS21CountingInputIteratorIllEEPS6_NSA_22TransformInputIteratorIbN2at6native12_GLOBAL__N_19NonZeroOpIaEEPKalEENS0_5tupleIJPlS6_EEENSN_IJSD_SD_EEES6_PiJS6_EEE10hipError_tPvRmT3_T4_T5_T6_T7_T9_mT8_P12ihipStream_tbDpT10_ENKUlT_T0_E_clISt17integral_constantIbLb1EES1B_EEDaS16_S17_EUlS16_E_NS1_11comp_targetILNS1_3genE2ELNS1_11target_archE906ELNS1_3gpuE6ELNS1_3repE0EEENS1_30default_config_static_selectorELNS0_4arch9wavefront6targetE0EEEvT1_,@function
_ZN7rocprim17ROCPRIM_400000_NS6detail17trampoline_kernelINS0_14default_configENS1_25partition_config_selectorILNS1_17partition_subalgoE5ElNS0_10empty_typeEbEEZZNS1_14partition_implILS5_5ELb0ES3_mN6hipcub16HIPCUB_304000_NS21CountingInputIteratorIllEEPS6_NSA_22TransformInputIteratorIbN2at6native12_GLOBAL__N_19NonZeroOpIaEEPKalEENS0_5tupleIJPlS6_EEENSN_IJSD_SD_EEES6_PiJS6_EEE10hipError_tPvRmT3_T4_T5_T6_T7_T9_mT8_P12ihipStream_tbDpT10_ENKUlT_T0_E_clISt17integral_constantIbLb1EES1B_EEDaS16_S17_EUlS16_E_NS1_11comp_targetILNS1_3genE2ELNS1_11target_archE906ELNS1_3gpuE6ELNS1_3repE0EEENS1_30default_config_static_selectorELNS0_4arch9wavefront6targetE0EEEvT1_: ; @_ZN7rocprim17ROCPRIM_400000_NS6detail17trampoline_kernelINS0_14default_configENS1_25partition_config_selectorILNS1_17partition_subalgoE5ElNS0_10empty_typeEbEEZZNS1_14partition_implILS5_5ELb0ES3_mN6hipcub16HIPCUB_304000_NS21CountingInputIteratorIllEEPS6_NSA_22TransformInputIteratorIbN2at6native12_GLOBAL__N_19NonZeroOpIaEEPKalEENS0_5tupleIJPlS6_EEENSN_IJSD_SD_EEES6_PiJS6_EEE10hipError_tPvRmT3_T4_T5_T6_T7_T9_mT8_P12ihipStream_tbDpT10_ENKUlT_T0_E_clISt17integral_constantIbLb1EES1B_EEDaS16_S17_EUlS16_E_NS1_11comp_targetILNS1_3genE2ELNS1_11target_archE906ELNS1_3gpuE6ELNS1_3repE0EEENS1_30default_config_static_selectorELNS0_4arch9wavefront6targetE0EEEvT1_
; %bb.0:
	.section	.rodata,"a",@progbits
	.p2align	6, 0x0
	.amdhsa_kernel _ZN7rocprim17ROCPRIM_400000_NS6detail17trampoline_kernelINS0_14default_configENS1_25partition_config_selectorILNS1_17partition_subalgoE5ElNS0_10empty_typeEbEEZZNS1_14partition_implILS5_5ELb0ES3_mN6hipcub16HIPCUB_304000_NS21CountingInputIteratorIllEEPS6_NSA_22TransformInputIteratorIbN2at6native12_GLOBAL__N_19NonZeroOpIaEEPKalEENS0_5tupleIJPlS6_EEENSN_IJSD_SD_EEES6_PiJS6_EEE10hipError_tPvRmT3_T4_T5_T6_T7_T9_mT8_P12ihipStream_tbDpT10_ENKUlT_T0_E_clISt17integral_constantIbLb1EES1B_EEDaS16_S17_EUlS16_E_NS1_11comp_targetILNS1_3genE2ELNS1_11target_archE906ELNS1_3gpuE6ELNS1_3repE0EEENS1_30default_config_static_selectorELNS0_4arch9wavefront6targetE0EEEvT1_
		.amdhsa_group_segment_fixed_size 0
		.amdhsa_private_segment_fixed_size 0
		.amdhsa_kernarg_size 136
		.amdhsa_user_sgpr_count 2
		.amdhsa_user_sgpr_dispatch_ptr 0
		.amdhsa_user_sgpr_queue_ptr 0
		.amdhsa_user_sgpr_kernarg_segment_ptr 1
		.amdhsa_user_sgpr_dispatch_id 0
		.amdhsa_user_sgpr_private_segment_size 0
		.amdhsa_wavefront_size32 1
		.amdhsa_uses_dynamic_stack 0
		.amdhsa_enable_private_segment 0
		.amdhsa_system_sgpr_workgroup_id_x 1
		.amdhsa_system_sgpr_workgroup_id_y 0
		.amdhsa_system_sgpr_workgroup_id_z 0
		.amdhsa_system_sgpr_workgroup_info 0
		.amdhsa_system_vgpr_workitem_id 0
		.amdhsa_next_free_vgpr 1
		.amdhsa_next_free_sgpr 1
		.amdhsa_reserve_vcc 0
		.amdhsa_float_round_mode_32 0
		.amdhsa_float_round_mode_16_64 0
		.amdhsa_float_denorm_mode_32 3
		.amdhsa_float_denorm_mode_16_64 3
		.amdhsa_fp16_overflow 0
		.amdhsa_workgroup_processor_mode 1
		.amdhsa_memory_ordered 1
		.amdhsa_forward_progress 1
		.amdhsa_inst_pref_size 0
		.amdhsa_round_robin_scheduling 0
		.amdhsa_exception_fp_ieee_invalid_op 0
		.amdhsa_exception_fp_denorm_src 0
		.amdhsa_exception_fp_ieee_div_zero 0
		.amdhsa_exception_fp_ieee_overflow 0
		.amdhsa_exception_fp_ieee_underflow 0
		.amdhsa_exception_fp_ieee_inexact 0
		.amdhsa_exception_int_div_zero 0
	.end_amdhsa_kernel
	.section	.text._ZN7rocprim17ROCPRIM_400000_NS6detail17trampoline_kernelINS0_14default_configENS1_25partition_config_selectorILNS1_17partition_subalgoE5ElNS0_10empty_typeEbEEZZNS1_14partition_implILS5_5ELb0ES3_mN6hipcub16HIPCUB_304000_NS21CountingInputIteratorIllEEPS6_NSA_22TransformInputIteratorIbN2at6native12_GLOBAL__N_19NonZeroOpIaEEPKalEENS0_5tupleIJPlS6_EEENSN_IJSD_SD_EEES6_PiJS6_EEE10hipError_tPvRmT3_T4_T5_T6_T7_T9_mT8_P12ihipStream_tbDpT10_ENKUlT_T0_E_clISt17integral_constantIbLb1EES1B_EEDaS16_S17_EUlS16_E_NS1_11comp_targetILNS1_3genE2ELNS1_11target_archE906ELNS1_3gpuE6ELNS1_3repE0EEENS1_30default_config_static_selectorELNS0_4arch9wavefront6targetE0EEEvT1_,"axG",@progbits,_ZN7rocprim17ROCPRIM_400000_NS6detail17trampoline_kernelINS0_14default_configENS1_25partition_config_selectorILNS1_17partition_subalgoE5ElNS0_10empty_typeEbEEZZNS1_14partition_implILS5_5ELb0ES3_mN6hipcub16HIPCUB_304000_NS21CountingInputIteratorIllEEPS6_NSA_22TransformInputIteratorIbN2at6native12_GLOBAL__N_19NonZeroOpIaEEPKalEENS0_5tupleIJPlS6_EEENSN_IJSD_SD_EEES6_PiJS6_EEE10hipError_tPvRmT3_T4_T5_T6_T7_T9_mT8_P12ihipStream_tbDpT10_ENKUlT_T0_E_clISt17integral_constantIbLb1EES1B_EEDaS16_S17_EUlS16_E_NS1_11comp_targetILNS1_3genE2ELNS1_11target_archE906ELNS1_3gpuE6ELNS1_3repE0EEENS1_30default_config_static_selectorELNS0_4arch9wavefront6targetE0EEEvT1_,comdat
.Lfunc_end130:
	.size	_ZN7rocprim17ROCPRIM_400000_NS6detail17trampoline_kernelINS0_14default_configENS1_25partition_config_selectorILNS1_17partition_subalgoE5ElNS0_10empty_typeEbEEZZNS1_14partition_implILS5_5ELb0ES3_mN6hipcub16HIPCUB_304000_NS21CountingInputIteratorIllEEPS6_NSA_22TransformInputIteratorIbN2at6native12_GLOBAL__N_19NonZeroOpIaEEPKalEENS0_5tupleIJPlS6_EEENSN_IJSD_SD_EEES6_PiJS6_EEE10hipError_tPvRmT3_T4_T5_T6_T7_T9_mT8_P12ihipStream_tbDpT10_ENKUlT_T0_E_clISt17integral_constantIbLb1EES1B_EEDaS16_S17_EUlS16_E_NS1_11comp_targetILNS1_3genE2ELNS1_11target_archE906ELNS1_3gpuE6ELNS1_3repE0EEENS1_30default_config_static_selectorELNS0_4arch9wavefront6targetE0EEEvT1_, .Lfunc_end130-_ZN7rocprim17ROCPRIM_400000_NS6detail17trampoline_kernelINS0_14default_configENS1_25partition_config_selectorILNS1_17partition_subalgoE5ElNS0_10empty_typeEbEEZZNS1_14partition_implILS5_5ELb0ES3_mN6hipcub16HIPCUB_304000_NS21CountingInputIteratorIllEEPS6_NSA_22TransformInputIteratorIbN2at6native12_GLOBAL__N_19NonZeroOpIaEEPKalEENS0_5tupleIJPlS6_EEENSN_IJSD_SD_EEES6_PiJS6_EEE10hipError_tPvRmT3_T4_T5_T6_T7_T9_mT8_P12ihipStream_tbDpT10_ENKUlT_T0_E_clISt17integral_constantIbLb1EES1B_EEDaS16_S17_EUlS16_E_NS1_11comp_targetILNS1_3genE2ELNS1_11target_archE906ELNS1_3gpuE6ELNS1_3repE0EEENS1_30default_config_static_selectorELNS0_4arch9wavefront6targetE0EEEvT1_
                                        ; -- End function
	.set _ZN7rocprim17ROCPRIM_400000_NS6detail17trampoline_kernelINS0_14default_configENS1_25partition_config_selectorILNS1_17partition_subalgoE5ElNS0_10empty_typeEbEEZZNS1_14partition_implILS5_5ELb0ES3_mN6hipcub16HIPCUB_304000_NS21CountingInputIteratorIllEEPS6_NSA_22TransformInputIteratorIbN2at6native12_GLOBAL__N_19NonZeroOpIaEEPKalEENS0_5tupleIJPlS6_EEENSN_IJSD_SD_EEES6_PiJS6_EEE10hipError_tPvRmT3_T4_T5_T6_T7_T9_mT8_P12ihipStream_tbDpT10_ENKUlT_T0_E_clISt17integral_constantIbLb1EES1B_EEDaS16_S17_EUlS16_E_NS1_11comp_targetILNS1_3genE2ELNS1_11target_archE906ELNS1_3gpuE6ELNS1_3repE0EEENS1_30default_config_static_selectorELNS0_4arch9wavefront6targetE0EEEvT1_.num_vgpr, 0
	.set _ZN7rocprim17ROCPRIM_400000_NS6detail17trampoline_kernelINS0_14default_configENS1_25partition_config_selectorILNS1_17partition_subalgoE5ElNS0_10empty_typeEbEEZZNS1_14partition_implILS5_5ELb0ES3_mN6hipcub16HIPCUB_304000_NS21CountingInputIteratorIllEEPS6_NSA_22TransformInputIteratorIbN2at6native12_GLOBAL__N_19NonZeroOpIaEEPKalEENS0_5tupleIJPlS6_EEENSN_IJSD_SD_EEES6_PiJS6_EEE10hipError_tPvRmT3_T4_T5_T6_T7_T9_mT8_P12ihipStream_tbDpT10_ENKUlT_T0_E_clISt17integral_constantIbLb1EES1B_EEDaS16_S17_EUlS16_E_NS1_11comp_targetILNS1_3genE2ELNS1_11target_archE906ELNS1_3gpuE6ELNS1_3repE0EEENS1_30default_config_static_selectorELNS0_4arch9wavefront6targetE0EEEvT1_.num_agpr, 0
	.set _ZN7rocprim17ROCPRIM_400000_NS6detail17trampoline_kernelINS0_14default_configENS1_25partition_config_selectorILNS1_17partition_subalgoE5ElNS0_10empty_typeEbEEZZNS1_14partition_implILS5_5ELb0ES3_mN6hipcub16HIPCUB_304000_NS21CountingInputIteratorIllEEPS6_NSA_22TransformInputIteratorIbN2at6native12_GLOBAL__N_19NonZeroOpIaEEPKalEENS0_5tupleIJPlS6_EEENSN_IJSD_SD_EEES6_PiJS6_EEE10hipError_tPvRmT3_T4_T5_T6_T7_T9_mT8_P12ihipStream_tbDpT10_ENKUlT_T0_E_clISt17integral_constantIbLb1EES1B_EEDaS16_S17_EUlS16_E_NS1_11comp_targetILNS1_3genE2ELNS1_11target_archE906ELNS1_3gpuE6ELNS1_3repE0EEENS1_30default_config_static_selectorELNS0_4arch9wavefront6targetE0EEEvT1_.numbered_sgpr, 0
	.set _ZN7rocprim17ROCPRIM_400000_NS6detail17trampoline_kernelINS0_14default_configENS1_25partition_config_selectorILNS1_17partition_subalgoE5ElNS0_10empty_typeEbEEZZNS1_14partition_implILS5_5ELb0ES3_mN6hipcub16HIPCUB_304000_NS21CountingInputIteratorIllEEPS6_NSA_22TransformInputIteratorIbN2at6native12_GLOBAL__N_19NonZeroOpIaEEPKalEENS0_5tupleIJPlS6_EEENSN_IJSD_SD_EEES6_PiJS6_EEE10hipError_tPvRmT3_T4_T5_T6_T7_T9_mT8_P12ihipStream_tbDpT10_ENKUlT_T0_E_clISt17integral_constantIbLb1EES1B_EEDaS16_S17_EUlS16_E_NS1_11comp_targetILNS1_3genE2ELNS1_11target_archE906ELNS1_3gpuE6ELNS1_3repE0EEENS1_30default_config_static_selectorELNS0_4arch9wavefront6targetE0EEEvT1_.num_named_barrier, 0
	.set _ZN7rocprim17ROCPRIM_400000_NS6detail17trampoline_kernelINS0_14default_configENS1_25partition_config_selectorILNS1_17partition_subalgoE5ElNS0_10empty_typeEbEEZZNS1_14partition_implILS5_5ELb0ES3_mN6hipcub16HIPCUB_304000_NS21CountingInputIteratorIllEEPS6_NSA_22TransformInputIteratorIbN2at6native12_GLOBAL__N_19NonZeroOpIaEEPKalEENS0_5tupleIJPlS6_EEENSN_IJSD_SD_EEES6_PiJS6_EEE10hipError_tPvRmT3_T4_T5_T6_T7_T9_mT8_P12ihipStream_tbDpT10_ENKUlT_T0_E_clISt17integral_constantIbLb1EES1B_EEDaS16_S17_EUlS16_E_NS1_11comp_targetILNS1_3genE2ELNS1_11target_archE906ELNS1_3gpuE6ELNS1_3repE0EEENS1_30default_config_static_selectorELNS0_4arch9wavefront6targetE0EEEvT1_.private_seg_size, 0
	.set _ZN7rocprim17ROCPRIM_400000_NS6detail17trampoline_kernelINS0_14default_configENS1_25partition_config_selectorILNS1_17partition_subalgoE5ElNS0_10empty_typeEbEEZZNS1_14partition_implILS5_5ELb0ES3_mN6hipcub16HIPCUB_304000_NS21CountingInputIteratorIllEEPS6_NSA_22TransformInputIteratorIbN2at6native12_GLOBAL__N_19NonZeroOpIaEEPKalEENS0_5tupleIJPlS6_EEENSN_IJSD_SD_EEES6_PiJS6_EEE10hipError_tPvRmT3_T4_T5_T6_T7_T9_mT8_P12ihipStream_tbDpT10_ENKUlT_T0_E_clISt17integral_constantIbLb1EES1B_EEDaS16_S17_EUlS16_E_NS1_11comp_targetILNS1_3genE2ELNS1_11target_archE906ELNS1_3gpuE6ELNS1_3repE0EEENS1_30default_config_static_selectorELNS0_4arch9wavefront6targetE0EEEvT1_.uses_vcc, 0
	.set _ZN7rocprim17ROCPRIM_400000_NS6detail17trampoline_kernelINS0_14default_configENS1_25partition_config_selectorILNS1_17partition_subalgoE5ElNS0_10empty_typeEbEEZZNS1_14partition_implILS5_5ELb0ES3_mN6hipcub16HIPCUB_304000_NS21CountingInputIteratorIllEEPS6_NSA_22TransformInputIteratorIbN2at6native12_GLOBAL__N_19NonZeroOpIaEEPKalEENS0_5tupleIJPlS6_EEENSN_IJSD_SD_EEES6_PiJS6_EEE10hipError_tPvRmT3_T4_T5_T6_T7_T9_mT8_P12ihipStream_tbDpT10_ENKUlT_T0_E_clISt17integral_constantIbLb1EES1B_EEDaS16_S17_EUlS16_E_NS1_11comp_targetILNS1_3genE2ELNS1_11target_archE906ELNS1_3gpuE6ELNS1_3repE0EEENS1_30default_config_static_selectorELNS0_4arch9wavefront6targetE0EEEvT1_.uses_flat_scratch, 0
	.set _ZN7rocprim17ROCPRIM_400000_NS6detail17trampoline_kernelINS0_14default_configENS1_25partition_config_selectorILNS1_17partition_subalgoE5ElNS0_10empty_typeEbEEZZNS1_14partition_implILS5_5ELb0ES3_mN6hipcub16HIPCUB_304000_NS21CountingInputIteratorIllEEPS6_NSA_22TransformInputIteratorIbN2at6native12_GLOBAL__N_19NonZeroOpIaEEPKalEENS0_5tupleIJPlS6_EEENSN_IJSD_SD_EEES6_PiJS6_EEE10hipError_tPvRmT3_T4_T5_T6_T7_T9_mT8_P12ihipStream_tbDpT10_ENKUlT_T0_E_clISt17integral_constantIbLb1EES1B_EEDaS16_S17_EUlS16_E_NS1_11comp_targetILNS1_3genE2ELNS1_11target_archE906ELNS1_3gpuE6ELNS1_3repE0EEENS1_30default_config_static_selectorELNS0_4arch9wavefront6targetE0EEEvT1_.has_dyn_sized_stack, 0
	.set _ZN7rocprim17ROCPRIM_400000_NS6detail17trampoline_kernelINS0_14default_configENS1_25partition_config_selectorILNS1_17partition_subalgoE5ElNS0_10empty_typeEbEEZZNS1_14partition_implILS5_5ELb0ES3_mN6hipcub16HIPCUB_304000_NS21CountingInputIteratorIllEEPS6_NSA_22TransformInputIteratorIbN2at6native12_GLOBAL__N_19NonZeroOpIaEEPKalEENS0_5tupleIJPlS6_EEENSN_IJSD_SD_EEES6_PiJS6_EEE10hipError_tPvRmT3_T4_T5_T6_T7_T9_mT8_P12ihipStream_tbDpT10_ENKUlT_T0_E_clISt17integral_constantIbLb1EES1B_EEDaS16_S17_EUlS16_E_NS1_11comp_targetILNS1_3genE2ELNS1_11target_archE906ELNS1_3gpuE6ELNS1_3repE0EEENS1_30default_config_static_selectorELNS0_4arch9wavefront6targetE0EEEvT1_.has_recursion, 0
	.set _ZN7rocprim17ROCPRIM_400000_NS6detail17trampoline_kernelINS0_14default_configENS1_25partition_config_selectorILNS1_17partition_subalgoE5ElNS0_10empty_typeEbEEZZNS1_14partition_implILS5_5ELb0ES3_mN6hipcub16HIPCUB_304000_NS21CountingInputIteratorIllEEPS6_NSA_22TransformInputIteratorIbN2at6native12_GLOBAL__N_19NonZeroOpIaEEPKalEENS0_5tupleIJPlS6_EEENSN_IJSD_SD_EEES6_PiJS6_EEE10hipError_tPvRmT3_T4_T5_T6_T7_T9_mT8_P12ihipStream_tbDpT10_ENKUlT_T0_E_clISt17integral_constantIbLb1EES1B_EEDaS16_S17_EUlS16_E_NS1_11comp_targetILNS1_3genE2ELNS1_11target_archE906ELNS1_3gpuE6ELNS1_3repE0EEENS1_30default_config_static_selectorELNS0_4arch9wavefront6targetE0EEEvT1_.has_indirect_call, 0
	.section	.AMDGPU.csdata,"",@progbits
; Kernel info:
; codeLenInByte = 0
; TotalNumSgprs: 0
; NumVgprs: 0
; ScratchSize: 0
; MemoryBound: 0
; FloatMode: 240
; IeeeMode: 1
; LDSByteSize: 0 bytes/workgroup (compile time only)
; SGPRBlocks: 0
; VGPRBlocks: 0
; NumSGPRsForWavesPerEU: 1
; NumVGPRsForWavesPerEU: 1
; Occupancy: 16
; WaveLimiterHint : 0
; COMPUTE_PGM_RSRC2:SCRATCH_EN: 0
; COMPUTE_PGM_RSRC2:USER_SGPR: 2
; COMPUTE_PGM_RSRC2:TRAP_HANDLER: 0
; COMPUTE_PGM_RSRC2:TGID_X_EN: 1
; COMPUTE_PGM_RSRC2:TGID_Y_EN: 0
; COMPUTE_PGM_RSRC2:TGID_Z_EN: 0
; COMPUTE_PGM_RSRC2:TIDIG_COMP_CNT: 0
	.section	.text._ZN7rocprim17ROCPRIM_400000_NS6detail17trampoline_kernelINS0_14default_configENS1_25partition_config_selectorILNS1_17partition_subalgoE5ElNS0_10empty_typeEbEEZZNS1_14partition_implILS5_5ELb0ES3_mN6hipcub16HIPCUB_304000_NS21CountingInputIteratorIllEEPS6_NSA_22TransformInputIteratorIbN2at6native12_GLOBAL__N_19NonZeroOpIaEEPKalEENS0_5tupleIJPlS6_EEENSN_IJSD_SD_EEES6_PiJS6_EEE10hipError_tPvRmT3_T4_T5_T6_T7_T9_mT8_P12ihipStream_tbDpT10_ENKUlT_T0_E_clISt17integral_constantIbLb1EES1B_EEDaS16_S17_EUlS16_E_NS1_11comp_targetILNS1_3genE10ELNS1_11target_archE1200ELNS1_3gpuE4ELNS1_3repE0EEENS1_30default_config_static_selectorELNS0_4arch9wavefront6targetE0EEEvT1_,"axG",@progbits,_ZN7rocprim17ROCPRIM_400000_NS6detail17trampoline_kernelINS0_14default_configENS1_25partition_config_selectorILNS1_17partition_subalgoE5ElNS0_10empty_typeEbEEZZNS1_14partition_implILS5_5ELb0ES3_mN6hipcub16HIPCUB_304000_NS21CountingInputIteratorIllEEPS6_NSA_22TransformInputIteratorIbN2at6native12_GLOBAL__N_19NonZeroOpIaEEPKalEENS0_5tupleIJPlS6_EEENSN_IJSD_SD_EEES6_PiJS6_EEE10hipError_tPvRmT3_T4_T5_T6_T7_T9_mT8_P12ihipStream_tbDpT10_ENKUlT_T0_E_clISt17integral_constantIbLb1EES1B_EEDaS16_S17_EUlS16_E_NS1_11comp_targetILNS1_3genE10ELNS1_11target_archE1200ELNS1_3gpuE4ELNS1_3repE0EEENS1_30default_config_static_selectorELNS0_4arch9wavefront6targetE0EEEvT1_,comdat
	.globl	_ZN7rocprim17ROCPRIM_400000_NS6detail17trampoline_kernelINS0_14default_configENS1_25partition_config_selectorILNS1_17partition_subalgoE5ElNS0_10empty_typeEbEEZZNS1_14partition_implILS5_5ELb0ES3_mN6hipcub16HIPCUB_304000_NS21CountingInputIteratorIllEEPS6_NSA_22TransformInputIteratorIbN2at6native12_GLOBAL__N_19NonZeroOpIaEEPKalEENS0_5tupleIJPlS6_EEENSN_IJSD_SD_EEES6_PiJS6_EEE10hipError_tPvRmT3_T4_T5_T6_T7_T9_mT8_P12ihipStream_tbDpT10_ENKUlT_T0_E_clISt17integral_constantIbLb1EES1B_EEDaS16_S17_EUlS16_E_NS1_11comp_targetILNS1_3genE10ELNS1_11target_archE1200ELNS1_3gpuE4ELNS1_3repE0EEENS1_30default_config_static_selectorELNS0_4arch9wavefront6targetE0EEEvT1_ ; -- Begin function _ZN7rocprim17ROCPRIM_400000_NS6detail17trampoline_kernelINS0_14default_configENS1_25partition_config_selectorILNS1_17partition_subalgoE5ElNS0_10empty_typeEbEEZZNS1_14partition_implILS5_5ELb0ES3_mN6hipcub16HIPCUB_304000_NS21CountingInputIteratorIllEEPS6_NSA_22TransformInputIteratorIbN2at6native12_GLOBAL__N_19NonZeroOpIaEEPKalEENS0_5tupleIJPlS6_EEENSN_IJSD_SD_EEES6_PiJS6_EEE10hipError_tPvRmT3_T4_T5_T6_T7_T9_mT8_P12ihipStream_tbDpT10_ENKUlT_T0_E_clISt17integral_constantIbLb1EES1B_EEDaS16_S17_EUlS16_E_NS1_11comp_targetILNS1_3genE10ELNS1_11target_archE1200ELNS1_3gpuE4ELNS1_3repE0EEENS1_30default_config_static_selectorELNS0_4arch9wavefront6targetE0EEEvT1_
	.p2align	8
	.type	_ZN7rocprim17ROCPRIM_400000_NS6detail17trampoline_kernelINS0_14default_configENS1_25partition_config_selectorILNS1_17partition_subalgoE5ElNS0_10empty_typeEbEEZZNS1_14partition_implILS5_5ELb0ES3_mN6hipcub16HIPCUB_304000_NS21CountingInputIteratorIllEEPS6_NSA_22TransformInputIteratorIbN2at6native12_GLOBAL__N_19NonZeroOpIaEEPKalEENS0_5tupleIJPlS6_EEENSN_IJSD_SD_EEES6_PiJS6_EEE10hipError_tPvRmT3_T4_T5_T6_T7_T9_mT8_P12ihipStream_tbDpT10_ENKUlT_T0_E_clISt17integral_constantIbLb1EES1B_EEDaS16_S17_EUlS16_E_NS1_11comp_targetILNS1_3genE10ELNS1_11target_archE1200ELNS1_3gpuE4ELNS1_3repE0EEENS1_30default_config_static_selectorELNS0_4arch9wavefront6targetE0EEEvT1_,@function
_ZN7rocprim17ROCPRIM_400000_NS6detail17trampoline_kernelINS0_14default_configENS1_25partition_config_selectorILNS1_17partition_subalgoE5ElNS0_10empty_typeEbEEZZNS1_14partition_implILS5_5ELb0ES3_mN6hipcub16HIPCUB_304000_NS21CountingInputIteratorIllEEPS6_NSA_22TransformInputIteratorIbN2at6native12_GLOBAL__N_19NonZeroOpIaEEPKalEENS0_5tupleIJPlS6_EEENSN_IJSD_SD_EEES6_PiJS6_EEE10hipError_tPvRmT3_T4_T5_T6_T7_T9_mT8_P12ihipStream_tbDpT10_ENKUlT_T0_E_clISt17integral_constantIbLb1EES1B_EEDaS16_S17_EUlS16_E_NS1_11comp_targetILNS1_3genE10ELNS1_11target_archE1200ELNS1_3gpuE4ELNS1_3repE0EEENS1_30default_config_static_selectorELNS0_4arch9wavefront6targetE0EEEvT1_: ; @_ZN7rocprim17ROCPRIM_400000_NS6detail17trampoline_kernelINS0_14default_configENS1_25partition_config_selectorILNS1_17partition_subalgoE5ElNS0_10empty_typeEbEEZZNS1_14partition_implILS5_5ELb0ES3_mN6hipcub16HIPCUB_304000_NS21CountingInputIteratorIllEEPS6_NSA_22TransformInputIteratorIbN2at6native12_GLOBAL__N_19NonZeroOpIaEEPKalEENS0_5tupleIJPlS6_EEENSN_IJSD_SD_EEES6_PiJS6_EEE10hipError_tPvRmT3_T4_T5_T6_T7_T9_mT8_P12ihipStream_tbDpT10_ENKUlT_T0_E_clISt17integral_constantIbLb1EES1B_EEDaS16_S17_EUlS16_E_NS1_11comp_targetILNS1_3genE10ELNS1_11target_archE1200ELNS1_3gpuE4ELNS1_3repE0EEENS1_30default_config_static_selectorELNS0_4arch9wavefront6targetE0EEEvT1_
; %bb.0:
	s_endpgm
	.section	.rodata,"a",@progbits
	.p2align	6, 0x0
	.amdhsa_kernel _ZN7rocprim17ROCPRIM_400000_NS6detail17trampoline_kernelINS0_14default_configENS1_25partition_config_selectorILNS1_17partition_subalgoE5ElNS0_10empty_typeEbEEZZNS1_14partition_implILS5_5ELb0ES3_mN6hipcub16HIPCUB_304000_NS21CountingInputIteratorIllEEPS6_NSA_22TransformInputIteratorIbN2at6native12_GLOBAL__N_19NonZeroOpIaEEPKalEENS0_5tupleIJPlS6_EEENSN_IJSD_SD_EEES6_PiJS6_EEE10hipError_tPvRmT3_T4_T5_T6_T7_T9_mT8_P12ihipStream_tbDpT10_ENKUlT_T0_E_clISt17integral_constantIbLb1EES1B_EEDaS16_S17_EUlS16_E_NS1_11comp_targetILNS1_3genE10ELNS1_11target_archE1200ELNS1_3gpuE4ELNS1_3repE0EEENS1_30default_config_static_selectorELNS0_4arch9wavefront6targetE0EEEvT1_
		.amdhsa_group_segment_fixed_size 0
		.amdhsa_private_segment_fixed_size 0
		.amdhsa_kernarg_size 136
		.amdhsa_user_sgpr_count 2
		.amdhsa_user_sgpr_dispatch_ptr 0
		.amdhsa_user_sgpr_queue_ptr 0
		.amdhsa_user_sgpr_kernarg_segment_ptr 1
		.amdhsa_user_sgpr_dispatch_id 0
		.amdhsa_user_sgpr_private_segment_size 0
		.amdhsa_wavefront_size32 1
		.amdhsa_uses_dynamic_stack 0
		.amdhsa_enable_private_segment 0
		.amdhsa_system_sgpr_workgroup_id_x 1
		.amdhsa_system_sgpr_workgroup_id_y 0
		.amdhsa_system_sgpr_workgroup_id_z 0
		.amdhsa_system_sgpr_workgroup_info 0
		.amdhsa_system_vgpr_workitem_id 0
		.amdhsa_next_free_vgpr 1
		.amdhsa_next_free_sgpr 1
		.amdhsa_reserve_vcc 0
		.amdhsa_float_round_mode_32 0
		.amdhsa_float_round_mode_16_64 0
		.amdhsa_float_denorm_mode_32 3
		.amdhsa_float_denorm_mode_16_64 3
		.amdhsa_fp16_overflow 0
		.amdhsa_workgroup_processor_mode 1
		.amdhsa_memory_ordered 1
		.amdhsa_forward_progress 1
		.amdhsa_inst_pref_size 1
		.amdhsa_round_robin_scheduling 0
		.amdhsa_exception_fp_ieee_invalid_op 0
		.amdhsa_exception_fp_denorm_src 0
		.amdhsa_exception_fp_ieee_div_zero 0
		.amdhsa_exception_fp_ieee_overflow 0
		.amdhsa_exception_fp_ieee_underflow 0
		.amdhsa_exception_fp_ieee_inexact 0
		.amdhsa_exception_int_div_zero 0
	.end_amdhsa_kernel
	.section	.text._ZN7rocprim17ROCPRIM_400000_NS6detail17trampoline_kernelINS0_14default_configENS1_25partition_config_selectorILNS1_17partition_subalgoE5ElNS0_10empty_typeEbEEZZNS1_14partition_implILS5_5ELb0ES3_mN6hipcub16HIPCUB_304000_NS21CountingInputIteratorIllEEPS6_NSA_22TransformInputIteratorIbN2at6native12_GLOBAL__N_19NonZeroOpIaEEPKalEENS0_5tupleIJPlS6_EEENSN_IJSD_SD_EEES6_PiJS6_EEE10hipError_tPvRmT3_T4_T5_T6_T7_T9_mT8_P12ihipStream_tbDpT10_ENKUlT_T0_E_clISt17integral_constantIbLb1EES1B_EEDaS16_S17_EUlS16_E_NS1_11comp_targetILNS1_3genE10ELNS1_11target_archE1200ELNS1_3gpuE4ELNS1_3repE0EEENS1_30default_config_static_selectorELNS0_4arch9wavefront6targetE0EEEvT1_,"axG",@progbits,_ZN7rocprim17ROCPRIM_400000_NS6detail17trampoline_kernelINS0_14default_configENS1_25partition_config_selectorILNS1_17partition_subalgoE5ElNS0_10empty_typeEbEEZZNS1_14partition_implILS5_5ELb0ES3_mN6hipcub16HIPCUB_304000_NS21CountingInputIteratorIllEEPS6_NSA_22TransformInputIteratorIbN2at6native12_GLOBAL__N_19NonZeroOpIaEEPKalEENS0_5tupleIJPlS6_EEENSN_IJSD_SD_EEES6_PiJS6_EEE10hipError_tPvRmT3_T4_T5_T6_T7_T9_mT8_P12ihipStream_tbDpT10_ENKUlT_T0_E_clISt17integral_constantIbLb1EES1B_EEDaS16_S17_EUlS16_E_NS1_11comp_targetILNS1_3genE10ELNS1_11target_archE1200ELNS1_3gpuE4ELNS1_3repE0EEENS1_30default_config_static_selectorELNS0_4arch9wavefront6targetE0EEEvT1_,comdat
.Lfunc_end131:
	.size	_ZN7rocprim17ROCPRIM_400000_NS6detail17trampoline_kernelINS0_14default_configENS1_25partition_config_selectorILNS1_17partition_subalgoE5ElNS0_10empty_typeEbEEZZNS1_14partition_implILS5_5ELb0ES3_mN6hipcub16HIPCUB_304000_NS21CountingInputIteratorIllEEPS6_NSA_22TransformInputIteratorIbN2at6native12_GLOBAL__N_19NonZeroOpIaEEPKalEENS0_5tupleIJPlS6_EEENSN_IJSD_SD_EEES6_PiJS6_EEE10hipError_tPvRmT3_T4_T5_T6_T7_T9_mT8_P12ihipStream_tbDpT10_ENKUlT_T0_E_clISt17integral_constantIbLb1EES1B_EEDaS16_S17_EUlS16_E_NS1_11comp_targetILNS1_3genE10ELNS1_11target_archE1200ELNS1_3gpuE4ELNS1_3repE0EEENS1_30default_config_static_selectorELNS0_4arch9wavefront6targetE0EEEvT1_, .Lfunc_end131-_ZN7rocprim17ROCPRIM_400000_NS6detail17trampoline_kernelINS0_14default_configENS1_25partition_config_selectorILNS1_17partition_subalgoE5ElNS0_10empty_typeEbEEZZNS1_14partition_implILS5_5ELb0ES3_mN6hipcub16HIPCUB_304000_NS21CountingInputIteratorIllEEPS6_NSA_22TransformInputIteratorIbN2at6native12_GLOBAL__N_19NonZeroOpIaEEPKalEENS0_5tupleIJPlS6_EEENSN_IJSD_SD_EEES6_PiJS6_EEE10hipError_tPvRmT3_T4_T5_T6_T7_T9_mT8_P12ihipStream_tbDpT10_ENKUlT_T0_E_clISt17integral_constantIbLb1EES1B_EEDaS16_S17_EUlS16_E_NS1_11comp_targetILNS1_3genE10ELNS1_11target_archE1200ELNS1_3gpuE4ELNS1_3repE0EEENS1_30default_config_static_selectorELNS0_4arch9wavefront6targetE0EEEvT1_
                                        ; -- End function
	.set _ZN7rocprim17ROCPRIM_400000_NS6detail17trampoline_kernelINS0_14default_configENS1_25partition_config_selectorILNS1_17partition_subalgoE5ElNS0_10empty_typeEbEEZZNS1_14partition_implILS5_5ELb0ES3_mN6hipcub16HIPCUB_304000_NS21CountingInputIteratorIllEEPS6_NSA_22TransformInputIteratorIbN2at6native12_GLOBAL__N_19NonZeroOpIaEEPKalEENS0_5tupleIJPlS6_EEENSN_IJSD_SD_EEES6_PiJS6_EEE10hipError_tPvRmT3_T4_T5_T6_T7_T9_mT8_P12ihipStream_tbDpT10_ENKUlT_T0_E_clISt17integral_constantIbLb1EES1B_EEDaS16_S17_EUlS16_E_NS1_11comp_targetILNS1_3genE10ELNS1_11target_archE1200ELNS1_3gpuE4ELNS1_3repE0EEENS1_30default_config_static_selectorELNS0_4arch9wavefront6targetE0EEEvT1_.num_vgpr, 0
	.set _ZN7rocprim17ROCPRIM_400000_NS6detail17trampoline_kernelINS0_14default_configENS1_25partition_config_selectorILNS1_17partition_subalgoE5ElNS0_10empty_typeEbEEZZNS1_14partition_implILS5_5ELb0ES3_mN6hipcub16HIPCUB_304000_NS21CountingInputIteratorIllEEPS6_NSA_22TransformInputIteratorIbN2at6native12_GLOBAL__N_19NonZeroOpIaEEPKalEENS0_5tupleIJPlS6_EEENSN_IJSD_SD_EEES6_PiJS6_EEE10hipError_tPvRmT3_T4_T5_T6_T7_T9_mT8_P12ihipStream_tbDpT10_ENKUlT_T0_E_clISt17integral_constantIbLb1EES1B_EEDaS16_S17_EUlS16_E_NS1_11comp_targetILNS1_3genE10ELNS1_11target_archE1200ELNS1_3gpuE4ELNS1_3repE0EEENS1_30default_config_static_selectorELNS0_4arch9wavefront6targetE0EEEvT1_.num_agpr, 0
	.set _ZN7rocprim17ROCPRIM_400000_NS6detail17trampoline_kernelINS0_14default_configENS1_25partition_config_selectorILNS1_17partition_subalgoE5ElNS0_10empty_typeEbEEZZNS1_14partition_implILS5_5ELb0ES3_mN6hipcub16HIPCUB_304000_NS21CountingInputIteratorIllEEPS6_NSA_22TransformInputIteratorIbN2at6native12_GLOBAL__N_19NonZeroOpIaEEPKalEENS0_5tupleIJPlS6_EEENSN_IJSD_SD_EEES6_PiJS6_EEE10hipError_tPvRmT3_T4_T5_T6_T7_T9_mT8_P12ihipStream_tbDpT10_ENKUlT_T0_E_clISt17integral_constantIbLb1EES1B_EEDaS16_S17_EUlS16_E_NS1_11comp_targetILNS1_3genE10ELNS1_11target_archE1200ELNS1_3gpuE4ELNS1_3repE0EEENS1_30default_config_static_selectorELNS0_4arch9wavefront6targetE0EEEvT1_.numbered_sgpr, 0
	.set _ZN7rocprim17ROCPRIM_400000_NS6detail17trampoline_kernelINS0_14default_configENS1_25partition_config_selectorILNS1_17partition_subalgoE5ElNS0_10empty_typeEbEEZZNS1_14partition_implILS5_5ELb0ES3_mN6hipcub16HIPCUB_304000_NS21CountingInputIteratorIllEEPS6_NSA_22TransformInputIteratorIbN2at6native12_GLOBAL__N_19NonZeroOpIaEEPKalEENS0_5tupleIJPlS6_EEENSN_IJSD_SD_EEES6_PiJS6_EEE10hipError_tPvRmT3_T4_T5_T6_T7_T9_mT8_P12ihipStream_tbDpT10_ENKUlT_T0_E_clISt17integral_constantIbLb1EES1B_EEDaS16_S17_EUlS16_E_NS1_11comp_targetILNS1_3genE10ELNS1_11target_archE1200ELNS1_3gpuE4ELNS1_3repE0EEENS1_30default_config_static_selectorELNS0_4arch9wavefront6targetE0EEEvT1_.num_named_barrier, 0
	.set _ZN7rocprim17ROCPRIM_400000_NS6detail17trampoline_kernelINS0_14default_configENS1_25partition_config_selectorILNS1_17partition_subalgoE5ElNS0_10empty_typeEbEEZZNS1_14partition_implILS5_5ELb0ES3_mN6hipcub16HIPCUB_304000_NS21CountingInputIteratorIllEEPS6_NSA_22TransformInputIteratorIbN2at6native12_GLOBAL__N_19NonZeroOpIaEEPKalEENS0_5tupleIJPlS6_EEENSN_IJSD_SD_EEES6_PiJS6_EEE10hipError_tPvRmT3_T4_T5_T6_T7_T9_mT8_P12ihipStream_tbDpT10_ENKUlT_T0_E_clISt17integral_constantIbLb1EES1B_EEDaS16_S17_EUlS16_E_NS1_11comp_targetILNS1_3genE10ELNS1_11target_archE1200ELNS1_3gpuE4ELNS1_3repE0EEENS1_30default_config_static_selectorELNS0_4arch9wavefront6targetE0EEEvT1_.private_seg_size, 0
	.set _ZN7rocprim17ROCPRIM_400000_NS6detail17trampoline_kernelINS0_14default_configENS1_25partition_config_selectorILNS1_17partition_subalgoE5ElNS0_10empty_typeEbEEZZNS1_14partition_implILS5_5ELb0ES3_mN6hipcub16HIPCUB_304000_NS21CountingInputIteratorIllEEPS6_NSA_22TransformInputIteratorIbN2at6native12_GLOBAL__N_19NonZeroOpIaEEPKalEENS0_5tupleIJPlS6_EEENSN_IJSD_SD_EEES6_PiJS6_EEE10hipError_tPvRmT3_T4_T5_T6_T7_T9_mT8_P12ihipStream_tbDpT10_ENKUlT_T0_E_clISt17integral_constantIbLb1EES1B_EEDaS16_S17_EUlS16_E_NS1_11comp_targetILNS1_3genE10ELNS1_11target_archE1200ELNS1_3gpuE4ELNS1_3repE0EEENS1_30default_config_static_selectorELNS0_4arch9wavefront6targetE0EEEvT1_.uses_vcc, 0
	.set _ZN7rocprim17ROCPRIM_400000_NS6detail17trampoline_kernelINS0_14default_configENS1_25partition_config_selectorILNS1_17partition_subalgoE5ElNS0_10empty_typeEbEEZZNS1_14partition_implILS5_5ELb0ES3_mN6hipcub16HIPCUB_304000_NS21CountingInputIteratorIllEEPS6_NSA_22TransformInputIteratorIbN2at6native12_GLOBAL__N_19NonZeroOpIaEEPKalEENS0_5tupleIJPlS6_EEENSN_IJSD_SD_EEES6_PiJS6_EEE10hipError_tPvRmT3_T4_T5_T6_T7_T9_mT8_P12ihipStream_tbDpT10_ENKUlT_T0_E_clISt17integral_constantIbLb1EES1B_EEDaS16_S17_EUlS16_E_NS1_11comp_targetILNS1_3genE10ELNS1_11target_archE1200ELNS1_3gpuE4ELNS1_3repE0EEENS1_30default_config_static_selectorELNS0_4arch9wavefront6targetE0EEEvT1_.uses_flat_scratch, 0
	.set _ZN7rocprim17ROCPRIM_400000_NS6detail17trampoline_kernelINS0_14default_configENS1_25partition_config_selectorILNS1_17partition_subalgoE5ElNS0_10empty_typeEbEEZZNS1_14partition_implILS5_5ELb0ES3_mN6hipcub16HIPCUB_304000_NS21CountingInputIteratorIllEEPS6_NSA_22TransformInputIteratorIbN2at6native12_GLOBAL__N_19NonZeroOpIaEEPKalEENS0_5tupleIJPlS6_EEENSN_IJSD_SD_EEES6_PiJS6_EEE10hipError_tPvRmT3_T4_T5_T6_T7_T9_mT8_P12ihipStream_tbDpT10_ENKUlT_T0_E_clISt17integral_constantIbLb1EES1B_EEDaS16_S17_EUlS16_E_NS1_11comp_targetILNS1_3genE10ELNS1_11target_archE1200ELNS1_3gpuE4ELNS1_3repE0EEENS1_30default_config_static_selectorELNS0_4arch9wavefront6targetE0EEEvT1_.has_dyn_sized_stack, 0
	.set _ZN7rocprim17ROCPRIM_400000_NS6detail17trampoline_kernelINS0_14default_configENS1_25partition_config_selectorILNS1_17partition_subalgoE5ElNS0_10empty_typeEbEEZZNS1_14partition_implILS5_5ELb0ES3_mN6hipcub16HIPCUB_304000_NS21CountingInputIteratorIllEEPS6_NSA_22TransformInputIteratorIbN2at6native12_GLOBAL__N_19NonZeroOpIaEEPKalEENS0_5tupleIJPlS6_EEENSN_IJSD_SD_EEES6_PiJS6_EEE10hipError_tPvRmT3_T4_T5_T6_T7_T9_mT8_P12ihipStream_tbDpT10_ENKUlT_T0_E_clISt17integral_constantIbLb1EES1B_EEDaS16_S17_EUlS16_E_NS1_11comp_targetILNS1_3genE10ELNS1_11target_archE1200ELNS1_3gpuE4ELNS1_3repE0EEENS1_30default_config_static_selectorELNS0_4arch9wavefront6targetE0EEEvT1_.has_recursion, 0
	.set _ZN7rocprim17ROCPRIM_400000_NS6detail17trampoline_kernelINS0_14default_configENS1_25partition_config_selectorILNS1_17partition_subalgoE5ElNS0_10empty_typeEbEEZZNS1_14partition_implILS5_5ELb0ES3_mN6hipcub16HIPCUB_304000_NS21CountingInputIteratorIllEEPS6_NSA_22TransformInputIteratorIbN2at6native12_GLOBAL__N_19NonZeroOpIaEEPKalEENS0_5tupleIJPlS6_EEENSN_IJSD_SD_EEES6_PiJS6_EEE10hipError_tPvRmT3_T4_T5_T6_T7_T9_mT8_P12ihipStream_tbDpT10_ENKUlT_T0_E_clISt17integral_constantIbLb1EES1B_EEDaS16_S17_EUlS16_E_NS1_11comp_targetILNS1_3genE10ELNS1_11target_archE1200ELNS1_3gpuE4ELNS1_3repE0EEENS1_30default_config_static_selectorELNS0_4arch9wavefront6targetE0EEEvT1_.has_indirect_call, 0
	.section	.AMDGPU.csdata,"",@progbits
; Kernel info:
; codeLenInByte = 4
; TotalNumSgprs: 0
; NumVgprs: 0
; ScratchSize: 0
; MemoryBound: 0
; FloatMode: 240
; IeeeMode: 1
; LDSByteSize: 0 bytes/workgroup (compile time only)
; SGPRBlocks: 0
; VGPRBlocks: 0
; NumSGPRsForWavesPerEU: 1
; NumVGPRsForWavesPerEU: 1
; Occupancy: 16
; WaveLimiterHint : 0
; COMPUTE_PGM_RSRC2:SCRATCH_EN: 0
; COMPUTE_PGM_RSRC2:USER_SGPR: 2
; COMPUTE_PGM_RSRC2:TRAP_HANDLER: 0
; COMPUTE_PGM_RSRC2:TGID_X_EN: 1
; COMPUTE_PGM_RSRC2:TGID_Y_EN: 0
; COMPUTE_PGM_RSRC2:TGID_Z_EN: 0
; COMPUTE_PGM_RSRC2:TIDIG_COMP_CNT: 0
	.section	.text._ZN7rocprim17ROCPRIM_400000_NS6detail17trampoline_kernelINS0_14default_configENS1_25partition_config_selectorILNS1_17partition_subalgoE5ElNS0_10empty_typeEbEEZZNS1_14partition_implILS5_5ELb0ES3_mN6hipcub16HIPCUB_304000_NS21CountingInputIteratorIllEEPS6_NSA_22TransformInputIteratorIbN2at6native12_GLOBAL__N_19NonZeroOpIaEEPKalEENS0_5tupleIJPlS6_EEENSN_IJSD_SD_EEES6_PiJS6_EEE10hipError_tPvRmT3_T4_T5_T6_T7_T9_mT8_P12ihipStream_tbDpT10_ENKUlT_T0_E_clISt17integral_constantIbLb1EES1B_EEDaS16_S17_EUlS16_E_NS1_11comp_targetILNS1_3genE9ELNS1_11target_archE1100ELNS1_3gpuE3ELNS1_3repE0EEENS1_30default_config_static_selectorELNS0_4arch9wavefront6targetE0EEEvT1_,"axG",@progbits,_ZN7rocprim17ROCPRIM_400000_NS6detail17trampoline_kernelINS0_14default_configENS1_25partition_config_selectorILNS1_17partition_subalgoE5ElNS0_10empty_typeEbEEZZNS1_14partition_implILS5_5ELb0ES3_mN6hipcub16HIPCUB_304000_NS21CountingInputIteratorIllEEPS6_NSA_22TransformInputIteratorIbN2at6native12_GLOBAL__N_19NonZeroOpIaEEPKalEENS0_5tupleIJPlS6_EEENSN_IJSD_SD_EEES6_PiJS6_EEE10hipError_tPvRmT3_T4_T5_T6_T7_T9_mT8_P12ihipStream_tbDpT10_ENKUlT_T0_E_clISt17integral_constantIbLb1EES1B_EEDaS16_S17_EUlS16_E_NS1_11comp_targetILNS1_3genE9ELNS1_11target_archE1100ELNS1_3gpuE3ELNS1_3repE0EEENS1_30default_config_static_selectorELNS0_4arch9wavefront6targetE0EEEvT1_,comdat
	.globl	_ZN7rocprim17ROCPRIM_400000_NS6detail17trampoline_kernelINS0_14default_configENS1_25partition_config_selectorILNS1_17partition_subalgoE5ElNS0_10empty_typeEbEEZZNS1_14partition_implILS5_5ELb0ES3_mN6hipcub16HIPCUB_304000_NS21CountingInputIteratorIllEEPS6_NSA_22TransformInputIteratorIbN2at6native12_GLOBAL__N_19NonZeroOpIaEEPKalEENS0_5tupleIJPlS6_EEENSN_IJSD_SD_EEES6_PiJS6_EEE10hipError_tPvRmT3_T4_T5_T6_T7_T9_mT8_P12ihipStream_tbDpT10_ENKUlT_T0_E_clISt17integral_constantIbLb1EES1B_EEDaS16_S17_EUlS16_E_NS1_11comp_targetILNS1_3genE9ELNS1_11target_archE1100ELNS1_3gpuE3ELNS1_3repE0EEENS1_30default_config_static_selectorELNS0_4arch9wavefront6targetE0EEEvT1_ ; -- Begin function _ZN7rocprim17ROCPRIM_400000_NS6detail17trampoline_kernelINS0_14default_configENS1_25partition_config_selectorILNS1_17partition_subalgoE5ElNS0_10empty_typeEbEEZZNS1_14partition_implILS5_5ELb0ES3_mN6hipcub16HIPCUB_304000_NS21CountingInputIteratorIllEEPS6_NSA_22TransformInputIteratorIbN2at6native12_GLOBAL__N_19NonZeroOpIaEEPKalEENS0_5tupleIJPlS6_EEENSN_IJSD_SD_EEES6_PiJS6_EEE10hipError_tPvRmT3_T4_T5_T6_T7_T9_mT8_P12ihipStream_tbDpT10_ENKUlT_T0_E_clISt17integral_constantIbLb1EES1B_EEDaS16_S17_EUlS16_E_NS1_11comp_targetILNS1_3genE9ELNS1_11target_archE1100ELNS1_3gpuE3ELNS1_3repE0EEENS1_30default_config_static_selectorELNS0_4arch9wavefront6targetE0EEEvT1_
	.p2align	8
	.type	_ZN7rocprim17ROCPRIM_400000_NS6detail17trampoline_kernelINS0_14default_configENS1_25partition_config_selectorILNS1_17partition_subalgoE5ElNS0_10empty_typeEbEEZZNS1_14partition_implILS5_5ELb0ES3_mN6hipcub16HIPCUB_304000_NS21CountingInputIteratorIllEEPS6_NSA_22TransformInputIteratorIbN2at6native12_GLOBAL__N_19NonZeroOpIaEEPKalEENS0_5tupleIJPlS6_EEENSN_IJSD_SD_EEES6_PiJS6_EEE10hipError_tPvRmT3_T4_T5_T6_T7_T9_mT8_P12ihipStream_tbDpT10_ENKUlT_T0_E_clISt17integral_constantIbLb1EES1B_EEDaS16_S17_EUlS16_E_NS1_11comp_targetILNS1_3genE9ELNS1_11target_archE1100ELNS1_3gpuE3ELNS1_3repE0EEENS1_30default_config_static_selectorELNS0_4arch9wavefront6targetE0EEEvT1_,@function
_ZN7rocprim17ROCPRIM_400000_NS6detail17trampoline_kernelINS0_14default_configENS1_25partition_config_selectorILNS1_17partition_subalgoE5ElNS0_10empty_typeEbEEZZNS1_14partition_implILS5_5ELb0ES3_mN6hipcub16HIPCUB_304000_NS21CountingInputIteratorIllEEPS6_NSA_22TransformInputIteratorIbN2at6native12_GLOBAL__N_19NonZeroOpIaEEPKalEENS0_5tupleIJPlS6_EEENSN_IJSD_SD_EEES6_PiJS6_EEE10hipError_tPvRmT3_T4_T5_T6_T7_T9_mT8_P12ihipStream_tbDpT10_ENKUlT_T0_E_clISt17integral_constantIbLb1EES1B_EEDaS16_S17_EUlS16_E_NS1_11comp_targetILNS1_3genE9ELNS1_11target_archE1100ELNS1_3gpuE3ELNS1_3repE0EEENS1_30default_config_static_selectorELNS0_4arch9wavefront6targetE0EEEvT1_: ; @_ZN7rocprim17ROCPRIM_400000_NS6detail17trampoline_kernelINS0_14default_configENS1_25partition_config_selectorILNS1_17partition_subalgoE5ElNS0_10empty_typeEbEEZZNS1_14partition_implILS5_5ELb0ES3_mN6hipcub16HIPCUB_304000_NS21CountingInputIteratorIllEEPS6_NSA_22TransformInputIteratorIbN2at6native12_GLOBAL__N_19NonZeroOpIaEEPKalEENS0_5tupleIJPlS6_EEENSN_IJSD_SD_EEES6_PiJS6_EEE10hipError_tPvRmT3_T4_T5_T6_T7_T9_mT8_P12ihipStream_tbDpT10_ENKUlT_T0_E_clISt17integral_constantIbLb1EES1B_EEDaS16_S17_EUlS16_E_NS1_11comp_targetILNS1_3genE9ELNS1_11target_archE1100ELNS1_3gpuE3ELNS1_3repE0EEENS1_30default_config_static_selectorELNS0_4arch9wavefront6targetE0EEEvT1_
; %bb.0:
	.section	.rodata,"a",@progbits
	.p2align	6, 0x0
	.amdhsa_kernel _ZN7rocprim17ROCPRIM_400000_NS6detail17trampoline_kernelINS0_14default_configENS1_25partition_config_selectorILNS1_17partition_subalgoE5ElNS0_10empty_typeEbEEZZNS1_14partition_implILS5_5ELb0ES3_mN6hipcub16HIPCUB_304000_NS21CountingInputIteratorIllEEPS6_NSA_22TransformInputIteratorIbN2at6native12_GLOBAL__N_19NonZeroOpIaEEPKalEENS0_5tupleIJPlS6_EEENSN_IJSD_SD_EEES6_PiJS6_EEE10hipError_tPvRmT3_T4_T5_T6_T7_T9_mT8_P12ihipStream_tbDpT10_ENKUlT_T0_E_clISt17integral_constantIbLb1EES1B_EEDaS16_S17_EUlS16_E_NS1_11comp_targetILNS1_3genE9ELNS1_11target_archE1100ELNS1_3gpuE3ELNS1_3repE0EEENS1_30default_config_static_selectorELNS0_4arch9wavefront6targetE0EEEvT1_
		.amdhsa_group_segment_fixed_size 0
		.amdhsa_private_segment_fixed_size 0
		.amdhsa_kernarg_size 136
		.amdhsa_user_sgpr_count 2
		.amdhsa_user_sgpr_dispatch_ptr 0
		.amdhsa_user_sgpr_queue_ptr 0
		.amdhsa_user_sgpr_kernarg_segment_ptr 1
		.amdhsa_user_sgpr_dispatch_id 0
		.amdhsa_user_sgpr_private_segment_size 0
		.amdhsa_wavefront_size32 1
		.amdhsa_uses_dynamic_stack 0
		.amdhsa_enable_private_segment 0
		.amdhsa_system_sgpr_workgroup_id_x 1
		.amdhsa_system_sgpr_workgroup_id_y 0
		.amdhsa_system_sgpr_workgroup_id_z 0
		.amdhsa_system_sgpr_workgroup_info 0
		.amdhsa_system_vgpr_workitem_id 0
		.amdhsa_next_free_vgpr 1
		.amdhsa_next_free_sgpr 1
		.amdhsa_reserve_vcc 0
		.amdhsa_float_round_mode_32 0
		.amdhsa_float_round_mode_16_64 0
		.amdhsa_float_denorm_mode_32 3
		.amdhsa_float_denorm_mode_16_64 3
		.amdhsa_fp16_overflow 0
		.amdhsa_workgroup_processor_mode 1
		.amdhsa_memory_ordered 1
		.amdhsa_forward_progress 1
		.amdhsa_inst_pref_size 0
		.amdhsa_round_robin_scheduling 0
		.amdhsa_exception_fp_ieee_invalid_op 0
		.amdhsa_exception_fp_denorm_src 0
		.amdhsa_exception_fp_ieee_div_zero 0
		.amdhsa_exception_fp_ieee_overflow 0
		.amdhsa_exception_fp_ieee_underflow 0
		.amdhsa_exception_fp_ieee_inexact 0
		.amdhsa_exception_int_div_zero 0
	.end_amdhsa_kernel
	.section	.text._ZN7rocprim17ROCPRIM_400000_NS6detail17trampoline_kernelINS0_14default_configENS1_25partition_config_selectorILNS1_17partition_subalgoE5ElNS0_10empty_typeEbEEZZNS1_14partition_implILS5_5ELb0ES3_mN6hipcub16HIPCUB_304000_NS21CountingInputIteratorIllEEPS6_NSA_22TransformInputIteratorIbN2at6native12_GLOBAL__N_19NonZeroOpIaEEPKalEENS0_5tupleIJPlS6_EEENSN_IJSD_SD_EEES6_PiJS6_EEE10hipError_tPvRmT3_T4_T5_T6_T7_T9_mT8_P12ihipStream_tbDpT10_ENKUlT_T0_E_clISt17integral_constantIbLb1EES1B_EEDaS16_S17_EUlS16_E_NS1_11comp_targetILNS1_3genE9ELNS1_11target_archE1100ELNS1_3gpuE3ELNS1_3repE0EEENS1_30default_config_static_selectorELNS0_4arch9wavefront6targetE0EEEvT1_,"axG",@progbits,_ZN7rocprim17ROCPRIM_400000_NS6detail17trampoline_kernelINS0_14default_configENS1_25partition_config_selectorILNS1_17partition_subalgoE5ElNS0_10empty_typeEbEEZZNS1_14partition_implILS5_5ELb0ES3_mN6hipcub16HIPCUB_304000_NS21CountingInputIteratorIllEEPS6_NSA_22TransformInputIteratorIbN2at6native12_GLOBAL__N_19NonZeroOpIaEEPKalEENS0_5tupleIJPlS6_EEENSN_IJSD_SD_EEES6_PiJS6_EEE10hipError_tPvRmT3_T4_T5_T6_T7_T9_mT8_P12ihipStream_tbDpT10_ENKUlT_T0_E_clISt17integral_constantIbLb1EES1B_EEDaS16_S17_EUlS16_E_NS1_11comp_targetILNS1_3genE9ELNS1_11target_archE1100ELNS1_3gpuE3ELNS1_3repE0EEENS1_30default_config_static_selectorELNS0_4arch9wavefront6targetE0EEEvT1_,comdat
.Lfunc_end132:
	.size	_ZN7rocprim17ROCPRIM_400000_NS6detail17trampoline_kernelINS0_14default_configENS1_25partition_config_selectorILNS1_17partition_subalgoE5ElNS0_10empty_typeEbEEZZNS1_14partition_implILS5_5ELb0ES3_mN6hipcub16HIPCUB_304000_NS21CountingInputIteratorIllEEPS6_NSA_22TransformInputIteratorIbN2at6native12_GLOBAL__N_19NonZeroOpIaEEPKalEENS0_5tupleIJPlS6_EEENSN_IJSD_SD_EEES6_PiJS6_EEE10hipError_tPvRmT3_T4_T5_T6_T7_T9_mT8_P12ihipStream_tbDpT10_ENKUlT_T0_E_clISt17integral_constantIbLb1EES1B_EEDaS16_S17_EUlS16_E_NS1_11comp_targetILNS1_3genE9ELNS1_11target_archE1100ELNS1_3gpuE3ELNS1_3repE0EEENS1_30default_config_static_selectorELNS0_4arch9wavefront6targetE0EEEvT1_, .Lfunc_end132-_ZN7rocprim17ROCPRIM_400000_NS6detail17trampoline_kernelINS0_14default_configENS1_25partition_config_selectorILNS1_17partition_subalgoE5ElNS0_10empty_typeEbEEZZNS1_14partition_implILS5_5ELb0ES3_mN6hipcub16HIPCUB_304000_NS21CountingInputIteratorIllEEPS6_NSA_22TransformInputIteratorIbN2at6native12_GLOBAL__N_19NonZeroOpIaEEPKalEENS0_5tupleIJPlS6_EEENSN_IJSD_SD_EEES6_PiJS6_EEE10hipError_tPvRmT3_T4_T5_T6_T7_T9_mT8_P12ihipStream_tbDpT10_ENKUlT_T0_E_clISt17integral_constantIbLb1EES1B_EEDaS16_S17_EUlS16_E_NS1_11comp_targetILNS1_3genE9ELNS1_11target_archE1100ELNS1_3gpuE3ELNS1_3repE0EEENS1_30default_config_static_selectorELNS0_4arch9wavefront6targetE0EEEvT1_
                                        ; -- End function
	.set _ZN7rocprim17ROCPRIM_400000_NS6detail17trampoline_kernelINS0_14default_configENS1_25partition_config_selectorILNS1_17partition_subalgoE5ElNS0_10empty_typeEbEEZZNS1_14partition_implILS5_5ELb0ES3_mN6hipcub16HIPCUB_304000_NS21CountingInputIteratorIllEEPS6_NSA_22TransformInputIteratorIbN2at6native12_GLOBAL__N_19NonZeroOpIaEEPKalEENS0_5tupleIJPlS6_EEENSN_IJSD_SD_EEES6_PiJS6_EEE10hipError_tPvRmT3_T4_T5_T6_T7_T9_mT8_P12ihipStream_tbDpT10_ENKUlT_T0_E_clISt17integral_constantIbLb1EES1B_EEDaS16_S17_EUlS16_E_NS1_11comp_targetILNS1_3genE9ELNS1_11target_archE1100ELNS1_3gpuE3ELNS1_3repE0EEENS1_30default_config_static_selectorELNS0_4arch9wavefront6targetE0EEEvT1_.num_vgpr, 0
	.set _ZN7rocprim17ROCPRIM_400000_NS6detail17trampoline_kernelINS0_14default_configENS1_25partition_config_selectorILNS1_17partition_subalgoE5ElNS0_10empty_typeEbEEZZNS1_14partition_implILS5_5ELb0ES3_mN6hipcub16HIPCUB_304000_NS21CountingInputIteratorIllEEPS6_NSA_22TransformInputIteratorIbN2at6native12_GLOBAL__N_19NonZeroOpIaEEPKalEENS0_5tupleIJPlS6_EEENSN_IJSD_SD_EEES6_PiJS6_EEE10hipError_tPvRmT3_T4_T5_T6_T7_T9_mT8_P12ihipStream_tbDpT10_ENKUlT_T0_E_clISt17integral_constantIbLb1EES1B_EEDaS16_S17_EUlS16_E_NS1_11comp_targetILNS1_3genE9ELNS1_11target_archE1100ELNS1_3gpuE3ELNS1_3repE0EEENS1_30default_config_static_selectorELNS0_4arch9wavefront6targetE0EEEvT1_.num_agpr, 0
	.set _ZN7rocprim17ROCPRIM_400000_NS6detail17trampoline_kernelINS0_14default_configENS1_25partition_config_selectorILNS1_17partition_subalgoE5ElNS0_10empty_typeEbEEZZNS1_14partition_implILS5_5ELb0ES3_mN6hipcub16HIPCUB_304000_NS21CountingInputIteratorIllEEPS6_NSA_22TransformInputIteratorIbN2at6native12_GLOBAL__N_19NonZeroOpIaEEPKalEENS0_5tupleIJPlS6_EEENSN_IJSD_SD_EEES6_PiJS6_EEE10hipError_tPvRmT3_T4_T5_T6_T7_T9_mT8_P12ihipStream_tbDpT10_ENKUlT_T0_E_clISt17integral_constantIbLb1EES1B_EEDaS16_S17_EUlS16_E_NS1_11comp_targetILNS1_3genE9ELNS1_11target_archE1100ELNS1_3gpuE3ELNS1_3repE0EEENS1_30default_config_static_selectorELNS0_4arch9wavefront6targetE0EEEvT1_.numbered_sgpr, 0
	.set _ZN7rocprim17ROCPRIM_400000_NS6detail17trampoline_kernelINS0_14default_configENS1_25partition_config_selectorILNS1_17partition_subalgoE5ElNS0_10empty_typeEbEEZZNS1_14partition_implILS5_5ELb0ES3_mN6hipcub16HIPCUB_304000_NS21CountingInputIteratorIllEEPS6_NSA_22TransformInputIteratorIbN2at6native12_GLOBAL__N_19NonZeroOpIaEEPKalEENS0_5tupleIJPlS6_EEENSN_IJSD_SD_EEES6_PiJS6_EEE10hipError_tPvRmT3_T4_T5_T6_T7_T9_mT8_P12ihipStream_tbDpT10_ENKUlT_T0_E_clISt17integral_constantIbLb1EES1B_EEDaS16_S17_EUlS16_E_NS1_11comp_targetILNS1_3genE9ELNS1_11target_archE1100ELNS1_3gpuE3ELNS1_3repE0EEENS1_30default_config_static_selectorELNS0_4arch9wavefront6targetE0EEEvT1_.num_named_barrier, 0
	.set _ZN7rocprim17ROCPRIM_400000_NS6detail17trampoline_kernelINS0_14default_configENS1_25partition_config_selectorILNS1_17partition_subalgoE5ElNS0_10empty_typeEbEEZZNS1_14partition_implILS5_5ELb0ES3_mN6hipcub16HIPCUB_304000_NS21CountingInputIteratorIllEEPS6_NSA_22TransformInputIteratorIbN2at6native12_GLOBAL__N_19NonZeroOpIaEEPKalEENS0_5tupleIJPlS6_EEENSN_IJSD_SD_EEES6_PiJS6_EEE10hipError_tPvRmT3_T4_T5_T6_T7_T9_mT8_P12ihipStream_tbDpT10_ENKUlT_T0_E_clISt17integral_constantIbLb1EES1B_EEDaS16_S17_EUlS16_E_NS1_11comp_targetILNS1_3genE9ELNS1_11target_archE1100ELNS1_3gpuE3ELNS1_3repE0EEENS1_30default_config_static_selectorELNS0_4arch9wavefront6targetE0EEEvT1_.private_seg_size, 0
	.set _ZN7rocprim17ROCPRIM_400000_NS6detail17trampoline_kernelINS0_14default_configENS1_25partition_config_selectorILNS1_17partition_subalgoE5ElNS0_10empty_typeEbEEZZNS1_14partition_implILS5_5ELb0ES3_mN6hipcub16HIPCUB_304000_NS21CountingInputIteratorIllEEPS6_NSA_22TransformInputIteratorIbN2at6native12_GLOBAL__N_19NonZeroOpIaEEPKalEENS0_5tupleIJPlS6_EEENSN_IJSD_SD_EEES6_PiJS6_EEE10hipError_tPvRmT3_T4_T5_T6_T7_T9_mT8_P12ihipStream_tbDpT10_ENKUlT_T0_E_clISt17integral_constantIbLb1EES1B_EEDaS16_S17_EUlS16_E_NS1_11comp_targetILNS1_3genE9ELNS1_11target_archE1100ELNS1_3gpuE3ELNS1_3repE0EEENS1_30default_config_static_selectorELNS0_4arch9wavefront6targetE0EEEvT1_.uses_vcc, 0
	.set _ZN7rocprim17ROCPRIM_400000_NS6detail17trampoline_kernelINS0_14default_configENS1_25partition_config_selectorILNS1_17partition_subalgoE5ElNS0_10empty_typeEbEEZZNS1_14partition_implILS5_5ELb0ES3_mN6hipcub16HIPCUB_304000_NS21CountingInputIteratorIllEEPS6_NSA_22TransformInputIteratorIbN2at6native12_GLOBAL__N_19NonZeroOpIaEEPKalEENS0_5tupleIJPlS6_EEENSN_IJSD_SD_EEES6_PiJS6_EEE10hipError_tPvRmT3_T4_T5_T6_T7_T9_mT8_P12ihipStream_tbDpT10_ENKUlT_T0_E_clISt17integral_constantIbLb1EES1B_EEDaS16_S17_EUlS16_E_NS1_11comp_targetILNS1_3genE9ELNS1_11target_archE1100ELNS1_3gpuE3ELNS1_3repE0EEENS1_30default_config_static_selectorELNS0_4arch9wavefront6targetE0EEEvT1_.uses_flat_scratch, 0
	.set _ZN7rocprim17ROCPRIM_400000_NS6detail17trampoline_kernelINS0_14default_configENS1_25partition_config_selectorILNS1_17partition_subalgoE5ElNS0_10empty_typeEbEEZZNS1_14partition_implILS5_5ELb0ES3_mN6hipcub16HIPCUB_304000_NS21CountingInputIteratorIllEEPS6_NSA_22TransformInputIteratorIbN2at6native12_GLOBAL__N_19NonZeroOpIaEEPKalEENS0_5tupleIJPlS6_EEENSN_IJSD_SD_EEES6_PiJS6_EEE10hipError_tPvRmT3_T4_T5_T6_T7_T9_mT8_P12ihipStream_tbDpT10_ENKUlT_T0_E_clISt17integral_constantIbLb1EES1B_EEDaS16_S17_EUlS16_E_NS1_11comp_targetILNS1_3genE9ELNS1_11target_archE1100ELNS1_3gpuE3ELNS1_3repE0EEENS1_30default_config_static_selectorELNS0_4arch9wavefront6targetE0EEEvT1_.has_dyn_sized_stack, 0
	.set _ZN7rocprim17ROCPRIM_400000_NS6detail17trampoline_kernelINS0_14default_configENS1_25partition_config_selectorILNS1_17partition_subalgoE5ElNS0_10empty_typeEbEEZZNS1_14partition_implILS5_5ELb0ES3_mN6hipcub16HIPCUB_304000_NS21CountingInputIteratorIllEEPS6_NSA_22TransformInputIteratorIbN2at6native12_GLOBAL__N_19NonZeroOpIaEEPKalEENS0_5tupleIJPlS6_EEENSN_IJSD_SD_EEES6_PiJS6_EEE10hipError_tPvRmT3_T4_T5_T6_T7_T9_mT8_P12ihipStream_tbDpT10_ENKUlT_T0_E_clISt17integral_constantIbLb1EES1B_EEDaS16_S17_EUlS16_E_NS1_11comp_targetILNS1_3genE9ELNS1_11target_archE1100ELNS1_3gpuE3ELNS1_3repE0EEENS1_30default_config_static_selectorELNS0_4arch9wavefront6targetE0EEEvT1_.has_recursion, 0
	.set _ZN7rocprim17ROCPRIM_400000_NS6detail17trampoline_kernelINS0_14default_configENS1_25partition_config_selectorILNS1_17partition_subalgoE5ElNS0_10empty_typeEbEEZZNS1_14partition_implILS5_5ELb0ES3_mN6hipcub16HIPCUB_304000_NS21CountingInputIteratorIllEEPS6_NSA_22TransformInputIteratorIbN2at6native12_GLOBAL__N_19NonZeroOpIaEEPKalEENS0_5tupleIJPlS6_EEENSN_IJSD_SD_EEES6_PiJS6_EEE10hipError_tPvRmT3_T4_T5_T6_T7_T9_mT8_P12ihipStream_tbDpT10_ENKUlT_T0_E_clISt17integral_constantIbLb1EES1B_EEDaS16_S17_EUlS16_E_NS1_11comp_targetILNS1_3genE9ELNS1_11target_archE1100ELNS1_3gpuE3ELNS1_3repE0EEENS1_30default_config_static_selectorELNS0_4arch9wavefront6targetE0EEEvT1_.has_indirect_call, 0
	.section	.AMDGPU.csdata,"",@progbits
; Kernel info:
; codeLenInByte = 0
; TotalNumSgprs: 0
; NumVgprs: 0
; ScratchSize: 0
; MemoryBound: 0
; FloatMode: 240
; IeeeMode: 1
; LDSByteSize: 0 bytes/workgroup (compile time only)
; SGPRBlocks: 0
; VGPRBlocks: 0
; NumSGPRsForWavesPerEU: 1
; NumVGPRsForWavesPerEU: 1
; Occupancy: 16
; WaveLimiterHint : 0
; COMPUTE_PGM_RSRC2:SCRATCH_EN: 0
; COMPUTE_PGM_RSRC2:USER_SGPR: 2
; COMPUTE_PGM_RSRC2:TRAP_HANDLER: 0
; COMPUTE_PGM_RSRC2:TGID_X_EN: 1
; COMPUTE_PGM_RSRC2:TGID_Y_EN: 0
; COMPUTE_PGM_RSRC2:TGID_Z_EN: 0
; COMPUTE_PGM_RSRC2:TIDIG_COMP_CNT: 0
	.section	.text._ZN7rocprim17ROCPRIM_400000_NS6detail17trampoline_kernelINS0_14default_configENS1_25partition_config_selectorILNS1_17partition_subalgoE5ElNS0_10empty_typeEbEEZZNS1_14partition_implILS5_5ELb0ES3_mN6hipcub16HIPCUB_304000_NS21CountingInputIteratorIllEEPS6_NSA_22TransformInputIteratorIbN2at6native12_GLOBAL__N_19NonZeroOpIaEEPKalEENS0_5tupleIJPlS6_EEENSN_IJSD_SD_EEES6_PiJS6_EEE10hipError_tPvRmT3_T4_T5_T6_T7_T9_mT8_P12ihipStream_tbDpT10_ENKUlT_T0_E_clISt17integral_constantIbLb1EES1B_EEDaS16_S17_EUlS16_E_NS1_11comp_targetILNS1_3genE8ELNS1_11target_archE1030ELNS1_3gpuE2ELNS1_3repE0EEENS1_30default_config_static_selectorELNS0_4arch9wavefront6targetE0EEEvT1_,"axG",@progbits,_ZN7rocprim17ROCPRIM_400000_NS6detail17trampoline_kernelINS0_14default_configENS1_25partition_config_selectorILNS1_17partition_subalgoE5ElNS0_10empty_typeEbEEZZNS1_14partition_implILS5_5ELb0ES3_mN6hipcub16HIPCUB_304000_NS21CountingInputIteratorIllEEPS6_NSA_22TransformInputIteratorIbN2at6native12_GLOBAL__N_19NonZeroOpIaEEPKalEENS0_5tupleIJPlS6_EEENSN_IJSD_SD_EEES6_PiJS6_EEE10hipError_tPvRmT3_T4_T5_T6_T7_T9_mT8_P12ihipStream_tbDpT10_ENKUlT_T0_E_clISt17integral_constantIbLb1EES1B_EEDaS16_S17_EUlS16_E_NS1_11comp_targetILNS1_3genE8ELNS1_11target_archE1030ELNS1_3gpuE2ELNS1_3repE0EEENS1_30default_config_static_selectorELNS0_4arch9wavefront6targetE0EEEvT1_,comdat
	.globl	_ZN7rocprim17ROCPRIM_400000_NS6detail17trampoline_kernelINS0_14default_configENS1_25partition_config_selectorILNS1_17partition_subalgoE5ElNS0_10empty_typeEbEEZZNS1_14partition_implILS5_5ELb0ES3_mN6hipcub16HIPCUB_304000_NS21CountingInputIteratorIllEEPS6_NSA_22TransformInputIteratorIbN2at6native12_GLOBAL__N_19NonZeroOpIaEEPKalEENS0_5tupleIJPlS6_EEENSN_IJSD_SD_EEES6_PiJS6_EEE10hipError_tPvRmT3_T4_T5_T6_T7_T9_mT8_P12ihipStream_tbDpT10_ENKUlT_T0_E_clISt17integral_constantIbLb1EES1B_EEDaS16_S17_EUlS16_E_NS1_11comp_targetILNS1_3genE8ELNS1_11target_archE1030ELNS1_3gpuE2ELNS1_3repE0EEENS1_30default_config_static_selectorELNS0_4arch9wavefront6targetE0EEEvT1_ ; -- Begin function _ZN7rocprim17ROCPRIM_400000_NS6detail17trampoline_kernelINS0_14default_configENS1_25partition_config_selectorILNS1_17partition_subalgoE5ElNS0_10empty_typeEbEEZZNS1_14partition_implILS5_5ELb0ES3_mN6hipcub16HIPCUB_304000_NS21CountingInputIteratorIllEEPS6_NSA_22TransformInputIteratorIbN2at6native12_GLOBAL__N_19NonZeroOpIaEEPKalEENS0_5tupleIJPlS6_EEENSN_IJSD_SD_EEES6_PiJS6_EEE10hipError_tPvRmT3_T4_T5_T6_T7_T9_mT8_P12ihipStream_tbDpT10_ENKUlT_T0_E_clISt17integral_constantIbLb1EES1B_EEDaS16_S17_EUlS16_E_NS1_11comp_targetILNS1_3genE8ELNS1_11target_archE1030ELNS1_3gpuE2ELNS1_3repE0EEENS1_30default_config_static_selectorELNS0_4arch9wavefront6targetE0EEEvT1_
	.p2align	8
	.type	_ZN7rocprim17ROCPRIM_400000_NS6detail17trampoline_kernelINS0_14default_configENS1_25partition_config_selectorILNS1_17partition_subalgoE5ElNS0_10empty_typeEbEEZZNS1_14partition_implILS5_5ELb0ES3_mN6hipcub16HIPCUB_304000_NS21CountingInputIteratorIllEEPS6_NSA_22TransformInputIteratorIbN2at6native12_GLOBAL__N_19NonZeroOpIaEEPKalEENS0_5tupleIJPlS6_EEENSN_IJSD_SD_EEES6_PiJS6_EEE10hipError_tPvRmT3_T4_T5_T6_T7_T9_mT8_P12ihipStream_tbDpT10_ENKUlT_T0_E_clISt17integral_constantIbLb1EES1B_EEDaS16_S17_EUlS16_E_NS1_11comp_targetILNS1_3genE8ELNS1_11target_archE1030ELNS1_3gpuE2ELNS1_3repE0EEENS1_30default_config_static_selectorELNS0_4arch9wavefront6targetE0EEEvT1_,@function
_ZN7rocprim17ROCPRIM_400000_NS6detail17trampoline_kernelINS0_14default_configENS1_25partition_config_selectorILNS1_17partition_subalgoE5ElNS0_10empty_typeEbEEZZNS1_14partition_implILS5_5ELb0ES3_mN6hipcub16HIPCUB_304000_NS21CountingInputIteratorIllEEPS6_NSA_22TransformInputIteratorIbN2at6native12_GLOBAL__N_19NonZeroOpIaEEPKalEENS0_5tupleIJPlS6_EEENSN_IJSD_SD_EEES6_PiJS6_EEE10hipError_tPvRmT3_T4_T5_T6_T7_T9_mT8_P12ihipStream_tbDpT10_ENKUlT_T0_E_clISt17integral_constantIbLb1EES1B_EEDaS16_S17_EUlS16_E_NS1_11comp_targetILNS1_3genE8ELNS1_11target_archE1030ELNS1_3gpuE2ELNS1_3repE0EEENS1_30default_config_static_selectorELNS0_4arch9wavefront6targetE0EEEvT1_: ; @_ZN7rocprim17ROCPRIM_400000_NS6detail17trampoline_kernelINS0_14default_configENS1_25partition_config_selectorILNS1_17partition_subalgoE5ElNS0_10empty_typeEbEEZZNS1_14partition_implILS5_5ELb0ES3_mN6hipcub16HIPCUB_304000_NS21CountingInputIteratorIllEEPS6_NSA_22TransformInputIteratorIbN2at6native12_GLOBAL__N_19NonZeroOpIaEEPKalEENS0_5tupleIJPlS6_EEENSN_IJSD_SD_EEES6_PiJS6_EEE10hipError_tPvRmT3_T4_T5_T6_T7_T9_mT8_P12ihipStream_tbDpT10_ENKUlT_T0_E_clISt17integral_constantIbLb1EES1B_EEDaS16_S17_EUlS16_E_NS1_11comp_targetILNS1_3genE8ELNS1_11target_archE1030ELNS1_3gpuE2ELNS1_3repE0EEENS1_30default_config_static_selectorELNS0_4arch9wavefront6targetE0EEEvT1_
; %bb.0:
	.section	.rodata,"a",@progbits
	.p2align	6, 0x0
	.amdhsa_kernel _ZN7rocprim17ROCPRIM_400000_NS6detail17trampoline_kernelINS0_14default_configENS1_25partition_config_selectorILNS1_17partition_subalgoE5ElNS0_10empty_typeEbEEZZNS1_14partition_implILS5_5ELb0ES3_mN6hipcub16HIPCUB_304000_NS21CountingInputIteratorIllEEPS6_NSA_22TransformInputIteratorIbN2at6native12_GLOBAL__N_19NonZeroOpIaEEPKalEENS0_5tupleIJPlS6_EEENSN_IJSD_SD_EEES6_PiJS6_EEE10hipError_tPvRmT3_T4_T5_T6_T7_T9_mT8_P12ihipStream_tbDpT10_ENKUlT_T0_E_clISt17integral_constantIbLb1EES1B_EEDaS16_S17_EUlS16_E_NS1_11comp_targetILNS1_3genE8ELNS1_11target_archE1030ELNS1_3gpuE2ELNS1_3repE0EEENS1_30default_config_static_selectorELNS0_4arch9wavefront6targetE0EEEvT1_
		.amdhsa_group_segment_fixed_size 0
		.amdhsa_private_segment_fixed_size 0
		.amdhsa_kernarg_size 136
		.amdhsa_user_sgpr_count 2
		.amdhsa_user_sgpr_dispatch_ptr 0
		.amdhsa_user_sgpr_queue_ptr 0
		.amdhsa_user_sgpr_kernarg_segment_ptr 1
		.amdhsa_user_sgpr_dispatch_id 0
		.amdhsa_user_sgpr_private_segment_size 0
		.amdhsa_wavefront_size32 1
		.amdhsa_uses_dynamic_stack 0
		.amdhsa_enable_private_segment 0
		.amdhsa_system_sgpr_workgroup_id_x 1
		.amdhsa_system_sgpr_workgroup_id_y 0
		.amdhsa_system_sgpr_workgroup_id_z 0
		.amdhsa_system_sgpr_workgroup_info 0
		.amdhsa_system_vgpr_workitem_id 0
		.amdhsa_next_free_vgpr 1
		.amdhsa_next_free_sgpr 1
		.amdhsa_reserve_vcc 0
		.amdhsa_float_round_mode_32 0
		.amdhsa_float_round_mode_16_64 0
		.amdhsa_float_denorm_mode_32 3
		.amdhsa_float_denorm_mode_16_64 3
		.amdhsa_fp16_overflow 0
		.amdhsa_workgroup_processor_mode 1
		.amdhsa_memory_ordered 1
		.amdhsa_forward_progress 1
		.amdhsa_inst_pref_size 0
		.amdhsa_round_robin_scheduling 0
		.amdhsa_exception_fp_ieee_invalid_op 0
		.amdhsa_exception_fp_denorm_src 0
		.amdhsa_exception_fp_ieee_div_zero 0
		.amdhsa_exception_fp_ieee_overflow 0
		.amdhsa_exception_fp_ieee_underflow 0
		.amdhsa_exception_fp_ieee_inexact 0
		.amdhsa_exception_int_div_zero 0
	.end_amdhsa_kernel
	.section	.text._ZN7rocprim17ROCPRIM_400000_NS6detail17trampoline_kernelINS0_14default_configENS1_25partition_config_selectorILNS1_17partition_subalgoE5ElNS0_10empty_typeEbEEZZNS1_14partition_implILS5_5ELb0ES3_mN6hipcub16HIPCUB_304000_NS21CountingInputIteratorIllEEPS6_NSA_22TransformInputIteratorIbN2at6native12_GLOBAL__N_19NonZeroOpIaEEPKalEENS0_5tupleIJPlS6_EEENSN_IJSD_SD_EEES6_PiJS6_EEE10hipError_tPvRmT3_T4_T5_T6_T7_T9_mT8_P12ihipStream_tbDpT10_ENKUlT_T0_E_clISt17integral_constantIbLb1EES1B_EEDaS16_S17_EUlS16_E_NS1_11comp_targetILNS1_3genE8ELNS1_11target_archE1030ELNS1_3gpuE2ELNS1_3repE0EEENS1_30default_config_static_selectorELNS0_4arch9wavefront6targetE0EEEvT1_,"axG",@progbits,_ZN7rocprim17ROCPRIM_400000_NS6detail17trampoline_kernelINS0_14default_configENS1_25partition_config_selectorILNS1_17partition_subalgoE5ElNS0_10empty_typeEbEEZZNS1_14partition_implILS5_5ELb0ES3_mN6hipcub16HIPCUB_304000_NS21CountingInputIteratorIllEEPS6_NSA_22TransformInputIteratorIbN2at6native12_GLOBAL__N_19NonZeroOpIaEEPKalEENS0_5tupleIJPlS6_EEENSN_IJSD_SD_EEES6_PiJS6_EEE10hipError_tPvRmT3_T4_T5_T6_T7_T9_mT8_P12ihipStream_tbDpT10_ENKUlT_T0_E_clISt17integral_constantIbLb1EES1B_EEDaS16_S17_EUlS16_E_NS1_11comp_targetILNS1_3genE8ELNS1_11target_archE1030ELNS1_3gpuE2ELNS1_3repE0EEENS1_30default_config_static_selectorELNS0_4arch9wavefront6targetE0EEEvT1_,comdat
.Lfunc_end133:
	.size	_ZN7rocprim17ROCPRIM_400000_NS6detail17trampoline_kernelINS0_14default_configENS1_25partition_config_selectorILNS1_17partition_subalgoE5ElNS0_10empty_typeEbEEZZNS1_14partition_implILS5_5ELb0ES3_mN6hipcub16HIPCUB_304000_NS21CountingInputIteratorIllEEPS6_NSA_22TransformInputIteratorIbN2at6native12_GLOBAL__N_19NonZeroOpIaEEPKalEENS0_5tupleIJPlS6_EEENSN_IJSD_SD_EEES6_PiJS6_EEE10hipError_tPvRmT3_T4_T5_T6_T7_T9_mT8_P12ihipStream_tbDpT10_ENKUlT_T0_E_clISt17integral_constantIbLb1EES1B_EEDaS16_S17_EUlS16_E_NS1_11comp_targetILNS1_3genE8ELNS1_11target_archE1030ELNS1_3gpuE2ELNS1_3repE0EEENS1_30default_config_static_selectorELNS0_4arch9wavefront6targetE0EEEvT1_, .Lfunc_end133-_ZN7rocprim17ROCPRIM_400000_NS6detail17trampoline_kernelINS0_14default_configENS1_25partition_config_selectorILNS1_17partition_subalgoE5ElNS0_10empty_typeEbEEZZNS1_14partition_implILS5_5ELb0ES3_mN6hipcub16HIPCUB_304000_NS21CountingInputIteratorIllEEPS6_NSA_22TransformInputIteratorIbN2at6native12_GLOBAL__N_19NonZeroOpIaEEPKalEENS0_5tupleIJPlS6_EEENSN_IJSD_SD_EEES6_PiJS6_EEE10hipError_tPvRmT3_T4_T5_T6_T7_T9_mT8_P12ihipStream_tbDpT10_ENKUlT_T0_E_clISt17integral_constantIbLb1EES1B_EEDaS16_S17_EUlS16_E_NS1_11comp_targetILNS1_3genE8ELNS1_11target_archE1030ELNS1_3gpuE2ELNS1_3repE0EEENS1_30default_config_static_selectorELNS0_4arch9wavefront6targetE0EEEvT1_
                                        ; -- End function
	.set _ZN7rocprim17ROCPRIM_400000_NS6detail17trampoline_kernelINS0_14default_configENS1_25partition_config_selectorILNS1_17partition_subalgoE5ElNS0_10empty_typeEbEEZZNS1_14partition_implILS5_5ELb0ES3_mN6hipcub16HIPCUB_304000_NS21CountingInputIteratorIllEEPS6_NSA_22TransformInputIteratorIbN2at6native12_GLOBAL__N_19NonZeroOpIaEEPKalEENS0_5tupleIJPlS6_EEENSN_IJSD_SD_EEES6_PiJS6_EEE10hipError_tPvRmT3_T4_T5_T6_T7_T9_mT8_P12ihipStream_tbDpT10_ENKUlT_T0_E_clISt17integral_constantIbLb1EES1B_EEDaS16_S17_EUlS16_E_NS1_11comp_targetILNS1_3genE8ELNS1_11target_archE1030ELNS1_3gpuE2ELNS1_3repE0EEENS1_30default_config_static_selectorELNS0_4arch9wavefront6targetE0EEEvT1_.num_vgpr, 0
	.set _ZN7rocprim17ROCPRIM_400000_NS6detail17trampoline_kernelINS0_14default_configENS1_25partition_config_selectorILNS1_17partition_subalgoE5ElNS0_10empty_typeEbEEZZNS1_14partition_implILS5_5ELb0ES3_mN6hipcub16HIPCUB_304000_NS21CountingInputIteratorIllEEPS6_NSA_22TransformInputIteratorIbN2at6native12_GLOBAL__N_19NonZeroOpIaEEPKalEENS0_5tupleIJPlS6_EEENSN_IJSD_SD_EEES6_PiJS6_EEE10hipError_tPvRmT3_T4_T5_T6_T7_T9_mT8_P12ihipStream_tbDpT10_ENKUlT_T0_E_clISt17integral_constantIbLb1EES1B_EEDaS16_S17_EUlS16_E_NS1_11comp_targetILNS1_3genE8ELNS1_11target_archE1030ELNS1_3gpuE2ELNS1_3repE0EEENS1_30default_config_static_selectorELNS0_4arch9wavefront6targetE0EEEvT1_.num_agpr, 0
	.set _ZN7rocprim17ROCPRIM_400000_NS6detail17trampoline_kernelINS0_14default_configENS1_25partition_config_selectorILNS1_17partition_subalgoE5ElNS0_10empty_typeEbEEZZNS1_14partition_implILS5_5ELb0ES3_mN6hipcub16HIPCUB_304000_NS21CountingInputIteratorIllEEPS6_NSA_22TransformInputIteratorIbN2at6native12_GLOBAL__N_19NonZeroOpIaEEPKalEENS0_5tupleIJPlS6_EEENSN_IJSD_SD_EEES6_PiJS6_EEE10hipError_tPvRmT3_T4_T5_T6_T7_T9_mT8_P12ihipStream_tbDpT10_ENKUlT_T0_E_clISt17integral_constantIbLb1EES1B_EEDaS16_S17_EUlS16_E_NS1_11comp_targetILNS1_3genE8ELNS1_11target_archE1030ELNS1_3gpuE2ELNS1_3repE0EEENS1_30default_config_static_selectorELNS0_4arch9wavefront6targetE0EEEvT1_.numbered_sgpr, 0
	.set _ZN7rocprim17ROCPRIM_400000_NS6detail17trampoline_kernelINS0_14default_configENS1_25partition_config_selectorILNS1_17partition_subalgoE5ElNS0_10empty_typeEbEEZZNS1_14partition_implILS5_5ELb0ES3_mN6hipcub16HIPCUB_304000_NS21CountingInputIteratorIllEEPS6_NSA_22TransformInputIteratorIbN2at6native12_GLOBAL__N_19NonZeroOpIaEEPKalEENS0_5tupleIJPlS6_EEENSN_IJSD_SD_EEES6_PiJS6_EEE10hipError_tPvRmT3_T4_T5_T6_T7_T9_mT8_P12ihipStream_tbDpT10_ENKUlT_T0_E_clISt17integral_constantIbLb1EES1B_EEDaS16_S17_EUlS16_E_NS1_11comp_targetILNS1_3genE8ELNS1_11target_archE1030ELNS1_3gpuE2ELNS1_3repE0EEENS1_30default_config_static_selectorELNS0_4arch9wavefront6targetE0EEEvT1_.num_named_barrier, 0
	.set _ZN7rocprim17ROCPRIM_400000_NS6detail17trampoline_kernelINS0_14default_configENS1_25partition_config_selectorILNS1_17partition_subalgoE5ElNS0_10empty_typeEbEEZZNS1_14partition_implILS5_5ELb0ES3_mN6hipcub16HIPCUB_304000_NS21CountingInputIteratorIllEEPS6_NSA_22TransformInputIteratorIbN2at6native12_GLOBAL__N_19NonZeroOpIaEEPKalEENS0_5tupleIJPlS6_EEENSN_IJSD_SD_EEES6_PiJS6_EEE10hipError_tPvRmT3_T4_T5_T6_T7_T9_mT8_P12ihipStream_tbDpT10_ENKUlT_T0_E_clISt17integral_constantIbLb1EES1B_EEDaS16_S17_EUlS16_E_NS1_11comp_targetILNS1_3genE8ELNS1_11target_archE1030ELNS1_3gpuE2ELNS1_3repE0EEENS1_30default_config_static_selectorELNS0_4arch9wavefront6targetE0EEEvT1_.private_seg_size, 0
	.set _ZN7rocprim17ROCPRIM_400000_NS6detail17trampoline_kernelINS0_14default_configENS1_25partition_config_selectorILNS1_17partition_subalgoE5ElNS0_10empty_typeEbEEZZNS1_14partition_implILS5_5ELb0ES3_mN6hipcub16HIPCUB_304000_NS21CountingInputIteratorIllEEPS6_NSA_22TransformInputIteratorIbN2at6native12_GLOBAL__N_19NonZeroOpIaEEPKalEENS0_5tupleIJPlS6_EEENSN_IJSD_SD_EEES6_PiJS6_EEE10hipError_tPvRmT3_T4_T5_T6_T7_T9_mT8_P12ihipStream_tbDpT10_ENKUlT_T0_E_clISt17integral_constantIbLb1EES1B_EEDaS16_S17_EUlS16_E_NS1_11comp_targetILNS1_3genE8ELNS1_11target_archE1030ELNS1_3gpuE2ELNS1_3repE0EEENS1_30default_config_static_selectorELNS0_4arch9wavefront6targetE0EEEvT1_.uses_vcc, 0
	.set _ZN7rocprim17ROCPRIM_400000_NS6detail17trampoline_kernelINS0_14default_configENS1_25partition_config_selectorILNS1_17partition_subalgoE5ElNS0_10empty_typeEbEEZZNS1_14partition_implILS5_5ELb0ES3_mN6hipcub16HIPCUB_304000_NS21CountingInputIteratorIllEEPS6_NSA_22TransformInputIteratorIbN2at6native12_GLOBAL__N_19NonZeroOpIaEEPKalEENS0_5tupleIJPlS6_EEENSN_IJSD_SD_EEES6_PiJS6_EEE10hipError_tPvRmT3_T4_T5_T6_T7_T9_mT8_P12ihipStream_tbDpT10_ENKUlT_T0_E_clISt17integral_constantIbLb1EES1B_EEDaS16_S17_EUlS16_E_NS1_11comp_targetILNS1_3genE8ELNS1_11target_archE1030ELNS1_3gpuE2ELNS1_3repE0EEENS1_30default_config_static_selectorELNS0_4arch9wavefront6targetE0EEEvT1_.uses_flat_scratch, 0
	.set _ZN7rocprim17ROCPRIM_400000_NS6detail17trampoline_kernelINS0_14default_configENS1_25partition_config_selectorILNS1_17partition_subalgoE5ElNS0_10empty_typeEbEEZZNS1_14partition_implILS5_5ELb0ES3_mN6hipcub16HIPCUB_304000_NS21CountingInputIteratorIllEEPS6_NSA_22TransformInputIteratorIbN2at6native12_GLOBAL__N_19NonZeroOpIaEEPKalEENS0_5tupleIJPlS6_EEENSN_IJSD_SD_EEES6_PiJS6_EEE10hipError_tPvRmT3_T4_T5_T6_T7_T9_mT8_P12ihipStream_tbDpT10_ENKUlT_T0_E_clISt17integral_constantIbLb1EES1B_EEDaS16_S17_EUlS16_E_NS1_11comp_targetILNS1_3genE8ELNS1_11target_archE1030ELNS1_3gpuE2ELNS1_3repE0EEENS1_30default_config_static_selectorELNS0_4arch9wavefront6targetE0EEEvT1_.has_dyn_sized_stack, 0
	.set _ZN7rocprim17ROCPRIM_400000_NS6detail17trampoline_kernelINS0_14default_configENS1_25partition_config_selectorILNS1_17partition_subalgoE5ElNS0_10empty_typeEbEEZZNS1_14partition_implILS5_5ELb0ES3_mN6hipcub16HIPCUB_304000_NS21CountingInputIteratorIllEEPS6_NSA_22TransformInputIteratorIbN2at6native12_GLOBAL__N_19NonZeroOpIaEEPKalEENS0_5tupleIJPlS6_EEENSN_IJSD_SD_EEES6_PiJS6_EEE10hipError_tPvRmT3_T4_T5_T6_T7_T9_mT8_P12ihipStream_tbDpT10_ENKUlT_T0_E_clISt17integral_constantIbLb1EES1B_EEDaS16_S17_EUlS16_E_NS1_11comp_targetILNS1_3genE8ELNS1_11target_archE1030ELNS1_3gpuE2ELNS1_3repE0EEENS1_30default_config_static_selectorELNS0_4arch9wavefront6targetE0EEEvT1_.has_recursion, 0
	.set _ZN7rocprim17ROCPRIM_400000_NS6detail17trampoline_kernelINS0_14default_configENS1_25partition_config_selectorILNS1_17partition_subalgoE5ElNS0_10empty_typeEbEEZZNS1_14partition_implILS5_5ELb0ES3_mN6hipcub16HIPCUB_304000_NS21CountingInputIteratorIllEEPS6_NSA_22TransformInputIteratorIbN2at6native12_GLOBAL__N_19NonZeroOpIaEEPKalEENS0_5tupleIJPlS6_EEENSN_IJSD_SD_EEES6_PiJS6_EEE10hipError_tPvRmT3_T4_T5_T6_T7_T9_mT8_P12ihipStream_tbDpT10_ENKUlT_T0_E_clISt17integral_constantIbLb1EES1B_EEDaS16_S17_EUlS16_E_NS1_11comp_targetILNS1_3genE8ELNS1_11target_archE1030ELNS1_3gpuE2ELNS1_3repE0EEENS1_30default_config_static_selectorELNS0_4arch9wavefront6targetE0EEEvT1_.has_indirect_call, 0
	.section	.AMDGPU.csdata,"",@progbits
; Kernel info:
; codeLenInByte = 0
; TotalNumSgprs: 0
; NumVgprs: 0
; ScratchSize: 0
; MemoryBound: 0
; FloatMode: 240
; IeeeMode: 1
; LDSByteSize: 0 bytes/workgroup (compile time only)
; SGPRBlocks: 0
; VGPRBlocks: 0
; NumSGPRsForWavesPerEU: 1
; NumVGPRsForWavesPerEU: 1
; Occupancy: 16
; WaveLimiterHint : 0
; COMPUTE_PGM_RSRC2:SCRATCH_EN: 0
; COMPUTE_PGM_RSRC2:USER_SGPR: 2
; COMPUTE_PGM_RSRC2:TRAP_HANDLER: 0
; COMPUTE_PGM_RSRC2:TGID_X_EN: 1
; COMPUTE_PGM_RSRC2:TGID_Y_EN: 0
; COMPUTE_PGM_RSRC2:TGID_Z_EN: 0
; COMPUTE_PGM_RSRC2:TIDIG_COMP_CNT: 0
	.section	.text._ZN7rocprim17ROCPRIM_400000_NS6detail17trampoline_kernelINS0_14default_configENS1_25partition_config_selectorILNS1_17partition_subalgoE5ElNS0_10empty_typeEbEEZZNS1_14partition_implILS5_5ELb0ES3_mN6hipcub16HIPCUB_304000_NS21CountingInputIteratorIllEEPS6_NSA_22TransformInputIteratorIbN2at6native12_GLOBAL__N_19NonZeroOpIaEEPKalEENS0_5tupleIJPlS6_EEENSN_IJSD_SD_EEES6_PiJS6_EEE10hipError_tPvRmT3_T4_T5_T6_T7_T9_mT8_P12ihipStream_tbDpT10_ENKUlT_T0_E_clISt17integral_constantIbLb1EES1A_IbLb0EEEEDaS16_S17_EUlS16_E_NS1_11comp_targetILNS1_3genE0ELNS1_11target_archE4294967295ELNS1_3gpuE0ELNS1_3repE0EEENS1_30default_config_static_selectorELNS0_4arch9wavefront6targetE0EEEvT1_,"axG",@progbits,_ZN7rocprim17ROCPRIM_400000_NS6detail17trampoline_kernelINS0_14default_configENS1_25partition_config_selectorILNS1_17partition_subalgoE5ElNS0_10empty_typeEbEEZZNS1_14partition_implILS5_5ELb0ES3_mN6hipcub16HIPCUB_304000_NS21CountingInputIteratorIllEEPS6_NSA_22TransformInputIteratorIbN2at6native12_GLOBAL__N_19NonZeroOpIaEEPKalEENS0_5tupleIJPlS6_EEENSN_IJSD_SD_EEES6_PiJS6_EEE10hipError_tPvRmT3_T4_T5_T6_T7_T9_mT8_P12ihipStream_tbDpT10_ENKUlT_T0_E_clISt17integral_constantIbLb1EES1A_IbLb0EEEEDaS16_S17_EUlS16_E_NS1_11comp_targetILNS1_3genE0ELNS1_11target_archE4294967295ELNS1_3gpuE0ELNS1_3repE0EEENS1_30default_config_static_selectorELNS0_4arch9wavefront6targetE0EEEvT1_,comdat
	.globl	_ZN7rocprim17ROCPRIM_400000_NS6detail17trampoline_kernelINS0_14default_configENS1_25partition_config_selectorILNS1_17partition_subalgoE5ElNS0_10empty_typeEbEEZZNS1_14partition_implILS5_5ELb0ES3_mN6hipcub16HIPCUB_304000_NS21CountingInputIteratorIllEEPS6_NSA_22TransformInputIteratorIbN2at6native12_GLOBAL__N_19NonZeroOpIaEEPKalEENS0_5tupleIJPlS6_EEENSN_IJSD_SD_EEES6_PiJS6_EEE10hipError_tPvRmT3_T4_T5_T6_T7_T9_mT8_P12ihipStream_tbDpT10_ENKUlT_T0_E_clISt17integral_constantIbLb1EES1A_IbLb0EEEEDaS16_S17_EUlS16_E_NS1_11comp_targetILNS1_3genE0ELNS1_11target_archE4294967295ELNS1_3gpuE0ELNS1_3repE0EEENS1_30default_config_static_selectorELNS0_4arch9wavefront6targetE0EEEvT1_ ; -- Begin function _ZN7rocprim17ROCPRIM_400000_NS6detail17trampoline_kernelINS0_14default_configENS1_25partition_config_selectorILNS1_17partition_subalgoE5ElNS0_10empty_typeEbEEZZNS1_14partition_implILS5_5ELb0ES3_mN6hipcub16HIPCUB_304000_NS21CountingInputIteratorIllEEPS6_NSA_22TransformInputIteratorIbN2at6native12_GLOBAL__N_19NonZeroOpIaEEPKalEENS0_5tupleIJPlS6_EEENSN_IJSD_SD_EEES6_PiJS6_EEE10hipError_tPvRmT3_T4_T5_T6_T7_T9_mT8_P12ihipStream_tbDpT10_ENKUlT_T0_E_clISt17integral_constantIbLb1EES1A_IbLb0EEEEDaS16_S17_EUlS16_E_NS1_11comp_targetILNS1_3genE0ELNS1_11target_archE4294967295ELNS1_3gpuE0ELNS1_3repE0EEENS1_30default_config_static_selectorELNS0_4arch9wavefront6targetE0EEEvT1_
	.p2align	8
	.type	_ZN7rocprim17ROCPRIM_400000_NS6detail17trampoline_kernelINS0_14default_configENS1_25partition_config_selectorILNS1_17partition_subalgoE5ElNS0_10empty_typeEbEEZZNS1_14partition_implILS5_5ELb0ES3_mN6hipcub16HIPCUB_304000_NS21CountingInputIteratorIllEEPS6_NSA_22TransformInputIteratorIbN2at6native12_GLOBAL__N_19NonZeroOpIaEEPKalEENS0_5tupleIJPlS6_EEENSN_IJSD_SD_EEES6_PiJS6_EEE10hipError_tPvRmT3_T4_T5_T6_T7_T9_mT8_P12ihipStream_tbDpT10_ENKUlT_T0_E_clISt17integral_constantIbLb1EES1A_IbLb0EEEEDaS16_S17_EUlS16_E_NS1_11comp_targetILNS1_3genE0ELNS1_11target_archE4294967295ELNS1_3gpuE0ELNS1_3repE0EEENS1_30default_config_static_selectorELNS0_4arch9wavefront6targetE0EEEvT1_,@function
_ZN7rocprim17ROCPRIM_400000_NS6detail17trampoline_kernelINS0_14default_configENS1_25partition_config_selectorILNS1_17partition_subalgoE5ElNS0_10empty_typeEbEEZZNS1_14partition_implILS5_5ELb0ES3_mN6hipcub16HIPCUB_304000_NS21CountingInputIteratorIllEEPS6_NSA_22TransformInputIteratorIbN2at6native12_GLOBAL__N_19NonZeroOpIaEEPKalEENS0_5tupleIJPlS6_EEENSN_IJSD_SD_EEES6_PiJS6_EEE10hipError_tPvRmT3_T4_T5_T6_T7_T9_mT8_P12ihipStream_tbDpT10_ENKUlT_T0_E_clISt17integral_constantIbLb1EES1A_IbLb0EEEEDaS16_S17_EUlS16_E_NS1_11comp_targetILNS1_3genE0ELNS1_11target_archE4294967295ELNS1_3gpuE0ELNS1_3repE0EEENS1_30default_config_static_selectorELNS0_4arch9wavefront6targetE0EEEvT1_: ; @_ZN7rocprim17ROCPRIM_400000_NS6detail17trampoline_kernelINS0_14default_configENS1_25partition_config_selectorILNS1_17partition_subalgoE5ElNS0_10empty_typeEbEEZZNS1_14partition_implILS5_5ELb0ES3_mN6hipcub16HIPCUB_304000_NS21CountingInputIteratorIllEEPS6_NSA_22TransformInputIteratorIbN2at6native12_GLOBAL__N_19NonZeroOpIaEEPKalEENS0_5tupleIJPlS6_EEENSN_IJSD_SD_EEES6_PiJS6_EEE10hipError_tPvRmT3_T4_T5_T6_T7_T9_mT8_P12ihipStream_tbDpT10_ENKUlT_T0_E_clISt17integral_constantIbLb1EES1A_IbLb0EEEEDaS16_S17_EUlS16_E_NS1_11comp_targetILNS1_3genE0ELNS1_11target_archE4294967295ELNS1_3gpuE0ELNS1_3repE0EEENS1_30default_config_static_selectorELNS0_4arch9wavefront6targetE0EEEvT1_
; %bb.0:
	.section	.rodata,"a",@progbits
	.p2align	6, 0x0
	.amdhsa_kernel _ZN7rocprim17ROCPRIM_400000_NS6detail17trampoline_kernelINS0_14default_configENS1_25partition_config_selectorILNS1_17partition_subalgoE5ElNS0_10empty_typeEbEEZZNS1_14partition_implILS5_5ELb0ES3_mN6hipcub16HIPCUB_304000_NS21CountingInputIteratorIllEEPS6_NSA_22TransformInputIteratorIbN2at6native12_GLOBAL__N_19NonZeroOpIaEEPKalEENS0_5tupleIJPlS6_EEENSN_IJSD_SD_EEES6_PiJS6_EEE10hipError_tPvRmT3_T4_T5_T6_T7_T9_mT8_P12ihipStream_tbDpT10_ENKUlT_T0_E_clISt17integral_constantIbLb1EES1A_IbLb0EEEEDaS16_S17_EUlS16_E_NS1_11comp_targetILNS1_3genE0ELNS1_11target_archE4294967295ELNS1_3gpuE0ELNS1_3repE0EEENS1_30default_config_static_selectorELNS0_4arch9wavefront6targetE0EEEvT1_
		.amdhsa_group_segment_fixed_size 0
		.amdhsa_private_segment_fixed_size 0
		.amdhsa_kernarg_size 120
		.amdhsa_user_sgpr_count 2
		.amdhsa_user_sgpr_dispatch_ptr 0
		.amdhsa_user_sgpr_queue_ptr 0
		.amdhsa_user_sgpr_kernarg_segment_ptr 1
		.amdhsa_user_sgpr_dispatch_id 0
		.amdhsa_user_sgpr_private_segment_size 0
		.amdhsa_wavefront_size32 1
		.amdhsa_uses_dynamic_stack 0
		.amdhsa_enable_private_segment 0
		.amdhsa_system_sgpr_workgroup_id_x 1
		.amdhsa_system_sgpr_workgroup_id_y 0
		.amdhsa_system_sgpr_workgroup_id_z 0
		.amdhsa_system_sgpr_workgroup_info 0
		.amdhsa_system_vgpr_workitem_id 0
		.amdhsa_next_free_vgpr 1
		.amdhsa_next_free_sgpr 1
		.amdhsa_reserve_vcc 0
		.amdhsa_float_round_mode_32 0
		.amdhsa_float_round_mode_16_64 0
		.amdhsa_float_denorm_mode_32 3
		.amdhsa_float_denorm_mode_16_64 3
		.amdhsa_fp16_overflow 0
		.amdhsa_workgroup_processor_mode 1
		.amdhsa_memory_ordered 1
		.amdhsa_forward_progress 1
		.amdhsa_inst_pref_size 0
		.amdhsa_round_robin_scheduling 0
		.amdhsa_exception_fp_ieee_invalid_op 0
		.amdhsa_exception_fp_denorm_src 0
		.amdhsa_exception_fp_ieee_div_zero 0
		.amdhsa_exception_fp_ieee_overflow 0
		.amdhsa_exception_fp_ieee_underflow 0
		.amdhsa_exception_fp_ieee_inexact 0
		.amdhsa_exception_int_div_zero 0
	.end_amdhsa_kernel
	.section	.text._ZN7rocprim17ROCPRIM_400000_NS6detail17trampoline_kernelINS0_14default_configENS1_25partition_config_selectorILNS1_17partition_subalgoE5ElNS0_10empty_typeEbEEZZNS1_14partition_implILS5_5ELb0ES3_mN6hipcub16HIPCUB_304000_NS21CountingInputIteratorIllEEPS6_NSA_22TransformInputIteratorIbN2at6native12_GLOBAL__N_19NonZeroOpIaEEPKalEENS0_5tupleIJPlS6_EEENSN_IJSD_SD_EEES6_PiJS6_EEE10hipError_tPvRmT3_T4_T5_T6_T7_T9_mT8_P12ihipStream_tbDpT10_ENKUlT_T0_E_clISt17integral_constantIbLb1EES1A_IbLb0EEEEDaS16_S17_EUlS16_E_NS1_11comp_targetILNS1_3genE0ELNS1_11target_archE4294967295ELNS1_3gpuE0ELNS1_3repE0EEENS1_30default_config_static_selectorELNS0_4arch9wavefront6targetE0EEEvT1_,"axG",@progbits,_ZN7rocprim17ROCPRIM_400000_NS6detail17trampoline_kernelINS0_14default_configENS1_25partition_config_selectorILNS1_17partition_subalgoE5ElNS0_10empty_typeEbEEZZNS1_14partition_implILS5_5ELb0ES3_mN6hipcub16HIPCUB_304000_NS21CountingInputIteratorIllEEPS6_NSA_22TransformInputIteratorIbN2at6native12_GLOBAL__N_19NonZeroOpIaEEPKalEENS0_5tupleIJPlS6_EEENSN_IJSD_SD_EEES6_PiJS6_EEE10hipError_tPvRmT3_T4_T5_T6_T7_T9_mT8_P12ihipStream_tbDpT10_ENKUlT_T0_E_clISt17integral_constantIbLb1EES1A_IbLb0EEEEDaS16_S17_EUlS16_E_NS1_11comp_targetILNS1_3genE0ELNS1_11target_archE4294967295ELNS1_3gpuE0ELNS1_3repE0EEENS1_30default_config_static_selectorELNS0_4arch9wavefront6targetE0EEEvT1_,comdat
.Lfunc_end134:
	.size	_ZN7rocprim17ROCPRIM_400000_NS6detail17trampoline_kernelINS0_14default_configENS1_25partition_config_selectorILNS1_17partition_subalgoE5ElNS0_10empty_typeEbEEZZNS1_14partition_implILS5_5ELb0ES3_mN6hipcub16HIPCUB_304000_NS21CountingInputIteratorIllEEPS6_NSA_22TransformInputIteratorIbN2at6native12_GLOBAL__N_19NonZeroOpIaEEPKalEENS0_5tupleIJPlS6_EEENSN_IJSD_SD_EEES6_PiJS6_EEE10hipError_tPvRmT3_T4_T5_T6_T7_T9_mT8_P12ihipStream_tbDpT10_ENKUlT_T0_E_clISt17integral_constantIbLb1EES1A_IbLb0EEEEDaS16_S17_EUlS16_E_NS1_11comp_targetILNS1_3genE0ELNS1_11target_archE4294967295ELNS1_3gpuE0ELNS1_3repE0EEENS1_30default_config_static_selectorELNS0_4arch9wavefront6targetE0EEEvT1_, .Lfunc_end134-_ZN7rocprim17ROCPRIM_400000_NS6detail17trampoline_kernelINS0_14default_configENS1_25partition_config_selectorILNS1_17partition_subalgoE5ElNS0_10empty_typeEbEEZZNS1_14partition_implILS5_5ELb0ES3_mN6hipcub16HIPCUB_304000_NS21CountingInputIteratorIllEEPS6_NSA_22TransformInputIteratorIbN2at6native12_GLOBAL__N_19NonZeroOpIaEEPKalEENS0_5tupleIJPlS6_EEENSN_IJSD_SD_EEES6_PiJS6_EEE10hipError_tPvRmT3_T4_T5_T6_T7_T9_mT8_P12ihipStream_tbDpT10_ENKUlT_T0_E_clISt17integral_constantIbLb1EES1A_IbLb0EEEEDaS16_S17_EUlS16_E_NS1_11comp_targetILNS1_3genE0ELNS1_11target_archE4294967295ELNS1_3gpuE0ELNS1_3repE0EEENS1_30default_config_static_selectorELNS0_4arch9wavefront6targetE0EEEvT1_
                                        ; -- End function
	.set _ZN7rocprim17ROCPRIM_400000_NS6detail17trampoline_kernelINS0_14default_configENS1_25partition_config_selectorILNS1_17partition_subalgoE5ElNS0_10empty_typeEbEEZZNS1_14partition_implILS5_5ELb0ES3_mN6hipcub16HIPCUB_304000_NS21CountingInputIteratorIllEEPS6_NSA_22TransformInputIteratorIbN2at6native12_GLOBAL__N_19NonZeroOpIaEEPKalEENS0_5tupleIJPlS6_EEENSN_IJSD_SD_EEES6_PiJS6_EEE10hipError_tPvRmT3_T4_T5_T6_T7_T9_mT8_P12ihipStream_tbDpT10_ENKUlT_T0_E_clISt17integral_constantIbLb1EES1A_IbLb0EEEEDaS16_S17_EUlS16_E_NS1_11comp_targetILNS1_3genE0ELNS1_11target_archE4294967295ELNS1_3gpuE0ELNS1_3repE0EEENS1_30default_config_static_selectorELNS0_4arch9wavefront6targetE0EEEvT1_.num_vgpr, 0
	.set _ZN7rocprim17ROCPRIM_400000_NS6detail17trampoline_kernelINS0_14default_configENS1_25partition_config_selectorILNS1_17partition_subalgoE5ElNS0_10empty_typeEbEEZZNS1_14partition_implILS5_5ELb0ES3_mN6hipcub16HIPCUB_304000_NS21CountingInputIteratorIllEEPS6_NSA_22TransformInputIteratorIbN2at6native12_GLOBAL__N_19NonZeroOpIaEEPKalEENS0_5tupleIJPlS6_EEENSN_IJSD_SD_EEES6_PiJS6_EEE10hipError_tPvRmT3_T4_T5_T6_T7_T9_mT8_P12ihipStream_tbDpT10_ENKUlT_T0_E_clISt17integral_constantIbLb1EES1A_IbLb0EEEEDaS16_S17_EUlS16_E_NS1_11comp_targetILNS1_3genE0ELNS1_11target_archE4294967295ELNS1_3gpuE0ELNS1_3repE0EEENS1_30default_config_static_selectorELNS0_4arch9wavefront6targetE0EEEvT1_.num_agpr, 0
	.set _ZN7rocprim17ROCPRIM_400000_NS6detail17trampoline_kernelINS0_14default_configENS1_25partition_config_selectorILNS1_17partition_subalgoE5ElNS0_10empty_typeEbEEZZNS1_14partition_implILS5_5ELb0ES3_mN6hipcub16HIPCUB_304000_NS21CountingInputIteratorIllEEPS6_NSA_22TransformInputIteratorIbN2at6native12_GLOBAL__N_19NonZeroOpIaEEPKalEENS0_5tupleIJPlS6_EEENSN_IJSD_SD_EEES6_PiJS6_EEE10hipError_tPvRmT3_T4_T5_T6_T7_T9_mT8_P12ihipStream_tbDpT10_ENKUlT_T0_E_clISt17integral_constantIbLb1EES1A_IbLb0EEEEDaS16_S17_EUlS16_E_NS1_11comp_targetILNS1_3genE0ELNS1_11target_archE4294967295ELNS1_3gpuE0ELNS1_3repE0EEENS1_30default_config_static_selectorELNS0_4arch9wavefront6targetE0EEEvT1_.numbered_sgpr, 0
	.set _ZN7rocprim17ROCPRIM_400000_NS6detail17trampoline_kernelINS0_14default_configENS1_25partition_config_selectorILNS1_17partition_subalgoE5ElNS0_10empty_typeEbEEZZNS1_14partition_implILS5_5ELb0ES3_mN6hipcub16HIPCUB_304000_NS21CountingInputIteratorIllEEPS6_NSA_22TransformInputIteratorIbN2at6native12_GLOBAL__N_19NonZeroOpIaEEPKalEENS0_5tupleIJPlS6_EEENSN_IJSD_SD_EEES6_PiJS6_EEE10hipError_tPvRmT3_T4_T5_T6_T7_T9_mT8_P12ihipStream_tbDpT10_ENKUlT_T0_E_clISt17integral_constantIbLb1EES1A_IbLb0EEEEDaS16_S17_EUlS16_E_NS1_11comp_targetILNS1_3genE0ELNS1_11target_archE4294967295ELNS1_3gpuE0ELNS1_3repE0EEENS1_30default_config_static_selectorELNS0_4arch9wavefront6targetE0EEEvT1_.num_named_barrier, 0
	.set _ZN7rocprim17ROCPRIM_400000_NS6detail17trampoline_kernelINS0_14default_configENS1_25partition_config_selectorILNS1_17partition_subalgoE5ElNS0_10empty_typeEbEEZZNS1_14partition_implILS5_5ELb0ES3_mN6hipcub16HIPCUB_304000_NS21CountingInputIteratorIllEEPS6_NSA_22TransformInputIteratorIbN2at6native12_GLOBAL__N_19NonZeroOpIaEEPKalEENS0_5tupleIJPlS6_EEENSN_IJSD_SD_EEES6_PiJS6_EEE10hipError_tPvRmT3_T4_T5_T6_T7_T9_mT8_P12ihipStream_tbDpT10_ENKUlT_T0_E_clISt17integral_constantIbLb1EES1A_IbLb0EEEEDaS16_S17_EUlS16_E_NS1_11comp_targetILNS1_3genE0ELNS1_11target_archE4294967295ELNS1_3gpuE0ELNS1_3repE0EEENS1_30default_config_static_selectorELNS0_4arch9wavefront6targetE0EEEvT1_.private_seg_size, 0
	.set _ZN7rocprim17ROCPRIM_400000_NS6detail17trampoline_kernelINS0_14default_configENS1_25partition_config_selectorILNS1_17partition_subalgoE5ElNS0_10empty_typeEbEEZZNS1_14partition_implILS5_5ELb0ES3_mN6hipcub16HIPCUB_304000_NS21CountingInputIteratorIllEEPS6_NSA_22TransformInputIteratorIbN2at6native12_GLOBAL__N_19NonZeroOpIaEEPKalEENS0_5tupleIJPlS6_EEENSN_IJSD_SD_EEES6_PiJS6_EEE10hipError_tPvRmT3_T4_T5_T6_T7_T9_mT8_P12ihipStream_tbDpT10_ENKUlT_T0_E_clISt17integral_constantIbLb1EES1A_IbLb0EEEEDaS16_S17_EUlS16_E_NS1_11comp_targetILNS1_3genE0ELNS1_11target_archE4294967295ELNS1_3gpuE0ELNS1_3repE0EEENS1_30default_config_static_selectorELNS0_4arch9wavefront6targetE0EEEvT1_.uses_vcc, 0
	.set _ZN7rocprim17ROCPRIM_400000_NS6detail17trampoline_kernelINS0_14default_configENS1_25partition_config_selectorILNS1_17partition_subalgoE5ElNS0_10empty_typeEbEEZZNS1_14partition_implILS5_5ELb0ES3_mN6hipcub16HIPCUB_304000_NS21CountingInputIteratorIllEEPS6_NSA_22TransformInputIteratorIbN2at6native12_GLOBAL__N_19NonZeroOpIaEEPKalEENS0_5tupleIJPlS6_EEENSN_IJSD_SD_EEES6_PiJS6_EEE10hipError_tPvRmT3_T4_T5_T6_T7_T9_mT8_P12ihipStream_tbDpT10_ENKUlT_T0_E_clISt17integral_constantIbLb1EES1A_IbLb0EEEEDaS16_S17_EUlS16_E_NS1_11comp_targetILNS1_3genE0ELNS1_11target_archE4294967295ELNS1_3gpuE0ELNS1_3repE0EEENS1_30default_config_static_selectorELNS0_4arch9wavefront6targetE0EEEvT1_.uses_flat_scratch, 0
	.set _ZN7rocprim17ROCPRIM_400000_NS6detail17trampoline_kernelINS0_14default_configENS1_25partition_config_selectorILNS1_17partition_subalgoE5ElNS0_10empty_typeEbEEZZNS1_14partition_implILS5_5ELb0ES3_mN6hipcub16HIPCUB_304000_NS21CountingInputIteratorIllEEPS6_NSA_22TransformInputIteratorIbN2at6native12_GLOBAL__N_19NonZeroOpIaEEPKalEENS0_5tupleIJPlS6_EEENSN_IJSD_SD_EEES6_PiJS6_EEE10hipError_tPvRmT3_T4_T5_T6_T7_T9_mT8_P12ihipStream_tbDpT10_ENKUlT_T0_E_clISt17integral_constantIbLb1EES1A_IbLb0EEEEDaS16_S17_EUlS16_E_NS1_11comp_targetILNS1_3genE0ELNS1_11target_archE4294967295ELNS1_3gpuE0ELNS1_3repE0EEENS1_30default_config_static_selectorELNS0_4arch9wavefront6targetE0EEEvT1_.has_dyn_sized_stack, 0
	.set _ZN7rocprim17ROCPRIM_400000_NS6detail17trampoline_kernelINS0_14default_configENS1_25partition_config_selectorILNS1_17partition_subalgoE5ElNS0_10empty_typeEbEEZZNS1_14partition_implILS5_5ELb0ES3_mN6hipcub16HIPCUB_304000_NS21CountingInputIteratorIllEEPS6_NSA_22TransformInputIteratorIbN2at6native12_GLOBAL__N_19NonZeroOpIaEEPKalEENS0_5tupleIJPlS6_EEENSN_IJSD_SD_EEES6_PiJS6_EEE10hipError_tPvRmT3_T4_T5_T6_T7_T9_mT8_P12ihipStream_tbDpT10_ENKUlT_T0_E_clISt17integral_constantIbLb1EES1A_IbLb0EEEEDaS16_S17_EUlS16_E_NS1_11comp_targetILNS1_3genE0ELNS1_11target_archE4294967295ELNS1_3gpuE0ELNS1_3repE0EEENS1_30default_config_static_selectorELNS0_4arch9wavefront6targetE0EEEvT1_.has_recursion, 0
	.set _ZN7rocprim17ROCPRIM_400000_NS6detail17trampoline_kernelINS0_14default_configENS1_25partition_config_selectorILNS1_17partition_subalgoE5ElNS0_10empty_typeEbEEZZNS1_14partition_implILS5_5ELb0ES3_mN6hipcub16HIPCUB_304000_NS21CountingInputIteratorIllEEPS6_NSA_22TransformInputIteratorIbN2at6native12_GLOBAL__N_19NonZeroOpIaEEPKalEENS0_5tupleIJPlS6_EEENSN_IJSD_SD_EEES6_PiJS6_EEE10hipError_tPvRmT3_T4_T5_T6_T7_T9_mT8_P12ihipStream_tbDpT10_ENKUlT_T0_E_clISt17integral_constantIbLb1EES1A_IbLb0EEEEDaS16_S17_EUlS16_E_NS1_11comp_targetILNS1_3genE0ELNS1_11target_archE4294967295ELNS1_3gpuE0ELNS1_3repE0EEENS1_30default_config_static_selectorELNS0_4arch9wavefront6targetE0EEEvT1_.has_indirect_call, 0
	.section	.AMDGPU.csdata,"",@progbits
; Kernel info:
; codeLenInByte = 0
; TotalNumSgprs: 0
; NumVgprs: 0
; ScratchSize: 0
; MemoryBound: 0
; FloatMode: 240
; IeeeMode: 1
; LDSByteSize: 0 bytes/workgroup (compile time only)
; SGPRBlocks: 0
; VGPRBlocks: 0
; NumSGPRsForWavesPerEU: 1
; NumVGPRsForWavesPerEU: 1
; Occupancy: 16
; WaveLimiterHint : 0
; COMPUTE_PGM_RSRC2:SCRATCH_EN: 0
; COMPUTE_PGM_RSRC2:USER_SGPR: 2
; COMPUTE_PGM_RSRC2:TRAP_HANDLER: 0
; COMPUTE_PGM_RSRC2:TGID_X_EN: 1
; COMPUTE_PGM_RSRC2:TGID_Y_EN: 0
; COMPUTE_PGM_RSRC2:TGID_Z_EN: 0
; COMPUTE_PGM_RSRC2:TIDIG_COMP_CNT: 0
	.section	.text._ZN7rocprim17ROCPRIM_400000_NS6detail17trampoline_kernelINS0_14default_configENS1_25partition_config_selectorILNS1_17partition_subalgoE5ElNS0_10empty_typeEbEEZZNS1_14partition_implILS5_5ELb0ES3_mN6hipcub16HIPCUB_304000_NS21CountingInputIteratorIllEEPS6_NSA_22TransformInputIteratorIbN2at6native12_GLOBAL__N_19NonZeroOpIaEEPKalEENS0_5tupleIJPlS6_EEENSN_IJSD_SD_EEES6_PiJS6_EEE10hipError_tPvRmT3_T4_T5_T6_T7_T9_mT8_P12ihipStream_tbDpT10_ENKUlT_T0_E_clISt17integral_constantIbLb1EES1A_IbLb0EEEEDaS16_S17_EUlS16_E_NS1_11comp_targetILNS1_3genE5ELNS1_11target_archE942ELNS1_3gpuE9ELNS1_3repE0EEENS1_30default_config_static_selectorELNS0_4arch9wavefront6targetE0EEEvT1_,"axG",@progbits,_ZN7rocprim17ROCPRIM_400000_NS6detail17trampoline_kernelINS0_14default_configENS1_25partition_config_selectorILNS1_17partition_subalgoE5ElNS0_10empty_typeEbEEZZNS1_14partition_implILS5_5ELb0ES3_mN6hipcub16HIPCUB_304000_NS21CountingInputIteratorIllEEPS6_NSA_22TransformInputIteratorIbN2at6native12_GLOBAL__N_19NonZeroOpIaEEPKalEENS0_5tupleIJPlS6_EEENSN_IJSD_SD_EEES6_PiJS6_EEE10hipError_tPvRmT3_T4_T5_T6_T7_T9_mT8_P12ihipStream_tbDpT10_ENKUlT_T0_E_clISt17integral_constantIbLb1EES1A_IbLb0EEEEDaS16_S17_EUlS16_E_NS1_11comp_targetILNS1_3genE5ELNS1_11target_archE942ELNS1_3gpuE9ELNS1_3repE0EEENS1_30default_config_static_selectorELNS0_4arch9wavefront6targetE0EEEvT1_,comdat
	.globl	_ZN7rocprim17ROCPRIM_400000_NS6detail17trampoline_kernelINS0_14default_configENS1_25partition_config_selectorILNS1_17partition_subalgoE5ElNS0_10empty_typeEbEEZZNS1_14partition_implILS5_5ELb0ES3_mN6hipcub16HIPCUB_304000_NS21CountingInputIteratorIllEEPS6_NSA_22TransformInputIteratorIbN2at6native12_GLOBAL__N_19NonZeroOpIaEEPKalEENS0_5tupleIJPlS6_EEENSN_IJSD_SD_EEES6_PiJS6_EEE10hipError_tPvRmT3_T4_T5_T6_T7_T9_mT8_P12ihipStream_tbDpT10_ENKUlT_T0_E_clISt17integral_constantIbLb1EES1A_IbLb0EEEEDaS16_S17_EUlS16_E_NS1_11comp_targetILNS1_3genE5ELNS1_11target_archE942ELNS1_3gpuE9ELNS1_3repE0EEENS1_30default_config_static_selectorELNS0_4arch9wavefront6targetE0EEEvT1_ ; -- Begin function _ZN7rocprim17ROCPRIM_400000_NS6detail17trampoline_kernelINS0_14default_configENS1_25partition_config_selectorILNS1_17partition_subalgoE5ElNS0_10empty_typeEbEEZZNS1_14partition_implILS5_5ELb0ES3_mN6hipcub16HIPCUB_304000_NS21CountingInputIteratorIllEEPS6_NSA_22TransformInputIteratorIbN2at6native12_GLOBAL__N_19NonZeroOpIaEEPKalEENS0_5tupleIJPlS6_EEENSN_IJSD_SD_EEES6_PiJS6_EEE10hipError_tPvRmT3_T4_T5_T6_T7_T9_mT8_P12ihipStream_tbDpT10_ENKUlT_T0_E_clISt17integral_constantIbLb1EES1A_IbLb0EEEEDaS16_S17_EUlS16_E_NS1_11comp_targetILNS1_3genE5ELNS1_11target_archE942ELNS1_3gpuE9ELNS1_3repE0EEENS1_30default_config_static_selectorELNS0_4arch9wavefront6targetE0EEEvT1_
	.p2align	8
	.type	_ZN7rocprim17ROCPRIM_400000_NS6detail17trampoline_kernelINS0_14default_configENS1_25partition_config_selectorILNS1_17partition_subalgoE5ElNS0_10empty_typeEbEEZZNS1_14partition_implILS5_5ELb0ES3_mN6hipcub16HIPCUB_304000_NS21CountingInputIteratorIllEEPS6_NSA_22TransformInputIteratorIbN2at6native12_GLOBAL__N_19NonZeroOpIaEEPKalEENS0_5tupleIJPlS6_EEENSN_IJSD_SD_EEES6_PiJS6_EEE10hipError_tPvRmT3_T4_T5_T6_T7_T9_mT8_P12ihipStream_tbDpT10_ENKUlT_T0_E_clISt17integral_constantIbLb1EES1A_IbLb0EEEEDaS16_S17_EUlS16_E_NS1_11comp_targetILNS1_3genE5ELNS1_11target_archE942ELNS1_3gpuE9ELNS1_3repE0EEENS1_30default_config_static_selectorELNS0_4arch9wavefront6targetE0EEEvT1_,@function
_ZN7rocprim17ROCPRIM_400000_NS6detail17trampoline_kernelINS0_14default_configENS1_25partition_config_selectorILNS1_17partition_subalgoE5ElNS0_10empty_typeEbEEZZNS1_14partition_implILS5_5ELb0ES3_mN6hipcub16HIPCUB_304000_NS21CountingInputIteratorIllEEPS6_NSA_22TransformInputIteratorIbN2at6native12_GLOBAL__N_19NonZeroOpIaEEPKalEENS0_5tupleIJPlS6_EEENSN_IJSD_SD_EEES6_PiJS6_EEE10hipError_tPvRmT3_T4_T5_T6_T7_T9_mT8_P12ihipStream_tbDpT10_ENKUlT_T0_E_clISt17integral_constantIbLb1EES1A_IbLb0EEEEDaS16_S17_EUlS16_E_NS1_11comp_targetILNS1_3genE5ELNS1_11target_archE942ELNS1_3gpuE9ELNS1_3repE0EEENS1_30default_config_static_selectorELNS0_4arch9wavefront6targetE0EEEvT1_: ; @_ZN7rocprim17ROCPRIM_400000_NS6detail17trampoline_kernelINS0_14default_configENS1_25partition_config_selectorILNS1_17partition_subalgoE5ElNS0_10empty_typeEbEEZZNS1_14partition_implILS5_5ELb0ES3_mN6hipcub16HIPCUB_304000_NS21CountingInputIteratorIllEEPS6_NSA_22TransformInputIteratorIbN2at6native12_GLOBAL__N_19NonZeroOpIaEEPKalEENS0_5tupleIJPlS6_EEENSN_IJSD_SD_EEES6_PiJS6_EEE10hipError_tPvRmT3_T4_T5_T6_T7_T9_mT8_P12ihipStream_tbDpT10_ENKUlT_T0_E_clISt17integral_constantIbLb1EES1A_IbLb0EEEEDaS16_S17_EUlS16_E_NS1_11comp_targetILNS1_3genE5ELNS1_11target_archE942ELNS1_3gpuE9ELNS1_3repE0EEENS1_30default_config_static_selectorELNS0_4arch9wavefront6targetE0EEEvT1_
; %bb.0:
	.section	.rodata,"a",@progbits
	.p2align	6, 0x0
	.amdhsa_kernel _ZN7rocprim17ROCPRIM_400000_NS6detail17trampoline_kernelINS0_14default_configENS1_25partition_config_selectorILNS1_17partition_subalgoE5ElNS0_10empty_typeEbEEZZNS1_14partition_implILS5_5ELb0ES3_mN6hipcub16HIPCUB_304000_NS21CountingInputIteratorIllEEPS6_NSA_22TransformInputIteratorIbN2at6native12_GLOBAL__N_19NonZeroOpIaEEPKalEENS0_5tupleIJPlS6_EEENSN_IJSD_SD_EEES6_PiJS6_EEE10hipError_tPvRmT3_T4_T5_T6_T7_T9_mT8_P12ihipStream_tbDpT10_ENKUlT_T0_E_clISt17integral_constantIbLb1EES1A_IbLb0EEEEDaS16_S17_EUlS16_E_NS1_11comp_targetILNS1_3genE5ELNS1_11target_archE942ELNS1_3gpuE9ELNS1_3repE0EEENS1_30default_config_static_selectorELNS0_4arch9wavefront6targetE0EEEvT1_
		.amdhsa_group_segment_fixed_size 0
		.amdhsa_private_segment_fixed_size 0
		.amdhsa_kernarg_size 120
		.amdhsa_user_sgpr_count 2
		.amdhsa_user_sgpr_dispatch_ptr 0
		.amdhsa_user_sgpr_queue_ptr 0
		.amdhsa_user_sgpr_kernarg_segment_ptr 1
		.amdhsa_user_sgpr_dispatch_id 0
		.amdhsa_user_sgpr_private_segment_size 0
		.amdhsa_wavefront_size32 1
		.amdhsa_uses_dynamic_stack 0
		.amdhsa_enable_private_segment 0
		.amdhsa_system_sgpr_workgroup_id_x 1
		.amdhsa_system_sgpr_workgroup_id_y 0
		.amdhsa_system_sgpr_workgroup_id_z 0
		.amdhsa_system_sgpr_workgroup_info 0
		.amdhsa_system_vgpr_workitem_id 0
		.amdhsa_next_free_vgpr 1
		.amdhsa_next_free_sgpr 1
		.amdhsa_reserve_vcc 0
		.amdhsa_float_round_mode_32 0
		.amdhsa_float_round_mode_16_64 0
		.amdhsa_float_denorm_mode_32 3
		.amdhsa_float_denorm_mode_16_64 3
		.amdhsa_fp16_overflow 0
		.amdhsa_workgroup_processor_mode 1
		.amdhsa_memory_ordered 1
		.amdhsa_forward_progress 1
		.amdhsa_inst_pref_size 0
		.amdhsa_round_robin_scheduling 0
		.amdhsa_exception_fp_ieee_invalid_op 0
		.amdhsa_exception_fp_denorm_src 0
		.amdhsa_exception_fp_ieee_div_zero 0
		.amdhsa_exception_fp_ieee_overflow 0
		.amdhsa_exception_fp_ieee_underflow 0
		.amdhsa_exception_fp_ieee_inexact 0
		.amdhsa_exception_int_div_zero 0
	.end_amdhsa_kernel
	.section	.text._ZN7rocprim17ROCPRIM_400000_NS6detail17trampoline_kernelINS0_14default_configENS1_25partition_config_selectorILNS1_17partition_subalgoE5ElNS0_10empty_typeEbEEZZNS1_14partition_implILS5_5ELb0ES3_mN6hipcub16HIPCUB_304000_NS21CountingInputIteratorIllEEPS6_NSA_22TransformInputIteratorIbN2at6native12_GLOBAL__N_19NonZeroOpIaEEPKalEENS0_5tupleIJPlS6_EEENSN_IJSD_SD_EEES6_PiJS6_EEE10hipError_tPvRmT3_T4_T5_T6_T7_T9_mT8_P12ihipStream_tbDpT10_ENKUlT_T0_E_clISt17integral_constantIbLb1EES1A_IbLb0EEEEDaS16_S17_EUlS16_E_NS1_11comp_targetILNS1_3genE5ELNS1_11target_archE942ELNS1_3gpuE9ELNS1_3repE0EEENS1_30default_config_static_selectorELNS0_4arch9wavefront6targetE0EEEvT1_,"axG",@progbits,_ZN7rocprim17ROCPRIM_400000_NS6detail17trampoline_kernelINS0_14default_configENS1_25partition_config_selectorILNS1_17partition_subalgoE5ElNS0_10empty_typeEbEEZZNS1_14partition_implILS5_5ELb0ES3_mN6hipcub16HIPCUB_304000_NS21CountingInputIteratorIllEEPS6_NSA_22TransformInputIteratorIbN2at6native12_GLOBAL__N_19NonZeroOpIaEEPKalEENS0_5tupleIJPlS6_EEENSN_IJSD_SD_EEES6_PiJS6_EEE10hipError_tPvRmT3_T4_T5_T6_T7_T9_mT8_P12ihipStream_tbDpT10_ENKUlT_T0_E_clISt17integral_constantIbLb1EES1A_IbLb0EEEEDaS16_S17_EUlS16_E_NS1_11comp_targetILNS1_3genE5ELNS1_11target_archE942ELNS1_3gpuE9ELNS1_3repE0EEENS1_30default_config_static_selectorELNS0_4arch9wavefront6targetE0EEEvT1_,comdat
.Lfunc_end135:
	.size	_ZN7rocprim17ROCPRIM_400000_NS6detail17trampoline_kernelINS0_14default_configENS1_25partition_config_selectorILNS1_17partition_subalgoE5ElNS0_10empty_typeEbEEZZNS1_14partition_implILS5_5ELb0ES3_mN6hipcub16HIPCUB_304000_NS21CountingInputIteratorIllEEPS6_NSA_22TransformInputIteratorIbN2at6native12_GLOBAL__N_19NonZeroOpIaEEPKalEENS0_5tupleIJPlS6_EEENSN_IJSD_SD_EEES6_PiJS6_EEE10hipError_tPvRmT3_T4_T5_T6_T7_T9_mT8_P12ihipStream_tbDpT10_ENKUlT_T0_E_clISt17integral_constantIbLb1EES1A_IbLb0EEEEDaS16_S17_EUlS16_E_NS1_11comp_targetILNS1_3genE5ELNS1_11target_archE942ELNS1_3gpuE9ELNS1_3repE0EEENS1_30default_config_static_selectorELNS0_4arch9wavefront6targetE0EEEvT1_, .Lfunc_end135-_ZN7rocprim17ROCPRIM_400000_NS6detail17trampoline_kernelINS0_14default_configENS1_25partition_config_selectorILNS1_17partition_subalgoE5ElNS0_10empty_typeEbEEZZNS1_14partition_implILS5_5ELb0ES3_mN6hipcub16HIPCUB_304000_NS21CountingInputIteratorIllEEPS6_NSA_22TransformInputIteratorIbN2at6native12_GLOBAL__N_19NonZeroOpIaEEPKalEENS0_5tupleIJPlS6_EEENSN_IJSD_SD_EEES6_PiJS6_EEE10hipError_tPvRmT3_T4_T5_T6_T7_T9_mT8_P12ihipStream_tbDpT10_ENKUlT_T0_E_clISt17integral_constantIbLb1EES1A_IbLb0EEEEDaS16_S17_EUlS16_E_NS1_11comp_targetILNS1_3genE5ELNS1_11target_archE942ELNS1_3gpuE9ELNS1_3repE0EEENS1_30default_config_static_selectorELNS0_4arch9wavefront6targetE0EEEvT1_
                                        ; -- End function
	.set _ZN7rocprim17ROCPRIM_400000_NS6detail17trampoline_kernelINS0_14default_configENS1_25partition_config_selectorILNS1_17partition_subalgoE5ElNS0_10empty_typeEbEEZZNS1_14partition_implILS5_5ELb0ES3_mN6hipcub16HIPCUB_304000_NS21CountingInputIteratorIllEEPS6_NSA_22TransformInputIteratorIbN2at6native12_GLOBAL__N_19NonZeroOpIaEEPKalEENS0_5tupleIJPlS6_EEENSN_IJSD_SD_EEES6_PiJS6_EEE10hipError_tPvRmT3_T4_T5_T6_T7_T9_mT8_P12ihipStream_tbDpT10_ENKUlT_T0_E_clISt17integral_constantIbLb1EES1A_IbLb0EEEEDaS16_S17_EUlS16_E_NS1_11comp_targetILNS1_3genE5ELNS1_11target_archE942ELNS1_3gpuE9ELNS1_3repE0EEENS1_30default_config_static_selectorELNS0_4arch9wavefront6targetE0EEEvT1_.num_vgpr, 0
	.set _ZN7rocprim17ROCPRIM_400000_NS6detail17trampoline_kernelINS0_14default_configENS1_25partition_config_selectorILNS1_17partition_subalgoE5ElNS0_10empty_typeEbEEZZNS1_14partition_implILS5_5ELb0ES3_mN6hipcub16HIPCUB_304000_NS21CountingInputIteratorIllEEPS6_NSA_22TransformInputIteratorIbN2at6native12_GLOBAL__N_19NonZeroOpIaEEPKalEENS0_5tupleIJPlS6_EEENSN_IJSD_SD_EEES6_PiJS6_EEE10hipError_tPvRmT3_T4_T5_T6_T7_T9_mT8_P12ihipStream_tbDpT10_ENKUlT_T0_E_clISt17integral_constantIbLb1EES1A_IbLb0EEEEDaS16_S17_EUlS16_E_NS1_11comp_targetILNS1_3genE5ELNS1_11target_archE942ELNS1_3gpuE9ELNS1_3repE0EEENS1_30default_config_static_selectorELNS0_4arch9wavefront6targetE0EEEvT1_.num_agpr, 0
	.set _ZN7rocprim17ROCPRIM_400000_NS6detail17trampoline_kernelINS0_14default_configENS1_25partition_config_selectorILNS1_17partition_subalgoE5ElNS0_10empty_typeEbEEZZNS1_14partition_implILS5_5ELb0ES3_mN6hipcub16HIPCUB_304000_NS21CountingInputIteratorIllEEPS6_NSA_22TransformInputIteratorIbN2at6native12_GLOBAL__N_19NonZeroOpIaEEPKalEENS0_5tupleIJPlS6_EEENSN_IJSD_SD_EEES6_PiJS6_EEE10hipError_tPvRmT3_T4_T5_T6_T7_T9_mT8_P12ihipStream_tbDpT10_ENKUlT_T0_E_clISt17integral_constantIbLb1EES1A_IbLb0EEEEDaS16_S17_EUlS16_E_NS1_11comp_targetILNS1_3genE5ELNS1_11target_archE942ELNS1_3gpuE9ELNS1_3repE0EEENS1_30default_config_static_selectorELNS0_4arch9wavefront6targetE0EEEvT1_.numbered_sgpr, 0
	.set _ZN7rocprim17ROCPRIM_400000_NS6detail17trampoline_kernelINS0_14default_configENS1_25partition_config_selectorILNS1_17partition_subalgoE5ElNS0_10empty_typeEbEEZZNS1_14partition_implILS5_5ELb0ES3_mN6hipcub16HIPCUB_304000_NS21CountingInputIteratorIllEEPS6_NSA_22TransformInputIteratorIbN2at6native12_GLOBAL__N_19NonZeroOpIaEEPKalEENS0_5tupleIJPlS6_EEENSN_IJSD_SD_EEES6_PiJS6_EEE10hipError_tPvRmT3_T4_T5_T6_T7_T9_mT8_P12ihipStream_tbDpT10_ENKUlT_T0_E_clISt17integral_constantIbLb1EES1A_IbLb0EEEEDaS16_S17_EUlS16_E_NS1_11comp_targetILNS1_3genE5ELNS1_11target_archE942ELNS1_3gpuE9ELNS1_3repE0EEENS1_30default_config_static_selectorELNS0_4arch9wavefront6targetE0EEEvT1_.num_named_barrier, 0
	.set _ZN7rocprim17ROCPRIM_400000_NS6detail17trampoline_kernelINS0_14default_configENS1_25partition_config_selectorILNS1_17partition_subalgoE5ElNS0_10empty_typeEbEEZZNS1_14partition_implILS5_5ELb0ES3_mN6hipcub16HIPCUB_304000_NS21CountingInputIteratorIllEEPS6_NSA_22TransformInputIteratorIbN2at6native12_GLOBAL__N_19NonZeroOpIaEEPKalEENS0_5tupleIJPlS6_EEENSN_IJSD_SD_EEES6_PiJS6_EEE10hipError_tPvRmT3_T4_T5_T6_T7_T9_mT8_P12ihipStream_tbDpT10_ENKUlT_T0_E_clISt17integral_constantIbLb1EES1A_IbLb0EEEEDaS16_S17_EUlS16_E_NS1_11comp_targetILNS1_3genE5ELNS1_11target_archE942ELNS1_3gpuE9ELNS1_3repE0EEENS1_30default_config_static_selectorELNS0_4arch9wavefront6targetE0EEEvT1_.private_seg_size, 0
	.set _ZN7rocprim17ROCPRIM_400000_NS6detail17trampoline_kernelINS0_14default_configENS1_25partition_config_selectorILNS1_17partition_subalgoE5ElNS0_10empty_typeEbEEZZNS1_14partition_implILS5_5ELb0ES3_mN6hipcub16HIPCUB_304000_NS21CountingInputIteratorIllEEPS6_NSA_22TransformInputIteratorIbN2at6native12_GLOBAL__N_19NonZeroOpIaEEPKalEENS0_5tupleIJPlS6_EEENSN_IJSD_SD_EEES6_PiJS6_EEE10hipError_tPvRmT3_T4_T5_T6_T7_T9_mT8_P12ihipStream_tbDpT10_ENKUlT_T0_E_clISt17integral_constantIbLb1EES1A_IbLb0EEEEDaS16_S17_EUlS16_E_NS1_11comp_targetILNS1_3genE5ELNS1_11target_archE942ELNS1_3gpuE9ELNS1_3repE0EEENS1_30default_config_static_selectorELNS0_4arch9wavefront6targetE0EEEvT1_.uses_vcc, 0
	.set _ZN7rocprim17ROCPRIM_400000_NS6detail17trampoline_kernelINS0_14default_configENS1_25partition_config_selectorILNS1_17partition_subalgoE5ElNS0_10empty_typeEbEEZZNS1_14partition_implILS5_5ELb0ES3_mN6hipcub16HIPCUB_304000_NS21CountingInputIteratorIllEEPS6_NSA_22TransformInputIteratorIbN2at6native12_GLOBAL__N_19NonZeroOpIaEEPKalEENS0_5tupleIJPlS6_EEENSN_IJSD_SD_EEES6_PiJS6_EEE10hipError_tPvRmT3_T4_T5_T6_T7_T9_mT8_P12ihipStream_tbDpT10_ENKUlT_T0_E_clISt17integral_constantIbLb1EES1A_IbLb0EEEEDaS16_S17_EUlS16_E_NS1_11comp_targetILNS1_3genE5ELNS1_11target_archE942ELNS1_3gpuE9ELNS1_3repE0EEENS1_30default_config_static_selectorELNS0_4arch9wavefront6targetE0EEEvT1_.uses_flat_scratch, 0
	.set _ZN7rocprim17ROCPRIM_400000_NS6detail17trampoline_kernelINS0_14default_configENS1_25partition_config_selectorILNS1_17partition_subalgoE5ElNS0_10empty_typeEbEEZZNS1_14partition_implILS5_5ELb0ES3_mN6hipcub16HIPCUB_304000_NS21CountingInputIteratorIllEEPS6_NSA_22TransformInputIteratorIbN2at6native12_GLOBAL__N_19NonZeroOpIaEEPKalEENS0_5tupleIJPlS6_EEENSN_IJSD_SD_EEES6_PiJS6_EEE10hipError_tPvRmT3_T4_T5_T6_T7_T9_mT8_P12ihipStream_tbDpT10_ENKUlT_T0_E_clISt17integral_constantIbLb1EES1A_IbLb0EEEEDaS16_S17_EUlS16_E_NS1_11comp_targetILNS1_3genE5ELNS1_11target_archE942ELNS1_3gpuE9ELNS1_3repE0EEENS1_30default_config_static_selectorELNS0_4arch9wavefront6targetE0EEEvT1_.has_dyn_sized_stack, 0
	.set _ZN7rocprim17ROCPRIM_400000_NS6detail17trampoline_kernelINS0_14default_configENS1_25partition_config_selectorILNS1_17partition_subalgoE5ElNS0_10empty_typeEbEEZZNS1_14partition_implILS5_5ELb0ES3_mN6hipcub16HIPCUB_304000_NS21CountingInputIteratorIllEEPS6_NSA_22TransformInputIteratorIbN2at6native12_GLOBAL__N_19NonZeroOpIaEEPKalEENS0_5tupleIJPlS6_EEENSN_IJSD_SD_EEES6_PiJS6_EEE10hipError_tPvRmT3_T4_T5_T6_T7_T9_mT8_P12ihipStream_tbDpT10_ENKUlT_T0_E_clISt17integral_constantIbLb1EES1A_IbLb0EEEEDaS16_S17_EUlS16_E_NS1_11comp_targetILNS1_3genE5ELNS1_11target_archE942ELNS1_3gpuE9ELNS1_3repE0EEENS1_30default_config_static_selectorELNS0_4arch9wavefront6targetE0EEEvT1_.has_recursion, 0
	.set _ZN7rocprim17ROCPRIM_400000_NS6detail17trampoline_kernelINS0_14default_configENS1_25partition_config_selectorILNS1_17partition_subalgoE5ElNS0_10empty_typeEbEEZZNS1_14partition_implILS5_5ELb0ES3_mN6hipcub16HIPCUB_304000_NS21CountingInputIteratorIllEEPS6_NSA_22TransformInputIteratorIbN2at6native12_GLOBAL__N_19NonZeroOpIaEEPKalEENS0_5tupleIJPlS6_EEENSN_IJSD_SD_EEES6_PiJS6_EEE10hipError_tPvRmT3_T4_T5_T6_T7_T9_mT8_P12ihipStream_tbDpT10_ENKUlT_T0_E_clISt17integral_constantIbLb1EES1A_IbLb0EEEEDaS16_S17_EUlS16_E_NS1_11comp_targetILNS1_3genE5ELNS1_11target_archE942ELNS1_3gpuE9ELNS1_3repE0EEENS1_30default_config_static_selectorELNS0_4arch9wavefront6targetE0EEEvT1_.has_indirect_call, 0
	.section	.AMDGPU.csdata,"",@progbits
; Kernel info:
; codeLenInByte = 0
; TotalNumSgprs: 0
; NumVgprs: 0
; ScratchSize: 0
; MemoryBound: 0
; FloatMode: 240
; IeeeMode: 1
; LDSByteSize: 0 bytes/workgroup (compile time only)
; SGPRBlocks: 0
; VGPRBlocks: 0
; NumSGPRsForWavesPerEU: 1
; NumVGPRsForWavesPerEU: 1
; Occupancy: 16
; WaveLimiterHint : 0
; COMPUTE_PGM_RSRC2:SCRATCH_EN: 0
; COMPUTE_PGM_RSRC2:USER_SGPR: 2
; COMPUTE_PGM_RSRC2:TRAP_HANDLER: 0
; COMPUTE_PGM_RSRC2:TGID_X_EN: 1
; COMPUTE_PGM_RSRC2:TGID_Y_EN: 0
; COMPUTE_PGM_RSRC2:TGID_Z_EN: 0
; COMPUTE_PGM_RSRC2:TIDIG_COMP_CNT: 0
	.section	.text._ZN7rocprim17ROCPRIM_400000_NS6detail17trampoline_kernelINS0_14default_configENS1_25partition_config_selectorILNS1_17partition_subalgoE5ElNS0_10empty_typeEbEEZZNS1_14partition_implILS5_5ELb0ES3_mN6hipcub16HIPCUB_304000_NS21CountingInputIteratorIllEEPS6_NSA_22TransformInputIteratorIbN2at6native12_GLOBAL__N_19NonZeroOpIaEEPKalEENS0_5tupleIJPlS6_EEENSN_IJSD_SD_EEES6_PiJS6_EEE10hipError_tPvRmT3_T4_T5_T6_T7_T9_mT8_P12ihipStream_tbDpT10_ENKUlT_T0_E_clISt17integral_constantIbLb1EES1A_IbLb0EEEEDaS16_S17_EUlS16_E_NS1_11comp_targetILNS1_3genE4ELNS1_11target_archE910ELNS1_3gpuE8ELNS1_3repE0EEENS1_30default_config_static_selectorELNS0_4arch9wavefront6targetE0EEEvT1_,"axG",@progbits,_ZN7rocprim17ROCPRIM_400000_NS6detail17trampoline_kernelINS0_14default_configENS1_25partition_config_selectorILNS1_17partition_subalgoE5ElNS0_10empty_typeEbEEZZNS1_14partition_implILS5_5ELb0ES3_mN6hipcub16HIPCUB_304000_NS21CountingInputIteratorIllEEPS6_NSA_22TransformInputIteratorIbN2at6native12_GLOBAL__N_19NonZeroOpIaEEPKalEENS0_5tupleIJPlS6_EEENSN_IJSD_SD_EEES6_PiJS6_EEE10hipError_tPvRmT3_T4_T5_T6_T7_T9_mT8_P12ihipStream_tbDpT10_ENKUlT_T0_E_clISt17integral_constantIbLb1EES1A_IbLb0EEEEDaS16_S17_EUlS16_E_NS1_11comp_targetILNS1_3genE4ELNS1_11target_archE910ELNS1_3gpuE8ELNS1_3repE0EEENS1_30default_config_static_selectorELNS0_4arch9wavefront6targetE0EEEvT1_,comdat
	.globl	_ZN7rocprim17ROCPRIM_400000_NS6detail17trampoline_kernelINS0_14default_configENS1_25partition_config_selectorILNS1_17partition_subalgoE5ElNS0_10empty_typeEbEEZZNS1_14partition_implILS5_5ELb0ES3_mN6hipcub16HIPCUB_304000_NS21CountingInputIteratorIllEEPS6_NSA_22TransformInputIteratorIbN2at6native12_GLOBAL__N_19NonZeroOpIaEEPKalEENS0_5tupleIJPlS6_EEENSN_IJSD_SD_EEES6_PiJS6_EEE10hipError_tPvRmT3_T4_T5_T6_T7_T9_mT8_P12ihipStream_tbDpT10_ENKUlT_T0_E_clISt17integral_constantIbLb1EES1A_IbLb0EEEEDaS16_S17_EUlS16_E_NS1_11comp_targetILNS1_3genE4ELNS1_11target_archE910ELNS1_3gpuE8ELNS1_3repE0EEENS1_30default_config_static_selectorELNS0_4arch9wavefront6targetE0EEEvT1_ ; -- Begin function _ZN7rocprim17ROCPRIM_400000_NS6detail17trampoline_kernelINS0_14default_configENS1_25partition_config_selectorILNS1_17partition_subalgoE5ElNS0_10empty_typeEbEEZZNS1_14partition_implILS5_5ELb0ES3_mN6hipcub16HIPCUB_304000_NS21CountingInputIteratorIllEEPS6_NSA_22TransformInputIteratorIbN2at6native12_GLOBAL__N_19NonZeroOpIaEEPKalEENS0_5tupleIJPlS6_EEENSN_IJSD_SD_EEES6_PiJS6_EEE10hipError_tPvRmT3_T4_T5_T6_T7_T9_mT8_P12ihipStream_tbDpT10_ENKUlT_T0_E_clISt17integral_constantIbLb1EES1A_IbLb0EEEEDaS16_S17_EUlS16_E_NS1_11comp_targetILNS1_3genE4ELNS1_11target_archE910ELNS1_3gpuE8ELNS1_3repE0EEENS1_30default_config_static_selectorELNS0_4arch9wavefront6targetE0EEEvT1_
	.p2align	8
	.type	_ZN7rocprim17ROCPRIM_400000_NS6detail17trampoline_kernelINS0_14default_configENS1_25partition_config_selectorILNS1_17partition_subalgoE5ElNS0_10empty_typeEbEEZZNS1_14partition_implILS5_5ELb0ES3_mN6hipcub16HIPCUB_304000_NS21CountingInputIteratorIllEEPS6_NSA_22TransformInputIteratorIbN2at6native12_GLOBAL__N_19NonZeroOpIaEEPKalEENS0_5tupleIJPlS6_EEENSN_IJSD_SD_EEES6_PiJS6_EEE10hipError_tPvRmT3_T4_T5_T6_T7_T9_mT8_P12ihipStream_tbDpT10_ENKUlT_T0_E_clISt17integral_constantIbLb1EES1A_IbLb0EEEEDaS16_S17_EUlS16_E_NS1_11comp_targetILNS1_3genE4ELNS1_11target_archE910ELNS1_3gpuE8ELNS1_3repE0EEENS1_30default_config_static_selectorELNS0_4arch9wavefront6targetE0EEEvT1_,@function
_ZN7rocprim17ROCPRIM_400000_NS6detail17trampoline_kernelINS0_14default_configENS1_25partition_config_selectorILNS1_17partition_subalgoE5ElNS0_10empty_typeEbEEZZNS1_14partition_implILS5_5ELb0ES3_mN6hipcub16HIPCUB_304000_NS21CountingInputIteratorIllEEPS6_NSA_22TransformInputIteratorIbN2at6native12_GLOBAL__N_19NonZeroOpIaEEPKalEENS0_5tupleIJPlS6_EEENSN_IJSD_SD_EEES6_PiJS6_EEE10hipError_tPvRmT3_T4_T5_T6_T7_T9_mT8_P12ihipStream_tbDpT10_ENKUlT_T0_E_clISt17integral_constantIbLb1EES1A_IbLb0EEEEDaS16_S17_EUlS16_E_NS1_11comp_targetILNS1_3genE4ELNS1_11target_archE910ELNS1_3gpuE8ELNS1_3repE0EEENS1_30default_config_static_selectorELNS0_4arch9wavefront6targetE0EEEvT1_: ; @_ZN7rocprim17ROCPRIM_400000_NS6detail17trampoline_kernelINS0_14default_configENS1_25partition_config_selectorILNS1_17partition_subalgoE5ElNS0_10empty_typeEbEEZZNS1_14partition_implILS5_5ELb0ES3_mN6hipcub16HIPCUB_304000_NS21CountingInputIteratorIllEEPS6_NSA_22TransformInputIteratorIbN2at6native12_GLOBAL__N_19NonZeroOpIaEEPKalEENS0_5tupleIJPlS6_EEENSN_IJSD_SD_EEES6_PiJS6_EEE10hipError_tPvRmT3_T4_T5_T6_T7_T9_mT8_P12ihipStream_tbDpT10_ENKUlT_T0_E_clISt17integral_constantIbLb1EES1A_IbLb0EEEEDaS16_S17_EUlS16_E_NS1_11comp_targetILNS1_3genE4ELNS1_11target_archE910ELNS1_3gpuE8ELNS1_3repE0EEENS1_30default_config_static_selectorELNS0_4arch9wavefront6targetE0EEEvT1_
; %bb.0:
	.section	.rodata,"a",@progbits
	.p2align	6, 0x0
	.amdhsa_kernel _ZN7rocprim17ROCPRIM_400000_NS6detail17trampoline_kernelINS0_14default_configENS1_25partition_config_selectorILNS1_17partition_subalgoE5ElNS0_10empty_typeEbEEZZNS1_14partition_implILS5_5ELb0ES3_mN6hipcub16HIPCUB_304000_NS21CountingInputIteratorIllEEPS6_NSA_22TransformInputIteratorIbN2at6native12_GLOBAL__N_19NonZeroOpIaEEPKalEENS0_5tupleIJPlS6_EEENSN_IJSD_SD_EEES6_PiJS6_EEE10hipError_tPvRmT3_T4_T5_T6_T7_T9_mT8_P12ihipStream_tbDpT10_ENKUlT_T0_E_clISt17integral_constantIbLb1EES1A_IbLb0EEEEDaS16_S17_EUlS16_E_NS1_11comp_targetILNS1_3genE4ELNS1_11target_archE910ELNS1_3gpuE8ELNS1_3repE0EEENS1_30default_config_static_selectorELNS0_4arch9wavefront6targetE0EEEvT1_
		.amdhsa_group_segment_fixed_size 0
		.amdhsa_private_segment_fixed_size 0
		.amdhsa_kernarg_size 120
		.amdhsa_user_sgpr_count 2
		.amdhsa_user_sgpr_dispatch_ptr 0
		.amdhsa_user_sgpr_queue_ptr 0
		.amdhsa_user_sgpr_kernarg_segment_ptr 1
		.amdhsa_user_sgpr_dispatch_id 0
		.amdhsa_user_sgpr_private_segment_size 0
		.amdhsa_wavefront_size32 1
		.amdhsa_uses_dynamic_stack 0
		.amdhsa_enable_private_segment 0
		.amdhsa_system_sgpr_workgroup_id_x 1
		.amdhsa_system_sgpr_workgroup_id_y 0
		.amdhsa_system_sgpr_workgroup_id_z 0
		.amdhsa_system_sgpr_workgroup_info 0
		.amdhsa_system_vgpr_workitem_id 0
		.amdhsa_next_free_vgpr 1
		.amdhsa_next_free_sgpr 1
		.amdhsa_reserve_vcc 0
		.amdhsa_float_round_mode_32 0
		.amdhsa_float_round_mode_16_64 0
		.amdhsa_float_denorm_mode_32 3
		.amdhsa_float_denorm_mode_16_64 3
		.amdhsa_fp16_overflow 0
		.amdhsa_workgroup_processor_mode 1
		.amdhsa_memory_ordered 1
		.amdhsa_forward_progress 1
		.amdhsa_inst_pref_size 0
		.amdhsa_round_robin_scheduling 0
		.amdhsa_exception_fp_ieee_invalid_op 0
		.amdhsa_exception_fp_denorm_src 0
		.amdhsa_exception_fp_ieee_div_zero 0
		.amdhsa_exception_fp_ieee_overflow 0
		.amdhsa_exception_fp_ieee_underflow 0
		.amdhsa_exception_fp_ieee_inexact 0
		.amdhsa_exception_int_div_zero 0
	.end_amdhsa_kernel
	.section	.text._ZN7rocprim17ROCPRIM_400000_NS6detail17trampoline_kernelINS0_14default_configENS1_25partition_config_selectorILNS1_17partition_subalgoE5ElNS0_10empty_typeEbEEZZNS1_14partition_implILS5_5ELb0ES3_mN6hipcub16HIPCUB_304000_NS21CountingInputIteratorIllEEPS6_NSA_22TransformInputIteratorIbN2at6native12_GLOBAL__N_19NonZeroOpIaEEPKalEENS0_5tupleIJPlS6_EEENSN_IJSD_SD_EEES6_PiJS6_EEE10hipError_tPvRmT3_T4_T5_T6_T7_T9_mT8_P12ihipStream_tbDpT10_ENKUlT_T0_E_clISt17integral_constantIbLb1EES1A_IbLb0EEEEDaS16_S17_EUlS16_E_NS1_11comp_targetILNS1_3genE4ELNS1_11target_archE910ELNS1_3gpuE8ELNS1_3repE0EEENS1_30default_config_static_selectorELNS0_4arch9wavefront6targetE0EEEvT1_,"axG",@progbits,_ZN7rocprim17ROCPRIM_400000_NS6detail17trampoline_kernelINS0_14default_configENS1_25partition_config_selectorILNS1_17partition_subalgoE5ElNS0_10empty_typeEbEEZZNS1_14partition_implILS5_5ELb0ES3_mN6hipcub16HIPCUB_304000_NS21CountingInputIteratorIllEEPS6_NSA_22TransformInputIteratorIbN2at6native12_GLOBAL__N_19NonZeroOpIaEEPKalEENS0_5tupleIJPlS6_EEENSN_IJSD_SD_EEES6_PiJS6_EEE10hipError_tPvRmT3_T4_T5_T6_T7_T9_mT8_P12ihipStream_tbDpT10_ENKUlT_T0_E_clISt17integral_constantIbLb1EES1A_IbLb0EEEEDaS16_S17_EUlS16_E_NS1_11comp_targetILNS1_3genE4ELNS1_11target_archE910ELNS1_3gpuE8ELNS1_3repE0EEENS1_30default_config_static_selectorELNS0_4arch9wavefront6targetE0EEEvT1_,comdat
.Lfunc_end136:
	.size	_ZN7rocprim17ROCPRIM_400000_NS6detail17trampoline_kernelINS0_14default_configENS1_25partition_config_selectorILNS1_17partition_subalgoE5ElNS0_10empty_typeEbEEZZNS1_14partition_implILS5_5ELb0ES3_mN6hipcub16HIPCUB_304000_NS21CountingInputIteratorIllEEPS6_NSA_22TransformInputIteratorIbN2at6native12_GLOBAL__N_19NonZeroOpIaEEPKalEENS0_5tupleIJPlS6_EEENSN_IJSD_SD_EEES6_PiJS6_EEE10hipError_tPvRmT3_T4_T5_T6_T7_T9_mT8_P12ihipStream_tbDpT10_ENKUlT_T0_E_clISt17integral_constantIbLb1EES1A_IbLb0EEEEDaS16_S17_EUlS16_E_NS1_11comp_targetILNS1_3genE4ELNS1_11target_archE910ELNS1_3gpuE8ELNS1_3repE0EEENS1_30default_config_static_selectorELNS0_4arch9wavefront6targetE0EEEvT1_, .Lfunc_end136-_ZN7rocprim17ROCPRIM_400000_NS6detail17trampoline_kernelINS0_14default_configENS1_25partition_config_selectorILNS1_17partition_subalgoE5ElNS0_10empty_typeEbEEZZNS1_14partition_implILS5_5ELb0ES3_mN6hipcub16HIPCUB_304000_NS21CountingInputIteratorIllEEPS6_NSA_22TransformInputIteratorIbN2at6native12_GLOBAL__N_19NonZeroOpIaEEPKalEENS0_5tupleIJPlS6_EEENSN_IJSD_SD_EEES6_PiJS6_EEE10hipError_tPvRmT3_T4_T5_T6_T7_T9_mT8_P12ihipStream_tbDpT10_ENKUlT_T0_E_clISt17integral_constantIbLb1EES1A_IbLb0EEEEDaS16_S17_EUlS16_E_NS1_11comp_targetILNS1_3genE4ELNS1_11target_archE910ELNS1_3gpuE8ELNS1_3repE0EEENS1_30default_config_static_selectorELNS0_4arch9wavefront6targetE0EEEvT1_
                                        ; -- End function
	.set _ZN7rocprim17ROCPRIM_400000_NS6detail17trampoline_kernelINS0_14default_configENS1_25partition_config_selectorILNS1_17partition_subalgoE5ElNS0_10empty_typeEbEEZZNS1_14partition_implILS5_5ELb0ES3_mN6hipcub16HIPCUB_304000_NS21CountingInputIteratorIllEEPS6_NSA_22TransformInputIteratorIbN2at6native12_GLOBAL__N_19NonZeroOpIaEEPKalEENS0_5tupleIJPlS6_EEENSN_IJSD_SD_EEES6_PiJS6_EEE10hipError_tPvRmT3_T4_T5_T6_T7_T9_mT8_P12ihipStream_tbDpT10_ENKUlT_T0_E_clISt17integral_constantIbLb1EES1A_IbLb0EEEEDaS16_S17_EUlS16_E_NS1_11comp_targetILNS1_3genE4ELNS1_11target_archE910ELNS1_3gpuE8ELNS1_3repE0EEENS1_30default_config_static_selectorELNS0_4arch9wavefront6targetE0EEEvT1_.num_vgpr, 0
	.set _ZN7rocprim17ROCPRIM_400000_NS6detail17trampoline_kernelINS0_14default_configENS1_25partition_config_selectorILNS1_17partition_subalgoE5ElNS0_10empty_typeEbEEZZNS1_14partition_implILS5_5ELb0ES3_mN6hipcub16HIPCUB_304000_NS21CountingInputIteratorIllEEPS6_NSA_22TransformInputIteratorIbN2at6native12_GLOBAL__N_19NonZeroOpIaEEPKalEENS0_5tupleIJPlS6_EEENSN_IJSD_SD_EEES6_PiJS6_EEE10hipError_tPvRmT3_T4_T5_T6_T7_T9_mT8_P12ihipStream_tbDpT10_ENKUlT_T0_E_clISt17integral_constantIbLb1EES1A_IbLb0EEEEDaS16_S17_EUlS16_E_NS1_11comp_targetILNS1_3genE4ELNS1_11target_archE910ELNS1_3gpuE8ELNS1_3repE0EEENS1_30default_config_static_selectorELNS0_4arch9wavefront6targetE0EEEvT1_.num_agpr, 0
	.set _ZN7rocprim17ROCPRIM_400000_NS6detail17trampoline_kernelINS0_14default_configENS1_25partition_config_selectorILNS1_17partition_subalgoE5ElNS0_10empty_typeEbEEZZNS1_14partition_implILS5_5ELb0ES3_mN6hipcub16HIPCUB_304000_NS21CountingInputIteratorIllEEPS6_NSA_22TransformInputIteratorIbN2at6native12_GLOBAL__N_19NonZeroOpIaEEPKalEENS0_5tupleIJPlS6_EEENSN_IJSD_SD_EEES6_PiJS6_EEE10hipError_tPvRmT3_T4_T5_T6_T7_T9_mT8_P12ihipStream_tbDpT10_ENKUlT_T0_E_clISt17integral_constantIbLb1EES1A_IbLb0EEEEDaS16_S17_EUlS16_E_NS1_11comp_targetILNS1_3genE4ELNS1_11target_archE910ELNS1_3gpuE8ELNS1_3repE0EEENS1_30default_config_static_selectorELNS0_4arch9wavefront6targetE0EEEvT1_.numbered_sgpr, 0
	.set _ZN7rocprim17ROCPRIM_400000_NS6detail17trampoline_kernelINS0_14default_configENS1_25partition_config_selectorILNS1_17partition_subalgoE5ElNS0_10empty_typeEbEEZZNS1_14partition_implILS5_5ELb0ES3_mN6hipcub16HIPCUB_304000_NS21CountingInputIteratorIllEEPS6_NSA_22TransformInputIteratorIbN2at6native12_GLOBAL__N_19NonZeroOpIaEEPKalEENS0_5tupleIJPlS6_EEENSN_IJSD_SD_EEES6_PiJS6_EEE10hipError_tPvRmT3_T4_T5_T6_T7_T9_mT8_P12ihipStream_tbDpT10_ENKUlT_T0_E_clISt17integral_constantIbLb1EES1A_IbLb0EEEEDaS16_S17_EUlS16_E_NS1_11comp_targetILNS1_3genE4ELNS1_11target_archE910ELNS1_3gpuE8ELNS1_3repE0EEENS1_30default_config_static_selectorELNS0_4arch9wavefront6targetE0EEEvT1_.num_named_barrier, 0
	.set _ZN7rocprim17ROCPRIM_400000_NS6detail17trampoline_kernelINS0_14default_configENS1_25partition_config_selectorILNS1_17partition_subalgoE5ElNS0_10empty_typeEbEEZZNS1_14partition_implILS5_5ELb0ES3_mN6hipcub16HIPCUB_304000_NS21CountingInputIteratorIllEEPS6_NSA_22TransformInputIteratorIbN2at6native12_GLOBAL__N_19NonZeroOpIaEEPKalEENS0_5tupleIJPlS6_EEENSN_IJSD_SD_EEES6_PiJS6_EEE10hipError_tPvRmT3_T4_T5_T6_T7_T9_mT8_P12ihipStream_tbDpT10_ENKUlT_T0_E_clISt17integral_constantIbLb1EES1A_IbLb0EEEEDaS16_S17_EUlS16_E_NS1_11comp_targetILNS1_3genE4ELNS1_11target_archE910ELNS1_3gpuE8ELNS1_3repE0EEENS1_30default_config_static_selectorELNS0_4arch9wavefront6targetE0EEEvT1_.private_seg_size, 0
	.set _ZN7rocprim17ROCPRIM_400000_NS6detail17trampoline_kernelINS0_14default_configENS1_25partition_config_selectorILNS1_17partition_subalgoE5ElNS0_10empty_typeEbEEZZNS1_14partition_implILS5_5ELb0ES3_mN6hipcub16HIPCUB_304000_NS21CountingInputIteratorIllEEPS6_NSA_22TransformInputIteratorIbN2at6native12_GLOBAL__N_19NonZeroOpIaEEPKalEENS0_5tupleIJPlS6_EEENSN_IJSD_SD_EEES6_PiJS6_EEE10hipError_tPvRmT3_T4_T5_T6_T7_T9_mT8_P12ihipStream_tbDpT10_ENKUlT_T0_E_clISt17integral_constantIbLb1EES1A_IbLb0EEEEDaS16_S17_EUlS16_E_NS1_11comp_targetILNS1_3genE4ELNS1_11target_archE910ELNS1_3gpuE8ELNS1_3repE0EEENS1_30default_config_static_selectorELNS0_4arch9wavefront6targetE0EEEvT1_.uses_vcc, 0
	.set _ZN7rocprim17ROCPRIM_400000_NS6detail17trampoline_kernelINS0_14default_configENS1_25partition_config_selectorILNS1_17partition_subalgoE5ElNS0_10empty_typeEbEEZZNS1_14partition_implILS5_5ELb0ES3_mN6hipcub16HIPCUB_304000_NS21CountingInputIteratorIllEEPS6_NSA_22TransformInputIteratorIbN2at6native12_GLOBAL__N_19NonZeroOpIaEEPKalEENS0_5tupleIJPlS6_EEENSN_IJSD_SD_EEES6_PiJS6_EEE10hipError_tPvRmT3_T4_T5_T6_T7_T9_mT8_P12ihipStream_tbDpT10_ENKUlT_T0_E_clISt17integral_constantIbLb1EES1A_IbLb0EEEEDaS16_S17_EUlS16_E_NS1_11comp_targetILNS1_3genE4ELNS1_11target_archE910ELNS1_3gpuE8ELNS1_3repE0EEENS1_30default_config_static_selectorELNS0_4arch9wavefront6targetE0EEEvT1_.uses_flat_scratch, 0
	.set _ZN7rocprim17ROCPRIM_400000_NS6detail17trampoline_kernelINS0_14default_configENS1_25partition_config_selectorILNS1_17partition_subalgoE5ElNS0_10empty_typeEbEEZZNS1_14partition_implILS5_5ELb0ES3_mN6hipcub16HIPCUB_304000_NS21CountingInputIteratorIllEEPS6_NSA_22TransformInputIteratorIbN2at6native12_GLOBAL__N_19NonZeroOpIaEEPKalEENS0_5tupleIJPlS6_EEENSN_IJSD_SD_EEES6_PiJS6_EEE10hipError_tPvRmT3_T4_T5_T6_T7_T9_mT8_P12ihipStream_tbDpT10_ENKUlT_T0_E_clISt17integral_constantIbLb1EES1A_IbLb0EEEEDaS16_S17_EUlS16_E_NS1_11comp_targetILNS1_3genE4ELNS1_11target_archE910ELNS1_3gpuE8ELNS1_3repE0EEENS1_30default_config_static_selectorELNS0_4arch9wavefront6targetE0EEEvT1_.has_dyn_sized_stack, 0
	.set _ZN7rocprim17ROCPRIM_400000_NS6detail17trampoline_kernelINS0_14default_configENS1_25partition_config_selectorILNS1_17partition_subalgoE5ElNS0_10empty_typeEbEEZZNS1_14partition_implILS5_5ELb0ES3_mN6hipcub16HIPCUB_304000_NS21CountingInputIteratorIllEEPS6_NSA_22TransformInputIteratorIbN2at6native12_GLOBAL__N_19NonZeroOpIaEEPKalEENS0_5tupleIJPlS6_EEENSN_IJSD_SD_EEES6_PiJS6_EEE10hipError_tPvRmT3_T4_T5_T6_T7_T9_mT8_P12ihipStream_tbDpT10_ENKUlT_T0_E_clISt17integral_constantIbLb1EES1A_IbLb0EEEEDaS16_S17_EUlS16_E_NS1_11comp_targetILNS1_3genE4ELNS1_11target_archE910ELNS1_3gpuE8ELNS1_3repE0EEENS1_30default_config_static_selectorELNS0_4arch9wavefront6targetE0EEEvT1_.has_recursion, 0
	.set _ZN7rocprim17ROCPRIM_400000_NS6detail17trampoline_kernelINS0_14default_configENS1_25partition_config_selectorILNS1_17partition_subalgoE5ElNS0_10empty_typeEbEEZZNS1_14partition_implILS5_5ELb0ES3_mN6hipcub16HIPCUB_304000_NS21CountingInputIteratorIllEEPS6_NSA_22TransformInputIteratorIbN2at6native12_GLOBAL__N_19NonZeroOpIaEEPKalEENS0_5tupleIJPlS6_EEENSN_IJSD_SD_EEES6_PiJS6_EEE10hipError_tPvRmT3_T4_T5_T6_T7_T9_mT8_P12ihipStream_tbDpT10_ENKUlT_T0_E_clISt17integral_constantIbLb1EES1A_IbLb0EEEEDaS16_S17_EUlS16_E_NS1_11comp_targetILNS1_3genE4ELNS1_11target_archE910ELNS1_3gpuE8ELNS1_3repE0EEENS1_30default_config_static_selectorELNS0_4arch9wavefront6targetE0EEEvT1_.has_indirect_call, 0
	.section	.AMDGPU.csdata,"",@progbits
; Kernel info:
; codeLenInByte = 0
; TotalNumSgprs: 0
; NumVgprs: 0
; ScratchSize: 0
; MemoryBound: 0
; FloatMode: 240
; IeeeMode: 1
; LDSByteSize: 0 bytes/workgroup (compile time only)
; SGPRBlocks: 0
; VGPRBlocks: 0
; NumSGPRsForWavesPerEU: 1
; NumVGPRsForWavesPerEU: 1
; Occupancy: 16
; WaveLimiterHint : 0
; COMPUTE_PGM_RSRC2:SCRATCH_EN: 0
; COMPUTE_PGM_RSRC2:USER_SGPR: 2
; COMPUTE_PGM_RSRC2:TRAP_HANDLER: 0
; COMPUTE_PGM_RSRC2:TGID_X_EN: 1
; COMPUTE_PGM_RSRC2:TGID_Y_EN: 0
; COMPUTE_PGM_RSRC2:TGID_Z_EN: 0
; COMPUTE_PGM_RSRC2:TIDIG_COMP_CNT: 0
	.section	.text._ZN7rocprim17ROCPRIM_400000_NS6detail17trampoline_kernelINS0_14default_configENS1_25partition_config_selectorILNS1_17partition_subalgoE5ElNS0_10empty_typeEbEEZZNS1_14partition_implILS5_5ELb0ES3_mN6hipcub16HIPCUB_304000_NS21CountingInputIteratorIllEEPS6_NSA_22TransformInputIteratorIbN2at6native12_GLOBAL__N_19NonZeroOpIaEEPKalEENS0_5tupleIJPlS6_EEENSN_IJSD_SD_EEES6_PiJS6_EEE10hipError_tPvRmT3_T4_T5_T6_T7_T9_mT8_P12ihipStream_tbDpT10_ENKUlT_T0_E_clISt17integral_constantIbLb1EES1A_IbLb0EEEEDaS16_S17_EUlS16_E_NS1_11comp_targetILNS1_3genE3ELNS1_11target_archE908ELNS1_3gpuE7ELNS1_3repE0EEENS1_30default_config_static_selectorELNS0_4arch9wavefront6targetE0EEEvT1_,"axG",@progbits,_ZN7rocprim17ROCPRIM_400000_NS6detail17trampoline_kernelINS0_14default_configENS1_25partition_config_selectorILNS1_17partition_subalgoE5ElNS0_10empty_typeEbEEZZNS1_14partition_implILS5_5ELb0ES3_mN6hipcub16HIPCUB_304000_NS21CountingInputIteratorIllEEPS6_NSA_22TransformInputIteratorIbN2at6native12_GLOBAL__N_19NonZeroOpIaEEPKalEENS0_5tupleIJPlS6_EEENSN_IJSD_SD_EEES6_PiJS6_EEE10hipError_tPvRmT3_T4_T5_T6_T7_T9_mT8_P12ihipStream_tbDpT10_ENKUlT_T0_E_clISt17integral_constantIbLb1EES1A_IbLb0EEEEDaS16_S17_EUlS16_E_NS1_11comp_targetILNS1_3genE3ELNS1_11target_archE908ELNS1_3gpuE7ELNS1_3repE0EEENS1_30default_config_static_selectorELNS0_4arch9wavefront6targetE0EEEvT1_,comdat
	.globl	_ZN7rocprim17ROCPRIM_400000_NS6detail17trampoline_kernelINS0_14default_configENS1_25partition_config_selectorILNS1_17partition_subalgoE5ElNS0_10empty_typeEbEEZZNS1_14partition_implILS5_5ELb0ES3_mN6hipcub16HIPCUB_304000_NS21CountingInputIteratorIllEEPS6_NSA_22TransformInputIteratorIbN2at6native12_GLOBAL__N_19NonZeroOpIaEEPKalEENS0_5tupleIJPlS6_EEENSN_IJSD_SD_EEES6_PiJS6_EEE10hipError_tPvRmT3_T4_T5_T6_T7_T9_mT8_P12ihipStream_tbDpT10_ENKUlT_T0_E_clISt17integral_constantIbLb1EES1A_IbLb0EEEEDaS16_S17_EUlS16_E_NS1_11comp_targetILNS1_3genE3ELNS1_11target_archE908ELNS1_3gpuE7ELNS1_3repE0EEENS1_30default_config_static_selectorELNS0_4arch9wavefront6targetE0EEEvT1_ ; -- Begin function _ZN7rocprim17ROCPRIM_400000_NS6detail17trampoline_kernelINS0_14default_configENS1_25partition_config_selectorILNS1_17partition_subalgoE5ElNS0_10empty_typeEbEEZZNS1_14partition_implILS5_5ELb0ES3_mN6hipcub16HIPCUB_304000_NS21CountingInputIteratorIllEEPS6_NSA_22TransformInputIteratorIbN2at6native12_GLOBAL__N_19NonZeroOpIaEEPKalEENS0_5tupleIJPlS6_EEENSN_IJSD_SD_EEES6_PiJS6_EEE10hipError_tPvRmT3_T4_T5_T6_T7_T9_mT8_P12ihipStream_tbDpT10_ENKUlT_T0_E_clISt17integral_constantIbLb1EES1A_IbLb0EEEEDaS16_S17_EUlS16_E_NS1_11comp_targetILNS1_3genE3ELNS1_11target_archE908ELNS1_3gpuE7ELNS1_3repE0EEENS1_30default_config_static_selectorELNS0_4arch9wavefront6targetE0EEEvT1_
	.p2align	8
	.type	_ZN7rocprim17ROCPRIM_400000_NS6detail17trampoline_kernelINS0_14default_configENS1_25partition_config_selectorILNS1_17partition_subalgoE5ElNS0_10empty_typeEbEEZZNS1_14partition_implILS5_5ELb0ES3_mN6hipcub16HIPCUB_304000_NS21CountingInputIteratorIllEEPS6_NSA_22TransformInputIteratorIbN2at6native12_GLOBAL__N_19NonZeroOpIaEEPKalEENS0_5tupleIJPlS6_EEENSN_IJSD_SD_EEES6_PiJS6_EEE10hipError_tPvRmT3_T4_T5_T6_T7_T9_mT8_P12ihipStream_tbDpT10_ENKUlT_T0_E_clISt17integral_constantIbLb1EES1A_IbLb0EEEEDaS16_S17_EUlS16_E_NS1_11comp_targetILNS1_3genE3ELNS1_11target_archE908ELNS1_3gpuE7ELNS1_3repE0EEENS1_30default_config_static_selectorELNS0_4arch9wavefront6targetE0EEEvT1_,@function
_ZN7rocprim17ROCPRIM_400000_NS6detail17trampoline_kernelINS0_14default_configENS1_25partition_config_selectorILNS1_17partition_subalgoE5ElNS0_10empty_typeEbEEZZNS1_14partition_implILS5_5ELb0ES3_mN6hipcub16HIPCUB_304000_NS21CountingInputIteratorIllEEPS6_NSA_22TransformInputIteratorIbN2at6native12_GLOBAL__N_19NonZeroOpIaEEPKalEENS0_5tupleIJPlS6_EEENSN_IJSD_SD_EEES6_PiJS6_EEE10hipError_tPvRmT3_T4_T5_T6_T7_T9_mT8_P12ihipStream_tbDpT10_ENKUlT_T0_E_clISt17integral_constantIbLb1EES1A_IbLb0EEEEDaS16_S17_EUlS16_E_NS1_11comp_targetILNS1_3genE3ELNS1_11target_archE908ELNS1_3gpuE7ELNS1_3repE0EEENS1_30default_config_static_selectorELNS0_4arch9wavefront6targetE0EEEvT1_: ; @_ZN7rocprim17ROCPRIM_400000_NS6detail17trampoline_kernelINS0_14default_configENS1_25partition_config_selectorILNS1_17partition_subalgoE5ElNS0_10empty_typeEbEEZZNS1_14partition_implILS5_5ELb0ES3_mN6hipcub16HIPCUB_304000_NS21CountingInputIteratorIllEEPS6_NSA_22TransformInputIteratorIbN2at6native12_GLOBAL__N_19NonZeroOpIaEEPKalEENS0_5tupleIJPlS6_EEENSN_IJSD_SD_EEES6_PiJS6_EEE10hipError_tPvRmT3_T4_T5_T6_T7_T9_mT8_P12ihipStream_tbDpT10_ENKUlT_T0_E_clISt17integral_constantIbLb1EES1A_IbLb0EEEEDaS16_S17_EUlS16_E_NS1_11comp_targetILNS1_3genE3ELNS1_11target_archE908ELNS1_3gpuE7ELNS1_3repE0EEENS1_30default_config_static_selectorELNS0_4arch9wavefront6targetE0EEEvT1_
; %bb.0:
	.section	.rodata,"a",@progbits
	.p2align	6, 0x0
	.amdhsa_kernel _ZN7rocprim17ROCPRIM_400000_NS6detail17trampoline_kernelINS0_14default_configENS1_25partition_config_selectorILNS1_17partition_subalgoE5ElNS0_10empty_typeEbEEZZNS1_14partition_implILS5_5ELb0ES3_mN6hipcub16HIPCUB_304000_NS21CountingInputIteratorIllEEPS6_NSA_22TransformInputIteratorIbN2at6native12_GLOBAL__N_19NonZeroOpIaEEPKalEENS0_5tupleIJPlS6_EEENSN_IJSD_SD_EEES6_PiJS6_EEE10hipError_tPvRmT3_T4_T5_T6_T7_T9_mT8_P12ihipStream_tbDpT10_ENKUlT_T0_E_clISt17integral_constantIbLb1EES1A_IbLb0EEEEDaS16_S17_EUlS16_E_NS1_11comp_targetILNS1_3genE3ELNS1_11target_archE908ELNS1_3gpuE7ELNS1_3repE0EEENS1_30default_config_static_selectorELNS0_4arch9wavefront6targetE0EEEvT1_
		.amdhsa_group_segment_fixed_size 0
		.amdhsa_private_segment_fixed_size 0
		.amdhsa_kernarg_size 120
		.amdhsa_user_sgpr_count 2
		.amdhsa_user_sgpr_dispatch_ptr 0
		.amdhsa_user_sgpr_queue_ptr 0
		.amdhsa_user_sgpr_kernarg_segment_ptr 1
		.amdhsa_user_sgpr_dispatch_id 0
		.amdhsa_user_sgpr_private_segment_size 0
		.amdhsa_wavefront_size32 1
		.amdhsa_uses_dynamic_stack 0
		.amdhsa_enable_private_segment 0
		.amdhsa_system_sgpr_workgroup_id_x 1
		.amdhsa_system_sgpr_workgroup_id_y 0
		.amdhsa_system_sgpr_workgroup_id_z 0
		.amdhsa_system_sgpr_workgroup_info 0
		.amdhsa_system_vgpr_workitem_id 0
		.amdhsa_next_free_vgpr 1
		.amdhsa_next_free_sgpr 1
		.amdhsa_reserve_vcc 0
		.amdhsa_float_round_mode_32 0
		.amdhsa_float_round_mode_16_64 0
		.amdhsa_float_denorm_mode_32 3
		.amdhsa_float_denorm_mode_16_64 3
		.amdhsa_fp16_overflow 0
		.amdhsa_workgroup_processor_mode 1
		.amdhsa_memory_ordered 1
		.amdhsa_forward_progress 1
		.amdhsa_inst_pref_size 0
		.amdhsa_round_robin_scheduling 0
		.amdhsa_exception_fp_ieee_invalid_op 0
		.amdhsa_exception_fp_denorm_src 0
		.amdhsa_exception_fp_ieee_div_zero 0
		.amdhsa_exception_fp_ieee_overflow 0
		.amdhsa_exception_fp_ieee_underflow 0
		.amdhsa_exception_fp_ieee_inexact 0
		.amdhsa_exception_int_div_zero 0
	.end_amdhsa_kernel
	.section	.text._ZN7rocprim17ROCPRIM_400000_NS6detail17trampoline_kernelINS0_14default_configENS1_25partition_config_selectorILNS1_17partition_subalgoE5ElNS0_10empty_typeEbEEZZNS1_14partition_implILS5_5ELb0ES3_mN6hipcub16HIPCUB_304000_NS21CountingInputIteratorIllEEPS6_NSA_22TransformInputIteratorIbN2at6native12_GLOBAL__N_19NonZeroOpIaEEPKalEENS0_5tupleIJPlS6_EEENSN_IJSD_SD_EEES6_PiJS6_EEE10hipError_tPvRmT3_T4_T5_T6_T7_T9_mT8_P12ihipStream_tbDpT10_ENKUlT_T0_E_clISt17integral_constantIbLb1EES1A_IbLb0EEEEDaS16_S17_EUlS16_E_NS1_11comp_targetILNS1_3genE3ELNS1_11target_archE908ELNS1_3gpuE7ELNS1_3repE0EEENS1_30default_config_static_selectorELNS0_4arch9wavefront6targetE0EEEvT1_,"axG",@progbits,_ZN7rocprim17ROCPRIM_400000_NS6detail17trampoline_kernelINS0_14default_configENS1_25partition_config_selectorILNS1_17partition_subalgoE5ElNS0_10empty_typeEbEEZZNS1_14partition_implILS5_5ELb0ES3_mN6hipcub16HIPCUB_304000_NS21CountingInputIteratorIllEEPS6_NSA_22TransformInputIteratorIbN2at6native12_GLOBAL__N_19NonZeroOpIaEEPKalEENS0_5tupleIJPlS6_EEENSN_IJSD_SD_EEES6_PiJS6_EEE10hipError_tPvRmT3_T4_T5_T6_T7_T9_mT8_P12ihipStream_tbDpT10_ENKUlT_T0_E_clISt17integral_constantIbLb1EES1A_IbLb0EEEEDaS16_S17_EUlS16_E_NS1_11comp_targetILNS1_3genE3ELNS1_11target_archE908ELNS1_3gpuE7ELNS1_3repE0EEENS1_30default_config_static_selectorELNS0_4arch9wavefront6targetE0EEEvT1_,comdat
.Lfunc_end137:
	.size	_ZN7rocprim17ROCPRIM_400000_NS6detail17trampoline_kernelINS0_14default_configENS1_25partition_config_selectorILNS1_17partition_subalgoE5ElNS0_10empty_typeEbEEZZNS1_14partition_implILS5_5ELb0ES3_mN6hipcub16HIPCUB_304000_NS21CountingInputIteratorIllEEPS6_NSA_22TransformInputIteratorIbN2at6native12_GLOBAL__N_19NonZeroOpIaEEPKalEENS0_5tupleIJPlS6_EEENSN_IJSD_SD_EEES6_PiJS6_EEE10hipError_tPvRmT3_T4_T5_T6_T7_T9_mT8_P12ihipStream_tbDpT10_ENKUlT_T0_E_clISt17integral_constantIbLb1EES1A_IbLb0EEEEDaS16_S17_EUlS16_E_NS1_11comp_targetILNS1_3genE3ELNS1_11target_archE908ELNS1_3gpuE7ELNS1_3repE0EEENS1_30default_config_static_selectorELNS0_4arch9wavefront6targetE0EEEvT1_, .Lfunc_end137-_ZN7rocprim17ROCPRIM_400000_NS6detail17trampoline_kernelINS0_14default_configENS1_25partition_config_selectorILNS1_17partition_subalgoE5ElNS0_10empty_typeEbEEZZNS1_14partition_implILS5_5ELb0ES3_mN6hipcub16HIPCUB_304000_NS21CountingInputIteratorIllEEPS6_NSA_22TransformInputIteratorIbN2at6native12_GLOBAL__N_19NonZeroOpIaEEPKalEENS0_5tupleIJPlS6_EEENSN_IJSD_SD_EEES6_PiJS6_EEE10hipError_tPvRmT3_T4_T5_T6_T7_T9_mT8_P12ihipStream_tbDpT10_ENKUlT_T0_E_clISt17integral_constantIbLb1EES1A_IbLb0EEEEDaS16_S17_EUlS16_E_NS1_11comp_targetILNS1_3genE3ELNS1_11target_archE908ELNS1_3gpuE7ELNS1_3repE0EEENS1_30default_config_static_selectorELNS0_4arch9wavefront6targetE0EEEvT1_
                                        ; -- End function
	.set _ZN7rocprim17ROCPRIM_400000_NS6detail17trampoline_kernelINS0_14default_configENS1_25partition_config_selectorILNS1_17partition_subalgoE5ElNS0_10empty_typeEbEEZZNS1_14partition_implILS5_5ELb0ES3_mN6hipcub16HIPCUB_304000_NS21CountingInputIteratorIllEEPS6_NSA_22TransformInputIteratorIbN2at6native12_GLOBAL__N_19NonZeroOpIaEEPKalEENS0_5tupleIJPlS6_EEENSN_IJSD_SD_EEES6_PiJS6_EEE10hipError_tPvRmT3_T4_T5_T6_T7_T9_mT8_P12ihipStream_tbDpT10_ENKUlT_T0_E_clISt17integral_constantIbLb1EES1A_IbLb0EEEEDaS16_S17_EUlS16_E_NS1_11comp_targetILNS1_3genE3ELNS1_11target_archE908ELNS1_3gpuE7ELNS1_3repE0EEENS1_30default_config_static_selectorELNS0_4arch9wavefront6targetE0EEEvT1_.num_vgpr, 0
	.set _ZN7rocprim17ROCPRIM_400000_NS6detail17trampoline_kernelINS0_14default_configENS1_25partition_config_selectorILNS1_17partition_subalgoE5ElNS0_10empty_typeEbEEZZNS1_14partition_implILS5_5ELb0ES3_mN6hipcub16HIPCUB_304000_NS21CountingInputIteratorIllEEPS6_NSA_22TransformInputIteratorIbN2at6native12_GLOBAL__N_19NonZeroOpIaEEPKalEENS0_5tupleIJPlS6_EEENSN_IJSD_SD_EEES6_PiJS6_EEE10hipError_tPvRmT3_T4_T5_T6_T7_T9_mT8_P12ihipStream_tbDpT10_ENKUlT_T0_E_clISt17integral_constantIbLb1EES1A_IbLb0EEEEDaS16_S17_EUlS16_E_NS1_11comp_targetILNS1_3genE3ELNS1_11target_archE908ELNS1_3gpuE7ELNS1_3repE0EEENS1_30default_config_static_selectorELNS0_4arch9wavefront6targetE0EEEvT1_.num_agpr, 0
	.set _ZN7rocprim17ROCPRIM_400000_NS6detail17trampoline_kernelINS0_14default_configENS1_25partition_config_selectorILNS1_17partition_subalgoE5ElNS0_10empty_typeEbEEZZNS1_14partition_implILS5_5ELb0ES3_mN6hipcub16HIPCUB_304000_NS21CountingInputIteratorIllEEPS6_NSA_22TransformInputIteratorIbN2at6native12_GLOBAL__N_19NonZeroOpIaEEPKalEENS0_5tupleIJPlS6_EEENSN_IJSD_SD_EEES6_PiJS6_EEE10hipError_tPvRmT3_T4_T5_T6_T7_T9_mT8_P12ihipStream_tbDpT10_ENKUlT_T0_E_clISt17integral_constantIbLb1EES1A_IbLb0EEEEDaS16_S17_EUlS16_E_NS1_11comp_targetILNS1_3genE3ELNS1_11target_archE908ELNS1_3gpuE7ELNS1_3repE0EEENS1_30default_config_static_selectorELNS0_4arch9wavefront6targetE0EEEvT1_.numbered_sgpr, 0
	.set _ZN7rocprim17ROCPRIM_400000_NS6detail17trampoline_kernelINS0_14default_configENS1_25partition_config_selectorILNS1_17partition_subalgoE5ElNS0_10empty_typeEbEEZZNS1_14partition_implILS5_5ELb0ES3_mN6hipcub16HIPCUB_304000_NS21CountingInputIteratorIllEEPS6_NSA_22TransformInputIteratorIbN2at6native12_GLOBAL__N_19NonZeroOpIaEEPKalEENS0_5tupleIJPlS6_EEENSN_IJSD_SD_EEES6_PiJS6_EEE10hipError_tPvRmT3_T4_T5_T6_T7_T9_mT8_P12ihipStream_tbDpT10_ENKUlT_T0_E_clISt17integral_constantIbLb1EES1A_IbLb0EEEEDaS16_S17_EUlS16_E_NS1_11comp_targetILNS1_3genE3ELNS1_11target_archE908ELNS1_3gpuE7ELNS1_3repE0EEENS1_30default_config_static_selectorELNS0_4arch9wavefront6targetE0EEEvT1_.num_named_barrier, 0
	.set _ZN7rocprim17ROCPRIM_400000_NS6detail17trampoline_kernelINS0_14default_configENS1_25partition_config_selectorILNS1_17partition_subalgoE5ElNS0_10empty_typeEbEEZZNS1_14partition_implILS5_5ELb0ES3_mN6hipcub16HIPCUB_304000_NS21CountingInputIteratorIllEEPS6_NSA_22TransformInputIteratorIbN2at6native12_GLOBAL__N_19NonZeroOpIaEEPKalEENS0_5tupleIJPlS6_EEENSN_IJSD_SD_EEES6_PiJS6_EEE10hipError_tPvRmT3_T4_T5_T6_T7_T9_mT8_P12ihipStream_tbDpT10_ENKUlT_T0_E_clISt17integral_constantIbLb1EES1A_IbLb0EEEEDaS16_S17_EUlS16_E_NS1_11comp_targetILNS1_3genE3ELNS1_11target_archE908ELNS1_3gpuE7ELNS1_3repE0EEENS1_30default_config_static_selectorELNS0_4arch9wavefront6targetE0EEEvT1_.private_seg_size, 0
	.set _ZN7rocprim17ROCPRIM_400000_NS6detail17trampoline_kernelINS0_14default_configENS1_25partition_config_selectorILNS1_17partition_subalgoE5ElNS0_10empty_typeEbEEZZNS1_14partition_implILS5_5ELb0ES3_mN6hipcub16HIPCUB_304000_NS21CountingInputIteratorIllEEPS6_NSA_22TransformInputIteratorIbN2at6native12_GLOBAL__N_19NonZeroOpIaEEPKalEENS0_5tupleIJPlS6_EEENSN_IJSD_SD_EEES6_PiJS6_EEE10hipError_tPvRmT3_T4_T5_T6_T7_T9_mT8_P12ihipStream_tbDpT10_ENKUlT_T0_E_clISt17integral_constantIbLb1EES1A_IbLb0EEEEDaS16_S17_EUlS16_E_NS1_11comp_targetILNS1_3genE3ELNS1_11target_archE908ELNS1_3gpuE7ELNS1_3repE0EEENS1_30default_config_static_selectorELNS0_4arch9wavefront6targetE0EEEvT1_.uses_vcc, 0
	.set _ZN7rocprim17ROCPRIM_400000_NS6detail17trampoline_kernelINS0_14default_configENS1_25partition_config_selectorILNS1_17partition_subalgoE5ElNS0_10empty_typeEbEEZZNS1_14partition_implILS5_5ELb0ES3_mN6hipcub16HIPCUB_304000_NS21CountingInputIteratorIllEEPS6_NSA_22TransformInputIteratorIbN2at6native12_GLOBAL__N_19NonZeroOpIaEEPKalEENS0_5tupleIJPlS6_EEENSN_IJSD_SD_EEES6_PiJS6_EEE10hipError_tPvRmT3_T4_T5_T6_T7_T9_mT8_P12ihipStream_tbDpT10_ENKUlT_T0_E_clISt17integral_constantIbLb1EES1A_IbLb0EEEEDaS16_S17_EUlS16_E_NS1_11comp_targetILNS1_3genE3ELNS1_11target_archE908ELNS1_3gpuE7ELNS1_3repE0EEENS1_30default_config_static_selectorELNS0_4arch9wavefront6targetE0EEEvT1_.uses_flat_scratch, 0
	.set _ZN7rocprim17ROCPRIM_400000_NS6detail17trampoline_kernelINS0_14default_configENS1_25partition_config_selectorILNS1_17partition_subalgoE5ElNS0_10empty_typeEbEEZZNS1_14partition_implILS5_5ELb0ES3_mN6hipcub16HIPCUB_304000_NS21CountingInputIteratorIllEEPS6_NSA_22TransformInputIteratorIbN2at6native12_GLOBAL__N_19NonZeroOpIaEEPKalEENS0_5tupleIJPlS6_EEENSN_IJSD_SD_EEES6_PiJS6_EEE10hipError_tPvRmT3_T4_T5_T6_T7_T9_mT8_P12ihipStream_tbDpT10_ENKUlT_T0_E_clISt17integral_constantIbLb1EES1A_IbLb0EEEEDaS16_S17_EUlS16_E_NS1_11comp_targetILNS1_3genE3ELNS1_11target_archE908ELNS1_3gpuE7ELNS1_3repE0EEENS1_30default_config_static_selectorELNS0_4arch9wavefront6targetE0EEEvT1_.has_dyn_sized_stack, 0
	.set _ZN7rocprim17ROCPRIM_400000_NS6detail17trampoline_kernelINS0_14default_configENS1_25partition_config_selectorILNS1_17partition_subalgoE5ElNS0_10empty_typeEbEEZZNS1_14partition_implILS5_5ELb0ES3_mN6hipcub16HIPCUB_304000_NS21CountingInputIteratorIllEEPS6_NSA_22TransformInputIteratorIbN2at6native12_GLOBAL__N_19NonZeroOpIaEEPKalEENS0_5tupleIJPlS6_EEENSN_IJSD_SD_EEES6_PiJS6_EEE10hipError_tPvRmT3_T4_T5_T6_T7_T9_mT8_P12ihipStream_tbDpT10_ENKUlT_T0_E_clISt17integral_constantIbLb1EES1A_IbLb0EEEEDaS16_S17_EUlS16_E_NS1_11comp_targetILNS1_3genE3ELNS1_11target_archE908ELNS1_3gpuE7ELNS1_3repE0EEENS1_30default_config_static_selectorELNS0_4arch9wavefront6targetE0EEEvT1_.has_recursion, 0
	.set _ZN7rocprim17ROCPRIM_400000_NS6detail17trampoline_kernelINS0_14default_configENS1_25partition_config_selectorILNS1_17partition_subalgoE5ElNS0_10empty_typeEbEEZZNS1_14partition_implILS5_5ELb0ES3_mN6hipcub16HIPCUB_304000_NS21CountingInputIteratorIllEEPS6_NSA_22TransformInputIteratorIbN2at6native12_GLOBAL__N_19NonZeroOpIaEEPKalEENS0_5tupleIJPlS6_EEENSN_IJSD_SD_EEES6_PiJS6_EEE10hipError_tPvRmT3_T4_T5_T6_T7_T9_mT8_P12ihipStream_tbDpT10_ENKUlT_T0_E_clISt17integral_constantIbLb1EES1A_IbLb0EEEEDaS16_S17_EUlS16_E_NS1_11comp_targetILNS1_3genE3ELNS1_11target_archE908ELNS1_3gpuE7ELNS1_3repE0EEENS1_30default_config_static_selectorELNS0_4arch9wavefront6targetE0EEEvT1_.has_indirect_call, 0
	.section	.AMDGPU.csdata,"",@progbits
; Kernel info:
; codeLenInByte = 0
; TotalNumSgprs: 0
; NumVgprs: 0
; ScratchSize: 0
; MemoryBound: 0
; FloatMode: 240
; IeeeMode: 1
; LDSByteSize: 0 bytes/workgroup (compile time only)
; SGPRBlocks: 0
; VGPRBlocks: 0
; NumSGPRsForWavesPerEU: 1
; NumVGPRsForWavesPerEU: 1
; Occupancy: 16
; WaveLimiterHint : 0
; COMPUTE_PGM_RSRC2:SCRATCH_EN: 0
; COMPUTE_PGM_RSRC2:USER_SGPR: 2
; COMPUTE_PGM_RSRC2:TRAP_HANDLER: 0
; COMPUTE_PGM_RSRC2:TGID_X_EN: 1
; COMPUTE_PGM_RSRC2:TGID_Y_EN: 0
; COMPUTE_PGM_RSRC2:TGID_Z_EN: 0
; COMPUTE_PGM_RSRC2:TIDIG_COMP_CNT: 0
	.section	.text._ZN7rocprim17ROCPRIM_400000_NS6detail17trampoline_kernelINS0_14default_configENS1_25partition_config_selectorILNS1_17partition_subalgoE5ElNS0_10empty_typeEbEEZZNS1_14partition_implILS5_5ELb0ES3_mN6hipcub16HIPCUB_304000_NS21CountingInputIteratorIllEEPS6_NSA_22TransformInputIteratorIbN2at6native12_GLOBAL__N_19NonZeroOpIaEEPKalEENS0_5tupleIJPlS6_EEENSN_IJSD_SD_EEES6_PiJS6_EEE10hipError_tPvRmT3_T4_T5_T6_T7_T9_mT8_P12ihipStream_tbDpT10_ENKUlT_T0_E_clISt17integral_constantIbLb1EES1A_IbLb0EEEEDaS16_S17_EUlS16_E_NS1_11comp_targetILNS1_3genE2ELNS1_11target_archE906ELNS1_3gpuE6ELNS1_3repE0EEENS1_30default_config_static_selectorELNS0_4arch9wavefront6targetE0EEEvT1_,"axG",@progbits,_ZN7rocprim17ROCPRIM_400000_NS6detail17trampoline_kernelINS0_14default_configENS1_25partition_config_selectorILNS1_17partition_subalgoE5ElNS0_10empty_typeEbEEZZNS1_14partition_implILS5_5ELb0ES3_mN6hipcub16HIPCUB_304000_NS21CountingInputIteratorIllEEPS6_NSA_22TransformInputIteratorIbN2at6native12_GLOBAL__N_19NonZeroOpIaEEPKalEENS0_5tupleIJPlS6_EEENSN_IJSD_SD_EEES6_PiJS6_EEE10hipError_tPvRmT3_T4_T5_T6_T7_T9_mT8_P12ihipStream_tbDpT10_ENKUlT_T0_E_clISt17integral_constantIbLb1EES1A_IbLb0EEEEDaS16_S17_EUlS16_E_NS1_11comp_targetILNS1_3genE2ELNS1_11target_archE906ELNS1_3gpuE6ELNS1_3repE0EEENS1_30default_config_static_selectorELNS0_4arch9wavefront6targetE0EEEvT1_,comdat
	.globl	_ZN7rocprim17ROCPRIM_400000_NS6detail17trampoline_kernelINS0_14default_configENS1_25partition_config_selectorILNS1_17partition_subalgoE5ElNS0_10empty_typeEbEEZZNS1_14partition_implILS5_5ELb0ES3_mN6hipcub16HIPCUB_304000_NS21CountingInputIteratorIllEEPS6_NSA_22TransformInputIteratorIbN2at6native12_GLOBAL__N_19NonZeroOpIaEEPKalEENS0_5tupleIJPlS6_EEENSN_IJSD_SD_EEES6_PiJS6_EEE10hipError_tPvRmT3_T4_T5_T6_T7_T9_mT8_P12ihipStream_tbDpT10_ENKUlT_T0_E_clISt17integral_constantIbLb1EES1A_IbLb0EEEEDaS16_S17_EUlS16_E_NS1_11comp_targetILNS1_3genE2ELNS1_11target_archE906ELNS1_3gpuE6ELNS1_3repE0EEENS1_30default_config_static_selectorELNS0_4arch9wavefront6targetE0EEEvT1_ ; -- Begin function _ZN7rocprim17ROCPRIM_400000_NS6detail17trampoline_kernelINS0_14default_configENS1_25partition_config_selectorILNS1_17partition_subalgoE5ElNS0_10empty_typeEbEEZZNS1_14partition_implILS5_5ELb0ES3_mN6hipcub16HIPCUB_304000_NS21CountingInputIteratorIllEEPS6_NSA_22TransformInputIteratorIbN2at6native12_GLOBAL__N_19NonZeroOpIaEEPKalEENS0_5tupleIJPlS6_EEENSN_IJSD_SD_EEES6_PiJS6_EEE10hipError_tPvRmT3_T4_T5_T6_T7_T9_mT8_P12ihipStream_tbDpT10_ENKUlT_T0_E_clISt17integral_constantIbLb1EES1A_IbLb0EEEEDaS16_S17_EUlS16_E_NS1_11comp_targetILNS1_3genE2ELNS1_11target_archE906ELNS1_3gpuE6ELNS1_3repE0EEENS1_30default_config_static_selectorELNS0_4arch9wavefront6targetE0EEEvT1_
	.p2align	8
	.type	_ZN7rocprim17ROCPRIM_400000_NS6detail17trampoline_kernelINS0_14default_configENS1_25partition_config_selectorILNS1_17partition_subalgoE5ElNS0_10empty_typeEbEEZZNS1_14partition_implILS5_5ELb0ES3_mN6hipcub16HIPCUB_304000_NS21CountingInputIteratorIllEEPS6_NSA_22TransformInputIteratorIbN2at6native12_GLOBAL__N_19NonZeroOpIaEEPKalEENS0_5tupleIJPlS6_EEENSN_IJSD_SD_EEES6_PiJS6_EEE10hipError_tPvRmT3_T4_T5_T6_T7_T9_mT8_P12ihipStream_tbDpT10_ENKUlT_T0_E_clISt17integral_constantIbLb1EES1A_IbLb0EEEEDaS16_S17_EUlS16_E_NS1_11comp_targetILNS1_3genE2ELNS1_11target_archE906ELNS1_3gpuE6ELNS1_3repE0EEENS1_30default_config_static_selectorELNS0_4arch9wavefront6targetE0EEEvT1_,@function
_ZN7rocprim17ROCPRIM_400000_NS6detail17trampoline_kernelINS0_14default_configENS1_25partition_config_selectorILNS1_17partition_subalgoE5ElNS0_10empty_typeEbEEZZNS1_14partition_implILS5_5ELb0ES3_mN6hipcub16HIPCUB_304000_NS21CountingInputIteratorIllEEPS6_NSA_22TransformInputIteratorIbN2at6native12_GLOBAL__N_19NonZeroOpIaEEPKalEENS0_5tupleIJPlS6_EEENSN_IJSD_SD_EEES6_PiJS6_EEE10hipError_tPvRmT3_T4_T5_T6_T7_T9_mT8_P12ihipStream_tbDpT10_ENKUlT_T0_E_clISt17integral_constantIbLb1EES1A_IbLb0EEEEDaS16_S17_EUlS16_E_NS1_11comp_targetILNS1_3genE2ELNS1_11target_archE906ELNS1_3gpuE6ELNS1_3repE0EEENS1_30default_config_static_selectorELNS0_4arch9wavefront6targetE0EEEvT1_: ; @_ZN7rocprim17ROCPRIM_400000_NS6detail17trampoline_kernelINS0_14default_configENS1_25partition_config_selectorILNS1_17partition_subalgoE5ElNS0_10empty_typeEbEEZZNS1_14partition_implILS5_5ELb0ES3_mN6hipcub16HIPCUB_304000_NS21CountingInputIteratorIllEEPS6_NSA_22TransformInputIteratorIbN2at6native12_GLOBAL__N_19NonZeroOpIaEEPKalEENS0_5tupleIJPlS6_EEENSN_IJSD_SD_EEES6_PiJS6_EEE10hipError_tPvRmT3_T4_T5_T6_T7_T9_mT8_P12ihipStream_tbDpT10_ENKUlT_T0_E_clISt17integral_constantIbLb1EES1A_IbLb0EEEEDaS16_S17_EUlS16_E_NS1_11comp_targetILNS1_3genE2ELNS1_11target_archE906ELNS1_3gpuE6ELNS1_3repE0EEENS1_30default_config_static_selectorELNS0_4arch9wavefront6targetE0EEEvT1_
; %bb.0:
	.section	.rodata,"a",@progbits
	.p2align	6, 0x0
	.amdhsa_kernel _ZN7rocprim17ROCPRIM_400000_NS6detail17trampoline_kernelINS0_14default_configENS1_25partition_config_selectorILNS1_17partition_subalgoE5ElNS0_10empty_typeEbEEZZNS1_14partition_implILS5_5ELb0ES3_mN6hipcub16HIPCUB_304000_NS21CountingInputIteratorIllEEPS6_NSA_22TransformInputIteratorIbN2at6native12_GLOBAL__N_19NonZeroOpIaEEPKalEENS0_5tupleIJPlS6_EEENSN_IJSD_SD_EEES6_PiJS6_EEE10hipError_tPvRmT3_T4_T5_T6_T7_T9_mT8_P12ihipStream_tbDpT10_ENKUlT_T0_E_clISt17integral_constantIbLb1EES1A_IbLb0EEEEDaS16_S17_EUlS16_E_NS1_11comp_targetILNS1_3genE2ELNS1_11target_archE906ELNS1_3gpuE6ELNS1_3repE0EEENS1_30default_config_static_selectorELNS0_4arch9wavefront6targetE0EEEvT1_
		.amdhsa_group_segment_fixed_size 0
		.amdhsa_private_segment_fixed_size 0
		.amdhsa_kernarg_size 120
		.amdhsa_user_sgpr_count 2
		.amdhsa_user_sgpr_dispatch_ptr 0
		.amdhsa_user_sgpr_queue_ptr 0
		.amdhsa_user_sgpr_kernarg_segment_ptr 1
		.amdhsa_user_sgpr_dispatch_id 0
		.amdhsa_user_sgpr_private_segment_size 0
		.amdhsa_wavefront_size32 1
		.amdhsa_uses_dynamic_stack 0
		.amdhsa_enable_private_segment 0
		.amdhsa_system_sgpr_workgroup_id_x 1
		.amdhsa_system_sgpr_workgroup_id_y 0
		.amdhsa_system_sgpr_workgroup_id_z 0
		.amdhsa_system_sgpr_workgroup_info 0
		.amdhsa_system_vgpr_workitem_id 0
		.amdhsa_next_free_vgpr 1
		.amdhsa_next_free_sgpr 1
		.amdhsa_reserve_vcc 0
		.amdhsa_float_round_mode_32 0
		.amdhsa_float_round_mode_16_64 0
		.amdhsa_float_denorm_mode_32 3
		.amdhsa_float_denorm_mode_16_64 3
		.amdhsa_fp16_overflow 0
		.amdhsa_workgroup_processor_mode 1
		.amdhsa_memory_ordered 1
		.amdhsa_forward_progress 1
		.amdhsa_inst_pref_size 0
		.amdhsa_round_robin_scheduling 0
		.amdhsa_exception_fp_ieee_invalid_op 0
		.amdhsa_exception_fp_denorm_src 0
		.amdhsa_exception_fp_ieee_div_zero 0
		.amdhsa_exception_fp_ieee_overflow 0
		.amdhsa_exception_fp_ieee_underflow 0
		.amdhsa_exception_fp_ieee_inexact 0
		.amdhsa_exception_int_div_zero 0
	.end_amdhsa_kernel
	.section	.text._ZN7rocprim17ROCPRIM_400000_NS6detail17trampoline_kernelINS0_14default_configENS1_25partition_config_selectorILNS1_17partition_subalgoE5ElNS0_10empty_typeEbEEZZNS1_14partition_implILS5_5ELb0ES3_mN6hipcub16HIPCUB_304000_NS21CountingInputIteratorIllEEPS6_NSA_22TransformInputIteratorIbN2at6native12_GLOBAL__N_19NonZeroOpIaEEPKalEENS0_5tupleIJPlS6_EEENSN_IJSD_SD_EEES6_PiJS6_EEE10hipError_tPvRmT3_T4_T5_T6_T7_T9_mT8_P12ihipStream_tbDpT10_ENKUlT_T0_E_clISt17integral_constantIbLb1EES1A_IbLb0EEEEDaS16_S17_EUlS16_E_NS1_11comp_targetILNS1_3genE2ELNS1_11target_archE906ELNS1_3gpuE6ELNS1_3repE0EEENS1_30default_config_static_selectorELNS0_4arch9wavefront6targetE0EEEvT1_,"axG",@progbits,_ZN7rocprim17ROCPRIM_400000_NS6detail17trampoline_kernelINS0_14default_configENS1_25partition_config_selectorILNS1_17partition_subalgoE5ElNS0_10empty_typeEbEEZZNS1_14partition_implILS5_5ELb0ES3_mN6hipcub16HIPCUB_304000_NS21CountingInputIteratorIllEEPS6_NSA_22TransformInputIteratorIbN2at6native12_GLOBAL__N_19NonZeroOpIaEEPKalEENS0_5tupleIJPlS6_EEENSN_IJSD_SD_EEES6_PiJS6_EEE10hipError_tPvRmT3_T4_T5_T6_T7_T9_mT8_P12ihipStream_tbDpT10_ENKUlT_T0_E_clISt17integral_constantIbLb1EES1A_IbLb0EEEEDaS16_S17_EUlS16_E_NS1_11comp_targetILNS1_3genE2ELNS1_11target_archE906ELNS1_3gpuE6ELNS1_3repE0EEENS1_30default_config_static_selectorELNS0_4arch9wavefront6targetE0EEEvT1_,comdat
.Lfunc_end138:
	.size	_ZN7rocprim17ROCPRIM_400000_NS6detail17trampoline_kernelINS0_14default_configENS1_25partition_config_selectorILNS1_17partition_subalgoE5ElNS0_10empty_typeEbEEZZNS1_14partition_implILS5_5ELb0ES3_mN6hipcub16HIPCUB_304000_NS21CountingInputIteratorIllEEPS6_NSA_22TransformInputIteratorIbN2at6native12_GLOBAL__N_19NonZeroOpIaEEPKalEENS0_5tupleIJPlS6_EEENSN_IJSD_SD_EEES6_PiJS6_EEE10hipError_tPvRmT3_T4_T5_T6_T7_T9_mT8_P12ihipStream_tbDpT10_ENKUlT_T0_E_clISt17integral_constantIbLb1EES1A_IbLb0EEEEDaS16_S17_EUlS16_E_NS1_11comp_targetILNS1_3genE2ELNS1_11target_archE906ELNS1_3gpuE6ELNS1_3repE0EEENS1_30default_config_static_selectorELNS0_4arch9wavefront6targetE0EEEvT1_, .Lfunc_end138-_ZN7rocprim17ROCPRIM_400000_NS6detail17trampoline_kernelINS0_14default_configENS1_25partition_config_selectorILNS1_17partition_subalgoE5ElNS0_10empty_typeEbEEZZNS1_14partition_implILS5_5ELb0ES3_mN6hipcub16HIPCUB_304000_NS21CountingInputIteratorIllEEPS6_NSA_22TransformInputIteratorIbN2at6native12_GLOBAL__N_19NonZeroOpIaEEPKalEENS0_5tupleIJPlS6_EEENSN_IJSD_SD_EEES6_PiJS6_EEE10hipError_tPvRmT3_T4_T5_T6_T7_T9_mT8_P12ihipStream_tbDpT10_ENKUlT_T0_E_clISt17integral_constantIbLb1EES1A_IbLb0EEEEDaS16_S17_EUlS16_E_NS1_11comp_targetILNS1_3genE2ELNS1_11target_archE906ELNS1_3gpuE6ELNS1_3repE0EEENS1_30default_config_static_selectorELNS0_4arch9wavefront6targetE0EEEvT1_
                                        ; -- End function
	.set _ZN7rocprim17ROCPRIM_400000_NS6detail17trampoline_kernelINS0_14default_configENS1_25partition_config_selectorILNS1_17partition_subalgoE5ElNS0_10empty_typeEbEEZZNS1_14partition_implILS5_5ELb0ES3_mN6hipcub16HIPCUB_304000_NS21CountingInputIteratorIllEEPS6_NSA_22TransformInputIteratorIbN2at6native12_GLOBAL__N_19NonZeroOpIaEEPKalEENS0_5tupleIJPlS6_EEENSN_IJSD_SD_EEES6_PiJS6_EEE10hipError_tPvRmT3_T4_T5_T6_T7_T9_mT8_P12ihipStream_tbDpT10_ENKUlT_T0_E_clISt17integral_constantIbLb1EES1A_IbLb0EEEEDaS16_S17_EUlS16_E_NS1_11comp_targetILNS1_3genE2ELNS1_11target_archE906ELNS1_3gpuE6ELNS1_3repE0EEENS1_30default_config_static_selectorELNS0_4arch9wavefront6targetE0EEEvT1_.num_vgpr, 0
	.set _ZN7rocprim17ROCPRIM_400000_NS6detail17trampoline_kernelINS0_14default_configENS1_25partition_config_selectorILNS1_17partition_subalgoE5ElNS0_10empty_typeEbEEZZNS1_14partition_implILS5_5ELb0ES3_mN6hipcub16HIPCUB_304000_NS21CountingInputIteratorIllEEPS6_NSA_22TransformInputIteratorIbN2at6native12_GLOBAL__N_19NonZeroOpIaEEPKalEENS0_5tupleIJPlS6_EEENSN_IJSD_SD_EEES6_PiJS6_EEE10hipError_tPvRmT3_T4_T5_T6_T7_T9_mT8_P12ihipStream_tbDpT10_ENKUlT_T0_E_clISt17integral_constantIbLb1EES1A_IbLb0EEEEDaS16_S17_EUlS16_E_NS1_11comp_targetILNS1_3genE2ELNS1_11target_archE906ELNS1_3gpuE6ELNS1_3repE0EEENS1_30default_config_static_selectorELNS0_4arch9wavefront6targetE0EEEvT1_.num_agpr, 0
	.set _ZN7rocprim17ROCPRIM_400000_NS6detail17trampoline_kernelINS0_14default_configENS1_25partition_config_selectorILNS1_17partition_subalgoE5ElNS0_10empty_typeEbEEZZNS1_14partition_implILS5_5ELb0ES3_mN6hipcub16HIPCUB_304000_NS21CountingInputIteratorIllEEPS6_NSA_22TransformInputIteratorIbN2at6native12_GLOBAL__N_19NonZeroOpIaEEPKalEENS0_5tupleIJPlS6_EEENSN_IJSD_SD_EEES6_PiJS6_EEE10hipError_tPvRmT3_T4_T5_T6_T7_T9_mT8_P12ihipStream_tbDpT10_ENKUlT_T0_E_clISt17integral_constantIbLb1EES1A_IbLb0EEEEDaS16_S17_EUlS16_E_NS1_11comp_targetILNS1_3genE2ELNS1_11target_archE906ELNS1_3gpuE6ELNS1_3repE0EEENS1_30default_config_static_selectorELNS0_4arch9wavefront6targetE0EEEvT1_.numbered_sgpr, 0
	.set _ZN7rocprim17ROCPRIM_400000_NS6detail17trampoline_kernelINS0_14default_configENS1_25partition_config_selectorILNS1_17partition_subalgoE5ElNS0_10empty_typeEbEEZZNS1_14partition_implILS5_5ELb0ES3_mN6hipcub16HIPCUB_304000_NS21CountingInputIteratorIllEEPS6_NSA_22TransformInputIteratorIbN2at6native12_GLOBAL__N_19NonZeroOpIaEEPKalEENS0_5tupleIJPlS6_EEENSN_IJSD_SD_EEES6_PiJS6_EEE10hipError_tPvRmT3_T4_T5_T6_T7_T9_mT8_P12ihipStream_tbDpT10_ENKUlT_T0_E_clISt17integral_constantIbLb1EES1A_IbLb0EEEEDaS16_S17_EUlS16_E_NS1_11comp_targetILNS1_3genE2ELNS1_11target_archE906ELNS1_3gpuE6ELNS1_3repE0EEENS1_30default_config_static_selectorELNS0_4arch9wavefront6targetE0EEEvT1_.num_named_barrier, 0
	.set _ZN7rocprim17ROCPRIM_400000_NS6detail17trampoline_kernelINS0_14default_configENS1_25partition_config_selectorILNS1_17partition_subalgoE5ElNS0_10empty_typeEbEEZZNS1_14partition_implILS5_5ELb0ES3_mN6hipcub16HIPCUB_304000_NS21CountingInputIteratorIllEEPS6_NSA_22TransformInputIteratorIbN2at6native12_GLOBAL__N_19NonZeroOpIaEEPKalEENS0_5tupleIJPlS6_EEENSN_IJSD_SD_EEES6_PiJS6_EEE10hipError_tPvRmT3_T4_T5_T6_T7_T9_mT8_P12ihipStream_tbDpT10_ENKUlT_T0_E_clISt17integral_constantIbLb1EES1A_IbLb0EEEEDaS16_S17_EUlS16_E_NS1_11comp_targetILNS1_3genE2ELNS1_11target_archE906ELNS1_3gpuE6ELNS1_3repE0EEENS1_30default_config_static_selectorELNS0_4arch9wavefront6targetE0EEEvT1_.private_seg_size, 0
	.set _ZN7rocprim17ROCPRIM_400000_NS6detail17trampoline_kernelINS0_14default_configENS1_25partition_config_selectorILNS1_17partition_subalgoE5ElNS0_10empty_typeEbEEZZNS1_14partition_implILS5_5ELb0ES3_mN6hipcub16HIPCUB_304000_NS21CountingInputIteratorIllEEPS6_NSA_22TransformInputIteratorIbN2at6native12_GLOBAL__N_19NonZeroOpIaEEPKalEENS0_5tupleIJPlS6_EEENSN_IJSD_SD_EEES6_PiJS6_EEE10hipError_tPvRmT3_T4_T5_T6_T7_T9_mT8_P12ihipStream_tbDpT10_ENKUlT_T0_E_clISt17integral_constantIbLb1EES1A_IbLb0EEEEDaS16_S17_EUlS16_E_NS1_11comp_targetILNS1_3genE2ELNS1_11target_archE906ELNS1_3gpuE6ELNS1_3repE0EEENS1_30default_config_static_selectorELNS0_4arch9wavefront6targetE0EEEvT1_.uses_vcc, 0
	.set _ZN7rocprim17ROCPRIM_400000_NS6detail17trampoline_kernelINS0_14default_configENS1_25partition_config_selectorILNS1_17partition_subalgoE5ElNS0_10empty_typeEbEEZZNS1_14partition_implILS5_5ELb0ES3_mN6hipcub16HIPCUB_304000_NS21CountingInputIteratorIllEEPS6_NSA_22TransformInputIteratorIbN2at6native12_GLOBAL__N_19NonZeroOpIaEEPKalEENS0_5tupleIJPlS6_EEENSN_IJSD_SD_EEES6_PiJS6_EEE10hipError_tPvRmT3_T4_T5_T6_T7_T9_mT8_P12ihipStream_tbDpT10_ENKUlT_T0_E_clISt17integral_constantIbLb1EES1A_IbLb0EEEEDaS16_S17_EUlS16_E_NS1_11comp_targetILNS1_3genE2ELNS1_11target_archE906ELNS1_3gpuE6ELNS1_3repE0EEENS1_30default_config_static_selectorELNS0_4arch9wavefront6targetE0EEEvT1_.uses_flat_scratch, 0
	.set _ZN7rocprim17ROCPRIM_400000_NS6detail17trampoline_kernelINS0_14default_configENS1_25partition_config_selectorILNS1_17partition_subalgoE5ElNS0_10empty_typeEbEEZZNS1_14partition_implILS5_5ELb0ES3_mN6hipcub16HIPCUB_304000_NS21CountingInputIteratorIllEEPS6_NSA_22TransformInputIteratorIbN2at6native12_GLOBAL__N_19NonZeroOpIaEEPKalEENS0_5tupleIJPlS6_EEENSN_IJSD_SD_EEES6_PiJS6_EEE10hipError_tPvRmT3_T4_T5_T6_T7_T9_mT8_P12ihipStream_tbDpT10_ENKUlT_T0_E_clISt17integral_constantIbLb1EES1A_IbLb0EEEEDaS16_S17_EUlS16_E_NS1_11comp_targetILNS1_3genE2ELNS1_11target_archE906ELNS1_3gpuE6ELNS1_3repE0EEENS1_30default_config_static_selectorELNS0_4arch9wavefront6targetE0EEEvT1_.has_dyn_sized_stack, 0
	.set _ZN7rocprim17ROCPRIM_400000_NS6detail17trampoline_kernelINS0_14default_configENS1_25partition_config_selectorILNS1_17partition_subalgoE5ElNS0_10empty_typeEbEEZZNS1_14partition_implILS5_5ELb0ES3_mN6hipcub16HIPCUB_304000_NS21CountingInputIteratorIllEEPS6_NSA_22TransformInputIteratorIbN2at6native12_GLOBAL__N_19NonZeroOpIaEEPKalEENS0_5tupleIJPlS6_EEENSN_IJSD_SD_EEES6_PiJS6_EEE10hipError_tPvRmT3_T4_T5_T6_T7_T9_mT8_P12ihipStream_tbDpT10_ENKUlT_T0_E_clISt17integral_constantIbLb1EES1A_IbLb0EEEEDaS16_S17_EUlS16_E_NS1_11comp_targetILNS1_3genE2ELNS1_11target_archE906ELNS1_3gpuE6ELNS1_3repE0EEENS1_30default_config_static_selectorELNS0_4arch9wavefront6targetE0EEEvT1_.has_recursion, 0
	.set _ZN7rocprim17ROCPRIM_400000_NS6detail17trampoline_kernelINS0_14default_configENS1_25partition_config_selectorILNS1_17partition_subalgoE5ElNS0_10empty_typeEbEEZZNS1_14partition_implILS5_5ELb0ES3_mN6hipcub16HIPCUB_304000_NS21CountingInputIteratorIllEEPS6_NSA_22TransformInputIteratorIbN2at6native12_GLOBAL__N_19NonZeroOpIaEEPKalEENS0_5tupleIJPlS6_EEENSN_IJSD_SD_EEES6_PiJS6_EEE10hipError_tPvRmT3_T4_T5_T6_T7_T9_mT8_P12ihipStream_tbDpT10_ENKUlT_T0_E_clISt17integral_constantIbLb1EES1A_IbLb0EEEEDaS16_S17_EUlS16_E_NS1_11comp_targetILNS1_3genE2ELNS1_11target_archE906ELNS1_3gpuE6ELNS1_3repE0EEENS1_30default_config_static_selectorELNS0_4arch9wavefront6targetE0EEEvT1_.has_indirect_call, 0
	.section	.AMDGPU.csdata,"",@progbits
; Kernel info:
; codeLenInByte = 0
; TotalNumSgprs: 0
; NumVgprs: 0
; ScratchSize: 0
; MemoryBound: 0
; FloatMode: 240
; IeeeMode: 1
; LDSByteSize: 0 bytes/workgroup (compile time only)
; SGPRBlocks: 0
; VGPRBlocks: 0
; NumSGPRsForWavesPerEU: 1
; NumVGPRsForWavesPerEU: 1
; Occupancy: 16
; WaveLimiterHint : 0
; COMPUTE_PGM_RSRC2:SCRATCH_EN: 0
; COMPUTE_PGM_RSRC2:USER_SGPR: 2
; COMPUTE_PGM_RSRC2:TRAP_HANDLER: 0
; COMPUTE_PGM_RSRC2:TGID_X_EN: 1
; COMPUTE_PGM_RSRC2:TGID_Y_EN: 0
; COMPUTE_PGM_RSRC2:TGID_Z_EN: 0
; COMPUTE_PGM_RSRC2:TIDIG_COMP_CNT: 0
	.section	.text._ZN7rocprim17ROCPRIM_400000_NS6detail17trampoline_kernelINS0_14default_configENS1_25partition_config_selectorILNS1_17partition_subalgoE5ElNS0_10empty_typeEbEEZZNS1_14partition_implILS5_5ELb0ES3_mN6hipcub16HIPCUB_304000_NS21CountingInputIteratorIllEEPS6_NSA_22TransformInputIteratorIbN2at6native12_GLOBAL__N_19NonZeroOpIaEEPKalEENS0_5tupleIJPlS6_EEENSN_IJSD_SD_EEES6_PiJS6_EEE10hipError_tPvRmT3_T4_T5_T6_T7_T9_mT8_P12ihipStream_tbDpT10_ENKUlT_T0_E_clISt17integral_constantIbLb1EES1A_IbLb0EEEEDaS16_S17_EUlS16_E_NS1_11comp_targetILNS1_3genE10ELNS1_11target_archE1200ELNS1_3gpuE4ELNS1_3repE0EEENS1_30default_config_static_selectorELNS0_4arch9wavefront6targetE0EEEvT1_,"axG",@progbits,_ZN7rocprim17ROCPRIM_400000_NS6detail17trampoline_kernelINS0_14default_configENS1_25partition_config_selectorILNS1_17partition_subalgoE5ElNS0_10empty_typeEbEEZZNS1_14partition_implILS5_5ELb0ES3_mN6hipcub16HIPCUB_304000_NS21CountingInputIteratorIllEEPS6_NSA_22TransformInputIteratorIbN2at6native12_GLOBAL__N_19NonZeroOpIaEEPKalEENS0_5tupleIJPlS6_EEENSN_IJSD_SD_EEES6_PiJS6_EEE10hipError_tPvRmT3_T4_T5_T6_T7_T9_mT8_P12ihipStream_tbDpT10_ENKUlT_T0_E_clISt17integral_constantIbLb1EES1A_IbLb0EEEEDaS16_S17_EUlS16_E_NS1_11comp_targetILNS1_3genE10ELNS1_11target_archE1200ELNS1_3gpuE4ELNS1_3repE0EEENS1_30default_config_static_selectorELNS0_4arch9wavefront6targetE0EEEvT1_,comdat
	.globl	_ZN7rocprim17ROCPRIM_400000_NS6detail17trampoline_kernelINS0_14default_configENS1_25partition_config_selectorILNS1_17partition_subalgoE5ElNS0_10empty_typeEbEEZZNS1_14partition_implILS5_5ELb0ES3_mN6hipcub16HIPCUB_304000_NS21CountingInputIteratorIllEEPS6_NSA_22TransformInputIteratorIbN2at6native12_GLOBAL__N_19NonZeroOpIaEEPKalEENS0_5tupleIJPlS6_EEENSN_IJSD_SD_EEES6_PiJS6_EEE10hipError_tPvRmT3_T4_T5_T6_T7_T9_mT8_P12ihipStream_tbDpT10_ENKUlT_T0_E_clISt17integral_constantIbLb1EES1A_IbLb0EEEEDaS16_S17_EUlS16_E_NS1_11comp_targetILNS1_3genE10ELNS1_11target_archE1200ELNS1_3gpuE4ELNS1_3repE0EEENS1_30default_config_static_selectorELNS0_4arch9wavefront6targetE0EEEvT1_ ; -- Begin function _ZN7rocprim17ROCPRIM_400000_NS6detail17trampoline_kernelINS0_14default_configENS1_25partition_config_selectorILNS1_17partition_subalgoE5ElNS0_10empty_typeEbEEZZNS1_14partition_implILS5_5ELb0ES3_mN6hipcub16HIPCUB_304000_NS21CountingInputIteratorIllEEPS6_NSA_22TransformInputIteratorIbN2at6native12_GLOBAL__N_19NonZeroOpIaEEPKalEENS0_5tupleIJPlS6_EEENSN_IJSD_SD_EEES6_PiJS6_EEE10hipError_tPvRmT3_T4_T5_T6_T7_T9_mT8_P12ihipStream_tbDpT10_ENKUlT_T0_E_clISt17integral_constantIbLb1EES1A_IbLb0EEEEDaS16_S17_EUlS16_E_NS1_11comp_targetILNS1_3genE10ELNS1_11target_archE1200ELNS1_3gpuE4ELNS1_3repE0EEENS1_30default_config_static_selectorELNS0_4arch9wavefront6targetE0EEEvT1_
	.p2align	8
	.type	_ZN7rocprim17ROCPRIM_400000_NS6detail17trampoline_kernelINS0_14default_configENS1_25partition_config_selectorILNS1_17partition_subalgoE5ElNS0_10empty_typeEbEEZZNS1_14partition_implILS5_5ELb0ES3_mN6hipcub16HIPCUB_304000_NS21CountingInputIteratorIllEEPS6_NSA_22TransformInputIteratorIbN2at6native12_GLOBAL__N_19NonZeroOpIaEEPKalEENS0_5tupleIJPlS6_EEENSN_IJSD_SD_EEES6_PiJS6_EEE10hipError_tPvRmT3_T4_T5_T6_T7_T9_mT8_P12ihipStream_tbDpT10_ENKUlT_T0_E_clISt17integral_constantIbLb1EES1A_IbLb0EEEEDaS16_S17_EUlS16_E_NS1_11comp_targetILNS1_3genE10ELNS1_11target_archE1200ELNS1_3gpuE4ELNS1_3repE0EEENS1_30default_config_static_selectorELNS0_4arch9wavefront6targetE0EEEvT1_,@function
_ZN7rocprim17ROCPRIM_400000_NS6detail17trampoline_kernelINS0_14default_configENS1_25partition_config_selectorILNS1_17partition_subalgoE5ElNS0_10empty_typeEbEEZZNS1_14partition_implILS5_5ELb0ES3_mN6hipcub16HIPCUB_304000_NS21CountingInputIteratorIllEEPS6_NSA_22TransformInputIteratorIbN2at6native12_GLOBAL__N_19NonZeroOpIaEEPKalEENS0_5tupleIJPlS6_EEENSN_IJSD_SD_EEES6_PiJS6_EEE10hipError_tPvRmT3_T4_T5_T6_T7_T9_mT8_P12ihipStream_tbDpT10_ENKUlT_T0_E_clISt17integral_constantIbLb1EES1A_IbLb0EEEEDaS16_S17_EUlS16_E_NS1_11comp_targetILNS1_3genE10ELNS1_11target_archE1200ELNS1_3gpuE4ELNS1_3repE0EEENS1_30default_config_static_selectorELNS0_4arch9wavefront6targetE0EEEvT1_: ; @_ZN7rocprim17ROCPRIM_400000_NS6detail17trampoline_kernelINS0_14default_configENS1_25partition_config_selectorILNS1_17partition_subalgoE5ElNS0_10empty_typeEbEEZZNS1_14partition_implILS5_5ELb0ES3_mN6hipcub16HIPCUB_304000_NS21CountingInputIteratorIllEEPS6_NSA_22TransformInputIteratorIbN2at6native12_GLOBAL__N_19NonZeroOpIaEEPKalEENS0_5tupleIJPlS6_EEENSN_IJSD_SD_EEES6_PiJS6_EEE10hipError_tPvRmT3_T4_T5_T6_T7_T9_mT8_P12ihipStream_tbDpT10_ENKUlT_T0_E_clISt17integral_constantIbLb1EES1A_IbLb0EEEEDaS16_S17_EUlS16_E_NS1_11comp_targetILNS1_3genE10ELNS1_11target_archE1200ELNS1_3gpuE4ELNS1_3repE0EEENS1_30default_config_static_selectorELNS0_4arch9wavefront6targetE0EEEvT1_
; %bb.0:
	s_endpgm
	.section	.rodata,"a",@progbits
	.p2align	6, 0x0
	.amdhsa_kernel _ZN7rocprim17ROCPRIM_400000_NS6detail17trampoline_kernelINS0_14default_configENS1_25partition_config_selectorILNS1_17partition_subalgoE5ElNS0_10empty_typeEbEEZZNS1_14partition_implILS5_5ELb0ES3_mN6hipcub16HIPCUB_304000_NS21CountingInputIteratorIllEEPS6_NSA_22TransformInputIteratorIbN2at6native12_GLOBAL__N_19NonZeroOpIaEEPKalEENS0_5tupleIJPlS6_EEENSN_IJSD_SD_EEES6_PiJS6_EEE10hipError_tPvRmT3_T4_T5_T6_T7_T9_mT8_P12ihipStream_tbDpT10_ENKUlT_T0_E_clISt17integral_constantIbLb1EES1A_IbLb0EEEEDaS16_S17_EUlS16_E_NS1_11comp_targetILNS1_3genE10ELNS1_11target_archE1200ELNS1_3gpuE4ELNS1_3repE0EEENS1_30default_config_static_selectorELNS0_4arch9wavefront6targetE0EEEvT1_
		.amdhsa_group_segment_fixed_size 0
		.amdhsa_private_segment_fixed_size 0
		.amdhsa_kernarg_size 120
		.amdhsa_user_sgpr_count 2
		.amdhsa_user_sgpr_dispatch_ptr 0
		.amdhsa_user_sgpr_queue_ptr 0
		.amdhsa_user_sgpr_kernarg_segment_ptr 1
		.amdhsa_user_sgpr_dispatch_id 0
		.amdhsa_user_sgpr_private_segment_size 0
		.amdhsa_wavefront_size32 1
		.amdhsa_uses_dynamic_stack 0
		.amdhsa_enable_private_segment 0
		.amdhsa_system_sgpr_workgroup_id_x 1
		.amdhsa_system_sgpr_workgroup_id_y 0
		.amdhsa_system_sgpr_workgroup_id_z 0
		.amdhsa_system_sgpr_workgroup_info 0
		.amdhsa_system_vgpr_workitem_id 0
		.amdhsa_next_free_vgpr 1
		.amdhsa_next_free_sgpr 1
		.amdhsa_reserve_vcc 0
		.amdhsa_float_round_mode_32 0
		.amdhsa_float_round_mode_16_64 0
		.amdhsa_float_denorm_mode_32 3
		.amdhsa_float_denorm_mode_16_64 3
		.amdhsa_fp16_overflow 0
		.amdhsa_workgroup_processor_mode 1
		.amdhsa_memory_ordered 1
		.amdhsa_forward_progress 1
		.amdhsa_inst_pref_size 1
		.amdhsa_round_robin_scheduling 0
		.amdhsa_exception_fp_ieee_invalid_op 0
		.amdhsa_exception_fp_denorm_src 0
		.amdhsa_exception_fp_ieee_div_zero 0
		.amdhsa_exception_fp_ieee_overflow 0
		.amdhsa_exception_fp_ieee_underflow 0
		.amdhsa_exception_fp_ieee_inexact 0
		.amdhsa_exception_int_div_zero 0
	.end_amdhsa_kernel
	.section	.text._ZN7rocprim17ROCPRIM_400000_NS6detail17trampoline_kernelINS0_14default_configENS1_25partition_config_selectorILNS1_17partition_subalgoE5ElNS0_10empty_typeEbEEZZNS1_14partition_implILS5_5ELb0ES3_mN6hipcub16HIPCUB_304000_NS21CountingInputIteratorIllEEPS6_NSA_22TransformInputIteratorIbN2at6native12_GLOBAL__N_19NonZeroOpIaEEPKalEENS0_5tupleIJPlS6_EEENSN_IJSD_SD_EEES6_PiJS6_EEE10hipError_tPvRmT3_T4_T5_T6_T7_T9_mT8_P12ihipStream_tbDpT10_ENKUlT_T0_E_clISt17integral_constantIbLb1EES1A_IbLb0EEEEDaS16_S17_EUlS16_E_NS1_11comp_targetILNS1_3genE10ELNS1_11target_archE1200ELNS1_3gpuE4ELNS1_3repE0EEENS1_30default_config_static_selectorELNS0_4arch9wavefront6targetE0EEEvT1_,"axG",@progbits,_ZN7rocprim17ROCPRIM_400000_NS6detail17trampoline_kernelINS0_14default_configENS1_25partition_config_selectorILNS1_17partition_subalgoE5ElNS0_10empty_typeEbEEZZNS1_14partition_implILS5_5ELb0ES3_mN6hipcub16HIPCUB_304000_NS21CountingInputIteratorIllEEPS6_NSA_22TransformInputIteratorIbN2at6native12_GLOBAL__N_19NonZeroOpIaEEPKalEENS0_5tupleIJPlS6_EEENSN_IJSD_SD_EEES6_PiJS6_EEE10hipError_tPvRmT3_T4_T5_T6_T7_T9_mT8_P12ihipStream_tbDpT10_ENKUlT_T0_E_clISt17integral_constantIbLb1EES1A_IbLb0EEEEDaS16_S17_EUlS16_E_NS1_11comp_targetILNS1_3genE10ELNS1_11target_archE1200ELNS1_3gpuE4ELNS1_3repE0EEENS1_30default_config_static_selectorELNS0_4arch9wavefront6targetE0EEEvT1_,comdat
.Lfunc_end139:
	.size	_ZN7rocprim17ROCPRIM_400000_NS6detail17trampoline_kernelINS0_14default_configENS1_25partition_config_selectorILNS1_17partition_subalgoE5ElNS0_10empty_typeEbEEZZNS1_14partition_implILS5_5ELb0ES3_mN6hipcub16HIPCUB_304000_NS21CountingInputIteratorIllEEPS6_NSA_22TransformInputIteratorIbN2at6native12_GLOBAL__N_19NonZeroOpIaEEPKalEENS0_5tupleIJPlS6_EEENSN_IJSD_SD_EEES6_PiJS6_EEE10hipError_tPvRmT3_T4_T5_T6_T7_T9_mT8_P12ihipStream_tbDpT10_ENKUlT_T0_E_clISt17integral_constantIbLb1EES1A_IbLb0EEEEDaS16_S17_EUlS16_E_NS1_11comp_targetILNS1_3genE10ELNS1_11target_archE1200ELNS1_3gpuE4ELNS1_3repE0EEENS1_30default_config_static_selectorELNS0_4arch9wavefront6targetE0EEEvT1_, .Lfunc_end139-_ZN7rocprim17ROCPRIM_400000_NS6detail17trampoline_kernelINS0_14default_configENS1_25partition_config_selectorILNS1_17partition_subalgoE5ElNS0_10empty_typeEbEEZZNS1_14partition_implILS5_5ELb0ES3_mN6hipcub16HIPCUB_304000_NS21CountingInputIteratorIllEEPS6_NSA_22TransformInputIteratorIbN2at6native12_GLOBAL__N_19NonZeroOpIaEEPKalEENS0_5tupleIJPlS6_EEENSN_IJSD_SD_EEES6_PiJS6_EEE10hipError_tPvRmT3_T4_T5_T6_T7_T9_mT8_P12ihipStream_tbDpT10_ENKUlT_T0_E_clISt17integral_constantIbLb1EES1A_IbLb0EEEEDaS16_S17_EUlS16_E_NS1_11comp_targetILNS1_3genE10ELNS1_11target_archE1200ELNS1_3gpuE4ELNS1_3repE0EEENS1_30default_config_static_selectorELNS0_4arch9wavefront6targetE0EEEvT1_
                                        ; -- End function
	.set _ZN7rocprim17ROCPRIM_400000_NS6detail17trampoline_kernelINS0_14default_configENS1_25partition_config_selectorILNS1_17partition_subalgoE5ElNS0_10empty_typeEbEEZZNS1_14partition_implILS5_5ELb0ES3_mN6hipcub16HIPCUB_304000_NS21CountingInputIteratorIllEEPS6_NSA_22TransformInputIteratorIbN2at6native12_GLOBAL__N_19NonZeroOpIaEEPKalEENS0_5tupleIJPlS6_EEENSN_IJSD_SD_EEES6_PiJS6_EEE10hipError_tPvRmT3_T4_T5_T6_T7_T9_mT8_P12ihipStream_tbDpT10_ENKUlT_T0_E_clISt17integral_constantIbLb1EES1A_IbLb0EEEEDaS16_S17_EUlS16_E_NS1_11comp_targetILNS1_3genE10ELNS1_11target_archE1200ELNS1_3gpuE4ELNS1_3repE0EEENS1_30default_config_static_selectorELNS0_4arch9wavefront6targetE0EEEvT1_.num_vgpr, 0
	.set _ZN7rocprim17ROCPRIM_400000_NS6detail17trampoline_kernelINS0_14default_configENS1_25partition_config_selectorILNS1_17partition_subalgoE5ElNS0_10empty_typeEbEEZZNS1_14partition_implILS5_5ELb0ES3_mN6hipcub16HIPCUB_304000_NS21CountingInputIteratorIllEEPS6_NSA_22TransformInputIteratorIbN2at6native12_GLOBAL__N_19NonZeroOpIaEEPKalEENS0_5tupleIJPlS6_EEENSN_IJSD_SD_EEES6_PiJS6_EEE10hipError_tPvRmT3_T4_T5_T6_T7_T9_mT8_P12ihipStream_tbDpT10_ENKUlT_T0_E_clISt17integral_constantIbLb1EES1A_IbLb0EEEEDaS16_S17_EUlS16_E_NS1_11comp_targetILNS1_3genE10ELNS1_11target_archE1200ELNS1_3gpuE4ELNS1_3repE0EEENS1_30default_config_static_selectorELNS0_4arch9wavefront6targetE0EEEvT1_.num_agpr, 0
	.set _ZN7rocprim17ROCPRIM_400000_NS6detail17trampoline_kernelINS0_14default_configENS1_25partition_config_selectorILNS1_17partition_subalgoE5ElNS0_10empty_typeEbEEZZNS1_14partition_implILS5_5ELb0ES3_mN6hipcub16HIPCUB_304000_NS21CountingInputIteratorIllEEPS6_NSA_22TransformInputIteratorIbN2at6native12_GLOBAL__N_19NonZeroOpIaEEPKalEENS0_5tupleIJPlS6_EEENSN_IJSD_SD_EEES6_PiJS6_EEE10hipError_tPvRmT3_T4_T5_T6_T7_T9_mT8_P12ihipStream_tbDpT10_ENKUlT_T0_E_clISt17integral_constantIbLb1EES1A_IbLb0EEEEDaS16_S17_EUlS16_E_NS1_11comp_targetILNS1_3genE10ELNS1_11target_archE1200ELNS1_3gpuE4ELNS1_3repE0EEENS1_30default_config_static_selectorELNS0_4arch9wavefront6targetE0EEEvT1_.numbered_sgpr, 0
	.set _ZN7rocprim17ROCPRIM_400000_NS6detail17trampoline_kernelINS0_14default_configENS1_25partition_config_selectorILNS1_17partition_subalgoE5ElNS0_10empty_typeEbEEZZNS1_14partition_implILS5_5ELb0ES3_mN6hipcub16HIPCUB_304000_NS21CountingInputIteratorIllEEPS6_NSA_22TransformInputIteratorIbN2at6native12_GLOBAL__N_19NonZeroOpIaEEPKalEENS0_5tupleIJPlS6_EEENSN_IJSD_SD_EEES6_PiJS6_EEE10hipError_tPvRmT3_T4_T5_T6_T7_T9_mT8_P12ihipStream_tbDpT10_ENKUlT_T0_E_clISt17integral_constantIbLb1EES1A_IbLb0EEEEDaS16_S17_EUlS16_E_NS1_11comp_targetILNS1_3genE10ELNS1_11target_archE1200ELNS1_3gpuE4ELNS1_3repE0EEENS1_30default_config_static_selectorELNS0_4arch9wavefront6targetE0EEEvT1_.num_named_barrier, 0
	.set _ZN7rocprim17ROCPRIM_400000_NS6detail17trampoline_kernelINS0_14default_configENS1_25partition_config_selectorILNS1_17partition_subalgoE5ElNS0_10empty_typeEbEEZZNS1_14partition_implILS5_5ELb0ES3_mN6hipcub16HIPCUB_304000_NS21CountingInputIteratorIllEEPS6_NSA_22TransformInputIteratorIbN2at6native12_GLOBAL__N_19NonZeroOpIaEEPKalEENS0_5tupleIJPlS6_EEENSN_IJSD_SD_EEES6_PiJS6_EEE10hipError_tPvRmT3_T4_T5_T6_T7_T9_mT8_P12ihipStream_tbDpT10_ENKUlT_T0_E_clISt17integral_constantIbLb1EES1A_IbLb0EEEEDaS16_S17_EUlS16_E_NS1_11comp_targetILNS1_3genE10ELNS1_11target_archE1200ELNS1_3gpuE4ELNS1_3repE0EEENS1_30default_config_static_selectorELNS0_4arch9wavefront6targetE0EEEvT1_.private_seg_size, 0
	.set _ZN7rocprim17ROCPRIM_400000_NS6detail17trampoline_kernelINS0_14default_configENS1_25partition_config_selectorILNS1_17partition_subalgoE5ElNS0_10empty_typeEbEEZZNS1_14partition_implILS5_5ELb0ES3_mN6hipcub16HIPCUB_304000_NS21CountingInputIteratorIllEEPS6_NSA_22TransformInputIteratorIbN2at6native12_GLOBAL__N_19NonZeroOpIaEEPKalEENS0_5tupleIJPlS6_EEENSN_IJSD_SD_EEES6_PiJS6_EEE10hipError_tPvRmT3_T4_T5_T6_T7_T9_mT8_P12ihipStream_tbDpT10_ENKUlT_T0_E_clISt17integral_constantIbLb1EES1A_IbLb0EEEEDaS16_S17_EUlS16_E_NS1_11comp_targetILNS1_3genE10ELNS1_11target_archE1200ELNS1_3gpuE4ELNS1_3repE0EEENS1_30default_config_static_selectorELNS0_4arch9wavefront6targetE0EEEvT1_.uses_vcc, 0
	.set _ZN7rocprim17ROCPRIM_400000_NS6detail17trampoline_kernelINS0_14default_configENS1_25partition_config_selectorILNS1_17partition_subalgoE5ElNS0_10empty_typeEbEEZZNS1_14partition_implILS5_5ELb0ES3_mN6hipcub16HIPCUB_304000_NS21CountingInputIteratorIllEEPS6_NSA_22TransformInputIteratorIbN2at6native12_GLOBAL__N_19NonZeroOpIaEEPKalEENS0_5tupleIJPlS6_EEENSN_IJSD_SD_EEES6_PiJS6_EEE10hipError_tPvRmT3_T4_T5_T6_T7_T9_mT8_P12ihipStream_tbDpT10_ENKUlT_T0_E_clISt17integral_constantIbLb1EES1A_IbLb0EEEEDaS16_S17_EUlS16_E_NS1_11comp_targetILNS1_3genE10ELNS1_11target_archE1200ELNS1_3gpuE4ELNS1_3repE0EEENS1_30default_config_static_selectorELNS0_4arch9wavefront6targetE0EEEvT1_.uses_flat_scratch, 0
	.set _ZN7rocprim17ROCPRIM_400000_NS6detail17trampoline_kernelINS0_14default_configENS1_25partition_config_selectorILNS1_17partition_subalgoE5ElNS0_10empty_typeEbEEZZNS1_14partition_implILS5_5ELb0ES3_mN6hipcub16HIPCUB_304000_NS21CountingInputIteratorIllEEPS6_NSA_22TransformInputIteratorIbN2at6native12_GLOBAL__N_19NonZeroOpIaEEPKalEENS0_5tupleIJPlS6_EEENSN_IJSD_SD_EEES6_PiJS6_EEE10hipError_tPvRmT3_T4_T5_T6_T7_T9_mT8_P12ihipStream_tbDpT10_ENKUlT_T0_E_clISt17integral_constantIbLb1EES1A_IbLb0EEEEDaS16_S17_EUlS16_E_NS1_11comp_targetILNS1_3genE10ELNS1_11target_archE1200ELNS1_3gpuE4ELNS1_3repE0EEENS1_30default_config_static_selectorELNS0_4arch9wavefront6targetE0EEEvT1_.has_dyn_sized_stack, 0
	.set _ZN7rocprim17ROCPRIM_400000_NS6detail17trampoline_kernelINS0_14default_configENS1_25partition_config_selectorILNS1_17partition_subalgoE5ElNS0_10empty_typeEbEEZZNS1_14partition_implILS5_5ELb0ES3_mN6hipcub16HIPCUB_304000_NS21CountingInputIteratorIllEEPS6_NSA_22TransformInputIteratorIbN2at6native12_GLOBAL__N_19NonZeroOpIaEEPKalEENS0_5tupleIJPlS6_EEENSN_IJSD_SD_EEES6_PiJS6_EEE10hipError_tPvRmT3_T4_T5_T6_T7_T9_mT8_P12ihipStream_tbDpT10_ENKUlT_T0_E_clISt17integral_constantIbLb1EES1A_IbLb0EEEEDaS16_S17_EUlS16_E_NS1_11comp_targetILNS1_3genE10ELNS1_11target_archE1200ELNS1_3gpuE4ELNS1_3repE0EEENS1_30default_config_static_selectorELNS0_4arch9wavefront6targetE0EEEvT1_.has_recursion, 0
	.set _ZN7rocprim17ROCPRIM_400000_NS6detail17trampoline_kernelINS0_14default_configENS1_25partition_config_selectorILNS1_17partition_subalgoE5ElNS0_10empty_typeEbEEZZNS1_14partition_implILS5_5ELb0ES3_mN6hipcub16HIPCUB_304000_NS21CountingInputIteratorIllEEPS6_NSA_22TransformInputIteratorIbN2at6native12_GLOBAL__N_19NonZeroOpIaEEPKalEENS0_5tupleIJPlS6_EEENSN_IJSD_SD_EEES6_PiJS6_EEE10hipError_tPvRmT3_T4_T5_T6_T7_T9_mT8_P12ihipStream_tbDpT10_ENKUlT_T0_E_clISt17integral_constantIbLb1EES1A_IbLb0EEEEDaS16_S17_EUlS16_E_NS1_11comp_targetILNS1_3genE10ELNS1_11target_archE1200ELNS1_3gpuE4ELNS1_3repE0EEENS1_30default_config_static_selectorELNS0_4arch9wavefront6targetE0EEEvT1_.has_indirect_call, 0
	.section	.AMDGPU.csdata,"",@progbits
; Kernel info:
; codeLenInByte = 4
; TotalNumSgprs: 0
; NumVgprs: 0
; ScratchSize: 0
; MemoryBound: 0
; FloatMode: 240
; IeeeMode: 1
; LDSByteSize: 0 bytes/workgroup (compile time only)
; SGPRBlocks: 0
; VGPRBlocks: 0
; NumSGPRsForWavesPerEU: 1
; NumVGPRsForWavesPerEU: 1
; Occupancy: 16
; WaveLimiterHint : 0
; COMPUTE_PGM_RSRC2:SCRATCH_EN: 0
; COMPUTE_PGM_RSRC2:USER_SGPR: 2
; COMPUTE_PGM_RSRC2:TRAP_HANDLER: 0
; COMPUTE_PGM_RSRC2:TGID_X_EN: 1
; COMPUTE_PGM_RSRC2:TGID_Y_EN: 0
; COMPUTE_PGM_RSRC2:TGID_Z_EN: 0
; COMPUTE_PGM_RSRC2:TIDIG_COMP_CNT: 0
	.section	.text._ZN7rocprim17ROCPRIM_400000_NS6detail17trampoline_kernelINS0_14default_configENS1_25partition_config_selectorILNS1_17partition_subalgoE5ElNS0_10empty_typeEbEEZZNS1_14partition_implILS5_5ELb0ES3_mN6hipcub16HIPCUB_304000_NS21CountingInputIteratorIllEEPS6_NSA_22TransformInputIteratorIbN2at6native12_GLOBAL__N_19NonZeroOpIaEEPKalEENS0_5tupleIJPlS6_EEENSN_IJSD_SD_EEES6_PiJS6_EEE10hipError_tPvRmT3_T4_T5_T6_T7_T9_mT8_P12ihipStream_tbDpT10_ENKUlT_T0_E_clISt17integral_constantIbLb1EES1A_IbLb0EEEEDaS16_S17_EUlS16_E_NS1_11comp_targetILNS1_3genE9ELNS1_11target_archE1100ELNS1_3gpuE3ELNS1_3repE0EEENS1_30default_config_static_selectorELNS0_4arch9wavefront6targetE0EEEvT1_,"axG",@progbits,_ZN7rocprim17ROCPRIM_400000_NS6detail17trampoline_kernelINS0_14default_configENS1_25partition_config_selectorILNS1_17partition_subalgoE5ElNS0_10empty_typeEbEEZZNS1_14partition_implILS5_5ELb0ES3_mN6hipcub16HIPCUB_304000_NS21CountingInputIteratorIllEEPS6_NSA_22TransformInputIteratorIbN2at6native12_GLOBAL__N_19NonZeroOpIaEEPKalEENS0_5tupleIJPlS6_EEENSN_IJSD_SD_EEES6_PiJS6_EEE10hipError_tPvRmT3_T4_T5_T6_T7_T9_mT8_P12ihipStream_tbDpT10_ENKUlT_T0_E_clISt17integral_constantIbLb1EES1A_IbLb0EEEEDaS16_S17_EUlS16_E_NS1_11comp_targetILNS1_3genE9ELNS1_11target_archE1100ELNS1_3gpuE3ELNS1_3repE0EEENS1_30default_config_static_selectorELNS0_4arch9wavefront6targetE0EEEvT1_,comdat
	.globl	_ZN7rocprim17ROCPRIM_400000_NS6detail17trampoline_kernelINS0_14default_configENS1_25partition_config_selectorILNS1_17partition_subalgoE5ElNS0_10empty_typeEbEEZZNS1_14partition_implILS5_5ELb0ES3_mN6hipcub16HIPCUB_304000_NS21CountingInputIteratorIllEEPS6_NSA_22TransformInputIteratorIbN2at6native12_GLOBAL__N_19NonZeroOpIaEEPKalEENS0_5tupleIJPlS6_EEENSN_IJSD_SD_EEES6_PiJS6_EEE10hipError_tPvRmT3_T4_T5_T6_T7_T9_mT8_P12ihipStream_tbDpT10_ENKUlT_T0_E_clISt17integral_constantIbLb1EES1A_IbLb0EEEEDaS16_S17_EUlS16_E_NS1_11comp_targetILNS1_3genE9ELNS1_11target_archE1100ELNS1_3gpuE3ELNS1_3repE0EEENS1_30default_config_static_selectorELNS0_4arch9wavefront6targetE0EEEvT1_ ; -- Begin function _ZN7rocprim17ROCPRIM_400000_NS6detail17trampoline_kernelINS0_14default_configENS1_25partition_config_selectorILNS1_17partition_subalgoE5ElNS0_10empty_typeEbEEZZNS1_14partition_implILS5_5ELb0ES3_mN6hipcub16HIPCUB_304000_NS21CountingInputIteratorIllEEPS6_NSA_22TransformInputIteratorIbN2at6native12_GLOBAL__N_19NonZeroOpIaEEPKalEENS0_5tupleIJPlS6_EEENSN_IJSD_SD_EEES6_PiJS6_EEE10hipError_tPvRmT3_T4_T5_T6_T7_T9_mT8_P12ihipStream_tbDpT10_ENKUlT_T0_E_clISt17integral_constantIbLb1EES1A_IbLb0EEEEDaS16_S17_EUlS16_E_NS1_11comp_targetILNS1_3genE9ELNS1_11target_archE1100ELNS1_3gpuE3ELNS1_3repE0EEENS1_30default_config_static_selectorELNS0_4arch9wavefront6targetE0EEEvT1_
	.p2align	8
	.type	_ZN7rocprim17ROCPRIM_400000_NS6detail17trampoline_kernelINS0_14default_configENS1_25partition_config_selectorILNS1_17partition_subalgoE5ElNS0_10empty_typeEbEEZZNS1_14partition_implILS5_5ELb0ES3_mN6hipcub16HIPCUB_304000_NS21CountingInputIteratorIllEEPS6_NSA_22TransformInputIteratorIbN2at6native12_GLOBAL__N_19NonZeroOpIaEEPKalEENS0_5tupleIJPlS6_EEENSN_IJSD_SD_EEES6_PiJS6_EEE10hipError_tPvRmT3_T4_T5_T6_T7_T9_mT8_P12ihipStream_tbDpT10_ENKUlT_T0_E_clISt17integral_constantIbLb1EES1A_IbLb0EEEEDaS16_S17_EUlS16_E_NS1_11comp_targetILNS1_3genE9ELNS1_11target_archE1100ELNS1_3gpuE3ELNS1_3repE0EEENS1_30default_config_static_selectorELNS0_4arch9wavefront6targetE0EEEvT1_,@function
_ZN7rocprim17ROCPRIM_400000_NS6detail17trampoline_kernelINS0_14default_configENS1_25partition_config_selectorILNS1_17partition_subalgoE5ElNS0_10empty_typeEbEEZZNS1_14partition_implILS5_5ELb0ES3_mN6hipcub16HIPCUB_304000_NS21CountingInputIteratorIllEEPS6_NSA_22TransformInputIteratorIbN2at6native12_GLOBAL__N_19NonZeroOpIaEEPKalEENS0_5tupleIJPlS6_EEENSN_IJSD_SD_EEES6_PiJS6_EEE10hipError_tPvRmT3_T4_T5_T6_T7_T9_mT8_P12ihipStream_tbDpT10_ENKUlT_T0_E_clISt17integral_constantIbLb1EES1A_IbLb0EEEEDaS16_S17_EUlS16_E_NS1_11comp_targetILNS1_3genE9ELNS1_11target_archE1100ELNS1_3gpuE3ELNS1_3repE0EEENS1_30default_config_static_selectorELNS0_4arch9wavefront6targetE0EEEvT1_: ; @_ZN7rocprim17ROCPRIM_400000_NS6detail17trampoline_kernelINS0_14default_configENS1_25partition_config_selectorILNS1_17partition_subalgoE5ElNS0_10empty_typeEbEEZZNS1_14partition_implILS5_5ELb0ES3_mN6hipcub16HIPCUB_304000_NS21CountingInputIteratorIllEEPS6_NSA_22TransformInputIteratorIbN2at6native12_GLOBAL__N_19NonZeroOpIaEEPKalEENS0_5tupleIJPlS6_EEENSN_IJSD_SD_EEES6_PiJS6_EEE10hipError_tPvRmT3_T4_T5_T6_T7_T9_mT8_P12ihipStream_tbDpT10_ENKUlT_T0_E_clISt17integral_constantIbLb1EES1A_IbLb0EEEEDaS16_S17_EUlS16_E_NS1_11comp_targetILNS1_3genE9ELNS1_11target_archE1100ELNS1_3gpuE3ELNS1_3repE0EEENS1_30default_config_static_selectorELNS0_4arch9wavefront6targetE0EEEvT1_
; %bb.0:
	.section	.rodata,"a",@progbits
	.p2align	6, 0x0
	.amdhsa_kernel _ZN7rocprim17ROCPRIM_400000_NS6detail17trampoline_kernelINS0_14default_configENS1_25partition_config_selectorILNS1_17partition_subalgoE5ElNS0_10empty_typeEbEEZZNS1_14partition_implILS5_5ELb0ES3_mN6hipcub16HIPCUB_304000_NS21CountingInputIteratorIllEEPS6_NSA_22TransformInputIteratorIbN2at6native12_GLOBAL__N_19NonZeroOpIaEEPKalEENS0_5tupleIJPlS6_EEENSN_IJSD_SD_EEES6_PiJS6_EEE10hipError_tPvRmT3_T4_T5_T6_T7_T9_mT8_P12ihipStream_tbDpT10_ENKUlT_T0_E_clISt17integral_constantIbLb1EES1A_IbLb0EEEEDaS16_S17_EUlS16_E_NS1_11comp_targetILNS1_3genE9ELNS1_11target_archE1100ELNS1_3gpuE3ELNS1_3repE0EEENS1_30default_config_static_selectorELNS0_4arch9wavefront6targetE0EEEvT1_
		.amdhsa_group_segment_fixed_size 0
		.amdhsa_private_segment_fixed_size 0
		.amdhsa_kernarg_size 120
		.amdhsa_user_sgpr_count 2
		.amdhsa_user_sgpr_dispatch_ptr 0
		.amdhsa_user_sgpr_queue_ptr 0
		.amdhsa_user_sgpr_kernarg_segment_ptr 1
		.amdhsa_user_sgpr_dispatch_id 0
		.amdhsa_user_sgpr_private_segment_size 0
		.amdhsa_wavefront_size32 1
		.amdhsa_uses_dynamic_stack 0
		.amdhsa_enable_private_segment 0
		.amdhsa_system_sgpr_workgroup_id_x 1
		.amdhsa_system_sgpr_workgroup_id_y 0
		.amdhsa_system_sgpr_workgroup_id_z 0
		.amdhsa_system_sgpr_workgroup_info 0
		.amdhsa_system_vgpr_workitem_id 0
		.amdhsa_next_free_vgpr 1
		.amdhsa_next_free_sgpr 1
		.amdhsa_reserve_vcc 0
		.amdhsa_float_round_mode_32 0
		.amdhsa_float_round_mode_16_64 0
		.amdhsa_float_denorm_mode_32 3
		.amdhsa_float_denorm_mode_16_64 3
		.amdhsa_fp16_overflow 0
		.amdhsa_workgroup_processor_mode 1
		.amdhsa_memory_ordered 1
		.amdhsa_forward_progress 1
		.amdhsa_inst_pref_size 0
		.amdhsa_round_robin_scheduling 0
		.amdhsa_exception_fp_ieee_invalid_op 0
		.amdhsa_exception_fp_denorm_src 0
		.amdhsa_exception_fp_ieee_div_zero 0
		.amdhsa_exception_fp_ieee_overflow 0
		.amdhsa_exception_fp_ieee_underflow 0
		.amdhsa_exception_fp_ieee_inexact 0
		.amdhsa_exception_int_div_zero 0
	.end_amdhsa_kernel
	.section	.text._ZN7rocprim17ROCPRIM_400000_NS6detail17trampoline_kernelINS0_14default_configENS1_25partition_config_selectorILNS1_17partition_subalgoE5ElNS0_10empty_typeEbEEZZNS1_14partition_implILS5_5ELb0ES3_mN6hipcub16HIPCUB_304000_NS21CountingInputIteratorIllEEPS6_NSA_22TransformInputIteratorIbN2at6native12_GLOBAL__N_19NonZeroOpIaEEPKalEENS0_5tupleIJPlS6_EEENSN_IJSD_SD_EEES6_PiJS6_EEE10hipError_tPvRmT3_T4_T5_T6_T7_T9_mT8_P12ihipStream_tbDpT10_ENKUlT_T0_E_clISt17integral_constantIbLb1EES1A_IbLb0EEEEDaS16_S17_EUlS16_E_NS1_11comp_targetILNS1_3genE9ELNS1_11target_archE1100ELNS1_3gpuE3ELNS1_3repE0EEENS1_30default_config_static_selectorELNS0_4arch9wavefront6targetE0EEEvT1_,"axG",@progbits,_ZN7rocprim17ROCPRIM_400000_NS6detail17trampoline_kernelINS0_14default_configENS1_25partition_config_selectorILNS1_17partition_subalgoE5ElNS0_10empty_typeEbEEZZNS1_14partition_implILS5_5ELb0ES3_mN6hipcub16HIPCUB_304000_NS21CountingInputIteratorIllEEPS6_NSA_22TransformInputIteratorIbN2at6native12_GLOBAL__N_19NonZeroOpIaEEPKalEENS0_5tupleIJPlS6_EEENSN_IJSD_SD_EEES6_PiJS6_EEE10hipError_tPvRmT3_T4_T5_T6_T7_T9_mT8_P12ihipStream_tbDpT10_ENKUlT_T0_E_clISt17integral_constantIbLb1EES1A_IbLb0EEEEDaS16_S17_EUlS16_E_NS1_11comp_targetILNS1_3genE9ELNS1_11target_archE1100ELNS1_3gpuE3ELNS1_3repE0EEENS1_30default_config_static_selectorELNS0_4arch9wavefront6targetE0EEEvT1_,comdat
.Lfunc_end140:
	.size	_ZN7rocprim17ROCPRIM_400000_NS6detail17trampoline_kernelINS0_14default_configENS1_25partition_config_selectorILNS1_17partition_subalgoE5ElNS0_10empty_typeEbEEZZNS1_14partition_implILS5_5ELb0ES3_mN6hipcub16HIPCUB_304000_NS21CountingInputIteratorIllEEPS6_NSA_22TransformInputIteratorIbN2at6native12_GLOBAL__N_19NonZeroOpIaEEPKalEENS0_5tupleIJPlS6_EEENSN_IJSD_SD_EEES6_PiJS6_EEE10hipError_tPvRmT3_T4_T5_T6_T7_T9_mT8_P12ihipStream_tbDpT10_ENKUlT_T0_E_clISt17integral_constantIbLb1EES1A_IbLb0EEEEDaS16_S17_EUlS16_E_NS1_11comp_targetILNS1_3genE9ELNS1_11target_archE1100ELNS1_3gpuE3ELNS1_3repE0EEENS1_30default_config_static_selectorELNS0_4arch9wavefront6targetE0EEEvT1_, .Lfunc_end140-_ZN7rocprim17ROCPRIM_400000_NS6detail17trampoline_kernelINS0_14default_configENS1_25partition_config_selectorILNS1_17partition_subalgoE5ElNS0_10empty_typeEbEEZZNS1_14partition_implILS5_5ELb0ES3_mN6hipcub16HIPCUB_304000_NS21CountingInputIteratorIllEEPS6_NSA_22TransformInputIteratorIbN2at6native12_GLOBAL__N_19NonZeroOpIaEEPKalEENS0_5tupleIJPlS6_EEENSN_IJSD_SD_EEES6_PiJS6_EEE10hipError_tPvRmT3_T4_T5_T6_T7_T9_mT8_P12ihipStream_tbDpT10_ENKUlT_T0_E_clISt17integral_constantIbLb1EES1A_IbLb0EEEEDaS16_S17_EUlS16_E_NS1_11comp_targetILNS1_3genE9ELNS1_11target_archE1100ELNS1_3gpuE3ELNS1_3repE0EEENS1_30default_config_static_selectorELNS0_4arch9wavefront6targetE0EEEvT1_
                                        ; -- End function
	.set _ZN7rocprim17ROCPRIM_400000_NS6detail17trampoline_kernelINS0_14default_configENS1_25partition_config_selectorILNS1_17partition_subalgoE5ElNS0_10empty_typeEbEEZZNS1_14partition_implILS5_5ELb0ES3_mN6hipcub16HIPCUB_304000_NS21CountingInputIteratorIllEEPS6_NSA_22TransformInputIteratorIbN2at6native12_GLOBAL__N_19NonZeroOpIaEEPKalEENS0_5tupleIJPlS6_EEENSN_IJSD_SD_EEES6_PiJS6_EEE10hipError_tPvRmT3_T4_T5_T6_T7_T9_mT8_P12ihipStream_tbDpT10_ENKUlT_T0_E_clISt17integral_constantIbLb1EES1A_IbLb0EEEEDaS16_S17_EUlS16_E_NS1_11comp_targetILNS1_3genE9ELNS1_11target_archE1100ELNS1_3gpuE3ELNS1_3repE0EEENS1_30default_config_static_selectorELNS0_4arch9wavefront6targetE0EEEvT1_.num_vgpr, 0
	.set _ZN7rocprim17ROCPRIM_400000_NS6detail17trampoline_kernelINS0_14default_configENS1_25partition_config_selectorILNS1_17partition_subalgoE5ElNS0_10empty_typeEbEEZZNS1_14partition_implILS5_5ELb0ES3_mN6hipcub16HIPCUB_304000_NS21CountingInputIteratorIllEEPS6_NSA_22TransformInputIteratorIbN2at6native12_GLOBAL__N_19NonZeroOpIaEEPKalEENS0_5tupleIJPlS6_EEENSN_IJSD_SD_EEES6_PiJS6_EEE10hipError_tPvRmT3_T4_T5_T6_T7_T9_mT8_P12ihipStream_tbDpT10_ENKUlT_T0_E_clISt17integral_constantIbLb1EES1A_IbLb0EEEEDaS16_S17_EUlS16_E_NS1_11comp_targetILNS1_3genE9ELNS1_11target_archE1100ELNS1_3gpuE3ELNS1_3repE0EEENS1_30default_config_static_selectorELNS0_4arch9wavefront6targetE0EEEvT1_.num_agpr, 0
	.set _ZN7rocprim17ROCPRIM_400000_NS6detail17trampoline_kernelINS0_14default_configENS1_25partition_config_selectorILNS1_17partition_subalgoE5ElNS0_10empty_typeEbEEZZNS1_14partition_implILS5_5ELb0ES3_mN6hipcub16HIPCUB_304000_NS21CountingInputIteratorIllEEPS6_NSA_22TransformInputIteratorIbN2at6native12_GLOBAL__N_19NonZeroOpIaEEPKalEENS0_5tupleIJPlS6_EEENSN_IJSD_SD_EEES6_PiJS6_EEE10hipError_tPvRmT3_T4_T5_T6_T7_T9_mT8_P12ihipStream_tbDpT10_ENKUlT_T0_E_clISt17integral_constantIbLb1EES1A_IbLb0EEEEDaS16_S17_EUlS16_E_NS1_11comp_targetILNS1_3genE9ELNS1_11target_archE1100ELNS1_3gpuE3ELNS1_3repE0EEENS1_30default_config_static_selectorELNS0_4arch9wavefront6targetE0EEEvT1_.numbered_sgpr, 0
	.set _ZN7rocprim17ROCPRIM_400000_NS6detail17trampoline_kernelINS0_14default_configENS1_25partition_config_selectorILNS1_17partition_subalgoE5ElNS0_10empty_typeEbEEZZNS1_14partition_implILS5_5ELb0ES3_mN6hipcub16HIPCUB_304000_NS21CountingInputIteratorIllEEPS6_NSA_22TransformInputIteratorIbN2at6native12_GLOBAL__N_19NonZeroOpIaEEPKalEENS0_5tupleIJPlS6_EEENSN_IJSD_SD_EEES6_PiJS6_EEE10hipError_tPvRmT3_T4_T5_T6_T7_T9_mT8_P12ihipStream_tbDpT10_ENKUlT_T0_E_clISt17integral_constantIbLb1EES1A_IbLb0EEEEDaS16_S17_EUlS16_E_NS1_11comp_targetILNS1_3genE9ELNS1_11target_archE1100ELNS1_3gpuE3ELNS1_3repE0EEENS1_30default_config_static_selectorELNS0_4arch9wavefront6targetE0EEEvT1_.num_named_barrier, 0
	.set _ZN7rocprim17ROCPRIM_400000_NS6detail17trampoline_kernelINS0_14default_configENS1_25partition_config_selectorILNS1_17partition_subalgoE5ElNS0_10empty_typeEbEEZZNS1_14partition_implILS5_5ELb0ES3_mN6hipcub16HIPCUB_304000_NS21CountingInputIteratorIllEEPS6_NSA_22TransformInputIteratorIbN2at6native12_GLOBAL__N_19NonZeroOpIaEEPKalEENS0_5tupleIJPlS6_EEENSN_IJSD_SD_EEES6_PiJS6_EEE10hipError_tPvRmT3_T4_T5_T6_T7_T9_mT8_P12ihipStream_tbDpT10_ENKUlT_T0_E_clISt17integral_constantIbLb1EES1A_IbLb0EEEEDaS16_S17_EUlS16_E_NS1_11comp_targetILNS1_3genE9ELNS1_11target_archE1100ELNS1_3gpuE3ELNS1_3repE0EEENS1_30default_config_static_selectorELNS0_4arch9wavefront6targetE0EEEvT1_.private_seg_size, 0
	.set _ZN7rocprim17ROCPRIM_400000_NS6detail17trampoline_kernelINS0_14default_configENS1_25partition_config_selectorILNS1_17partition_subalgoE5ElNS0_10empty_typeEbEEZZNS1_14partition_implILS5_5ELb0ES3_mN6hipcub16HIPCUB_304000_NS21CountingInputIteratorIllEEPS6_NSA_22TransformInputIteratorIbN2at6native12_GLOBAL__N_19NonZeroOpIaEEPKalEENS0_5tupleIJPlS6_EEENSN_IJSD_SD_EEES6_PiJS6_EEE10hipError_tPvRmT3_T4_T5_T6_T7_T9_mT8_P12ihipStream_tbDpT10_ENKUlT_T0_E_clISt17integral_constantIbLb1EES1A_IbLb0EEEEDaS16_S17_EUlS16_E_NS1_11comp_targetILNS1_3genE9ELNS1_11target_archE1100ELNS1_3gpuE3ELNS1_3repE0EEENS1_30default_config_static_selectorELNS0_4arch9wavefront6targetE0EEEvT1_.uses_vcc, 0
	.set _ZN7rocprim17ROCPRIM_400000_NS6detail17trampoline_kernelINS0_14default_configENS1_25partition_config_selectorILNS1_17partition_subalgoE5ElNS0_10empty_typeEbEEZZNS1_14partition_implILS5_5ELb0ES3_mN6hipcub16HIPCUB_304000_NS21CountingInputIteratorIllEEPS6_NSA_22TransformInputIteratorIbN2at6native12_GLOBAL__N_19NonZeroOpIaEEPKalEENS0_5tupleIJPlS6_EEENSN_IJSD_SD_EEES6_PiJS6_EEE10hipError_tPvRmT3_T4_T5_T6_T7_T9_mT8_P12ihipStream_tbDpT10_ENKUlT_T0_E_clISt17integral_constantIbLb1EES1A_IbLb0EEEEDaS16_S17_EUlS16_E_NS1_11comp_targetILNS1_3genE9ELNS1_11target_archE1100ELNS1_3gpuE3ELNS1_3repE0EEENS1_30default_config_static_selectorELNS0_4arch9wavefront6targetE0EEEvT1_.uses_flat_scratch, 0
	.set _ZN7rocprim17ROCPRIM_400000_NS6detail17trampoline_kernelINS0_14default_configENS1_25partition_config_selectorILNS1_17partition_subalgoE5ElNS0_10empty_typeEbEEZZNS1_14partition_implILS5_5ELb0ES3_mN6hipcub16HIPCUB_304000_NS21CountingInputIteratorIllEEPS6_NSA_22TransformInputIteratorIbN2at6native12_GLOBAL__N_19NonZeroOpIaEEPKalEENS0_5tupleIJPlS6_EEENSN_IJSD_SD_EEES6_PiJS6_EEE10hipError_tPvRmT3_T4_T5_T6_T7_T9_mT8_P12ihipStream_tbDpT10_ENKUlT_T0_E_clISt17integral_constantIbLb1EES1A_IbLb0EEEEDaS16_S17_EUlS16_E_NS1_11comp_targetILNS1_3genE9ELNS1_11target_archE1100ELNS1_3gpuE3ELNS1_3repE0EEENS1_30default_config_static_selectorELNS0_4arch9wavefront6targetE0EEEvT1_.has_dyn_sized_stack, 0
	.set _ZN7rocprim17ROCPRIM_400000_NS6detail17trampoline_kernelINS0_14default_configENS1_25partition_config_selectorILNS1_17partition_subalgoE5ElNS0_10empty_typeEbEEZZNS1_14partition_implILS5_5ELb0ES3_mN6hipcub16HIPCUB_304000_NS21CountingInputIteratorIllEEPS6_NSA_22TransformInputIteratorIbN2at6native12_GLOBAL__N_19NonZeroOpIaEEPKalEENS0_5tupleIJPlS6_EEENSN_IJSD_SD_EEES6_PiJS6_EEE10hipError_tPvRmT3_T4_T5_T6_T7_T9_mT8_P12ihipStream_tbDpT10_ENKUlT_T0_E_clISt17integral_constantIbLb1EES1A_IbLb0EEEEDaS16_S17_EUlS16_E_NS1_11comp_targetILNS1_3genE9ELNS1_11target_archE1100ELNS1_3gpuE3ELNS1_3repE0EEENS1_30default_config_static_selectorELNS0_4arch9wavefront6targetE0EEEvT1_.has_recursion, 0
	.set _ZN7rocprim17ROCPRIM_400000_NS6detail17trampoline_kernelINS0_14default_configENS1_25partition_config_selectorILNS1_17partition_subalgoE5ElNS0_10empty_typeEbEEZZNS1_14partition_implILS5_5ELb0ES3_mN6hipcub16HIPCUB_304000_NS21CountingInputIteratorIllEEPS6_NSA_22TransformInputIteratorIbN2at6native12_GLOBAL__N_19NonZeroOpIaEEPKalEENS0_5tupleIJPlS6_EEENSN_IJSD_SD_EEES6_PiJS6_EEE10hipError_tPvRmT3_T4_T5_T6_T7_T9_mT8_P12ihipStream_tbDpT10_ENKUlT_T0_E_clISt17integral_constantIbLb1EES1A_IbLb0EEEEDaS16_S17_EUlS16_E_NS1_11comp_targetILNS1_3genE9ELNS1_11target_archE1100ELNS1_3gpuE3ELNS1_3repE0EEENS1_30default_config_static_selectorELNS0_4arch9wavefront6targetE0EEEvT1_.has_indirect_call, 0
	.section	.AMDGPU.csdata,"",@progbits
; Kernel info:
; codeLenInByte = 0
; TotalNumSgprs: 0
; NumVgprs: 0
; ScratchSize: 0
; MemoryBound: 0
; FloatMode: 240
; IeeeMode: 1
; LDSByteSize: 0 bytes/workgroup (compile time only)
; SGPRBlocks: 0
; VGPRBlocks: 0
; NumSGPRsForWavesPerEU: 1
; NumVGPRsForWavesPerEU: 1
; Occupancy: 16
; WaveLimiterHint : 0
; COMPUTE_PGM_RSRC2:SCRATCH_EN: 0
; COMPUTE_PGM_RSRC2:USER_SGPR: 2
; COMPUTE_PGM_RSRC2:TRAP_HANDLER: 0
; COMPUTE_PGM_RSRC2:TGID_X_EN: 1
; COMPUTE_PGM_RSRC2:TGID_Y_EN: 0
; COMPUTE_PGM_RSRC2:TGID_Z_EN: 0
; COMPUTE_PGM_RSRC2:TIDIG_COMP_CNT: 0
	.section	.text._ZN7rocprim17ROCPRIM_400000_NS6detail17trampoline_kernelINS0_14default_configENS1_25partition_config_selectorILNS1_17partition_subalgoE5ElNS0_10empty_typeEbEEZZNS1_14partition_implILS5_5ELb0ES3_mN6hipcub16HIPCUB_304000_NS21CountingInputIteratorIllEEPS6_NSA_22TransformInputIteratorIbN2at6native12_GLOBAL__N_19NonZeroOpIaEEPKalEENS0_5tupleIJPlS6_EEENSN_IJSD_SD_EEES6_PiJS6_EEE10hipError_tPvRmT3_T4_T5_T6_T7_T9_mT8_P12ihipStream_tbDpT10_ENKUlT_T0_E_clISt17integral_constantIbLb1EES1A_IbLb0EEEEDaS16_S17_EUlS16_E_NS1_11comp_targetILNS1_3genE8ELNS1_11target_archE1030ELNS1_3gpuE2ELNS1_3repE0EEENS1_30default_config_static_selectorELNS0_4arch9wavefront6targetE0EEEvT1_,"axG",@progbits,_ZN7rocprim17ROCPRIM_400000_NS6detail17trampoline_kernelINS0_14default_configENS1_25partition_config_selectorILNS1_17partition_subalgoE5ElNS0_10empty_typeEbEEZZNS1_14partition_implILS5_5ELb0ES3_mN6hipcub16HIPCUB_304000_NS21CountingInputIteratorIllEEPS6_NSA_22TransformInputIteratorIbN2at6native12_GLOBAL__N_19NonZeroOpIaEEPKalEENS0_5tupleIJPlS6_EEENSN_IJSD_SD_EEES6_PiJS6_EEE10hipError_tPvRmT3_T4_T5_T6_T7_T9_mT8_P12ihipStream_tbDpT10_ENKUlT_T0_E_clISt17integral_constantIbLb1EES1A_IbLb0EEEEDaS16_S17_EUlS16_E_NS1_11comp_targetILNS1_3genE8ELNS1_11target_archE1030ELNS1_3gpuE2ELNS1_3repE0EEENS1_30default_config_static_selectorELNS0_4arch9wavefront6targetE0EEEvT1_,comdat
	.globl	_ZN7rocprim17ROCPRIM_400000_NS6detail17trampoline_kernelINS0_14default_configENS1_25partition_config_selectorILNS1_17partition_subalgoE5ElNS0_10empty_typeEbEEZZNS1_14partition_implILS5_5ELb0ES3_mN6hipcub16HIPCUB_304000_NS21CountingInputIteratorIllEEPS6_NSA_22TransformInputIteratorIbN2at6native12_GLOBAL__N_19NonZeroOpIaEEPKalEENS0_5tupleIJPlS6_EEENSN_IJSD_SD_EEES6_PiJS6_EEE10hipError_tPvRmT3_T4_T5_T6_T7_T9_mT8_P12ihipStream_tbDpT10_ENKUlT_T0_E_clISt17integral_constantIbLb1EES1A_IbLb0EEEEDaS16_S17_EUlS16_E_NS1_11comp_targetILNS1_3genE8ELNS1_11target_archE1030ELNS1_3gpuE2ELNS1_3repE0EEENS1_30default_config_static_selectorELNS0_4arch9wavefront6targetE0EEEvT1_ ; -- Begin function _ZN7rocprim17ROCPRIM_400000_NS6detail17trampoline_kernelINS0_14default_configENS1_25partition_config_selectorILNS1_17partition_subalgoE5ElNS0_10empty_typeEbEEZZNS1_14partition_implILS5_5ELb0ES3_mN6hipcub16HIPCUB_304000_NS21CountingInputIteratorIllEEPS6_NSA_22TransformInputIteratorIbN2at6native12_GLOBAL__N_19NonZeroOpIaEEPKalEENS0_5tupleIJPlS6_EEENSN_IJSD_SD_EEES6_PiJS6_EEE10hipError_tPvRmT3_T4_T5_T6_T7_T9_mT8_P12ihipStream_tbDpT10_ENKUlT_T0_E_clISt17integral_constantIbLb1EES1A_IbLb0EEEEDaS16_S17_EUlS16_E_NS1_11comp_targetILNS1_3genE8ELNS1_11target_archE1030ELNS1_3gpuE2ELNS1_3repE0EEENS1_30default_config_static_selectorELNS0_4arch9wavefront6targetE0EEEvT1_
	.p2align	8
	.type	_ZN7rocprim17ROCPRIM_400000_NS6detail17trampoline_kernelINS0_14default_configENS1_25partition_config_selectorILNS1_17partition_subalgoE5ElNS0_10empty_typeEbEEZZNS1_14partition_implILS5_5ELb0ES3_mN6hipcub16HIPCUB_304000_NS21CountingInputIteratorIllEEPS6_NSA_22TransformInputIteratorIbN2at6native12_GLOBAL__N_19NonZeroOpIaEEPKalEENS0_5tupleIJPlS6_EEENSN_IJSD_SD_EEES6_PiJS6_EEE10hipError_tPvRmT3_T4_T5_T6_T7_T9_mT8_P12ihipStream_tbDpT10_ENKUlT_T0_E_clISt17integral_constantIbLb1EES1A_IbLb0EEEEDaS16_S17_EUlS16_E_NS1_11comp_targetILNS1_3genE8ELNS1_11target_archE1030ELNS1_3gpuE2ELNS1_3repE0EEENS1_30default_config_static_selectorELNS0_4arch9wavefront6targetE0EEEvT1_,@function
_ZN7rocprim17ROCPRIM_400000_NS6detail17trampoline_kernelINS0_14default_configENS1_25partition_config_selectorILNS1_17partition_subalgoE5ElNS0_10empty_typeEbEEZZNS1_14partition_implILS5_5ELb0ES3_mN6hipcub16HIPCUB_304000_NS21CountingInputIteratorIllEEPS6_NSA_22TransformInputIteratorIbN2at6native12_GLOBAL__N_19NonZeroOpIaEEPKalEENS0_5tupleIJPlS6_EEENSN_IJSD_SD_EEES6_PiJS6_EEE10hipError_tPvRmT3_T4_T5_T6_T7_T9_mT8_P12ihipStream_tbDpT10_ENKUlT_T0_E_clISt17integral_constantIbLb1EES1A_IbLb0EEEEDaS16_S17_EUlS16_E_NS1_11comp_targetILNS1_3genE8ELNS1_11target_archE1030ELNS1_3gpuE2ELNS1_3repE0EEENS1_30default_config_static_selectorELNS0_4arch9wavefront6targetE0EEEvT1_: ; @_ZN7rocprim17ROCPRIM_400000_NS6detail17trampoline_kernelINS0_14default_configENS1_25partition_config_selectorILNS1_17partition_subalgoE5ElNS0_10empty_typeEbEEZZNS1_14partition_implILS5_5ELb0ES3_mN6hipcub16HIPCUB_304000_NS21CountingInputIteratorIllEEPS6_NSA_22TransformInputIteratorIbN2at6native12_GLOBAL__N_19NonZeroOpIaEEPKalEENS0_5tupleIJPlS6_EEENSN_IJSD_SD_EEES6_PiJS6_EEE10hipError_tPvRmT3_T4_T5_T6_T7_T9_mT8_P12ihipStream_tbDpT10_ENKUlT_T0_E_clISt17integral_constantIbLb1EES1A_IbLb0EEEEDaS16_S17_EUlS16_E_NS1_11comp_targetILNS1_3genE8ELNS1_11target_archE1030ELNS1_3gpuE2ELNS1_3repE0EEENS1_30default_config_static_selectorELNS0_4arch9wavefront6targetE0EEEvT1_
; %bb.0:
	.section	.rodata,"a",@progbits
	.p2align	6, 0x0
	.amdhsa_kernel _ZN7rocprim17ROCPRIM_400000_NS6detail17trampoline_kernelINS0_14default_configENS1_25partition_config_selectorILNS1_17partition_subalgoE5ElNS0_10empty_typeEbEEZZNS1_14partition_implILS5_5ELb0ES3_mN6hipcub16HIPCUB_304000_NS21CountingInputIteratorIllEEPS6_NSA_22TransformInputIteratorIbN2at6native12_GLOBAL__N_19NonZeroOpIaEEPKalEENS0_5tupleIJPlS6_EEENSN_IJSD_SD_EEES6_PiJS6_EEE10hipError_tPvRmT3_T4_T5_T6_T7_T9_mT8_P12ihipStream_tbDpT10_ENKUlT_T0_E_clISt17integral_constantIbLb1EES1A_IbLb0EEEEDaS16_S17_EUlS16_E_NS1_11comp_targetILNS1_3genE8ELNS1_11target_archE1030ELNS1_3gpuE2ELNS1_3repE0EEENS1_30default_config_static_selectorELNS0_4arch9wavefront6targetE0EEEvT1_
		.amdhsa_group_segment_fixed_size 0
		.amdhsa_private_segment_fixed_size 0
		.amdhsa_kernarg_size 120
		.amdhsa_user_sgpr_count 2
		.amdhsa_user_sgpr_dispatch_ptr 0
		.amdhsa_user_sgpr_queue_ptr 0
		.amdhsa_user_sgpr_kernarg_segment_ptr 1
		.amdhsa_user_sgpr_dispatch_id 0
		.amdhsa_user_sgpr_private_segment_size 0
		.amdhsa_wavefront_size32 1
		.amdhsa_uses_dynamic_stack 0
		.amdhsa_enable_private_segment 0
		.amdhsa_system_sgpr_workgroup_id_x 1
		.amdhsa_system_sgpr_workgroup_id_y 0
		.amdhsa_system_sgpr_workgroup_id_z 0
		.amdhsa_system_sgpr_workgroup_info 0
		.amdhsa_system_vgpr_workitem_id 0
		.amdhsa_next_free_vgpr 1
		.amdhsa_next_free_sgpr 1
		.amdhsa_reserve_vcc 0
		.amdhsa_float_round_mode_32 0
		.amdhsa_float_round_mode_16_64 0
		.amdhsa_float_denorm_mode_32 3
		.amdhsa_float_denorm_mode_16_64 3
		.amdhsa_fp16_overflow 0
		.amdhsa_workgroup_processor_mode 1
		.amdhsa_memory_ordered 1
		.amdhsa_forward_progress 1
		.amdhsa_inst_pref_size 0
		.amdhsa_round_robin_scheduling 0
		.amdhsa_exception_fp_ieee_invalid_op 0
		.amdhsa_exception_fp_denorm_src 0
		.amdhsa_exception_fp_ieee_div_zero 0
		.amdhsa_exception_fp_ieee_overflow 0
		.amdhsa_exception_fp_ieee_underflow 0
		.amdhsa_exception_fp_ieee_inexact 0
		.amdhsa_exception_int_div_zero 0
	.end_amdhsa_kernel
	.section	.text._ZN7rocprim17ROCPRIM_400000_NS6detail17trampoline_kernelINS0_14default_configENS1_25partition_config_selectorILNS1_17partition_subalgoE5ElNS0_10empty_typeEbEEZZNS1_14partition_implILS5_5ELb0ES3_mN6hipcub16HIPCUB_304000_NS21CountingInputIteratorIllEEPS6_NSA_22TransformInputIteratorIbN2at6native12_GLOBAL__N_19NonZeroOpIaEEPKalEENS0_5tupleIJPlS6_EEENSN_IJSD_SD_EEES6_PiJS6_EEE10hipError_tPvRmT3_T4_T5_T6_T7_T9_mT8_P12ihipStream_tbDpT10_ENKUlT_T0_E_clISt17integral_constantIbLb1EES1A_IbLb0EEEEDaS16_S17_EUlS16_E_NS1_11comp_targetILNS1_3genE8ELNS1_11target_archE1030ELNS1_3gpuE2ELNS1_3repE0EEENS1_30default_config_static_selectorELNS0_4arch9wavefront6targetE0EEEvT1_,"axG",@progbits,_ZN7rocprim17ROCPRIM_400000_NS6detail17trampoline_kernelINS0_14default_configENS1_25partition_config_selectorILNS1_17partition_subalgoE5ElNS0_10empty_typeEbEEZZNS1_14partition_implILS5_5ELb0ES3_mN6hipcub16HIPCUB_304000_NS21CountingInputIteratorIllEEPS6_NSA_22TransformInputIteratorIbN2at6native12_GLOBAL__N_19NonZeroOpIaEEPKalEENS0_5tupleIJPlS6_EEENSN_IJSD_SD_EEES6_PiJS6_EEE10hipError_tPvRmT3_T4_T5_T6_T7_T9_mT8_P12ihipStream_tbDpT10_ENKUlT_T0_E_clISt17integral_constantIbLb1EES1A_IbLb0EEEEDaS16_S17_EUlS16_E_NS1_11comp_targetILNS1_3genE8ELNS1_11target_archE1030ELNS1_3gpuE2ELNS1_3repE0EEENS1_30default_config_static_selectorELNS0_4arch9wavefront6targetE0EEEvT1_,comdat
.Lfunc_end141:
	.size	_ZN7rocprim17ROCPRIM_400000_NS6detail17trampoline_kernelINS0_14default_configENS1_25partition_config_selectorILNS1_17partition_subalgoE5ElNS0_10empty_typeEbEEZZNS1_14partition_implILS5_5ELb0ES3_mN6hipcub16HIPCUB_304000_NS21CountingInputIteratorIllEEPS6_NSA_22TransformInputIteratorIbN2at6native12_GLOBAL__N_19NonZeroOpIaEEPKalEENS0_5tupleIJPlS6_EEENSN_IJSD_SD_EEES6_PiJS6_EEE10hipError_tPvRmT3_T4_T5_T6_T7_T9_mT8_P12ihipStream_tbDpT10_ENKUlT_T0_E_clISt17integral_constantIbLb1EES1A_IbLb0EEEEDaS16_S17_EUlS16_E_NS1_11comp_targetILNS1_3genE8ELNS1_11target_archE1030ELNS1_3gpuE2ELNS1_3repE0EEENS1_30default_config_static_selectorELNS0_4arch9wavefront6targetE0EEEvT1_, .Lfunc_end141-_ZN7rocprim17ROCPRIM_400000_NS6detail17trampoline_kernelINS0_14default_configENS1_25partition_config_selectorILNS1_17partition_subalgoE5ElNS0_10empty_typeEbEEZZNS1_14partition_implILS5_5ELb0ES3_mN6hipcub16HIPCUB_304000_NS21CountingInputIteratorIllEEPS6_NSA_22TransformInputIteratorIbN2at6native12_GLOBAL__N_19NonZeroOpIaEEPKalEENS0_5tupleIJPlS6_EEENSN_IJSD_SD_EEES6_PiJS6_EEE10hipError_tPvRmT3_T4_T5_T6_T7_T9_mT8_P12ihipStream_tbDpT10_ENKUlT_T0_E_clISt17integral_constantIbLb1EES1A_IbLb0EEEEDaS16_S17_EUlS16_E_NS1_11comp_targetILNS1_3genE8ELNS1_11target_archE1030ELNS1_3gpuE2ELNS1_3repE0EEENS1_30default_config_static_selectorELNS0_4arch9wavefront6targetE0EEEvT1_
                                        ; -- End function
	.set _ZN7rocprim17ROCPRIM_400000_NS6detail17trampoline_kernelINS0_14default_configENS1_25partition_config_selectorILNS1_17partition_subalgoE5ElNS0_10empty_typeEbEEZZNS1_14partition_implILS5_5ELb0ES3_mN6hipcub16HIPCUB_304000_NS21CountingInputIteratorIllEEPS6_NSA_22TransformInputIteratorIbN2at6native12_GLOBAL__N_19NonZeroOpIaEEPKalEENS0_5tupleIJPlS6_EEENSN_IJSD_SD_EEES6_PiJS6_EEE10hipError_tPvRmT3_T4_T5_T6_T7_T9_mT8_P12ihipStream_tbDpT10_ENKUlT_T0_E_clISt17integral_constantIbLb1EES1A_IbLb0EEEEDaS16_S17_EUlS16_E_NS1_11comp_targetILNS1_3genE8ELNS1_11target_archE1030ELNS1_3gpuE2ELNS1_3repE0EEENS1_30default_config_static_selectorELNS0_4arch9wavefront6targetE0EEEvT1_.num_vgpr, 0
	.set _ZN7rocprim17ROCPRIM_400000_NS6detail17trampoline_kernelINS0_14default_configENS1_25partition_config_selectorILNS1_17partition_subalgoE5ElNS0_10empty_typeEbEEZZNS1_14partition_implILS5_5ELb0ES3_mN6hipcub16HIPCUB_304000_NS21CountingInputIteratorIllEEPS6_NSA_22TransformInputIteratorIbN2at6native12_GLOBAL__N_19NonZeroOpIaEEPKalEENS0_5tupleIJPlS6_EEENSN_IJSD_SD_EEES6_PiJS6_EEE10hipError_tPvRmT3_T4_T5_T6_T7_T9_mT8_P12ihipStream_tbDpT10_ENKUlT_T0_E_clISt17integral_constantIbLb1EES1A_IbLb0EEEEDaS16_S17_EUlS16_E_NS1_11comp_targetILNS1_3genE8ELNS1_11target_archE1030ELNS1_3gpuE2ELNS1_3repE0EEENS1_30default_config_static_selectorELNS0_4arch9wavefront6targetE0EEEvT1_.num_agpr, 0
	.set _ZN7rocprim17ROCPRIM_400000_NS6detail17trampoline_kernelINS0_14default_configENS1_25partition_config_selectorILNS1_17partition_subalgoE5ElNS0_10empty_typeEbEEZZNS1_14partition_implILS5_5ELb0ES3_mN6hipcub16HIPCUB_304000_NS21CountingInputIteratorIllEEPS6_NSA_22TransformInputIteratorIbN2at6native12_GLOBAL__N_19NonZeroOpIaEEPKalEENS0_5tupleIJPlS6_EEENSN_IJSD_SD_EEES6_PiJS6_EEE10hipError_tPvRmT3_T4_T5_T6_T7_T9_mT8_P12ihipStream_tbDpT10_ENKUlT_T0_E_clISt17integral_constantIbLb1EES1A_IbLb0EEEEDaS16_S17_EUlS16_E_NS1_11comp_targetILNS1_3genE8ELNS1_11target_archE1030ELNS1_3gpuE2ELNS1_3repE0EEENS1_30default_config_static_selectorELNS0_4arch9wavefront6targetE0EEEvT1_.numbered_sgpr, 0
	.set _ZN7rocprim17ROCPRIM_400000_NS6detail17trampoline_kernelINS0_14default_configENS1_25partition_config_selectorILNS1_17partition_subalgoE5ElNS0_10empty_typeEbEEZZNS1_14partition_implILS5_5ELb0ES3_mN6hipcub16HIPCUB_304000_NS21CountingInputIteratorIllEEPS6_NSA_22TransformInputIteratorIbN2at6native12_GLOBAL__N_19NonZeroOpIaEEPKalEENS0_5tupleIJPlS6_EEENSN_IJSD_SD_EEES6_PiJS6_EEE10hipError_tPvRmT3_T4_T5_T6_T7_T9_mT8_P12ihipStream_tbDpT10_ENKUlT_T0_E_clISt17integral_constantIbLb1EES1A_IbLb0EEEEDaS16_S17_EUlS16_E_NS1_11comp_targetILNS1_3genE8ELNS1_11target_archE1030ELNS1_3gpuE2ELNS1_3repE0EEENS1_30default_config_static_selectorELNS0_4arch9wavefront6targetE0EEEvT1_.num_named_barrier, 0
	.set _ZN7rocprim17ROCPRIM_400000_NS6detail17trampoline_kernelINS0_14default_configENS1_25partition_config_selectorILNS1_17partition_subalgoE5ElNS0_10empty_typeEbEEZZNS1_14partition_implILS5_5ELb0ES3_mN6hipcub16HIPCUB_304000_NS21CountingInputIteratorIllEEPS6_NSA_22TransformInputIteratorIbN2at6native12_GLOBAL__N_19NonZeroOpIaEEPKalEENS0_5tupleIJPlS6_EEENSN_IJSD_SD_EEES6_PiJS6_EEE10hipError_tPvRmT3_T4_T5_T6_T7_T9_mT8_P12ihipStream_tbDpT10_ENKUlT_T0_E_clISt17integral_constantIbLb1EES1A_IbLb0EEEEDaS16_S17_EUlS16_E_NS1_11comp_targetILNS1_3genE8ELNS1_11target_archE1030ELNS1_3gpuE2ELNS1_3repE0EEENS1_30default_config_static_selectorELNS0_4arch9wavefront6targetE0EEEvT1_.private_seg_size, 0
	.set _ZN7rocprim17ROCPRIM_400000_NS6detail17trampoline_kernelINS0_14default_configENS1_25partition_config_selectorILNS1_17partition_subalgoE5ElNS0_10empty_typeEbEEZZNS1_14partition_implILS5_5ELb0ES3_mN6hipcub16HIPCUB_304000_NS21CountingInputIteratorIllEEPS6_NSA_22TransformInputIteratorIbN2at6native12_GLOBAL__N_19NonZeroOpIaEEPKalEENS0_5tupleIJPlS6_EEENSN_IJSD_SD_EEES6_PiJS6_EEE10hipError_tPvRmT3_T4_T5_T6_T7_T9_mT8_P12ihipStream_tbDpT10_ENKUlT_T0_E_clISt17integral_constantIbLb1EES1A_IbLb0EEEEDaS16_S17_EUlS16_E_NS1_11comp_targetILNS1_3genE8ELNS1_11target_archE1030ELNS1_3gpuE2ELNS1_3repE0EEENS1_30default_config_static_selectorELNS0_4arch9wavefront6targetE0EEEvT1_.uses_vcc, 0
	.set _ZN7rocprim17ROCPRIM_400000_NS6detail17trampoline_kernelINS0_14default_configENS1_25partition_config_selectorILNS1_17partition_subalgoE5ElNS0_10empty_typeEbEEZZNS1_14partition_implILS5_5ELb0ES3_mN6hipcub16HIPCUB_304000_NS21CountingInputIteratorIllEEPS6_NSA_22TransformInputIteratorIbN2at6native12_GLOBAL__N_19NonZeroOpIaEEPKalEENS0_5tupleIJPlS6_EEENSN_IJSD_SD_EEES6_PiJS6_EEE10hipError_tPvRmT3_T4_T5_T6_T7_T9_mT8_P12ihipStream_tbDpT10_ENKUlT_T0_E_clISt17integral_constantIbLb1EES1A_IbLb0EEEEDaS16_S17_EUlS16_E_NS1_11comp_targetILNS1_3genE8ELNS1_11target_archE1030ELNS1_3gpuE2ELNS1_3repE0EEENS1_30default_config_static_selectorELNS0_4arch9wavefront6targetE0EEEvT1_.uses_flat_scratch, 0
	.set _ZN7rocprim17ROCPRIM_400000_NS6detail17trampoline_kernelINS0_14default_configENS1_25partition_config_selectorILNS1_17partition_subalgoE5ElNS0_10empty_typeEbEEZZNS1_14partition_implILS5_5ELb0ES3_mN6hipcub16HIPCUB_304000_NS21CountingInputIteratorIllEEPS6_NSA_22TransformInputIteratorIbN2at6native12_GLOBAL__N_19NonZeroOpIaEEPKalEENS0_5tupleIJPlS6_EEENSN_IJSD_SD_EEES6_PiJS6_EEE10hipError_tPvRmT3_T4_T5_T6_T7_T9_mT8_P12ihipStream_tbDpT10_ENKUlT_T0_E_clISt17integral_constantIbLb1EES1A_IbLb0EEEEDaS16_S17_EUlS16_E_NS1_11comp_targetILNS1_3genE8ELNS1_11target_archE1030ELNS1_3gpuE2ELNS1_3repE0EEENS1_30default_config_static_selectorELNS0_4arch9wavefront6targetE0EEEvT1_.has_dyn_sized_stack, 0
	.set _ZN7rocprim17ROCPRIM_400000_NS6detail17trampoline_kernelINS0_14default_configENS1_25partition_config_selectorILNS1_17partition_subalgoE5ElNS0_10empty_typeEbEEZZNS1_14partition_implILS5_5ELb0ES3_mN6hipcub16HIPCUB_304000_NS21CountingInputIteratorIllEEPS6_NSA_22TransformInputIteratorIbN2at6native12_GLOBAL__N_19NonZeroOpIaEEPKalEENS0_5tupleIJPlS6_EEENSN_IJSD_SD_EEES6_PiJS6_EEE10hipError_tPvRmT3_T4_T5_T6_T7_T9_mT8_P12ihipStream_tbDpT10_ENKUlT_T0_E_clISt17integral_constantIbLb1EES1A_IbLb0EEEEDaS16_S17_EUlS16_E_NS1_11comp_targetILNS1_3genE8ELNS1_11target_archE1030ELNS1_3gpuE2ELNS1_3repE0EEENS1_30default_config_static_selectorELNS0_4arch9wavefront6targetE0EEEvT1_.has_recursion, 0
	.set _ZN7rocprim17ROCPRIM_400000_NS6detail17trampoline_kernelINS0_14default_configENS1_25partition_config_selectorILNS1_17partition_subalgoE5ElNS0_10empty_typeEbEEZZNS1_14partition_implILS5_5ELb0ES3_mN6hipcub16HIPCUB_304000_NS21CountingInputIteratorIllEEPS6_NSA_22TransformInputIteratorIbN2at6native12_GLOBAL__N_19NonZeroOpIaEEPKalEENS0_5tupleIJPlS6_EEENSN_IJSD_SD_EEES6_PiJS6_EEE10hipError_tPvRmT3_T4_T5_T6_T7_T9_mT8_P12ihipStream_tbDpT10_ENKUlT_T0_E_clISt17integral_constantIbLb1EES1A_IbLb0EEEEDaS16_S17_EUlS16_E_NS1_11comp_targetILNS1_3genE8ELNS1_11target_archE1030ELNS1_3gpuE2ELNS1_3repE0EEENS1_30default_config_static_selectorELNS0_4arch9wavefront6targetE0EEEvT1_.has_indirect_call, 0
	.section	.AMDGPU.csdata,"",@progbits
; Kernel info:
; codeLenInByte = 0
; TotalNumSgprs: 0
; NumVgprs: 0
; ScratchSize: 0
; MemoryBound: 0
; FloatMode: 240
; IeeeMode: 1
; LDSByteSize: 0 bytes/workgroup (compile time only)
; SGPRBlocks: 0
; VGPRBlocks: 0
; NumSGPRsForWavesPerEU: 1
; NumVGPRsForWavesPerEU: 1
; Occupancy: 16
; WaveLimiterHint : 0
; COMPUTE_PGM_RSRC2:SCRATCH_EN: 0
; COMPUTE_PGM_RSRC2:USER_SGPR: 2
; COMPUTE_PGM_RSRC2:TRAP_HANDLER: 0
; COMPUTE_PGM_RSRC2:TGID_X_EN: 1
; COMPUTE_PGM_RSRC2:TGID_Y_EN: 0
; COMPUTE_PGM_RSRC2:TGID_Z_EN: 0
; COMPUTE_PGM_RSRC2:TIDIG_COMP_CNT: 0
	.section	.text._ZN7rocprim17ROCPRIM_400000_NS6detail17trampoline_kernelINS0_14default_configENS1_25partition_config_selectorILNS1_17partition_subalgoE5ElNS0_10empty_typeEbEEZZNS1_14partition_implILS5_5ELb0ES3_mN6hipcub16HIPCUB_304000_NS21CountingInputIteratorIllEEPS6_NSA_22TransformInputIteratorIbN2at6native12_GLOBAL__N_19NonZeroOpIaEEPKalEENS0_5tupleIJPlS6_EEENSN_IJSD_SD_EEES6_PiJS6_EEE10hipError_tPvRmT3_T4_T5_T6_T7_T9_mT8_P12ihipStream_tbDpT10_ENKUlT_T0_E_clISt17integral_constantIbLb0EES1A_IbLb1EEEEDaS16_S17_EUlS16_E_NS1_11comp_targetILNS1_3genE0ELNS1_11target_archE4294967295ELNS1_3gpuE0ELNS1_3repE0EEENS1_30default_config_static_selectorELNS0_4arch9wavefront6targetE0EEEvT1_,"axG",@progbits,_ZN7rocprim17ROCPRIM_400000_NS6detail17trampoline_kernelINS0_14default_configENS1_25partition_config_selectorILNS1_17partition_subalgoE5ElNS0_10empty_typeEbEEZZNS1_14partition_implILS5_5ELb0ES3_mN6hipcub16HIPCUB_304000_NS21CountingInputIteratorIllEEPS6_NSA_22TransformInputIteratorIbN2at6native12_GLOBAL__N_19NonZeroOpIaEEPKalEENS0_5tupleIJPlS6_EEENSN_IJSD_SD_EEES6_PiJS6_EEE10hipError_tPvRmT3_T4_T5_T6_T7_T9_mT8_P12ihipStream_tbDpT10_ENKUlT_T0_E_clISt17integral_constantIbLb0EES1A_IbLb1EEEEDaS16_S17_EUlS16_E_NS1_11comp_targetILNS1_3genE0ELNS1_11target_archE4294967295ELNS1_3gpuE0ELNS1_3repE0EEENS1_30default_config_static_selectorELNS0_4arch9wavefront6targetE0EEEvT1_,comdat
	.globl	_ZN7rocprim17ROCPRIM_400000_NS6detail17trampoline_kernelINS0_14default_configENS1_25partition_config_selectorILNS1_17partition_subalgoE5ElNS0_10empty_typeEbEEZZNS1_14partition_implILS5_5ELb0ES3_mN6hipcub16HIPCUB_304000_NS21CountingInputIteratorIllEEPS6_NSA_22TransformInputIteratorIbN2at6native12_GLOBAL__N_19NonZeroOpIaEEPKalEENS0_5tupleIJPlS6_EEENSN_IJSD_SD_EEES6_PiJS6_EEE10hipError_tPvRmT3_T4_T5_T6_T7_T9_mT8_P12ihipStream_tbDpT10_ENKUlT_T0_E_clISt17integral_constantIbLb0EES1A_IbLb1EEEEDaS16_S17_EUlS16_E_NS1_11comp_targetILNS1_3genE0ELNS1_11target_archE4294967295ELNS1_3gpuE0ELNS1_3repE0EEENS1_30default_config_static_selectorELNS0_4arch9wavefront6targetE0EEEvT1_ ; -- Begin function _ZN7rocprim17ROCPRIM_400000_NS6detail17trampoline_kernelINS0_14default_configENS1_25partition_config_selectorILNS1_17partition_subalgoE5ElNS0_10empty_typeEbEEZZNS1_14partition_implILS5_5ELb0ES3_mN6hipcub16HIPCUB_304000_NS21CountingInputIteratorIllEEPS6_NSA_22TransformInputIteratorIbN2at6native12_GLOBAL__N_19NonZeroOpIaEEPKalEENS0_5tupleIJPlS6_EEENSN_IJSD_SD_EEES6_PiJS6_EEE10hipError_tPvRmT3_T4_T5_T6_T7_T9_mT8_P12ihipStream_tbDpT10_ENKUlT_T0_E_clISt17integral_constantIbLb0EES1A_IbLb1EEEEDaS16_S17_EUlS16_E_NS1_11comp_targetILNS1_3genE0ELNS1_11target_archE4294967295ELNS1_3gpuE0ELNS1_3repE0EEENS1_30default_config_static_selectorELNS0_4arch9wavefront6targetE0EEEvT1_
	.p2align	8
	.type	_ZN7rocprim17ROCPRIM_400000_NS6detail17trampoline_kernelINS0_14default_configENS1_25partition_config_selectorILNS1_17partition_subalgoE5ElNS0_10empty_typeEbEEZZNS1_14partition_implILS5_5ELb0ES3_mN6hipcub16HIPCUB_304000_NS21CountingInputIteratorIllEEPS6_NSA_22TransformInputIteratorIbN2at6native12_GLOBAL__N_19NonZeroOpIaEEPKalEENS0_5tupleIJPlS6_EEENSN_IJSD_SD_EEES6_PiJS6_EEE10hipError_tPvRmT3_T4_T5_T6_T7_T9_mT8_P12ihipStream_tbDpT10_ENKUlT_T0_E_clISt17integral_constantIbLb0EES1A_IbLb1EEEEDaS16_S17_EUlS16_E_NS1_11comp_targetILNS1_3genE0ELNS1_11target_archE4294967295ELNS1_3gpuE0ELNS1_3repE0EEENS1_30default_config_static_selectorELNS0_4arch9wavefront6targetE0EEEvT1_,@function
_ZN7rocprim17ROCPRIM_400000_NS6detail17trampoline_kernelINS0_14default_configENS1_25partition_config_selectorILNS1_17partition_subalgoE5ElNS0_10empty_typeEbEEZZNS1_14partition_implILS5_5ELb0ES3_mN6hipcub16HIPCUB_304000_NS21CountingInputIteratorIllEEPS6_NSA_22TransformInputIteratorIbN2at6native12_GLOBAL__N_19NonZeroOpIaEEPKalEENS0_5tupleIJPlS6_EEENSN_IJSD_SD_EEES6_PiJS6_EEE10hipError_tPvRmT3_T4_T5_T6_T7_T9_mT8_P12ihipStream_tbDpT10_ENKUlT_T0_E_clISt17integral_constantIbLb0EES1A_IbLb1EEEEDaS16_S17_EUlS16_E_NS1_11comp_targetILNS1_3genE0ELNS1_11target_archE4294967295ELNS1_3gpuE0ELNS1_3repE0EEENS1_30default_config_static_selectorELNS0_4arch9wavefront6targetE0EEEvT1_: ; @_ZN7rocprim17ROCPRIM_400000_NS6detail17trampoline_kernelINS0_14default_configENS1_25partition_config_selectorILNS1_17partition_subalgoE5ElNS0_10empty_typeEbEEZZNS1_14partition_implILS5_5ELb0ES3_mN6hipcub16HIPCUB_304000_NS21CountingInputIteratorIllEEPS6_NSA_22TransformInputIteratorIbN2at6native12_GLOBAL__N_19NonZeroOpIaEEPKalEENS0_5tupleIJPlS6_EEENSN_IJSD_SD_EEES6_PiJS6_EEE10hipError_tPvRmT3_T4_T5_T6_T7_T9_mT8_P12ihipStream_tbDpT10_ENKUlT_T0_E_clISt17integral_constantIbLb0EES1A_IbLb1EEEEDaS16_S17_EUlS16_E_NS1_11comp_targetILNS1_3genE0ELNS1_11target_archE4294967295ELNS1_3gpuE0ELNS1_3repE0EEENS1_30default_config_static_selectorELNS0_4arch9wavefront6targetE0EEEvT1_
; %bb.0:
	.section	.rodata,"a",@progbits
	.p2align	6, 0x0
	.amdhsa_kernel _ZN7rocprim17ROCPRIM_400000_NS6detail17trampoline_kernelINS0_14default_configENS1_25partition_config_selectorILNS1_17partition_subalgoE5ElNS0_10empty_typeEbEEZZNS1_14partition_implILS5_5ELb0ES3_mN6hipcub16HIPCUB_304000_NS21CountingInputIteratorIllEEPS6_NSA_22TransformInputIteratorIbN2at6native12_GLOBAL__N_19NonZeroOpIaEEPKalEENS0_5tupleIJPlS6_EEENSN_IJSD_SD_EEES6_PiJS6_EEE10hipError_tPvRmT3_T4_T5_T6_T7_T9_mT8_P12ihipStream_tbDpT10_ENKUlT_T0_E_clISt17integral_constantIbLb0EES1A_IbLb1EEEEDaS16_S17_EUlS16_E_NS1_11comp_targetILNS1_3genE0ELNS1_11target_archE4294967295ELNS1_3gpuE0ELNS1_3repE0EEENS1_30default_config_static_selectorELNS0_4arch9wavefront6targetE0EEEvT1_
		.amdhsa_group_segment_fixed_size 0
		.amdhsa_private_segment_fixed_size 0
		.amdhsa_kernarg_size 136
		.amdhsa_user_sgpr_count 2
		.amdhsa_user_sgpr_dispatch_ptr 0
		.amdhsa_user_sgpr_queue_ptr 0
		.amdhsa_user_sgpr_kernarg_segment_ptr 1
		.amdhsa_user_sgpr_dispatch_id 0
		.amdhsa_user_sgpr_private_segment_size 0
		.amdhsa_wavefront_size32 1
		.amdhsa_uses_dynamic_stack 0
		.amdhsa_enable_private_segment 0
		.amdhsa_system_sgpr_workgroup_id_x 1
		.amdhsa_system_sgpr_workgroup_id_y 0
		.amdhsa_system_sgpr_workgroup_id_z 0
		.amdhsa_system_sgpr_workgroup_info 0
		.amdhsa_system_vgpr_workitem_id 0
		.amdhsa_next_free_vgpr 1
		.amdhsa_next_free_sgpr 1
		.amdhsa_reserve_vcc 0
		.amdhsa_float_round_mode_32 0
		.amdhsa_float_round_mode_16_64 0
		.amdhsa_float_denorm_mode_32 3
		.amdhsa_float_denorm_mode_16_64 3
		.amdhsa_fp16_overflow 0
		.amdhsa_workgroup_processor_mode 1
		.amdhsa_memory_ordered 1
		.amdhsa_forward_progress 1
		.amdhsa_inst_pref_size 0
		.amdhsa_round_robin_scheduling 0
		.amdhsa_exception_fp_ieee_invalid_op 0
		.amdhsa_exception_fp_denorm_src 0
		.amdhsa_exception_fp_ieee_div_zero 0
		.amdhsa_exception_fp_ieee_overflow 0
		.amdhsa_exception_fp_ieee_underflow 0
		.amdhsa_exception_fp_ieee_inexact 0
		.amdhsa_exception_int_div_zero 0
	.end_amdhsa_kernel
	.section	.text._ZN7rocprim17ROCPRIM_400000_NS6detail17trampoline_kernelINS0_14default_configENS1_25partition_config_selectorILNS1_17partition_subalgoE5ElNS0_10empty_typeEbEEZZNS1_14partition_implILS5_5ELb0ES3_mN6hipcub16HIPCUB_304000_NS21CountingInputIteratorIllEEPS6_NSA_22TransformInputIteratorIbN2at6native12_GLOBAL__N_19NonZeroOpIaEEPKalEENS0_5tupleIJPlS6_EEENSN_IJSD_SD_EEES6_PiJS6_EEE10hipError_tPvRmT3_T4_T5_T6_T7_T9_mT8_P12ihipStream_tbDpT10_ENKUlT_T0_E_clISt17integral_constantIbLb0EES1A_IbLb1EEEEDaS16_S17_EUlS16_E_NS1_11comp_targetILNS1_3genE0ELNS1_11target_archE4294967295ELNS1_3gpuE0ELNS1_3repE0EEENS1_30default_config_static_selectorELNS0_4arch9wavefront6targetE0EEEvT1_,"axG",@progbits,_ZN7rocprim17ROCPRIM_400000_NS6detail17trampoline_kernelINS0_14default_configENS1_25partition_config_selectorILNS1_17partition_subalgoE5ElNS0_10empty_typeEbEEZZNS1_14partition_implILS5_5ELb0ES3_mN6hipcub16HIPCUB_304000_NS21CountingInputIteratorIllEEPS6_NSA_22TransformInputIteratorIbN2at6native12_GLOBAL__N_19NonZeroOpIaEEPKalEENS0_5tupleIJPlS6_EEENSN_IJSD_SD_EEES6_PiJS6_EEE10hipError_tPvRmT3_T4_T5_T6_T7_T9_mT8_P12ihipStream_tbDpT10_ENKUlT_T0_E_clISt17integral_constantIbLb0EES1A_IbLb1EEEEDaS16_S17_EUlS16_E_NS1_11comp_targetILNS1_3genE0ELNS1_11target_archE4294967295ELNS1_3gpuE0ELNS1_3repE0EEENS1_30default_config_static_selectorELNS0_4arch9wavefront6targetE0EEEvT1_,comdat
.Lfunc_end142:
	.size	_ZN7rocprim17ROCPRIM_400000_NS6detail17trampoline_kernelINS0_14default_configENS1_25partition_config_selectorILNS1_17partition_subalgoE5ElNS0_10empty_typeEbEEZZNS1_14partition_implILS5_5ELb0ES3_mN6hipcub16HIPCUB_304000_NS21CountingInputIteratorIllEEPS6_NSA_22TransformInputIteratorIbN2at6native12_GLOBAL__N_19NonZeroOpIaEEPKalEENS0_5tupleIJPlS6_EEENSN_IJSD_SD_EEES6_PiJS6_EEE10hipError_tPvRmT3_T4_T5_T6_T7_T9_mT8_P12ihipStream_tbDpT10_ENKUlT_T0_E_clISt17integral_constantIbLb0EES1A_IbLb1EEEEDaS16_S17_EUlS16_E_NS1_11comp_targetILNS1_3genE0ELNS1_11target_archE4294967295ELNS1_3gpuE0ELNS1_3repE0EEENS1_30default_config_static_selectorELNS0_4arch9wavefront6targetE0EEEvT1_, .Lfunc_end142-_ZN7rocprim17ROCPRIM_400000_NS6detail17trampoline_kernelINS0_14default_configENS1_25partition_config_selectorILNS1_17partition_subalgoE5ElNS0_10empty_typeEbEEZZNS1_14partition_implILS5_5ELb0ES3_mN6hipcub16HIPCUB_304000_NS21CountingInputIteratorIllEEPS6_NSA_22TransformInputIteratorIbN2at6native12_GLOBAL__N_19NonZeroOpIaEEPKalEENS0_5tupleIJPlS6_EEENSN_IJSD_SD_EEES6_PiJS6_EEE10hipError_tPvRmT3_T4_T5_T6_T7_T9_mT8_P12ihipStream_tbDpT10_ENKUlT_T0_E_clISt17integral_constantIbLb0EES1A_IbLb1EEEEDaS16_S17_EUlS16_E_NS1_11comp_targetILNS1_3genE0ELNS1_11target_archE4294967295ELNS1_3gpuE0ELNS1_3repE0EEENS1_30default_config_static_selectorELNS0_4arch9wavefront6targetE0EEEvT1_
                                        ; -- End function
	.set _ZN7rocprim17ROCPRIM_400000_NS6detail17trampoline_kernelINS0_14default_configENS1_25partition_config_selectorILNS1_17partition_subalgoE5ElNS0_10empty_typeEbEEZZNS1_14partition_implILS5_5ELb0ES3_mN6hipcub16HIPCUB_304000_NS21CountingInputIteratorIllEEPS6_NSA_22TransformInputIteratorIbN2at6native12_GLOBAL__N_19NonZeroOpIaEEPKalEENS0_5tupleIJPlS6_EEENSN_IJSD_SD_EEES6_PiJS6_EEE10hipError_tPvRmT3_T4_T5_T6_T7_T9_mT8_P12ihipStream_tbDpT10_ENKUlT_T0_E_clISt17integral_constantIbLb0EES1A_IbLb1EEEEDaS16_S17_EUlS16_E_NS1_11comp_targetILNS1_3genE0ELNS1_11target_archE4294967295ELNS1_3gpuE0ELNS1_3repE0EEENS1_30default_config_static_selectorELNS0_4arch9wavefront6targetE0EEEvT1_.num_vgpr, 0
	.set _ZN7rocprim17ROCPRIM_400000_NS6detail17trampoline_kernelINS0_14default_configENS1_25partition_config_selectorILNS1_17partition_subalgoE5ElNS0_10empty_typeEbEEZZNS1_14partition_implILS5_5ELb0ES3_mN6hipcub16HIPCUB_304000_NS21CountingInputIteratorIllEEPS6_NSA_22TransformInputIteratorIbN2at6native12_GLOBAL__N_19NonZeroOpIaEEPKalEENS0_5tupleIJPlS6_EEENSN_IJSD_SD_EEES6_PiJS6_EEE10hipError_tPvRmT3_T4_T5_T6_T7_T9_mT8_P12ihipStream_tbDpT10_ENKUlT_T0_E_clISt17integral_constantIbLb0EES1A_IbLb1EEEEDaS16_S17_EUlS16_E_NS1_11comp_targetILNS1_3genE0ELNS1_11target_archE4294967295ELNS1_3gpuE0ELNS1_3repE0EEENS1_30default_config_static_selectorELNS0_4arch9wavefront6targetE0EEEvT1_.num_agpr, 0
	.set _ZN7rocprim17ROCPRIM_400000_NS6detail17trampoline_kernelINS0_14default_configENS1_25partition_config_selectorILNS1_17partition_subalgoE5ElNS0_10empty_typeEbEEZZNS1_14partition_implILS5_5ELb0ES3_mN6hipcub16HIPCUB_304000_NS21CountingInputIteratorIllEEPS6_NSA_22TransformInputIteratorIbN2at6native12_GLOBAL__N_19NonZeroOpIaEEPKalEENS0_5tupleIJPlS6_EEENSN_IJSD_SD_EEES6_PiJS6_EEE10hipError_tPvRmT3_T4_T5_T6_T7_T9_mT8_P12ihipStream_tbDpT10_ENKUlT_T0_E_clISt17integral_constantIbLb0EES1A_IbLb1EEEEDaS16_S17_EUlS16_E_NS1_11comp_targetILNS1_3genE0ELNS1_11target_archE4294967295ELNS1_3gpuE0ELNS1_3repE0EEENS1_30default_config_static_selectorELNS0_4arch9wavefront6targetE0EEEvT1_.numbered_sgpr, 0
	.set _ZN7rocprim17ROCPRIM_400000_NS6detail17trampoline_kernelINS0_14default_configENS1_25partition_config_selectorILNS1_17partition_subalgoE5ElNS0_10empty_typeEbEEZZNS1_14partition_implILS5_5ELb0ES3_mN6hipcub16HIPCUB_304000_NS21CountingInputIteratorIllEEPS6_NSA_22TransformInputIteratorIbN2at6native12_GLOBAL__N_19NonZeroOpIaEEPKalEENS0_5tupleIJPlS6_EEENSN_IJSD_SD_EEES6_PiJS6_EEE10hipError_tPvRmT3_T4_T5_T6_T7_T9_mT8_P12ihipStream_tbDpT10_ENKUlT_T0_E_clISt17integral_constantIbLb0EES1A_IbLb1EEEEDaS16_S17_EUlS16_E_NS1_11comp_targetILNS1_3genE0ELNS1_11target_archE4294967295ELNS1_3gpuE0ELNS1_3repE0EEENS1_30default_config_static_selectorELNS0_4arch9wavefront6targetE0EEEvT1_.num_named_barrier, 0
	.set _ZN7rocprim17ROCPRIM_400000_NS6detail17trampoline_kernelINS0_14default_configENS1_25partition_config_selectorILNS1_17partition_subalgoE5ElNS0_10empty_typeEbEEZZNS1_14partition_implILS5_5ELb0ES3_mN6hipcub16HIPCUB_304000_NS21CountingInputIteratorIllEEPS6_NSA_22TransformInputIteratorIbN2at6native12_GLOBAL__N_19NonZeroOpIaEEPKalEENS0_5tupleIJPlS6_EEENSN_IJSD_SD_EEES6_PiJS6_EEE10hipError_tPvRmT3_T4_T5_T6_T7_T9_mT8_P12ihipStream_tbDpT10_ENKUlT_T0_E_clISt17integral_constantIbLb0EES1A_IbLb1EEEEDaS16_S17_EUlS16_E_NS1_11comp_targetILNS1_3genE0ELNS1_11target_archE4294967295ELNS1_3gpuE0ELNS1_3repE0EEENS1_30default_config_static_selectorELNS0_4arch9wavefront6targetE0EEEvT1_.private_seg_size, 0
	.set _ZN7rocprim17ROCPRIM_400000_NS6detail17trampoline_kernelINS0_14default_configENS1_25partition_config_selectorILNS1_17partition_subalgoE5ElNS0_10empty_typeEbEEZZNS1_14partition_implILS5_5ELb0ES3_mN6hipcub16HIPCUB_304000_NS21CountingInputIteratorIllEEPS6_NSA_22TransformInputIteratorIbN2at6native12_GLOBAL__N_19NonZeroOpIaEEPKalEENS0_5tupleIJPlS6_EEENSN_IJSD_SD_EEES6_PiJS6_EEE10hipError_tPvRmT3_T4_T5_T6_T7_T9_mT8_P12ihipStream_tbDpT10_ENKUlT_T0_E_clISt17integral_constantIbLb0EES1A_IbLb1EEEEDaS16_S17_EUlS16_E_NS1_11comp_targetILNS1_3genE0ELNS1_11target_archE4294967295ELNS1_3gpuE0ELNS1_3repE0EEENS1_30default_config_static_selectorELNS0_4arch9wavefront6targetE0EEEvT1_.uses_vcc, 0
	.set _ZN7rocprim17ROCPRIM_400000_NS6detail17trampoline_kernelINS0_14default_configENS1_25partition_config_selectorILNS1_17partition_subalgoE5ElNS0_10empty_typeEbEEZZNS1_14partition_implILS5_5ELb0ES3_mN6hipcub16HIPCUB_304000_NS21CountingInputIteratorIllEEPS6_NSA_22TransformInputIteratorIbN2at6native12_GLOBAL__N_19NonZeroOpIaEEPKalEENS0_5tupleIJPlS6_EEENSN_IJSD_SD_EEES6_PiJS6_EEE10hipError_tPvRmT3_T4_T5_T6_T7_T9_mT8_P12ihipStream_tbDpT10_ENKUlT_T0_E_clISt17integral_constantIbLb0EES1A_IbLb1EEEEDaS16_S17_EUlS16_E_NS1_11comp_targetILNS1_3genE0ELNS1_11target_archE4294967295ELNS1_3gpuE0ELNS1_3repE0EEENS1_30default_config_static_selectorELNS0_4arch9wavefront6targetE0EEEvT1_.uses_flat_scratch, 0
	.set _ZN7rocprim17ROCPRIM_400000_NS6detail17trampoline_kernelINS0_14default_configENS1_25partition_config_selectorILNS1_17partition_subalgoE5ElNS0_10empty_typeEbEEZZNS1_14partition_implILS5_5ELb0ES3_mN6hipcub16HIPCUB_304000_NS21CountingInputIteratorIllEEPS6_NSA_22TransformInputIteratorIbN2at6native12_GLOBAL__N_19NonZeroOpIaEEPKalEENS0_5tupleIJPlS6_EEENSN_IJSD_SD_EEES6_PiJS6_EEE10hipError_tPvRmT3_T4_T5_T6_T7_T9_mT8_P12ihipStream_tbDpT10_ENKUlT_T0_E_clISt17integral_constantIbLb0EES1A_IbLb1EEEEDaS16_S17_EUlS16_E_NS1_11comp_targetILNS1_3genE0ELNS1_11target_archE4294967295ELNS1_3gpuE0ELNS1_3repE0EEENS1_30default_config_static_selectorELNS0_4arch9wavefront6targetE0EEEvT1_.has_dyn_sized_stack, 0
	.set _ZN7rocprim17ROCPRIM_400000_NS6detail17trampoline_kernelINS0_14default_configENS1_25partition_config_selectorILNS1_17partition_subalgoE5ElNS0_10empty_typeEbEEZZNS1_14partition_implILS5_5ELb0ES3_mN6hipcub16HIPCUB_304000_NS21CountingInputIteratorIllEEPS6_NSA_22TransformInputIteratorIbN2at6native12_GLOBAL__N_19NonZeroOpIaEEPKalEENS0_5tupleIJPlS6_EEENSN_IJSD_SD_EEES6_PiJS6_EEE10hipError_tPvRmT3_T4_T5_T6_T7_T9_mT8_P12ihipStream_tbDpT10_ENKUlT_T0_E_clISt17integral_constantIbLb0EES1A_IbLb1EEEEDaS16_S17_EUlS16_E_NS1_11comp_targetILNS1_3genE0ELNS1_11target_archE4294967295ELNS1_3gpuE0ELNS1_3repE0EEENS1_30default_config_static_selectorELNS0_4arch9wavefront6targetE0EEEvT1_.has_recursion, 0
	.set _ZN7rocprim17ROCPRIM_400000_NS6detail17trampoline_kernelINS0_14default_configENS1_25partition_config_selectorILNS1_17partition_subalgoE5ElNS0_10empty_typeEbEEZZNS1_14partition_implILS5_5ELb0ES3_mN6hipcub16HIPCUB_304000_NS21CountingInputIteratorIllEEPS6_NSA_22TransformInputIteratorIbN2at6native12_GLOBAL__N_19NonZeroOpIaEEPKalEENS0_5tupleIJPlS6_EEENSN_IJSD_SD_EEES6_PiJS6_EEE10hipError_tPvRmT3_T4_T5_T6_T7_T9_mT8_P12ihipStream_tbDpT10_ENKUlT_T0_E_clISt17integral_constantIbLb0EES1A_IbLb1EEEEDaS16_S17_EUlS16_E_NS1_11comp_targetILNS1_3genE0ELNS1_11target_archE4294967295ELNS1_3gpuE0ELNS1_3repE0EEENS1_30default_config_static_selectorELNS0_4arch9wavefront6targetE0EEEvT1_.has_indirect_call, 0
	.section	.AMDGPU.csdata,"",@progbits
; Kernel info:
; codeLenInByte = 0
; TotalNumSgprs: 0
; NumVgprs: 0
; ScratchSize: 0
; MemoryBound: 0
; FloatMode: 240
; IeeeMode: 1
; LDSByteSize: 0 bytes/workgroup (compile time only)
; SGPRBlocks: 0
; VGPRBlocks: 0
; NumSGPRsForWavesPerEU: 1
; NumVGPRsForWavesPerEU: 1
; Occupancy: 16
; WaveLimiterHint : 0
; COMPUTE_PGM_RSRC2:SCRATCH_EN: 0
; COMPUTE_PGM_RSRC2:USER_SGPR: 2
; COMPUTE_PGM_RSRC2:TRAP_HANDLER: 0
; COMPUTE_PGM_RSRC2:TGID_X_EN: 1
; COMPUTE_PGM_RSRC2:TGID_Y_EN: 0
; COMPUTE_PGM_RSRC2:TGID_Z_EN: 0
; COMPUTE_PGM_RSRC2:TIDIG_COMP_CNT: 0
	.section	.text._ZN7rocprim17ROCPRIM_400000_NS6detail17trampoline_kernelINS0_14default_configENS1_25partition_config_selectorILNS1_17partition_subalgoE5ElNS0_10empty_typeEbEEZZNS1_14partition_implILS5_5ELb0ES3_mN6hipcub16HIPCUB_304000_NS21CountingInputIteratorIllEEPS6_NSA_22TransformInputIteratorIbN2at6native12_GLOBAL__N_19NonZeroOpIaEEPKalEENS0_5tupleIJPlS6_EEENSN_IJSD_SD_EEES6_PiJS6_EEE10hipError_tPvRmT3_T4_T5_T6_T7_T9_mT8_P12ihipStream_tbDpT10_ENKUlT_T0_E_clISt17integral_constantIbLb0EES1A_IbLb1EEEEDaS16_S17_EUlS16_E_NS1_11comp_targetILNS1_3genE5ELNS1_11target_archE942ELNS1_3gpuE9ELNS1_3repE0EEENS1_30default_config_static_selectorELNS0_4arch9wavefront6targetE0EEEvT1_,"axG",@progbits,_ZN7rocprim17ROCPRIM_400000_NS6detail17trampoline_kernelINS0_14default_configENS1_25partition_config_selectorILNS1_17partition_subalgoE5ElNS0_10empty_typeEbEEZZNS1_14partition_implILS5_5ELb0ES3_mN6hipcub16HIPCUB_304000_NS21CountingInputIteratorIllEEPS6_NSA_22TransformInputIteratorIbN2at6native12_GLOBAL__N_19NonZeroOpIaEEPKalEENS0_5tupleIJPlS6_EEENSN_IJSD_SD_EEES6_PiJS6_EEE10hipError_tPvRmT3_T4_T5_T6_T7_T9_mT8_P12ihipStream_tbDpT10_ENKUlT_T0_E_clISt17integral_constantIbLb0EES1A_IbLb1EEEEDaS16_S17_EUlS16_E_NS1_11comp_targetILNS1_3genE5ELNS1_11target_archE942ELNS1_3gpuE9ELNS1_3repE0EEENS1_30default_config_static_selectorELNS0_4arch9wavefront6targetE0EEEvT1_,comdat
	.globl	_ZN7rocprim17ROCPRIM_400000_NS6detail17trampoline_kernelINS0_14default_configENS1_25partition_config_selectorILNS1_17partition_subalgoE5ElNS0_10empty_typeEbEEZZNS1_14partition_implILS5_5ELb0ES3_mN6hipcub16HIPCUB_304000_NS21CountingInputIteratorIllEEPS6_NSA_22TransformInputIteratorIbN2at6native12_GLOBAL__N_19NonZeroOpIaEEPKalEENS0_5tupleIJPlS6_EEENSN_IJSD_SD_EEES6_PiJS6_EEE10hipError_tPvRmT3_T4_T5_T6_T7_T9_mT8_P12ihipStream_tbDpT10_ENKUlT_T0_E_clISt17integral_constantIbLb0EES1A_IbLb1EEEEDaS16_S17_EUlS16_E_NS1_11comp_targetILNS1_3genE5ELNS1_11target_archE942ELNS1_3gpuE9ELNS1_3repE0EEENS1_30default_config_static_selectorELNS0_4arch9wavefront6targetE0EEEvT1_ ; -- Begin function _ZN7rocprim17ROCPRIM_400000_NS6detail17trampoline_kernelINS0_14default_configENS1_25partition_config_selectorILNS1_17partition_subalgoE5ElNS0_10empty_typeEbEEZZNS1_14partition_implILS5_5ELb0ES3_mN6hipcub16HIPCUB_304000_NS21CountingInputIteratorIllEEPS6_NSA_22TransformInputIteratorIbN2at6native12_GLOBAL__N_19NonZeroOpIaEEPKalEENS0_5tupleIJPlS6_EEENSN_IJSD_SD_EEES6_PiJS6_EEE10hipError_tPvRmT3_T4_T5_T6_T7_T9_mT8_P12ihipStream_tbDpT10_ENKUlT_T0_E_clISt17integral_constantIbLb0EES1A_IbLb1EEEEDaS16_S17_EUlS16_E_NS1_11comp_targetILNS1_3genE5ELNS1_11target_archE942ELNS1_3gpuE9ELNS1_3repE0EEENS1_30default_config_static_selectorELNS0_4arch9wavefront6targetE0EEEvT1_
	.p2align	8
	.type	_ZN7rocprim17ROCPRIM_400000_NS6detail17trampoline_kernelINS0_14default_configENS1_25partition_config_selectorILNS1_17partition_subalgoE5ElNS0_10empty_typeEbEEZZNS1_14partition_implILS5_5ELb0ES3_mN6hipcub16HIPCUB_304000_NS21CountingInputIteratorIllEEPS6_NSA_22TransformInputIteratorIbN2at6native12_GLOBAL__N_19NonZeroOpIaEEPKalEENS0_5tupleIJPlS6_EEENSN_IJSD_SD_EEES6_PiJS6_EEE10hipError_tPvRmT3_T4_T5_T6_T7_T9_mT8_P12ihipStream_tbDpT10_ENKUlT_T0_E_clISt17integral_constantIbLb0EES1A_IbLb1EEEEDaS16_S17_EUlS16_E_NS1_11comp_targetILNS1_3genE5ELNS1_11target_archE942ELNS1_3gpuE9ELNS1_3repE0EEENS1_30default_config_static_selectorELNS0_4arch9wavefront6targetE0EEEvT1_,@function
_ZN7rocprim17ROCPRIM_400000_NS6detail17trampoline_kernelINS0_14default_configENS1_25partition_config_selectorILNS1_17partition_subalgoE5ElNS0_10empty_typeEbEEZZNS1_14partition_implILS5_5ELb0ES3_mN6hipcub16HIPCUB_304000_NS21CountingInputIteratorIllEEPS6_NSA_22TransformInputIteratorIbN2at6native12_GLOBAL__N_19NonZeroOpIaEEPKalEENS0_5tupleIJPlS6_EEENSN_IJSD_SD_EEES6_PiJS6_EEE10hipError_tPvRmT3_T4_T5_T6_T7_T9_mT8_P12ihipStream_tbDpT10_ENKUlT_T0_E_clISt17integral_constantIbLb0EES1A_IbLb1EEEEDaS16_S17_EUlS16_E_NS1_11comp_targetILNS1_3genE5ELNS1_11target_archE942ELNS1_3gpuE9ELNS1_3repE0EEENS1_30default_config_static_selectorELNS0_4arch9wavefront6targetE0EEEvT1_: ; @_ZN7rocprim17ROCPRIM_400000_NS6detail17trampoline_kernelINS0_14default_configENS1_25partition_config_selectorILNS1_17partition_subalgoE5ElNS0_10empty_typeEbEEZZNS1_14partition_implILS5_5ELb0ES3_mN6hipcub16HIPCUB_304000_NS21CountingInputIteratorIllEEPS6_NSA_22TransformInputIteratorIbN2at6native12_GLOBAL__N_19NonZeroOpIaEEPKalEENS0_5tupleIJPlS6_EEENSN_IJSD_SD_EEES6_PiJS6_EEE10hipError_tPvRmT3_T4_T5_T6_T7_T9_mT8_P12ihipStream_tbDpT10_ENKUlT_T0_E_clISt17integral_constantIbLb0EES1A_IbLb1EEEEDaS16_S17_EUlS16_E_NS1_11comp_targetILNS1_3genE5ELNS1_11target_archE942ELNS1_3gpuE9ELNS1_3repE0EEENS1_30default_config_static_selectorELNS0_4arch9wavefront6targetE0EEEvT1_
; %bb.0:
	.section	.rodata,"a",@progbits
	.p2align	6, 0x0
	.amdhsa_kernel _ZN7rocprim17ROCPRIM_400000_NS6detail17trampoline_kernelINS0_14default_configENS1_25partition_config_selectorILNS1_17partition_subalgoE5ElNS0_10empty_typeEbEEZZNS1_14partition_implILS5_5ELb0ES3_mN6hipcub16HIPCUB_304000_NS21CountingInputIteratorIllEEPS6_NSA_22TransformInputIteratorIbN2at6native12_GLOBAL__N_19NonZeroOpIaEEPKalEENS0_5tupleIJPlS6_EEENSN_IJSD_SD_EEES6_PiJS6_EEE10hipError_tPvRmT3_T4_T5_T6_T7_T9_mT8_P12ihipStream_tbDpT10_ENKUlT_T0_E_clISt17integral_constantIbLb0EES1A_IbLb1EEEEDaS16_S17_EUlS16_E_NS1_11comp_targetILNS1_3genE5ELNS1_11target_archE942ELNS1_3gpuE9ELNS1_3repE0EEENS1_30default_config_static_selectorELNS0_4arch9wavefront6targetE0EEEvT1_
		.amdhsa_group_segment_fixed_size 0
		.amdhsa_private_segment_fixed_size 0
		.amdhsa_kernarg_size 136
		.amdhsa_user_sgpr_count 2
		.amdhsa_user_sgpr_dispatch_ptr 0
		.amdhsa_user_sgpr_queue_ptr 0
		.amdhsa_user_sgpr_kernarg_segment_ptr 1
		.amdhsa_user_sgpr_dispatch_id 0
		.amdhsa_user_sgpr_private_segment_size 0
		.amdhsa_wavefront_size32 1
		.amdhsa_uses_dynamic_stack 0
		.amdhsa_enable_private_segment 0
		.amdhsa_system_sgpr_workgroup_id_x 1
		.amdhsa_system_sgpr_workgroup_id_y 0
		.amdhsa_system_sgpr_workgroup_id_z 0
		.amdhsa_system_sgpr_workgroup_info 0
		.amdhsa_system_vgpr_workitem_id 0
		.amdhsa_next_free_vgpr 1
		.amdhsa_next_free_sgpr 1
		.amdhsa_reserve_vcc 0
		.amdhsa_float_round_mode_32 0
		.amdhsa_float_round_mode_16_64 0
		.amdhsa_float_denorm_mode_32 3
		.amdhsa_float_denorm_mode_16_64 3
		.amdhsa_fp16_overflow 0
		.amdhsa_workgroup_processor_mode 1
		.amdhsa_memory_ordered 1
		.amdhsa_forward_progress 1
		.amdhsa_inst_pref_size 0
		.amdhsa_round_robin_scheduling 0
		.amdhsa_exception_fp_ieee_invalid_op 0
		.amdhsa_exception_fp_denorm_src 0
		.amdhsa_exception_fp_ieee_div_zero 0
		.amdhsa_exception_fp_ieee_overflow 0
		.amdhsa_exception_fp_ieee_underflow 0
		.amdhsa_exception_fp_ieee_inexact 0
		.amdhsa_exception_int_div_zero 0
	.end_amdhsa_kernel
	.section	.text._ZN7rocprim17ROCPRIM_400000_NS6detail17trampoline_kernelINS0_14default_configENS1_25partition_config_selectorILNS1_17partition_subalgoE5ElNS0_10empty_typeEbEEZZNS1_14partition_implILS5_5ELb0ES3_mN6hipcub16HIPCUB_304000_NS21CountingInputIteratorIllEEPS6_NSA_22TransformInputIteratorIbN2at6native12_GLOBAL__N_19NonZeroOpIaEEPKalEENS0_5tupleIJPlS6_EEENSN_IJSD_SD_EEES6_PiJS6_EEE10hipError_tPvRmT3_T4_T5_T6_T7_T9_mT8_P12ihipStream_tbDpT10_ENKUlT_T0_E_clISt17integral_constantIbLb0EES1A_IbLb1EEEEDaS16_S17_EUlS16_E_NS1_11comp_targetILNS1_3genE5ELNS1_11target_archE942ELNS1_3gpuE9ELNS1_3repE0EEENS1_30default_config_static_selectorELNS0_4arch9wavefront6targetE0EEEvT1_,"axG",@progbits,_ZN7rocprim17ROCPRIM_400000_NS6detail17trampoline_kernelINS0_14default_configENS1_25partition_config_selectorILNS1_17partition_subalgoE5ElNS0_10empty_typeEbEEZZNS1_14partition_implILS5_5ELb0ES3_mN6hipcub16HIPCUB_304000_NS21CountingInputIteratorIllEEPS6_NSA_22TransformInputIteratorIbN2at6native12_GLOBAL__N_19NonZeroOpIaEEPKalEENS0_5tupleIJPlS6_EEENSN_IJSD_SD_EEES6_PiJS6_EEE10hipError_tPvRmT3_T4_T5_T6_T7_T9_mT8_P12ihipStream_tbDpT10_ENKUlT_T0_E_clISt17integral_constantIbLb0EES1A_IbLb1EEEEDaS16_S17_EUlS16_E_NS1_11comp_targetILNS1_3genE5ELNS1_11target_archE942ELNS1_3gpuE9ELNS1_3repE0EEENS1_30default_config_static_selectorELNS0_4arch9wavefront6targetE0EEEvT1_,comdat
.Lfunc_end143:
	.size	_ZN7rocprim17ROCPRIM_400000_NS6detail17trampoline_kernelINS0_14default_configENS1_25partition_config_selectorILNS1_17partition_subalgoE5ElNS0_10empty_typeEbEEZZNS1_14partition_implILS5_5ELb0ES3_mN6hipcub16HIPCUB_304000_NS21CountingInputIteratorIllEEPS6_NSA_22TransformInputIteratorIbN2at6native12_GLOBAL__N_19NonZeroOpIaEEPKalEENS0_5tupleIJPlS6_EEENSN_IJSD_SD_EEES6_PiJS6_EEE10hipError_tPvRmT3_T4_T5_T6_T7_T9_mT8_P12ihipStream_tbDpT10_ENKUlT_T0_E_clISt17integral_constantIbLb0EES1A_IbLb1EEEEDaS16_S17_EUlS16_E_NS1_11comp_targetILNS1_3genE5ELNS1_11target_archE942ELNS1_3gpuE9ELNS1_3repE0EEENS1_30default_config_static_selectorELNS0_4arch9wavefront6targetE0EEEvT1_, .Lfunc_end143-_ZN7rocprim17ROCPRIM_400000_NS6detail17trampoline_kernelINS0_14default_configENS1_25partition_config_selectorILNS1_17partition_subalgoE5ElNS0_10empty_typeEbEEZZNS1_14partition_implILS5_5ELb0ES3_mN6hipcub16HIPCUB_304000_NS21CountingInputIteratorIllEEPS6_NSA_22TransformInputIteratorIbN2at6native12_GLOBAL__N_19NonZeroOpIaEEPKalEENS0_5tupleIJPlS6_EEENSN_IJSD_SD_EEES6_PiJS6_EEE10hipError_tPvRmT3_T4_T5_T6_T7_T9_mT8_P12ihipStream_tbDpT10_ENKUlT_T0_E_clISt17integral_constantIbLb0EES1A_IbLb1EEEEDaS16_S17_EUlS16_E_NS1_11comp_targetILNS1_3genE5ELNS1_11target_archE942ELNS1_3gpuE9ELNS1_3repE0EEENS1_30default_config_static_selectorELNS0_4arch9wavefront6targetE0EEEvT1_
                                        ; -- End function
	.set _ZN7rocprim17ROCPRIM_400000_NS6detail17trampoline_kernelINS0_14default_configENS1_25partition_config_selectorILNS1_17partition_subalgoE5ElNS0_10empty_typeEbEEZZNS1_14partition_implILS5_5ELb0ES3_mN6hipcub16HIPCUB_304000_NS21CountingInputIteratorIllEEPS6_NSA_22TransformInputIteratorIbN2at6native12_GLOBAL__N_19NonZeroOpIaEEPKalEENS0_5tupleIJPlS6_EEENSN_IJSD_SD_EEES6_PiJS6_EEE10hipError_tPvRmT3_T4_T5_T6_T7_T9_mT8_P12ihipStream_tbDpT10_ENKUlT_T0_E_clISt17integral_constantIbLb0EES1A_IbLb1EEEEDaS16_S17_EUlS16_E_NS1_11comp_targetILNS1_3genE5ELNS1_11target_archE942ELNS1_3gpuE9ELNS1_3repE0EEENS1_30default_config_static_selectorELNS0_4arch9wavefront6targetE0EEEvT1_.num_vgpr, 0
	.set _ZN7rocprim17ROCPRIM_400000_NS6detail17trampoline_kernelINS0_14default_configENS1_25partition_config_selectorILNS1_17partition_subalgoE5ElNS0_10empty_typeEbEEZZNS1_14partition_implILS5_5ELb0ES3_mN6hipcub16HIPCUB_304000_NS21CountingInputIteratorIllEEPS6_NSA_22TransformInputIteratorIbN2at6native12_GLOBAL__N_19NonZeroOpIaEEPKalEENS0_5tupleIJPlS6_EEENSN_IJSD_SD_EEES6_PiJS6_EEE10hipError_tPvRmT3_T4_T5_T6_T7_T9_mT8_P12ihipStream_tbDpT10_ENKUlT_T0_E_clISt17integral_constantIbLb0EES1A_IbLb1EEEEDaS16_S17_EUlS16_E_NS1_11comp_targetILNS1_3genE5ELNS1_11target_archE942ELNS1_3gpuE9ELNS1_3repE0EEENS1_30default_config_static_selectorELNS0_4arch9wavefront6targetE0EEEvT1_.num_agpr, 0
	.set _ZN7rocprim17ROCPRIM_400000_NS6detail17trampoline_kernelINS0_14default_configENS1_25partition_config_selectorILNS1_17partition_subalgoE5ElNS0_10empty_typeEbEEZZNS1_14partition_implILS5_5ELb0ES3_mN6hipcub16HIPCUB_304000_NS21CountingInputIteratorIllEEPS6_NSA_22TransformInputIteratorIbN2at6native12_GLOBAL__N_19NonZeroOpIaEEPKalEENS0_5tupleIJPlS6_EEENSN_IJSD_SD_EEES6_PiJS6_EEE10hipError_tPvRmT3_T4_T5_T6_T7_T9_mT8_P12ihipStream_tbDpT10_ENKUlT_T0_E_clISt17integral_constantIbLb0EES1A_IbLb1EEEEDaS16_S17_EUlS16_E_NS1_11comp_targetILNS1_3genE5ELNS1_11target_archE942ELNS1_3gpuE9ELNS1_3repE0EEENS1_30default_config_static_selectorELNS0_4arch9wavefront6targetE0EEEvT1_.numbered_sgpr, 0
	.set _ZN7rocprim17ROCPRIM_400000_NS6detail17trampoline_kernelINS0_14default_configENS1_25partition_config_selectorILNS1_17partition_subalgoE5ElNS0_10empty_typeEbEEZZNS1_14partition_implILS5_5ELb0ES3_mN6hipcub16HIPCUB_304000_NS21CountingInputIteratorIllEEPS6_NSA_22TransformInputIteratorIbN2at6native12_GLOBAL__N_19NonZeroOpIaEEPKalEENS0_5tupleIJPlS6_EEENSN_IJSD_SD_EEES6_PiJS6_EEE10hipError_tPvRmT3_T4_T5_T6_T7_T9_mT8_P12ihipStream_tbDpT10_ENKUlT_T0_E_clISt17integral_constantIbLb0EES1A_IbLb1EEEEDaS16_S17_EUlS16_E_NS1_11comp_targetILNS1_3genE5ELNS1_11target_archE942ELNS1_3gpuE9ELNS1_3repE0EEENS1_30default_config_static_selectorELNS0_4arch9wavefront6targetE0EEEvT1_.num_named_barrier, 0
	.set _ZN7rocprim17ROCPRIM_400000_NS6detail17trampoline_kernelINS0_14default_configENS1_25partition_config_selectorILNS1_17partition_subalgoE5ElNS0_10empty_typeEbEEZZNS1_14partition_implILS5_5ELb0ES3_mN6hipcub16HIPCUB_304000_NS21CountingInputIteratorIllEEPS6_NSA_22TransformInputIteratorIbN2at6native12_GLOBAL__N_19NonZeroOpIaEEPKalEENS0_5tupleIJPlS6_EEENSN_IJSD_SD_EEES6_PiJS6_EEE10hipError_tPvRmT3_T4_T5_T6_T7_T9_mT8_P12ihipStream_tbDpT10_ENKUlT_T0_E_clISt17integral_constantIbLb0EES1A_IbLb1EEEEDaS16_S17_EUlS16_E_NS1_11comp_targetILNS1_3genE5ELNS1_11target_archE942ELNS1_3gpuE9ELNS1_3repE0EEENS1_30default_config_static_selectorELNS0_4arch9wavefront6targetE0EEEvT1_.private_seg_size, 0
	.set _ZN7rocprim17ROCPRIM_400000_NS6detail17trampoline_kernelINS0_14default_configENS1_25partition_config_selectorILNS1_17partition_subalgoE5ElNS0_10empty_typeEbEEZZNS1_14partition_implILS5_5ELb0ES3_mN6hipcub16HIPCUB_304000_NS21CountingInputIteratorIllEEPS6_NSA_22TransformInputIteratorIbN2at6native12_GLOBAL__N_19NonZeroOpIaEEPKalEENS0_5tupleIJPlS6_EEENSN_IJSD_SD_EEES6_PiJS6_EEE10hipError_tPvRmT3_T4_T5_T6_T7_T9_mT8_P12ihipStream_tbDpT10_ENKUlT_T0_E_clISt17integral_constantIbLb0EES1A_IbLb1EEEEDaS16_S17_EUlS16_E_NS1_11comp_targetILNS1_3genE5ELNS1_11target_archE942ELNS1_3gpuE9ELNS1_3repE0EEENS1_30default_config_static_selectorELNS0_4arch9wavefront6targetE0EEEvT1_.uses_vcc, 0
	.set _ZN7rocprim17ROCPRIM_400000_NS6detail17trampoline_kernelINS0_14default_configENS1_25partition_config_selectorILNS1_17partition_subalgoE5ElNS0_10empty_typeEbEEZZNS1_14partition_implILS5_5ELb0ES3_mN6hipcub16HIPCUB_304000_NS21CountingInputIteratorIllEEPS6_NSA_22TransformInputIteratorIbN2at6native12_GLOBAL__N_19NonZeroOpIaEEPKalEENS0_5tupleIJPlS6_EEENSN_IJSD_SD_EEES6_PiJS6_EEE10hipError_tPvRmT3_T4_T5_T6_T7_T9_mT8_P12ihipStream_tbDpT10_ENKUlT_T0_E_clISt17integral_constantIbLb0EES1A_IbLb1EEEEDaS16_S17_EUlS16_E_NS1_11comp_targetILNS1_3genE5ELNS1_11target_archE942ELNS1_3gpuE9ELNS1_3repE0EEENS1_30default_config_static_selectorELNS0_4arch9wavefront6targetE0EEEvT1_.uses_flat_scratch, 0
	.set _ZN7rocprim17ROCPRIM_400000_NS6detail17trampoline_kernelINS0_14default_configENS1_25partition_config_selectorILNS1_17partition_subalgoE5ElNS0_10empty_typeEbEEZZNS1_14partition_implILS5_5ELb0ES3_mN6hipcub16HIPCUB_304000_NS21CountingInputIteratorIllEEPS6_NSA_22TransformInputIteratorIbN2at6native12_GLOBAL__N_19NonZeroOpIaEEPKalEENS0_5tupleIJPlS6_EEENSN_IJSD_SD_EEES6_PiJS6_EEE10hipError_tPvRmT3_T4_T5_T6_T7_T9_mT8_P12ihipStream_tbDpT10_ENKUlT_T0_E_clISt17integral_constantIbLb0EES1A_IbLb1EEEEDaS16_S17_EUlS16_E_NS1_11comp_targetILNS1_3genE5ELNS1_11target_archE942ELNS1_3gpuE9ELNS1_3repE0EEENS1_30default_config_static_selectorELNS0_4arch9wavefront6targetE0EEEvT1_.has_dyn_sized_stack, 0
	.set _ZN7rocprim17ROCPRIM_400000_NS6detail17trampoline_kernelINS0_14default_configENS1_25partition_config_selectorILNS1_17partition_subalgoE5ElNS0_10empty_typeEbEEZZNS1_14partition_implILS5_5ELb0ES3_mN6hipcub16HIPCUB_304000_NS21CountingInputIteratorIllEEPS6_NSA_22TransformInputIteratorIbN2at6native12_GLOBAL__N_19NonZeroOpIaEEPKalEENS0_5tupleIJPlS6_EEENSN_IJSD_SD_EEES6_PiJS6_EEE10hipError_tPvRmT3_T4_T5_T6_T7_T9_mT8_P12ihipStream_tbDpT10_ENKUlT_T0_E_clISt17integral_constantIbLb0EES1A_IbLb1EEEEDaS16_S17_EUlS16_E_NS1_11comp_targetILNS1_3genE5ELNS1_11target_archE942ELNS1_3gpuE9ELNS1_3repE0EEENS1_30default_config_static_selectorELNS0_4arch9wavefront6targetE0EEEvT1_.has_recursion, 0
	.set _ZN7rocprim17ROCPRIM_400000_NS6detail17trampoline_kernelINS0_14default_configENS1_25partition_config_selectorILNS1_17partition_subalgoE5ElNS0_10empty_typeEbEEZZNS1_14partition_implILS5_5ELb0ES3_mN6hipcub16HIPCUB_304000_NS21CountingInputIteratorIllEEPS6_NSA_22TransformInputIteratorIbN2at6native12_GLOBAL__N_19NonZeroOpIaEEPKalEENS0_5tupleIJPlS6_EEENSN_IJSD_SD_EEES6_PiJS6_EEE10hipError_tPvRmT3_T4_T5_T6_T7_T9_mT8_P12ihipStream_tbDpT10_ENKUlT_T0_E_clISt17integral_constantIbLb0EES1A_IbLb1EEEEDaS16_S17_EUlS16_E_NS1_11comp_targetILNS1_3genE5ELNS1_11target_archE942ELNS1_3gpuE9ELNS1_3repE0EEENS1_30default_config_static_selectorELNS0_4arch9wavefront6targetE0EEEvT1_.has_indirect_call, 0
	.section	.AMDGPU.csdata,"",@progbits
; Kernel info:
; codeLenInByte = 0
; TotalNumSgprs: 0
; NumVgprs: 0
; ScratchSize: 0
; MemoryBound: 0
; FloatMode: 240
; IeeeMode: 1
; LDSByteSize: 0 bytes/workgroup (compile time only)
; SGPRBlocks: 0
; VGPRBlocks: 0
; NumSGPRsForWavesPerEU: 1
; NumVGPRsForWavesPerEU: 1
; Occupancy: 16
; WaveLimiterHint : 0
; COMPUTE_PGM_RSRC2:SCRATCH_EN: 0
; COMPUTE_PGM_RSRC2:USER_SGPR: 2
; COMPUTE_PGM_RSRC2:TRAP_HANDLER: 0
; COMPUTE_PGM_RSRC2:TGID_X_EN: 1
; COMPUTE_PGM_RSRC2:TGID_Y_EN: 0
; COMPUTE_PGM_RSRC2:TGID_Z_EN: 0
; COMPUTE_PGM_RSRC2:TIDIG_COMP_CNT: 0
	.section	.text._ZN7rocprim17ROCPRIM_400000_NS6detail17trampoline_kernelINS0_14default_configENS1_25partition_config_selectorILNS1_17partition_subalgoE5ElNS0_10empty_typeEbEEZZNS1_14partition_implILS5_5ELb0ES3_mN6hipcub16HIPCUB_304000_NS21CountingInputIteratorIllEEPS6_NSA_22TransformInputIteratorIbN2at6native12_GLOBAL__N_19NonZeroOpIaEEPKalEENS0_5tupleIJPlS6_EEENSN_IJSD_SD_EEES6_PiJS6_EEE10hipError_tPvRmT3_T4_T5_T6_T7_T9_mT8_P12ihipStream_tbDpT10_ENKUlT_T0_E_clISt17integral_constantIbLb0EES1A_IbLb1EEEEDaS16_S17_EUlS16_E_NS1_11comp_targetILNS1_3genE4ELNS1_11target_archE910ELNS1_3gpuE8ELNS1_3repE0EEENS1_30default_config_static_selectorELNS0_4arch9wavefront6targetE0EEEvT1_,"axG",@progbits,_ZN7rocprim17ROCPRIM_400000_NS6detail17trampoline_kernelINS0_14default_configENS1_25partition_config_selectorILNS1_17partition_subalgoE5ElNS0_10empty_typeEbEEZZNS1_14partition_implILS5_5ELb0ES3_mN6hipcub16HIPCUB_304000_NS21CountingInputIteratorIllEEPS6_NSA_22TransformInputIteratorIbN2at6native12_GLOBAL__N_19NonZeroOpIaEEPKalEENS0_5tupleIJPlS6_EEENSN_IJSD_SD_EEES6_PiJS6_EEE10hipError_tPvRmT3_T4_T5_T6_T7_T9_mT8_P12ihipStream_tbDpT10_ENKUlT_T0_E_clISt17integral_constantIbLb0EES1A_IbLb1EEEEDaS16_S17_EUlS16_E_NS1_11comp_targetILNS1_3genE4ELNS1_11target_archE910ELNS1_3gpuE8ELNS1_3repE0EEENS1_30default_config_static_selectorELNS0_4arch9wavefront6targetE0EEEvT1_,comdat
	.globl	_ZN7rocprim17ROCPRIM_400000_NS6detail17trampoline_kernelINS0_14default_configENS1_25partition_config_selectorILNS1_17partition_subalgoE5ElNS0_10empty_typeEbEEZZNS1_14partition_implILS5_5ELb0ES3_mN6hipcub16HIPCUB_304000_NS21CountingInputIteratorIllEEPS6_NSA_22TransformInputIteratorIbN2at6native12_GLOBAL__N_19NonZeroOpIaEEPKalEENS0_5tupleIJPlS6_EEENSN_IJSD_SD_EEES6_PiJS6_EEE10hipError_tPvRmT3_T4_T5_T6_T7_T9_mT8_P12ihipStream_tbDpT10_ENKUlT_T0_E_clISt17integral_constantIbLb0EES1A_IbLb1EEEEDaS16_S17_EUlS16_E_NS1_11comp_targetILNS1_3genE4ELNS1_11target_archE910ELNS1_3gpuE8ELNS1_3repE0EEENS1_30default_config_static_selectorELNS0_4arch9wavefront6targetE0EEEvT1_ ; -- Begin function _ZN7rocprim17ROCPRIM_400000_NS6detail17trampoline_kernelINS0_14default_configENS1_25partition_config_selectorILNS1_17partition_subalgoE5ElNS0_10empty_typeEbEEZZNS1_14partition_implILS5_5ELb0ES3_mN6hipcub16HIPCUB_304000_NS21CountingInputIteratorIllEEPS6_NSA_22TransformInputIteratorIbN2at6native12_GLOBAL__N_19NonZeroOpIaEEPKalEENS0_5tupleIJPlS6_EEENSN_IJSD_SD_EEES6_PiJS6_EEE10hipError_tPvRmT3_T4_T5_T6_T7_T9_mT8_P12ihipStream_tbDpT10_ENKUlT_T0_E_clISt17integral_constantIbLb0EES1A_IbLb1EEEEDaS16_S17_EUlS16_E_NS1_11comp_targetILNS1_3genE4ELNS1_11target_archE910ELNS1_3gpuE8ELNS1_3repE0EEENS1_30default_config_static_selectorELNS0_4arch9wavefront6targetE0EEEvT1_
	.p2align	8
	.type	_ZN7rocprim17ROCPRIM_400000_NS6detail17trampoline_kernelINS0_14default_configENS1_25partition_config_selectorILNS1_17partition_subalgoE5ElNS0_10empty_typeEbEEZZNS1_14partition_implILS5_5ELb0ES3_mN6hipcub16HIPCUB_304000_NS21CountingInputIteratorIllEEPS6_NSA_22TransformInputIteratorIbN2at6native12_GLOBAL__N_19NonZeroOpIaEEPKalEENS0_5tupleIJPlS6_EEENSN_IJSD_SD_EEES6_PiJS6_EEE10hipError_tPvRmT3_T4_T5_T6_T7_T9_mT8_P12ihipStream_tbDpT10_ENKUlT_T0_E_clISt17integral_constantIbLb0EES1A_IbLb1EEEEDaS16_S17_EUlS16_E_NS1_11comp_targetILNS1_3genE4ELNS1_11target_archE910ELNS1_3gpuE8ELNS1_3repE0EEENS1_30default_config_static_selectorELNS0_4arch9wavefront6targetE0EEEvT1_,@function
_ZN7rocprim17ROCPRIM_400000_NS6detail17trampoline_kernelINS0_14default_configENS1_25partition_config_selectorILNS1_17partition_subalgoE5ElNS0_10empty_typeEbEEZZNS1_14partition_implILS5_5ELb0ES3_mN6hipcub16HIPCUB_304000_NS21CountingInputIteratorIllEEPS6_NSA_22TransformInputIteratorIbN2at6native12_GLOBAL__N_19NonZeroOpIaEEPKalEENS0_5tupleIJPlS6_EEENSN_IJSD_SD_EEES6_PiJS6_EEE10hipError_tPvRmT3_T4_T5_T6_T7_T9_mT8_P12ihipStream_tbDpT10_ENKUlT_T0_E_clISt17integral_constantIbLb0EES1A_IbLb1EEEEDaS16_S17_EUlS16_E_NS1_11comp_targetILNS1_3genE4ELNS1_11target_archE910ELNS1_3gpuE8ELNS1_3repE0EEENS1_30default_config_static_selectorELNS0_4arch9wavefront6targetE0EEEvT1_: ; @_ZN7rocprim17ROCPRIM_400000_NS6detail17trampoline_kernelINS0_14default_configENS1_25partition_config_selectorILNS1_17partition_subalgoE5ElNS0_10empty_typeEbEEZZNS1_14partition_implILS5_5ELb0ES3_mN6hipcub16HIPCUB_304000_NS21CountingInputIteratorIllEEPS6_NSA_22TransformInputIteratorIbN2at6native12_GLOBAL__N_19NonZeroOpIaEEPKalEENS0_5tupleIJPlS6_EEENSN_IJSD_SD_EEES6_PiJS6_EEE10hipError_tPvRmT3_T4_T5_T6_T7_T9_mT8_P12ihipStream_tbDpT10_ENKUlT_T0_E_clISt17integral_constantIbLb0EES1A_IbLb1EEEEDaS16_S17_EUlS16_E_NS1_11comp_targetILNS1_3genE4ELNS1_11target_archE910ELNS1_3gpuE8ELNS1_3repE0EEENS1_30default_config_static_selectorELNS0_4arch9wavefront6targetE0EEEvT1_
; %bb.0:
	.section	.rodata,"a",@progbits
	.p2align	6, 0x0
	.amdhsa_kernel _ZN7rocprim17ROCPRIM_400000_NS6detail17trampoline_kernelINS0_14default_configENS1_25partition_config_selectorILNS1_17partition_subalgoE5ElNS0_10empty_typeEbEEZZNS1_14partition_implILS5_5ELb0ES3_mN6hipcub16HIPCUB_304000_NS21CountingInputIteratorIllEEPS6_NSA_22TransformInputIteratorIbN2at6native12_GLOBAL__N_19NonZeroOpIaEEPKalEENS0_5tupleIJPlS6_EEENSN_IJSD_SD_EEES6_PiJS6_EEE10hipError_tPvRmT3_T4_T5_T6_T7_T9_mT8_P12ihipStream_tbDpT10_ENKUlT_T0_E_clISt17integral_constantIbLb0EES1A_IbLb1EEEEDaS16_S17_EUlS16_E_NS1_11comp_targetILNS1_3genE4ELNS1_11target_archE910ELNS1_3gpuE8ELNS1_3repE0EEENS1_30default_config_static_selectorELNS0_4arch9wavefront6targetE0EEEvT1_
		.amdhsa_group_segment_fixed_size 0
		.amdhsa_private_segment_fixed_size 0
		.amdhsa_kernarg_size 136
		.amdhsa_user_sgpr_count 2
		.amdhsa_user_sgpr_dispatch_ptr 0
		.amdhsa_user_sgpr_queue_ptr 0
		.amdhsa_user_sgpr_kernarg_segment_ptr 1
		.amdhsa_user_sgpr_dispatch_id 0
		.amdhsa_user_sgpr_private_segment_size 0
		.amdhsa_wavefront_size32 1
		.amdhsa_uses_dynamic_stack 0
		.amdhsa_enable_private_segment 0
		.amdhsa_system_sgpr_workgroup_id_x 1
		.amdhsa_system_sgpr_workgroup_id_y 0
		.amdhsa_system_sgpr_workgroup_id_z 0
		.amdhsa_system_sgpr_workgroup_info 0
		.amdhsa_system_vgpr_workitem_id 0
		.amdhsa_next_free_vgpr 1
		.amdhsa_next_free_sgpr 1
		.amdhsa_reserve_vcc 0
		.amdhsa_float_round_mode_32 0
		.amdhsa_float_round_mode_16_64 0
		.amdhsa_float_denorm_mode_32 3
		.amdhsa_float_denorm_mode_16_64 3
		.amdhsa_fp16_overflow 0
		.amdhsa_workgroup_processor_mode 1
		.amdhsa_memory_ordered 1
		.amdhsa_forward_progress 1
		.amdhsa_inst_pref_size 0
		.amdhsa_round_robin_scheduling 0
		.amdhsa_exception_fp_ieee_invalid_op 0
		.amdhsa_exception_fp_denorm_src 0
		.amdhsa_exception_fp_ieee_div_zero 0
		.amdhsa_exception_fp_ieee_overflow 0
		.amdhsa_exception_fp_ieee_underflow 0
		.amdhsa_exception_fp_ieee_inexact 0
		.amdhsa_exception_int_div_zero 0
	.end_amdhsa_kernel
	.section	.text._ZN7rocprim17ROCPRIM_400000_NS6detail17trampoline_kernelINS0_14default_configENS1_25partition_config_selectorILNS1_17partition_subalgoE5ElNS0_10empty_typeEbEEZZNS1_14partition_implILS5_5ELb0ES3_mN6hipcub16HIPCUB_304000_NS21CountingInputIteratorIllEEPS6_NSA_22TransformInputIteratorIbN2at6native12_GLOBAL__N_19NonZeroOpIaEEPKalEENS0_5tupleIJPlS6_EEENSN_IJSD_SD_EEES6_PiJS6_EEE10hipError_tPvRmT3_T4_T5_T6_T7_T9_mT8_P12ihipStream_tbDpT10_ENKUlT_T0_E_clISt17integral_constantIbLb0EES1A_IbLb1EEEEDaS16_S17_EUlS16_E_NS1_11comp_targetILNS1_3genE4ELNS1_11target_archE910ELNS1_3gpuE8ELNS1_3repE0EEENS1_30default_config_static_selectorELNS0_4arch9wavefront6targetE0EEEvT1_,"axG",@progbits,_ZN7rocprim17ROCPRIM_400000_NS6detail17trampoline_kernelINS0_14default_configENS1_25partition_config_selectorILNS1_17partition_subalgoE5ElNS0_10empty_typeEbEEZZNS1_14partition_implILS5_5ELb0ES3_mN6hipcub16HIPCUB_304000_NS21CountingInputIteratorIllEEPS6_NSA_22TransformInputIteratorIbN2at6native12_GLOBAL__N_19NonZeroOpIaEEPKalEENS0_5tupleIJPlS6_EEENSN_IJSD_SD_EEES6_PiJS6_EEE10hipError_tPvRmT3_T4_T5_T6_T7_T9_mT8_P12ihipStream_tbDpT10_ENKUlT_T0_E_clISt17integral_constantIbLb0EES1A_IbLb1EEEEDaS16_S17_EUlS16_E_NS1_11comp_targetILNS1_3genE4ELNS1_11target_archE910ELNS1_3gpuE8ELNS1_3repE0EEENS1_30default_config_static_selectorELNS0_4arch9wavefront6targetE0EEEvT1_,comdat
.Lfunc_end144:
	.size	_ZN7rocprim17ROCPRIM_400000_NS6detail17trampoline_kernelINS0_14default_configENS1_25partition_config_selectorILNS1_17partition_subalgoE5ElNS0_10empty_typeEbEEZZNS1_14partition_implILS5_5ELb0ES3_mN6hipcub16HIPCUB_304000_NS21CountingInputIteratorIllEEPS6_NSA_22TransformInputIteratorIbN2at6native12_GLOBAL__N_19NonZeroOpIaEEPKalEENS0_5tupleIJPlS6_EEENSN_IJSD_SD_EEES6_PiJS6_EEE10hipError_tPvRmT3_T4_T5_T6_T7_T9_mT8_P12ihipStream_tbDpT10_ENKUlT_T0_E_clISt17integral_constantIbLb0EES1A_IbLb1EEEEDaS16_S17_EUlS16_E_NS1_11comp_targetILNS1_3genE4ELNS1_11target_archE910ELNS1_3gpuE8ELNS1_3repE0EEENS1_30default_config_static_selectorELNS0_4arch9wavefront6targetE0EEEvT1_, .Lfunc_end144-_ZN7rocprim17ROCPRIM_400000_NS6detail17trampoline_kernelINS0_14default_configENS1_25partition_config_selectorILNS1_17partition_subalgoE5ElNS0_10empty_typeEbEEZZNS1_14partition_implILS5_5ELb0ES3_mN6hipcub16HIPCUB_304000_NS21CountingInputIteratorIllEEPS6_NSA_22TransformInputIteratorIbN2at6native12_GLOBAL__N_19NonZeroOpIaEEPKalEENS0_5tupleIJPlS6_EEENSN_IJSD_SD_EEES6_PiJS6_EEE10hipError_tPvRmT3_T4_T5_T6_T7_T9_mT8_P12ihipStream_tbDpT10_ENKUlT_T0_E_clISt17integral_constantIbLb0EES1A_IbLb1EEEEDaS16_S17_EUlS16_E_NS1_11comp_targetILNS1_3genE4ELNS1_11target_archE910ELNS1_3gpuE8ELNS1_3repE0EEENS1_30default_config_static_selectorELNS0_4arch9wavefront6targetE0EEEvT1_
                                        ; -- End function
	.set _ZN7rocprim17ROCPRIM_400000_NS6detail17trampoline_kernelINS0_14default_configENS1_25partition_config_selectorILNS1_17partition_subalgoE5ElNS0_10empty_typeEbEEZZNS1_14partition_implILS5_5ELb0ES3_mN6hipcub16HIPCUB_304000_NS21CountingInputIteratorIllEEPS6_NSA_22TransformInputIteratorIbN2at6native12_GLOBAL__N_19NonZeroOpIaEEPKalEENS0_5tupleIJPlS6_EEENSN_IJSD_SD_EEES6_PiJS6_EEE10hipError_tPvRmT3_T4_T5_T6_T7_T9_mT8_P12ihipStream_tbDpT10_ENKUlT_T0_E_clISt17integral_constantIbLb0EES1A_IbLb1EEEEDaS16_S17_EUlS16_E_NS1_11comp_targetILNS1_3genE4ELNS1_11target_archE910ELNS1_3gpuE8ELNS1_3repE0EEENS1_30default_config_static_selectorELNS0_4arch9wavefront6targetE0EEEvT1_.num_vgpr, 0
	.set _ZN7rocprim17ROCPRIM_400000_NS6detail17trampoline_kernelINS0_14default_configENS1_25partition_config_selectorILNS1_17partition_subalgoE5ElNS0_10empty_typeEbEEZZNS1_14partition_implILS5_5ELb0ES3_mN6hipcub16HIPCUB_304000_NS21CountingInputIteratorIllEEPS6_NSA_22TransformInputIteratorIbN2at6native12_GLOBAL__N_19NonZeroOpIaEEPKalEENS0_5tupleIJPlS6_EEENSN_IJSD_SD_EEES6_PiJS6_EEE10hipError_tPvRmT3_T4_T5_T6_T7_T9_mT8_P12ihipStream_tbDpT10_ENKUlT_T0_E_clISt17integral_constantIbLb0EES1A_IbLb1EEEEDaS16_S17_EUlS16_E_NS1_11comp_targetILNS1_3genE4ELNS1_11target_archE910ELNS1_3gpuE8ELNS1_3repE0EEENS1_30default_config_static_selectorELNS0_4arch9wavefront6targetE0EEEvT1_.num_agpr, 0
	.set _ZN7rocprim17ROCPRIM_400000_NS6detail17trampoline_kernelINS0_14default_configENS1_25partition_config_selectorILNS1_17partition_subalgoE5ElNS0_10empty_typeEbEEZZNS1_14partition_implILS5_5ELb0ES3_mN6hipcub16HIPCUB_304000_NS21CountingInputIteratorIllEEPS6_NSA_22TransformInputIteratorIbN2at6native12_GLOBAL__N_19NonZeroOpIaEEPKalEENS0_5tupleIJPlS6_EEENSN_IJSD_SD_EEES6_PiJS6_EEE10hipError_tPvRmT3_T4_T5_T6_T7_T9_mT8_P12ihipStream_tbDpT10_ENKUlT_T0_E_clISt17integral_constantIbLb0EES1A_IbLb1EEEEDaS16_S17_EUlS16_E_NS1_11comp_targetILNS1_3genE4ELNS1_11target_archE910ELNS1_3gpuE8ELNS1_3repE0EEENS1_30default_config_static_selectorELNS0_4arch9wavefront6targetE0EEEvT1_.numbered_sgpr, 0
	.set _ZN7rocprim17ROCPRIM_400000_NS6detail17trampoline_kernelINS0_14default_configENS1_25partition_config_selectorILNS1_17partition_subalgoE5ElNS0_10empty_typeEbEEZZNS1_14partition_implILS5_5ELb0ES3_mN6hipcub16HIPCUB_304000_NS21CountingInputIteratorIllEEPS6_NSA_22TransformInputIteratorIbN2at6native12_GLOBAL__N_19NonZeroOpIaEEPKalEENS0_5tupleIJPlS6_EEENSN_IJSD_SD_EEES6_PiJS6_EEE10hipError_tPvRmT3_T4_T5_T6_T7_T9_mT8_P12ihipStream_tbDpT10_ENKUlT_T0_E_clISt17integral_constantIbLb0EES1A_IbLb1EEEEDaS16_S17_EUlS16_E_NS1_11comp_targetILNS1_3genE4ELNS1_11target_archE910ELNS1_3gpuE8ELNS1_3repE0EEENS1_30default_config_static_selectorELNS0_4arch9wavefront6targetE0EEEvT1_.num_named_barrier, 0
	.set _ZN7rocprim17ROCPRIM_400000_NS6detail17trampoline_kernelINS0_14default_configENS1_25partition_config_selectorILNS1_17partition_subalgoE5ElNS0_10empty_typeEbEEZZNS1_14partition_implILS5_5ELb0ES3_mN6hipcub16HIPCUB_304000_NS21CountingInputIteratorIllEEPS6_NSA_22TransformInputIteratorIbN2at6native12_GLOBAL__N_19NonZeroOpIaEEPKalEENS0_5tupleIJPlS6_EEENSN_IJSD_SD_EEES6_PiJS6_EEE10hipError_tPvRmT3_T4_T5_T6_T7_T9_mT8_P12ihipStream_tbDpT10_ENKUlT_T0_E_clISt17integral_constantIbLb0EES1A_IbLb1EEEEDaS16_S17_EUlS16_E_NS1_11comp_targetILNS1_3genE4ELNS1_11target_archE910ELNS1_3gpuE8ELNS1_3repE0EEENS1_30default_config_static_selectorELNS0_4arch9wavefront6targetE0EEEvT1_.private_seg_size, 0
	.set _ZN7rocprim17ROCPRIM_400000_NS6detail17trampoline_kernelINS0_14default_configENS1_25partition_config_selectorILNS1_17partition_subalgoE5ElNS0_10empty_typeEbEEZZNS1_14partition_implILS5_5ELb0ES3_mN6hipcub16HIPCUB_304000_NS21CountingInputIteratorIllEEPS6_NSA_22TransformInputIteratorIbN2at6native12_GLOBAL__N_19NonZeroOpIaEEPKalEENS0_5tupleIJPlS6_EEENSN_IJSD_SD_EEES6_PiJS6_EEE10hipError_tPvRmT3_T4_T5_T6_T7_T9_mT8_P12ihipStream_tbDpT10_ENKUlT_T0_E_clISt17integral_constantIbLb0EES1A_IbLb1EEEEDaS16_S17_EUlS16_E_NS1_11comp_targetILNS1_3genE4ELNS1_11target_archE910ELNS1_3gpuE8ELNS1_3repE0EEENS1_30default_config_static_selectorELNS0_4arch9wavefront6targetE0EEEvT1_.uses_vcc, 0
	.set _ZN7rocprim17ROCPRIM_400000_NS6detail17trampoline_kernelINS0_14default_configENS1_25partition_config_selectorILNS1_17partition_subalgoE5ElNS0_10empty_typeEbEEZZNS1_14partition_implILS5_5ELb0ES3_mN6hipcub16HIPCUB_304000_NS21CountingInputIteratorIllEEPS6_NSA_22TransformInputIteratorIbN2at6native12_GLOBAL__N_19NonZeroOpIaEEPKalEENS0_5tupleIJPlS6_EEENSN_IJSD_SD_EEES6_PiJS6_EEE10hipError_tPvRmT3_T4_T5_T6_T7_T9_mT8_P12ihipStream_tbDpT10_ENKUlT_T0_E_clISt17integral_constantIbLb0EES1A_IbLb1EEEEDaS16_S17_EUlS16_E_NS1_11comp_targetILNS1_3genE4ELNS1_11target_archE910ELNS1_3gpuE8ELNS1_3repE0EEENS1_30default_config_static_selectorELNS0_4arch9wavefront6targetE0EEEvT1_.uses_flat_scratch, 0
	.set _ZN7rocprim17ROCPRIM_400000_NS6detail17trampoline_kernelINS0_14default_configENS1_25partition_config_selectorILNS1_17partition_subalgoE5ElNS0_10empty_typeEbEEZZNS1_14partition_implILS5_5ELb0ES3_mN6hipcub16HIPCUB_304000_NS21CountingInputIteratorIllEEPS6_NSA_22TransformInputIteratorIbN2at6native12_GLOBAL__N_19NonZeroOpIaEEPKalEENS0_5tupleIJPlS6_EEENSN_IJSD_SD_EEES6_PiJS6_EEE10hipError_tPvRmT3_T4_T5_T6_T7_T9_mT8_P12ihipStream_tbDpT10_ENKUlT_T0_E_clISt17integral_constantIbLb0EES1A_IbLb1EEEEDaS16_S17_EUlS16_E_NS1_11comp_targetILNS1_3genE4ELNS1_11target_archE910ELNS1_3gpuE8ELNS1_3repE0EEENS1_30default_config_static_selectorELNS0_4arch9wavefront6targetE0EEEvT1_.has_dyn_sized_stack, 0
	.set _ZN7rocprim17ROCPRIM_400000_NS6detail17trampoline_kernelINS0_14default_configENS1_25partition_config_selectorILNS1_17partition_subalgoE5ElNS0_10empty_typeEbEEZZNS1_14partition_implILS5_5ELb0ES3_mN6hipcub16HIPCUB_304000_NS21CountingInputIteratorIllEEPS6_NSA_22TransformInputIteratorIbN2at6native12_GLOBAL__N_19NonZeroOpIaEEPKalEENS0_5tupleIJPlS6_EEENSN_IJSD_SD_EEES6_PiJS6_EEE10hipError_tPvRmT3_T4_T5_T6_T7_T9_mT8_P12ihipStream_tbDpT10_ENKUlT_T0_E_clISt17integral_constantIbLb0EES1A_IbLb1EEEEDaS16_S17_EUlS16_E_NS1_11comp_targetILNS1_3genE4ELNS1_11target_archE910ELNS1_3gpuE8ELNS1_3repE0EEENS1_30default_config_static_selectorELNS0_4arch9wavefront6targetE0EEEvT1_.has_recursion, 0
	.set _ZN7rocprim17ROCPRIM_400000_NS6detail17trampoline_kernelINS0_14default_configENS1_25partition_config_selectorILNS1_17partition_subalgoE5ElNS0_10empty_typeEbEEZZNS1_14partition_implILS5_5ELb0ES3_mN6hipcub16HIPCUB_304000_NS21CountingInputIteratorIllEEPS6_NSA_22TransformInputIteratorIbN2at6native12_GLOBAL__N_19NonZeroOpIaEEPKalEENS0_5tupleIJPlS6_EEENSN_IJSD_SD_EEES6_PiJS6_EEE10hipError_tPvRmT3_T4_T5_T6_T7_T9_mT8_P12ihipStream_tbDpT10_ENKUlT_T0_E_clISt17integral_constantIbLb0EES1A_IbLb1EEEEDaS16_S17_EUlS16_E_NS1_11comp_targetILNS1_3genE4ELNS1_11target_archE910ELNS1_3gpuE8ELNS1_3repE0EEENS1_30default_config_static_selectorELNS0_4arch9wavefront6targetE0EEEvT1_.has_indirect_call, 0
	.section	.AMDGPU.csdata,"",@progbits
; Kernel info:
; codeLenInByte = 0
; TotalNumSgprs: 0
; NumVgprs: 0
; ScratchSize: 0
; MemoryBound: 0
; FloatMode: 240
; IeeeMode: 1
; LDSByteSize: 0 bytes/workgroup (compile time only)
; SGPRBlocks: 0
; VGPRBlocks: 0
; NumSGPRsForWavesPerEU: 1
; NumVGPRsForWavesPerEU: 1
; Occupancy: 16
; WaveLimiterHint : 0
; COMPUTE_PGM_RSRC2:SCRATCH_EN: 0
; COMPUTE_PGM_RSRC2:USER_SGPR: 2
; COMPUTE_PGM_RSRC2:TRAP_HANDLER: 0
; COMPUTE_PGM_RSRC2:TGID_X_EN: 1
; COMPUTE_PGM_RSRC2:TGID_Y_EN: 0
; COMPUTE_PGM_RSRC2:TGID_Z_EN: 0
; COMPUTE_PGM_RSRC2:TIDIG_COMP_CNT: 0
	.section	.text._ZN7rocprim17ROCPRIM_400000_NS6detail17trampoline_kernelINS0_14default_configENS1_25partition_config_selectorILNS1_17partition_subalgoE5ElNS0_10empty_typeEbEEZZNS1_14partition_implILS5_5ELb0ES3_mN6hipcub16HIPCUB_304000_NS21CountingInputIteratorIllEEPS6_NSA_22TransformInputIteratorIbN2at6native12_GLOBAL__N_19NonZeroOpIaEEPKalEENS0_5tupleIJPlS6_EEENSN_IJSD_SD_EEES6_PiJS6_EEE10hipError_tPvRmT3_T4_T5_T6_T7_T9_mT8_P12ihipStream_tbDpT10_ENKUlT_T0_E_clISt17integral_constantIbLb0EES1A_IbLb1EEEEDaS16_S17_EUlS16_E_NS1_11comp_targetILNS1_3genE3ELNS1_11target_archE908ELNS1_3gpuE7ELNS1_3repE0EEENS1_30default_config_static_selectorELNS0_4arch9wavefront6targetE0EEEvT1_,"axG",@progbits,_ZN7rocprim17ROCPRIM_400000_NS6detail17trampoline_kernelINS0_14default_configENS1_25partition_config_selectorILNS1_17partition_subalgoE5ElNS0_10empty_typeEbEEZZNS1_14partition_implILS5_5ELb0ES3_mN6hipcub16HIPCUB_304000_NS21CountingInputIteratorIllEEPS6_NSA_22TransformInputIteratorIbN2at6native12_GLOBAL__N_19NonZeroOpIaEEPKalEENS0_5tupleIJPlS6_EEENSN_IJSD_SD_EEES6_PiJS6_EEE10hipError_tPvRmT3_T4_T5_T6_T7_T9_mT8_P12ihipStream_tbDpT10_ENKUlT_T0_E_clISt17integral_constantIbLb0EES1A_IbLb1EEEEDaS16_S17_EUlS16_E_NS1_11comp_targetILNS1_3genE3ELNS1_11target_archE908ELNS1_3gpuE7ELNS1_3repE0EEENS1_30default_config_static_selectorELNS0_4arch9wavefront6targetE0EEEvT1_,comdat
	.globl	_ZN7rocprim17ROCPRIM_400000_NS6detail17trampoline_kernelINS0_14default_configENS1_25partition_config_selectorILNS1_17partition_subalgoE5ElNS0_10empty_typeEbEEZZNS1_14partition_implILS5_5ELb0ES3_mN6hipcub16HIPCUB_304000_NS21CountingInputIteratorIllEEPS6_NSA_22TransformInputIteratorIbN2at6native12_GLOBAL__N_19NonZeroOpIaEEPKalEENS0_5tupleIJPlS6_EEENSN_IJSD_SD_EEES6_PiJS6_EEE10hipError_tPvRmT3_T4_T5_T6_T7_T9_mT8_P12ihipStream_tbDpT10_ENKUlT_T0_E_clISt17integral_constantIbLb0EES1A_IbLb1EEEEDaS16_S17_EUlS16_E_NS1_11comp_targetILNS1_3genE3ELNS1_11target_archE908ELNS1_3gpuE7ELNS1_3repE0EEENS1_30default_config_static_selectorELNS0_4arch9wavefront6targetE0EEEvT1_ ; -- Begin function _ZN7rocprim17ROCPRIM_400000_NS6detail17trampoline_kernelINS0_14default_configENS1_25partition_config_selectorILNS1_17partition_subalgoE5ElNS0_10empty_typeEbEEZZNS1_14partition_implILS5_5ELb0ES3_mN6hipcub16HIPCUB_304000_NS21CountingInputIteratorIllEEPS6_NSA_22TransformInputIteratorIbN2at6native12_GLOBAL__N_19NonZeroOpIaEEPKalEENS0_5tupleIJPlS6_EEENSN_IJSD_SD_EEES6_PiJS6_EEE10hipError_tPvRmT3_T4_T5_T6_T7_T9_mT8_P12ihipStream_tbDpT10_ENKUlT_T0_E_clISt17integral_constantIbLb0EES1A_IbLb1EEEEDaS16_S17_EUlS16_E_NS1_11comp_targetILNS1_3genE3ELNS1_11target_archE908ELNS1_3gpuE7ELNS1_3repE0EEENS1_30default_config_static_selectorELNS0_4arch9wavefront6targetE0EEEvT1_
	.p2align	8
	.type	_ZN7rocprim17ROCPRIM_400000_NS6detail17trampoline_kernelINS0_14default_configENS1_25partition_config_selectorILNS1_17partition_subalgoE5ElNS0_10empty_typeEbEEZZNS1_14partition_implILS5_5ELb0ES3_mN6hipcub16HIPCUB_304000_NS21CountingInputIteratorIllEEPS6_NSA_22TransformInputIteratorIbN2at6native12_GLOBAL__N_19NonZeroOpIaEEPKalEENS0_5tupleIJPlS6_EEENSN_IJSD_SD_EEES6_PiJS6_EEE10hipError_tPvRmT3_T4_T5_T6_T7_T9_mT8_P12ihipStream_tbDpT10_ENKUlT_T0_E_clISt17integral_constantIbLb0EES1A_IbLb1EEEEDaS16_S17_EUlS16_E_NS1_11comp_targetILNS1_3genE3ELNS1_11target_archE908ELNS1_3gpuE7ELNS1_3repE0EEENS1_30default_config_static_selectorELNS0_4arch9wavefront6targetE0EEEvT1_,@function
_ZN7rocprim17ROCPRIM_400000_NS6detail17trampoline_kernelINS0_14default_configENS1_25partition_config_selectorILNS1_17partition_subalgoE5ElNS0_10empty_typeEbEEZZNS1_14partition_implILS5_5ELb0ES3_mN6hipcub16HIPCUB_304000_NS21CountingInputIteratorIllEEPS6_NSA_22TransformInputIteratorIbN2at6native12_GLOBAL__N_19NonZeroOpIaEEPKalEENS0_5tupleIJPlS6_EEENSN_IJSD_SD_EEES6_PiJS6_EEE10hipError_tPvRmT3_T4_T5_T6_T7_T9_mT8_P12ihipStream_tbDpT10_ENKUlT_T0_E_clISt17integral_constantIbLb0EES1A_IbLb1EEEEDaS16_S17_EUlS16_E_NS1_11comp_targetILNS1_3genE3ELNS1_11target_archE908ELNS1_3gpuE7ELNS1_3repE0EEENS1_30default_config_static_selectorELNS0_4arch9wavefront6targetE0EEEvT1_: ; @_ZN7rocprim17ROCPRIM_400000_NS6detail17trampoline_kernelINS0_14default_configENS1_25partition_config_selectorILNS1_17partition_subalgoE5ElNS0_10empty_typeEbEEZZNS1_14partition_implILS5_5ELb0ES3_mN6hipcub16HIPCUB_304000_NS21CountingInputIteratorIllEEPS6_NSA_22TransformInputIteratorIbN2at6native12_GLOBAL__N_19NonZeroOpIaEEPKalEENS0_5tupleIJPlS6_EEENSN_IJSD_SD_EEES6_PiJS6_EEE10hipError_tPvRmT3_T4_T5_T6_T7_T9_mT8_P12ihipStream_tbDpT10_ENKUlT_T0_E_clISt17integral_constantIbLb0EES1A_IbLb1EEEEDaS16_S17_EUlS16_E_NS1_11comp_targetILNS1_3genE3ELNS1_11target_archE908ELNS1_3gpuE7ELNS1_3repE0EEENS1_30default_config_static_selectorELNS0_4arch9wavefront6targetE0EEEvT1_
; %bb.0:
	.section	.rodata,"a",@progbits
	.p2align	6, 0x0
	.amdhsa_kernel _ZN7rocprim17ROCPRIM_400000_NS6detail17trampoline_kernelINS0_14default_configENS1_25partition_config_selectorILNS1_17partition_subalgoE5ElNS0_10empty_typeEbEEZZNS1_14partition_implILS5_5ELb0ES3_mN6hipcub16HIPCUB_304000_NS21CountingInputIteratorIllEEPS6_NSA_22TransformInputIteratorIbN2at6native12_GLOBAL__N_19NonZeroOpIaEEPKalEENS0_5tupleIJPlS6_EEENSN_IJSD_SD_EEES6_PiJS6_EEE10hipError_tPvRmT3_T4_T5_T6_T7_T9_mT8_P12ihipStream_tbDpT10_ENKUlT_T0_E_clISt17integral_constantIbLb0EES1A_IbLb1EEEEDaS16_S17_EUlS16_E_NS1_11comp_targetILNS1_3genE3ELNS1_11target_archE908ELNS1_3gpuE7ELNS1_3repE0EEENS1_30default_config_static_selectorELNS0_4arch9wavefront6targetE0EEEvT1_
		.amdhsa_group_segment_fixed_size 0
		.amdhsa_private_segment_fixed_size 0
		.amdhsa_kernarg_size 136
		.amdhsa_user_sgpr_count 2
		.amdhsa_user_sgpr_dispatch_ptr 0
		.amdhsa_user_sgpr_queue_ptr 0
		.amdhsa_user_sgpr_kernarg_segment_ptr 1
		.amdhsa_user_sgpr_dispatch_id 0
		.amdhsa_user_sgpr_private_segment_size 0
		.amdhsa_wavefront_size32 1
		.amdhsa_uses_dynamic_stack 0
		.amdhsa_enable_private_segment 0
		.amdhsa_system_sgpr_workgroup_id_x 1
		.amdhsa_system_sgpr_workgroup_id_y 0
		.amdhsa_system_sgpr_workgroup_id_z 0
		.amdhsa_system_sgpr_workgroup_info 0
		.amdhsa_system_vgpr_workitem_id 0
		.amdhsa_next_free_vgpr 1
		.amdhsa_next_free_sgpr 1
		.amdhsa_reserve_vcc 0
		.amdhsa_float_round_mode_32 0
		.amdhsa_float_round_mode_16_64 0
		.amdhsa_float_denorm_mode_32 3
		.amdhsa_float_denorm_mode_16_64 3
		.amdhsa_fp16_overflow 0
		.amdhsa_workgroup_processor_mode 1
		.amdhsa_memory_ordered 1
		.amdhsa_forward_progress 1
		.amdhsa_inst_pref_size 0
		.amdhsa_round_robin_scheduling 0
		.amdhsa_exception_fp_ieee_invalid_op 0
		.amdhsa_exception_fp_denorm_src 0
		.amdhsa_exception_fp_ieee_div_zero 0
		.amdhsa_exception_fp_ieee_overflow 0
		.amdhsa_exception_fp_ieee_underflow 0
		.amdhsa_exception_fp_ieee_inexact 0
		.amdhsa_exception_int_div_zero 0
	.end_amdhsa_kernel
	.section	.text._ZN7rocprim17ROCPRIM_400000_NS6detail17trampoline_kernelINS0_14default_configENS1_25partition_config_selectorILNS1_17partition_subalgoE5ElNS0_10empty_typeEbEEZZNS1_14partition_implILS5_5ELb0ES3_mN6hipcub16HIPCUB_304000_NS21CountingInputIteratorIllEEPS6_NSA_22TransformInputIteratorIbN2at6native12_GLOBAL__N_19NonZeroOpIaEEPKalEENS0_5tupleIJPlS6_EEENSN_IJSD_SD_EEES6_PiJS6_EEE10hipError_tPvRmT3_T4_T5_T6_T7_T9_mT8_P12ihipStream_tbDpT10_ENKUlT_T0_E_clISt17integral_constantIbLb0EES1A_IbLb1EEEEDaS16_S17_EUlS16_E_NS1_11comp_targetILNS1_3genE3ELNS1_11target_archE908ELNS1_3gpuE7ELNS1_3repE0EEENS1_30default_config_static_selectorELNS0_4arch9wavefront6targetE0EEEvT1_,"axG",@progbits,_ZN7rocprim17ROCPRIM_400000_NS6detail17trampoline_kernelINS0_14default_configENS1_25partition_config_selectorILNS1_17partition_subalgoE5ElNS0_10empty_typeEbEEZZNS1_14partition_implILS5_5ELb0ES3_mN6hipcub16HIPCUB_304000_NS21CountingInputIteratorIllEEPS6_NSA_22TransformInputIteratorIbN2at6native12_GLOBAL__N_19NonZeroOpIaEEPKalEENS0_5tupleIJPlS6_EEENSN_IJSD_SD_EEES6_PiJS6_EEE10hipError_tPvRmT3_T4_T5_T6_T7_T9_mT8_P12ihipStream_tbDpT10_ENKUlT_T0_E_clISt17integral_constantIbLb0EES1A_IbLb1EEEEDaS16_S17_EUlS16_E_NS1_11comp_targetILNS1_3genE3ELNS1_11target_archE908ELNS1_3gpuE7ELNS1_3repE0EEENS1_30default_config_static_selectorELNS0_4arch9wavefront6targetE0EEEvT1_,comdat
.Lfunc_end145:
	.size	_ZN7rocprim17ROCPRIM_400000_NS6detail17trampoline_kernelINS0_14default_configENS1_25partition_config_selectorILNS1_17partition_subalgoE5ElNS0_10empty_typeEbEEZZNS1_14partition_implILS5_5ELb0ES3_mN6hipcub16HIPCUB_304000_NS21CountingInputIteratorIllEEPS6_NSA_22TransformInputIteratorIbN2at6native12_GLOBAL__N_19NonZeroOpIaEEPKalEENS0_5tupleIJPlS6_EEENSN_IJSD_SD_EEES6_PiJS6_EEE10hipError_tPvRmT3_T4_T5_T6_T7_T9_mT8_P12ihipStream_tbDpT10_ENKUlT_T0_E_clISt17integral_constantIbLb0EES1A_IbLb1EEEEDaS16_S17_EUlS16_E_NS1_11comp_targetILNS1_3genE3ELNS1_11target_archE908ELNS1_3gpuE7ELNS1_3repE0EEENS1_30default_config_static_selectorELNS0_4arch9wavefront6targetE0EEEvT1_, .Lfunc_end145-_ZN7rocprim17ROCPRIM_400000_NS6detail17trampoline_kernelINS0_14default_configENS1_25partition_config_selectorILNS1_17partition_subalgoE5ElNS0_10empty_typeEbEEZZNS1_14partition_implILS5_5ELb0ES3_mN6hipcub16HIPCUB_304000_NS21CountingInputIteratorIllEEPS6_NSA_22TransformInputIteratorIbN2at6native12_GLOBAL__N_19NonZeroOpIaEEPKalEENS0_5tupleIJPlS6_EEENSN_IJSD_SD_EEES6_PiJS6_EEE10hipError_tPvRmT3_T4_T5_T6_T7_T9_mT8_P12ihipStream_tbDpT10_ENKUlT_T0_E_clISt17integral_constantIbLb0EES1A_IbLb1EEEEDaS16_S17_EUlS16_E_NS1_11comp_targetILNS1_3genE3ELNS1_11target_archE908ELNS1_3gpuE7ELNS1_3repE0EEENS1_30default_config_static_selectorELNS0_4arch9wavefront6targetE0EEEvT1_
                                        ; -- End function
	.set _ZN7rocprim17ROCPRIM_400000_NS6detail17trampoline_kernelINS0_14default_configENS1_25partition_config_selectorILNS1_17partition_subalgoE5ElNS0_10empty_typeEbEEZZNS1_14partition_implILS5_5ELb0ES3_mN6hipcub16HIPCUB_304000_NS21CountingInputIteratorIllEEPS6_NSA_22TransformInputIteratorIbN2at6native12_GLOBAL__N_19NonZeroOpIaEEPKalEENS0_5tupleIJPlS6_EEENSN_IJSD_SD_EEES6_PiJS6_EEE10hipError_tPvRmT3_T4_T5_T6_T7_T9_mT8_P12ihipStream_tbDpT10_ENKUlT_T0_E_clISt17integral_constantIbLb0EES1A_IbLb1EEEEDaS16_S17_EUlS16_E_NS1_11comp_targetILNS1_3genE3ELNS1_11target_archE908ELNS1_3gpuE7ELNS1_3repE0EEENS1_30default_config_static_selectorELNS0_4arch9wavefront6targetE0EEEvT1_.num_vgpr, 0
	.set _ZN7rocprim17ROCPRIM_400000_NS6detail17trampoline_kernelINS0_14default_configENS1_25partition_config_selectorILNS1_17partition_subalgoE5ElNS0_10empty_typeEbEEZZNS1_14partition_implILS5_5ELb0ES3_mN6hipcub16HIPCUB_304000_NS21CountingInputIteratorIllEEPS6_NSA_22TransformInputIteratorIbN2at6native12_GLOBAL__N_19NonZeroOpIaEEPKalEENS0_5tupleIJPlS6_EEENSN_IJSD_SD_EEES6_PiJS6_EEE10hipError_tPvRmT3_T4_T5_T6_T7_T9_mT8_P12ihipStream_tbDpT10_ENKUlT_T0_E_clISt17integral_constantIbLb0EES1A_IbLb1EEEEDaS16_S17_EUlS16_E_NS1_11comp_targetILNS1_3genE3ELNS1_11target_archE908ELNS1_3gpuE7ELNS1_3repE0EEENS1_30default_config_static_selectorELNS0_4arch9wavefront6targetE0EEEvT1_.num_agpr, 0
	.set _ZN7rocprim17ROCPRIM_400000_NS6detail17trampoline_kernelINS0_14default_configENS1_25partition_config_selectorILNS1_17partition_subalgoE5ElNS0_10empty_typeEbEEZZNS1_14partition_implILS5_5ELb0ES3_mN6hipcub16HIPCUB_304000_NS21CountingInputIteratorIllEEPS6_NSA_22TransformInputIteratorIbN2at6native12_GLOBAL__N_19NonZeroOpIaEEPKalEENS0_5tupleIJPlS6_EEENSN_IJSD_SD_EEES6_PiJS6_EEE10hipError_tPvRmT3_T4_T5_T6_T7_T9_mT8_P12ihipStream_tbDpT10_ENKUlT_T0_E_clISt17integral_constantIbLb0EES1A_IbLb1EEEEDaS16_S17_EUlS16_E_NS1_11comp_targetILNS1_3genE3ELNS1_11target_archE908ELNS1_3gpuE7ELNS1_3repE0EEENS1_30default_config_static_selectorELNS0_4arch9wavefront6targetE0EEEvT1_.numbered_sgpr, 0
	.set _ZN7rocprim17ROCPRIM_400000_NS6detail17trampoline_kernelINS0_14default_configENS1_25partition_config_selectorILNS1_17partition_subalgoE5ElNS0_10empty_typeEbEEZZNS1_14partition_implILS5_5ELb0ES3_mN6hipcub16HIPCUB_304000_NS21CountingInputIteratorIllEEPS6_NSA_22TransformInputIteratorIbN2at6native12_GLOBAL__N_19NonZeroOpIaEEPKalEENS0_5tupleIJPlS6_EEENSN_IJSD_SD_EEES6_PiJS6_EEE10hipError_tPvRmT3_T4_T5_T6_T7_T9_mT8_P12ihipStream_tbDpT10_ENKUlT_T0_E_clISt17integral_constantIbLb0EES1A_IbLb1EEEEDaS16_S17_EUlS16_E_NS1_11comp_targetILNS1_3genE3ELNS1_11target_archE908ELNS1_3gpuE7ELNS1_3repE0EEENS1_30default_config_static_selectorELNS0_4arch9wavefront6targetE0EEEvT1_.num_named_barrier, 0
	.set _ZN7rocprim17ROCPRIM_400000_NS6detail17trampoline_kernelINS0_14default_configENS1_25partition_config_selectorILNS1_17partition_subalgoE5ElNS0_10empty_typeEbEEZZNS1_14partition_implILS5_5ELb0ES3_mN6hipcub16HIPCUB_304000_NS21CountingInputIteratorIllEEPS6_NSA_22TransformInputIteratorIbN2at6native12_GLOBAL__N_19NonZeroOpIaEEPKalEENS0_5tupleIJPlS6_EEENSN_IJSD_SD_EEES6_PiJS6_EEE10hipError_tPvRmT3_T4_T5_T6_T7_T9_mT8_P12ihipStream_tbDpT10_ENKUlT_T0_E_clISt17integral_constantIbLb0EES1A_IbLb1EEEEDaS16_S17_EUlS16_E_NS1_11comp_targetILNS1_3genE3ELNS1_11target_archE908ELNS1_3gpuE7ELNS1_3repE0EEENS1_30default_config_static_selectorELNS0_4arch9wavefront6targetE0EEEvT1_.private_seg_size, 0
	.set _ZN7rocprim17ROCPRIM_400000_NS6detail17trampoline_kernelINS0_14default_configENS1_25partition_config_selectorILNS1_17partition_subalgoE5ElNS0_10empty_typeEbEEZZNS1_14partition_implILS5_5ELb0ES3_mN6hipcub16HIPCUB_304000_NS21CountingInputIteratorIllEEPS6_NSA_22TransformInputIteratorIbN2at6native12_GLOBAL__N_19NonZeroOpIaEEPKalEENS0_5tupleIJPlS6_EEENSN_IJSD_SD_EEES6_PiJS6_EEE10hipError_tPvRmT3_T4_T5_T6_T7_T9_mT8_P12ihipStream_tbDpT10_ENKUlT_T0_E_clISt17integral_constantIbLb0EES1A_IbLb1EEEEDaS16_S17_EUlS16_E_NS1_11comp_targetILNS1_3genE3ELNS1_11target_archE908ELNS1_3gpuE7ELNS1_3repE0EEENS1_30default_config_static_selectorELNS0_4arch9wavefront6targetE0EEEvT1_.uses_vcc, 0
	.set _ZN7rocprim17ROCPRIM_400000_NS6detail17trampoline_kernelINS0_14default_configENS1_25partition_config_selectorILNS1_17partition_subalgoE5ElNS0_10empty_typeEbEEZZNS1_14partition_implILS5_5ELb0ES3_mN6hipcub16HIPCUB_304000_NS21CountingInputIteratorIllEEPS6_NSA_22TransformInputIteratorIbN2at6native12_GLOBAL__N_19NonZeroOpIaEEPKalEENS0_5tupleIJPlS6_EEENSN_IJSD_SD_EEES6_PiJS6_EEE10hipError_tPvRmT3_T4_T5_T6_T7_T9_mT8_P12ihipStream_tbDpT10_ENKUlT_T0_E_clISt17integral_constantIbLb0EES1A_IbLb1EEEEDaS16_S17_EUlS16_E_NS1_11comp_targetILNS1_3genE3ELNS1_11target_archE908ELNS1_3gpuE7ELNS1_3repE0EEENS1_30default_config_static_selectorELNS0_4arch9wavefront6targetE0EEEvT1_.uses_flat_scratch, 0
	.set _ZN7rocprim17ROCPRIM_400000_NS6detail17trampoline_kernelINS0_14default_configENS1_25partition_config_selectorILNS1_17partition_subalgoE5ElNS0_10empty_typeEbEEZZNS1_14partition_implILS5_5ELb0ES3_mN6hipcub16HIPCUB_304000_NS21CountingInputIteratorIllEEPS6_NSA_22TransformInputIteratorIbN2at6native12_GLOBAL__N_19NonZeroOpIaEEPKalEENS0_5tupleIJPlS6_EEENSN_IJSD_SD_EEES6_PiJS6_EEE10hipError_tPvRmT3_T4_T5_T6_T7_T9_mT8_P12ihipStream_tbDpT10_ENKUlT_T0_E_clISt17integral_constantIbLb0EES1A_IbLb1EEEEDaS16_S17_EUlS16_E_NS1_11comp_targetILNS1_3genE3ELNS1_11target_archE908ELNS1_3gpuE7ELNS1_3repE0EEENS1_30default_config_static_selectorELNS0_4arch9wavefront6targetE0EEEvT1_.has_dyn_sized_stack, 0
	.set _ZN7rocprim17ROCPRIM_400000_NS6detail17trampoline_kernelINS0_14default_configENS1_25partition_config_selectorILNS1_17partition_subalgoE5ElNS0_10empty_typeEbEEZZNS1_14partition_implILS5_5ELb0ES3_mN6hipcub16HIPCUB_304000_NS21CountingInputIteratorIllEEPS6_NSA_22TransformInputIteratorIbN2at6native12_GLOBAL__N_19NonZeroOpIaEEPKalEENS0_5tupleIJPlS6_EEENSN_IJSD_SD_EEES6_PiJS6_EEE10hipError_tPvRmT3_T4_T5_T6_T7_T9_mT8_P12ihipStream_tbDpT10_ENKUlT_T0_E_clISt17integral_constantIbLb0EES1A_IbLb1EEEEDaS16_S17_EUlS16_E_NS1_11comp_targetILNS1_3genE3ELNS1_11target_archE908ELNS1_3gpuE7ELNS1_3repE0EEENS1_30default_config_static_selectorELNS0_4arch9wavefront6targetE0EEEvT1_.has_recursion, 0
	.set _ZN7rocprim17ROCPRIM_400000_NS6detail17trampoline_kernelINS0_14default_configENS1_25partition_config_selectorILNS1_17partition_subalgoE5ElNS0_10empty_typeEbEEZZNS1_14partition_implILS5_5ELb0ES3_mN6hipcub16HIPCUB_304000_NS21CountingInputIteratorIllEEPS6_NSA_22TransformInputIteratorIbN2at6native12_GLOBAL__N_19NonZeroOpIaEEPKalEENS0_5tupleIJPlS6_EEENSN_IJSD_SD_EEES6_PiJS6_EEE10hipError_tPvRmT3_T4_T5_T6_T7_T9_mT8_P12ihipStream_tbDpT10_ENKUlT_T0_E_clISt17integral_constantIbLb0EES1A_IbLb1EEEEDaS16_S17_EUlS16_E_NS1_11comp_targetILNS1_3genE3ELNS1_11target_archE908ELNS1_3gpuE7ELNS1_3repE0EEENS1_30default_config_static_selectorELNS0_4arch9wavefront6targetE0EEEvT1_.has_indirect_call, 0
	.section	.AMDGPU.csdata,"",@progbits
; Kernel info:
; codeLenInByte = 0
; TotalNumSgprs: 0
; NumVgprs: 0
; ScratchSize: 0
; MemoryBound: 0
; FloatMode: 240
; IeeeMode: 1
; LDSByteSize: 0 bytes/workgroup (compile time only)
; SGPRBlocks: 0
; VGPRBlocks: 0
; NumSGPRsForWavesPerEU: 1
; NumVGPRsForWavesPerEU: 1
; Occupancy: 16
; WaveLimiterHint : 0
; COMPUTE_PGM_RSRC2:SCRATCH_EN: 0
; COMPUTE_PGM_RSRC2:USER_SGPR: 2
; COMPUTE_PGM_RSRC2:TRAP_HANDLER: 0
; COMPUTE_PGM_RSRC2:TGID_X_EN: 1
; COMPUTE_PGM_RSRC2:TGID_Y_EN: 0
; COMPUTE_PGM_RSRC2:TGID_Z_EN: 0
; COMPUTE_PGM_RSRC2:TIDIG_COMP_CNT: 0
	.section	.text._ZN7rocprim17ROCPRIM_400000_NS6detail17trampoline_kernelINS0_14default_configENS1_25partition_config_selectorILNS1_17partition_subalgoE5ElNS0_10empty_typeEbEEZZNS1_14partition_implILS5_5ELb0ES3_mN6hipcub16HIPCUB_304000_NS21CountingInputIteratorIllEEPS6_NSA_22TransformInputIteratorIbN2at6native12_GLOBAL__N_19NonZeroOpIaEEPKalEENS0_5tupleIJPlS6_EEENSN_IJSD_SD_EEES6_PiJS6_EEE10hipError_tPvRmT3_T4_T5_T6_T7_T9_mT8_P12ihipStream_tbDpT10_ENKUlT_T0_E_clISt17integral_constantIbLb0EES1A_IbLb1EEEEDaS16_S17_EUlS16_E_NS1_11comp_targetILNS1_3genE2ELNS1_11target_archE906ELNS1_3gpuE6ELNS1_3repE0EEENS1_30default_config_static_selectorELNS0_4arch9wavefront6targetE0EEEvT1_,"axG",@progbits,_ZN7rocprim17ROCPRIM_400000_NS6detail17trampoline_kernelINS0_14default_configENS1_25partition_config_selectorILNS1_17partition_subalgoE5ElNS0_10empty_typeEbEEZZNS1_14partition_implILS5_5ELb0ES3_mN6hipcub16HIPCUB_304000_NS21CountingInputIteratorIllEEPS6_NSA_22TransformInputIteratorIbN2at6native12_GLOBAL__N_19NonZeroOpIaEEPKalEENS0_5tupleIJPlS6_EEENSN_IJSD_SD_EEES6_PiJS6_EEE10hipError_tPvRmT3_T4_T5_T6_T7_T9_mT8_P12ihipStream_tbDpT10_ENKUlT_T0_E_clISt17integral_constantIbLb0EES1A_IbLb1EEEEDaS16_S17_EUlS16_E_NS1_11comp_targetILNS1_3genE2ELNS1_11target_archE906ELNS1_3gpuE6ELNS1_3repE0EEENS1_30default_config_static_selectorELNS0_4arch9wavefront6targetE0EEEvT1_,comdat
	.globl	_ZN7rocprim17ROCPRIM_400000_NS6detail17trampoline_kernelINS0_14default_configENS1_25partition_config_selectorILNS1_17partition_subalgoE5ElNS0_10empty_typeEbEEZZNS1_14partition_implILS5_5ELb0ES3_mN6hipcub16HIPCUB_304000_NS21CountingInputIteratorIllEEPS6_NSA_22TransformInputIteratorIbN2at6native12_GLOBAL__N_19NonZeroOpIaEEPKalEENS0_5tupleIJPlS6_EEENSN_IJSD_SD_EEES6_PiJS6_EEE10hipError_tPvRmT3_T4_T5_T6_T7_T9_mT8_P12ihipStream_tbDpT10_ENKUlT_T0_E_clISt17integral_constantIbLb0EES1A_IbLb1EEEEDaS16_S17_EUlS16_E_NS1_11comp_targetILNS1_3genE2ELNS1_11target_archE906ELNS1_3gpuE6ELNS1_3repE0EEENS1_30default_config_static_selectorELNS0_4arch9wavefront6targetE0EEEvT1_ ; -- Begin function _ZN7rocprim17ROCPRIM_400000_NS6detail17trampoline_kernelINS0_14default_configENS1_25partition_config_selectorILNS1_17partition_subalgoE5ElNS0_10empty_typeEbEEZZNS1_14partition_implILS5_5ELb0ES3_mN6hipcub16HIPCUB_304000_NS21CountingInputIteratorIllEEPS6_NSA_22TransformInputIteratorIbN2at6native12_GLOBAL__N_19NonZeroOpIaEEPKalEENS0_5tupleIJPlS6_EEENSN_IJSD_SD_EEES6_PiJS6_EEE10hipError_tPvRmT3_T4_T5_T6_T7_T9_mT8_P12ihipStream_tbDpT10_ENKUlT_T0_E_clISt17integral_constantIbLb0EES1A_IbLb1EEEEDaS16_S17_EUlS16_E_NS1_11comp_targetILNS1_3genE2ELNS1_11target_archE906ELNS1_3gpuE6ELNS1_3repE0EEENS1_30default_config_static_selectorELNS0_4arch9wavefront6targetE0EEEvT1_
	.p2align	8
	.type	_ZN7rocprim17ROCPRIM_400000_NS6detail17trampoline_kernelINS0_14default_configENS1_25partition_config_selectorILNS1_17partition_subalgoE5ElNS0_10empty_typeEbEEZZNS1_14partition_implILS5_5ELb0ES3_mN6hipcub16HIPCUB_304000_NS21CountingInputIteratorIllEEPS6_NSA_22TransformInputIteratorIbN2at6native12_GLOBAL__N_19NonZeroOpIaEEPKalEENS0_5tupleIJPlS6_EEENSN_IJSD_SD_EEES6_PiJS6_EEE10hipError_tPvRmT3_T4_T5_T6_T7_T9_mT8_P12ihipStream_tbDpT10_ENKUlT_T0_E_clISt17integral_constantIbLb0EES1A_IbLb1EEEEDaS16_S17_EUlS16_E_NS1_11comp_targetILNS1_3genE2ELNS1_11target_archE906ELNS1_3gpuE6ELNS1_3repE0EEENS1_30default_config_static_selectorELNS0_4arch9wavefront6targetE0EEEvT1_,@function
_ZN7rocprim17ROCPRIM_400000_NS6detail17trampoline_kernelINS0_14default_configENS1_25partition_config_selectorILNS1_17partition_subalgoE5ElNS0_10empty_typeEbEEZZNS1_14partition_implILS5_5ELb0ES3_mN6hipcub16HIPCUB_304000_NS21CountingInputIteratorIllEEPS6_NSA_22TransformInputIteratorIbN2at6native12_GLOBAL__N_19NonZeroOpIaEEPKalEENS0_5tupleIJPlS6_EEENSN_IJSD_SD_EEES6_PiJS6_EEE10hipError_tPvRmT3_T4_T5_T6_T7_T9_mT8_P12ihipStream_tbDpT10_ENKUlT_T0_E_clISt17integral_constantIbLb0EES1A_IbLb1EEEEDaS16_S17_EUlS16_E_NS1_11comp_targetILNS1_3genE2ELNS1_11target_archE906ELNS1_3gpuE6ELNS1_3repE0EEENS1_30default_config_static_selectorELNS0_4arch9wavefront6targetE0EEEvT1_: ; @_ZN7rocprim17ROCPRIM_400000_NS6detail17trampoline_kernelINS0_14default_configENS1_25partition_config_selectorILNS1_17partition_subalgoE5ElNS0_10empty_typeEbEEZZNS1_14partition_implILS5_5ELb0ES3_mN6hipcub16HIPCUB_304000_NS21CountingInputIteratorIllEEPS6_NSA_22TransformInputIteratorIbN2at6native12_GLOBAL__N_19NonZeroOpIaEEPKalEENS0_5tupleIJPlS6_EEENSN_IJSD_SD_EEES6_PiJS6_EEE10hipError_tPvRmT3_T4_T5_T6_T7_T9_mT8_P12ihipStream_tbDpT10_ENKUlT_T0_E_clISt17integral_constantIbLb0EES1A_IbLb1EEEEDaS16_S17_EUlS16_E_NS1_11comp_targetILNS1_3genE2ELNS1_11target_archE906ELNS1_3gpuE6ELNS1_3repE0EEENS1_30default_config_static_selectorELNS0_4arch9wavefront6targetE0EEEvT1_
; %bb.0:
	.section	.rodata,"a",@progbits
	.p2align	6, 0x0
	.amdhsa_kernel _ZN7rocprim17ROCPRIM_400000_NS6detail17trampoline_kernelINS0_14default_configENS1_25partition_config_selectorILNS1_17partition_subalgoE5ElNS0_10empty_typeEbEEZZNS1_14partition_implILS5_5ELb0ES3_mN6hipcub16HIPCUB_304000_NS21CountingInputIteratorIllEEPS6_NSA_22TransformInputIteratorIbN2at6native12_GLOBAL__N_19NonZeroOpIaEEPKalEENS0_5tupleIJPlS6_EEENSN_IJSD_SD_EEES6_PiJS6_EEE10hipError_tPvRmT3_T4_T5_T6_T7_T9_mT8_P12ihipStream_tbDpT10_ENKUlT_T0_E_clISt17integral_constantIbLb0EES1A_IbLb1EEEEDaS16_S17_EUlS16_E_NS1_11comp_targetILNS1_3genE2ELNS1_11target_archE906ELNS1_3gpuE6ELNS1_3repE0EEENS1_30default_config_static_selectorELNS0_4arch9wavefront6targetE0EEEvT1_
		.amdhsa_group_segment_fixed_size 0
		.amdhsa_private_segment_fixed_size 0
		.amdhsa_kernarg_size 136
		.amdhsa_user_sgpr_count 2
		.amdhsa_user_sgpr_dispatch_ptr 0
		.amdhsa_user_sgpr_queue_ptr 0
		.amdhsa_user_sgpr_kernarg_segment_ptr 1
		.amdhsa_user_sgpr_dispatch_id 0
		.amdhsa_user_sgpr_private_segment_size 0
		.amdhsa_wavefront_size32 1
		.amdhsa_uses_dynamic_stack 0
		.amdhsa_enable_private_segment 0
		.amdhsa_system_sgpr_workgroup_id_x 1
		.amdhsa_system_sgpr_workgroup_id_y 0
		.amdhsa_system_sgpr_workgroup_id_z 0
		.amdhsa_system_sgpr_workgroup_info 0
		.amdhsa_system_vgpr_workitem_id 0
		.amdhsa_next_free_vgpr 1
		.amdhsa_next_free_sgpr 1
		.amdhsa_reserve_vcc 0
		.amdhsa_float_round_mode_32 0
		.amdhsa_float_round_mode_16_64 0
		.amdhsa_float_denorm_mode_32 3
		.amdhsa_float_denorm_mode_16_64 3
		.amdhsa_fp16_overflow 0
		.amdhsa_workgroup_processor_mode 1
		.amdhsa_memory_ordered 1
		.amdhsa_forward_progress 1
		.amdhsa_inst_pref_size 0
		.amdhsa_round_robin_scheduling 0
		.amdhsa_exception_fp_ieee_invalid_op 0
		.amdhsa_exception_fp_denorm_src 0
		.amdhsa_exception_fp_ieee_div_zero 0
		.amdhsa_exception_fp_ieee_overflow 0
		.amdhsa_exception_fp_ieee_underflow 0
		.amdhsa_exception_fp_ieee_inexact 0
		.amdhsa_exception_int_div_zero 0
	.end_amdhsa_kernel
	.section	.text._ZN7rocprim17ROCPRIM_400000_NS6detail17trampoline_kernelINS0_14default_configENS1_25partition_config_selectorILNS1_17partition_subalgoE5ElNS0_10empty_typeEbEEZZNS1_14partition_implILS5_5ELb0ES3_mN6hipcub16HIPCUB_304000_NS21CountingInputIteratorIllEEPS6_NSA_22TransformInputIteratorIbN2at6native12_GLOBAL__N_19NonZeroOpIaEEPKalEENS0_5tupleIJPlS6_EEENSN_IJSD_SD_EEES6_PiJS6_EEE10hipError_tPvRmT3_T4_T5_T6_T7_T9_mT8_P12ihipStream_tbDpT10_ENKUlT_T0_E_clISt17integral_constantIbLb0EES1A_IbLb1EEEEDaS16_S17_EUlS16_E_NS1_11comp_targetILNS1_3genE2ELNS1_11target_archE906ELNS1_3gpuE6ELNS1_3repE0EEENS1_30default_config_static_selectorELNS0_4arch9wavefront6targetE0EEEvT1_,"axG",@progbits,_ZN7rocprim17ROCPRIM_400000_NS6detail17trampoline_kernelINS0_14default_configENS1_25partition_config_selectorILNS1_17partition_subalgoE5ElNS0_10empty_typeEbEEZZNS1_14partition_implILS5_5ELb0ES3_mN6hipcub16HIPCUB_304000_NS21CountingInputIteratorIllEEPS6_NSA_22TransformInputIteratorIbN2at6native12_GLOBAL__N_19NonZeroOpIaEEPKalEENS0_5tupleIJPlS6_EEENSN_IJSD_SD_EEES6_PiJS6_EEE10hipError_tPvRmT3_T4_T5_T6_T7_T9_mT8_P12ihipStream_tbDpT10_ENKUlT_T0_E_clISt17integral_constantIbLb0EES1A_IbLb1EEEEDaS16_S17_EUlS16_E_NS1_11comp_targetILNS1_3genE2ELNS1_11target_archE906ELNS1_3gpuE6ELNS1_3repE0EEENS1_30default_config_static_selectorELNS0_4arch9wavefront6targetE0EEEvT1_,comdat
.Lfunc_end146:
	.size	_ZN7rocprim17ROCPRIM_400000_NS6detail17trampoline_kernelINS0_14default_configENS1_25partition_config_selectorILNS1_17partition_subalgoE5ElNS0_10empty_typeEbEEZZNS1_14partition_implILS5_5ELb0ES3_mN6hipcub16HIPCUB_304000_NS21CountingInputIteratorIllEEPS6_NSA_22TransformInputIteratorIbN2at6native12_GLOBAL__N_19NonZeroOpIaEEPKalEENS0_5tupleIJPlS6_EEENSN_IJSD_SD_EEES6_PiJS6_EEE10hipError_tPvRmT3_T4_T5_T6_T7_T9_mT8_P12ihipStream_tbDpT10_ENKUlT_T0_E_clISt17integral_constantIbLb0EES1A_IbLb1EEEEDaS16_S17_EUlS16_E_NS1_11comp_targetILNS1_3genE2ELNS1_11target_archE906ELNS1_3gpuE6ELNS1_3repE0EEENS1_30default_config_static_selectorELNS0_4arch9wavefront6targetE0EEEvT1_, .Lfunc_end146-_ZN7rocprim17ROCPRIM_400000_NS6detail17trampoline_kernelINS0_14default_configENS1_25partition_config_selectorILNS1_17partition_subalgoE5ElNS0_10empty_typeEbEEZZNS1_14partition_implILS5_5ELb0ES3_mN6hipcub16HIPCUB_304000_NS21CountingInputIteratorIllEEPS6_NSA_22TransformInputIteratorIbN2at6native12_GLOBAL__N_19NonZeroOpIaEEPKalEENS0_5tupleIJPlS6_EEENSN_IJSD_SD_EEES6_PiJS6_EEE10hipError_tPvRmT3_T4_T5_T6_T7_T9_mT8_P12ihipStream_tbDpT10_ENKUlT_T0_E_clISt17integral_constantIbLb0EES1A_IbLb1EEEEDaS16_S17_EUlS16_E_NS1_11comp_targetILNS1_3genE2ELNS1_11target_archE906ELNS1_3gpuE6ELNS1_3repE0EEENS1_30default_config_static_selectorELNS0_4arch9wavefront6targetE0EEEvT1_
                                        ; -- End function
	.set _ZN7rocprim17ROCPRIM_400000_NS6detail17trampoline_kernelINS0_14default_configENS1_25partition_config_selectorILNS1_17partition_subalgoE5ElNS0_10empty_typeEbEEZZNS1_14partition_implILS5_5ELb0ES3_mN6hipcub16HIPCUB_304000_NS21CountingInputIteratorIllEEPS6_NSA_22TransformInputIteratorIbN2at6native12_GLOBAL__N_19NonZeroOpIaEEPKalEENS0_5tupleIJPlS6_EEENSN_IJSD_SD_EEES6_PiJS6_EEE10hipError_tPvRmT3_T4_T5_T6_T7_T9_mT8_P12ihipStream_tbDpT10_ENKUlT_T0_E_clISt17integral_constantIbLb0EES1A_IbLb1EEEEDaS16_S17_EUlS16_E_NS1_11comp_targetILNS1_3genE2ELNS1_11target_archE906ELNS1_3gpuE6ELNS1_3repE0EEENS1_30default_config_static_selectorELNS0_4arch9wavefront6targetE0EEEvT1_.num_vgpr, 0
	.set _ZN7rocprim17ROCPRIM_400000_NS6detail17trampoline_kernelINS0_14default_configENS1_25partition_config_selectorILNS1_17partition_subalgoE5ElNS0_10empty_typeEbEEZZNS1_14partition_implILS5_5ELb0ES3_mN6hipcub16HIPCUB_304000_NS21CountingInputIteratorIllEEPS6_NSA_22TransformInputIteratorIbN2at6native12_GLOBAL__N_19NonZeroOpIaEEPKalEENS0_5tupleIJPlS6_EEENSN_IJSD_SD_EEES6_PiJS6_EEE10hipError_tPvRmT3_T4_T5_T6_T7_T9_mT8_P12ihipStream_tbDpT10_ENKUlT_T0_E_clISt17integral_constantIbLb0EES1A_IbLb1EEEEDaS16_S17_EUlS16_E_NS1_11comp_targetILNS1_3genE2ELNS1_11target_archE906ELNS1_3gpuE6ELNS1_3repE0EEENS1_30default_config_static_selectorELNS0_4arch9wavefront6targetE0EEEvT1_.num_agpr, 0
	.set _ZN7rocprim17ROCPRIM_400000_NS6detail17trampoline_kernelINS0_14default_configENS1_25partition_config_selectorILNS1_17partition_subalgoE5ElNS0_10empty_typeEbEEZZNS1_14partition_implILS5_5ELb0ES3_mN6hipcub16HIPCUB_304000_NS21CountingInputIteratorIllEEPS6_NSA_22TransformInputIteratorIbN2at6native12_GLOBAL__N_19NonZeroOpIaEEPKalEENS0_5tupleIJPlS6_EEENSN_IJSD_SD_EEES6_PiJS6_EEE10hipError_tPvRmT3_T4_T5_T6_T7_T9_mT8_P12ihipStream_tbDpT10_ENKUlT_T0_E_clISt17integral_constantIbLb0EES1A_IbLb1EEEEDaS16_S17_EUlS16_E_NS1_11comp_targetILNS1_3genE2ELNS1_11target_archE906ELNS1_3gpuE6ELNS1_3repE0EEENS1_30default_config_static_selectorELNS0_4arch9wavefront6targetE0EEEvT1_.numbered_sgpr, 0
	.set _ZN7rocprim17ROCPRIM_400000_NS6detail17trampoline_kernelINS0_14default_configENS1_25partition_config_selectorILNS1_17partition_subalgoE5ElNS0_10empty_typeEbEEZZNS1_14partition_implILS5_5ELb0ES3_mN6hipcub16HIPCUB_304000_NS21CountingInputIteratorIllEEPS6_NSA_22TransformInputIteratorIbN2at6native12_GLOBAL__N_19NonZeroOpIaEEPKalEENS0_5tupleIJPlS6_EEENSN_IJSD_SD_EEES6_PiJS6_EEE10hipError_tPvRmT3_T4_T5_T6_T7_T9_mT8_P12ihipStream_tbDpT10_ENKUlT_T0_E_clISt17integral_constantIbLb0EES1A_IbLb1EEEEDaS16_S17_EUlS16_E_NS1_11comp_targetILNS1_3genE2ELNS1_11target_archE906ELNS1_3gpuE6ELNS1_3repE0EEENS1_30default_config_static_selectorELNS0_4arch9wavefront6targetE0EEEvT1_.num_named_barrier, 0
	.set _ZN7rocprim17ROCPRIM_400000_NS6detail17trampoline_kernelINS0_14default_configENS1_25partition_config_selectorILNS1_17partition_subalgoE5ElNS0_10empty_typeEbEEZZNS1_14partition_implILS5_5ELb0ES3_mN6hipcub16HIPCUB_304000_NS21CountingInputIteratorIllEEPS6_NSA_22TransformInputIteratorIbN2at6native12_GLOBAL__N_19NonZeroOpIaEEPKalEENS0_5tupleIJPlS6_EEENSN_IJSD_SD_EEES6_PiJS6_EEE10hipError_tPvRmT3_T4_T5_T6_T7_T9_mT8_P12ihipStream_tbDpT10_ENKUlT_T0_E_clISt17integral_constantIbLb0EES1A_IbLb1EEEEDaS16_S17_EUlS16_E_NS1_11comp_targetILNS1_3genE2ELNS1_11target_archE906ELNS1_3gpuE6ELNS1_3repE0EEENS1_30default_config_static_selectorELNS0_4arch9wavefront6targetE0EEEvT1_.private_seg_size, 0
	.set _ZN7rocprim17ROCPRIM_400000_NS6detail17trampoline_kernelINS0_14default_configENS1_25partition_config_selectorILNS1_17partition_subalgoE5ElNS0_10empty_typeEbEEZZNS1_14partition_implILS5_5ELb0ES3_mN6hipcub16HIPCUB_304000_NS21CountingInputIteratorIllEEPS6_NSA_22TransformInputIteratorIbN2at6native12_GLOBAL__N_19NonZeroOpIaEEPKalEENS0_5tupleIJPlS6_EEENSN_IJSD_SD_EEES6_PiJS6_EEE10hipError_tPvRmT3_T4_T5_T6_T7_T9_mT8_P12ihipStream_tbDpT10_ENKUlT_T0_E_clISt17integral_constantIbLb0EES1A_IbLb1EEEEDaS16_S17_EUlS16_E_NS1_11comp_targetILNS1_3genE2ELNS1_11target_archE906ELNS1_3gpuE6ELNS1_3repE0EEENS1_30default_config_static_selectorELNS0_4arch9wavefront6targetE0EEEvT1_.uses_vcc, 0
	.set _ZN7rocprim17ROCPRIM_400000_NS6detail17trampoline_kernelINS0_14default_configENS1_25partition_config_selectorILNS1_17partition_subalgoE5ElNS0_10empty_typeEbEEZZNS1_14partition_implILS5_5ELb0ES3_mN6hipcub16HIPCUB_304000_NS21CountingInputIteratorIllEEPS6_NSA_22TransformInputIteratorIbN2at6native12_GLOBAL__N_19NonZeroOpIaEEPKalEENS0_5tupleIJPlS6_EEENSN_IJSD_SD_EEES6_PiJS6_EEE10hipError_tPvRmT3_T4_T5_T6_T7_T9_mT8_P12ihipStream_tbDpT10_ENKUlT_T0_E_clISt17integral_constantIbLb0EES1A_IbLb1EEEEDaS16_S17_EUlS16_E_NS1_11comp_targetILNS1_3genE2ELNS1_11target_archE906ELNS1_3gpuE6ELNS1_3repE0EEENS1_30default_config_static_selectorELNS0_4arch9wavefront6targetE0EEEvT1_.uses_flat_scratch, 0
	.set _ZN7rocprim17ROCPRIM_400000_NS6detail17trampoline_kernelINS0_14default_configENS1_25partition_config_selectorILNS1_17partition_subalgoE5ElNS0_10empty_typeEbEEZZNS1_14partition_implILS5_5ELb0ES3_mN6hipcub16HIPCUB_304000_NS21CountingInputIteratorIllEEPS6_NSA_22TransformInputIteratorIbN2at6native12_GLOBAL__N_19NonZeroOpIaEEPKalEENS0_5tupleIJPlS6_EEENSN_IJSD_SD_EEES6_PiJS6_EEE10hipError_tPvRmT3_T4_T5_T6_T7_T9_mT8_P12ihipStream_tbDpT10_ENKUlT_T0_E_clISt17integral_constantIbLb0EES1A_IbLb1EEEEDaS16_S17_EUlS16_E_NS1_11comp_targetILNS1_3genE2ELNS1_11target_archE906ELNS1_3gpuE6ELNS1_3repE0EEENS1_30default_config_static_selectorELNS0_4arch9wavefront6targetE0EEEvT1_.has_dyn_sized_stack, 0
	.set _ZN7rocprim17ROCPRIM_400000_NS6detail17trampoline_kernelINS0_14default_configENS1_25partition_config_selectorILNS1_17partition_subalgoE5ElNS0_10empty_typeEbEEZZNS1_14partition_implILS5_5ELb0ES3_mN6hipcub16HIPCUB_304000_NS21CountingInputIteratorIllEEPS6_NSA_22TransformInputIteratorIbN2at6native12_GLOBAL__N_19NonZeroOpIaEEPKalEENS0_5tupleIJPlS6_EEENSN_IJSD_SD_EEES6_PiJS6_EEE10hipError_tPvRmT3_T4_T5_T6_T7_T9_mT8_P12ihipStream_tbDpT10_ENKUlT_T0_E_clISt17integral_constantIbLb0EES1A_IbLb1EEEEDaS16_S17_EUlS16_E_NS1_11comp_targetILNS1_3genE2ELNS1_11target_archE906ELNS1_3gpuE6ELNS1_3repE0EEENS1_30default_config_static_selectorELNS0_4arch9wavefront6targetE0EEEvT1_.has_recursion, 0
	.set _ZN7rocprim17ROCPRIM_400000_NS6detail17trampoline_kernelINS0_14default_configENS1_25partition_config_selectorILNS1_17partition_subalgoE5ElNS0_10empty_typeEbEEZZNS1_14partition_implILS5_5ELb0ES3_mN6hipcub16HIPCUB_304000_NS21CountingInputIteratorIllEEPS6_NSA_22TransformInputIteratorIbN2at6native12_GLOBAL__N_19NonZeroOpIaEEPKalEENS0_5tupleIJPlS6_EEENSN_IJSD_SD_EEES6_PiJS6_EEE10hipError_tPvRmT3_T4_T5_T6_T7_T9_mT8_P12ihipStream_tbDpT10_ENKUlT_T0_E_clISt17integral_constantIbLb0EES1A_IbLb1EEEEDaS16_S17_EUlS16_E_NS1_11comp_targetILNS1_3genE2ELNS1_11target_archE906ELNS1_3gpuE6ELNS1_3repE0EEENS1_30default_config_static_selectorELNS0_4arch9wavefront6targetE0EEEvT1_.has_indirect_call, 0
	.section	.AMDGPU.csdata,"",@progbits
; Kernel info:
; codeLenInByte = 0
; TotalNumSgprs: 0
; NumVgprs: 0
; ScratchSize: 0
; MemoryBound: 0
; FloatMode: 240
; IeeeMode: 1
; LDSByteSize: 0 bytes/workgroup (compile time only)
; SGPRBlocks: 0
; VGPRBlocks: 0
; NumSGPRsForWavesPerEU: 1
; NumVGPRsForWavesPerEU: 1
; Occupancy: 16
; WaveLimiterHint : 0
; COMPUTE_PGM_RSRC2:SCRATCH_EN: 0
; COMPUTE_PGM_RSRC2:USER_SGPR: 2
; COMPUTE_PGM_RSRC2:TRAP_HANDLER: 0
; COMPUTE_PGM_RSRC2:TGID_X_EN: 1
; COMPUTE_PGM_RSRC2:TGID_Y_EN: 0
; COMPUTE_PGM_RSRC2:TGID_Z_EN: 0
; COMPUTE_PGM_RSRC2:TIDIG_COMP_CNT: 0
	.section	.text._ZN7rocprim17ROCPRIM_400000_NS6detail17trampoline_kernelINS0_14default_configENS1_25partition_config_selectorILNS1_17partition_subalgoE5ElNS0_10empty_typeEbEEZZNS1_14partition_implILS5_5ELb0ES3_mN6hipcub16HIPCUB_304000_NS21CountingInputIteratorIllEEPS6_NSA_22TransformInputIteratorIbN2at6native12_GLOBAL__N_19NonZeroOpIaEEPKalEENS0_5tupleIJPlS6_EEENSN_IJSD_SD_EEES6_PiJS6_EEE10hipError_tPvRmT3_T4_T5_T6_T7_T9_mT8_P12ihipStream_tbDpT10_ENKUlT_T0_E_clISt17integral_constantIbLb0EES1A_IbLb1EEEEDaS16_S17_EUlS16_E_NS1_11comp_targetILNS1_3genE10ELNS1_11target_archE1200ELNS1_3gpuE4ELNS1_3repE0EEENS1_30default_config_static_selectorELNS0_4arch9wavefront6targetE0EEEvT1_,"axG",@progbits,_ZN7rocprim17ROCPRIM_400000_NS6detail17trampoline_kernelINS0_14default_configENS1_25partition_config_selectorILNS1_17partition_subalgoE5ElNS0_10empty_typeEbEEZZNS1_14partition_implILS5_5ELb0ES3_mN6hipcub16HIPCUB_304000_NS21CountingInputIteratorIllEEPS6_NSA_22TransformInputIteratorIbN2at6native12_GLOBAL__N_19NonZeroOpIaEEPKalEENS0_5tupleIJPlS6_EEENSN_IJSD_SD_EEES6_PiJS6_EEE10hipError_tPvRmT3_T4_T5_T6_T7_T9_mT8_P12ihipStream_tbDpT10_ENKUlT_T0_E_clISt17integral_constantIbLb0EES1A_IbLb1EEEEDaS16_S17_EUlS16_E_NS1_11comp_targetILNS1_3genE10ELNS1_11target_archE1200ELNS1_3gpuE4ELNS1_3repE0EEENS1_30default_config_static_selectorELNS0_4arch9wavefront6targetE0EEEvT1_,comdat
	.globl	_ZN7rocprim17ROCPRIM_400000_NS6detail17trampoline_kernelINS0_14default_configENS1_25partition_config_selectorILNS1_17partition_subalgoE5ElNS0_10empty_typeEbEEZZNS1_14partition_implILS5_5ELb0ES3_mN6hipcub16HIPCUB_304000_NS21CountingInputIteratorIllEEPS6_NSA_22TransformInputIteratorIbN2at6native12_GLOBAL__N_19NonZeroOpIaEEPKalEENS0_5tupleIJPlS6_EEENSN_IJSD_SD_EEES6_PiJS6_EEE10hipError_tPvRmT3_T4_T5_T6_T7_T9_mT8_P12ihipStream_tbDpT10_ENKUlT_T0_E_clISt17integral_constantIbLb0EES1A_IbLb1EEEEDaS16_S17_EUlS16_E_NS1_11comp_targetILNS1_3genE10ELNS1_11target_archE1200ELNS1_3gpuE4ELNS1_3repE0EEENS1_30default_config_static_selectorELNS0_4arch9wavefront6targetE0EEEvT1_ ; -- Begin function _ZN7rocprim17ROCPRIM_400000_NS6detail17trampoline_kernelINS0_14default_configENS1_25partition_config_selectorILNS1_17partition_subalgoE5ElNS0_10empty_typeEbEEZZNS1_14partition_implILS5_5ELb0ES3_mN6hipcub16HIPCUB_304000_NS21CountingInputIteratorIllEEPS6_NSA_22TransformInputIteratorIbN2at6native12_GLOBAL__N_19NonZeroOpIaEEPKalEENS0_5tupleIJPlS6_EEENSN_IJSD_SD_EEES6_PiJS6_EEE10hipError_tPvRmT3_T4_T5_T6_T7_T9_mT8_P12ihipStream_tbDpT10_ENKUlT_T0_E_clISt17integral_constantIbLb0EES1A_IbLb1EEEEDaS16_S17_EUlS16_E_NS1_11comp_targetILNS1_3genE10ELNS1_11target_archE1200ELNS1_3gpuE4ELNS1_3repE0EEENS1_30default_config_static_selectorELNS0_4arch9wavefront6targetE0EEEvT1_
	.p2align	8
	.type	_ZN7rocprim17ROCPRIM_400000_NS6detail17trampoline_kernelINS0_14default_configENS1_25partition_config_selectorILNS1_17partition_subalgoE5ElNS0_10empty_typeEbEEZZNS1_14partition_implILS5_5ELb0ES3_mN6hipcub16HIPCUB_304000_NS21CountingInputIteratorIllEEPS6_NSA_22TransformInputIteratorIbN2at6native12_GLOBAL__N_19NonZeroOpIaEEPKalEENS0_5tupleIJPlS6_EEENSN_IJSD_SD_EEES6_PiJS6_EEE10hipError_tPvRmT3_T4_T5_T6_T7_T9_mT8_P12ihipStream_tbDpT10_ENKUlT_T0_E_clISt17integral_constantIbLb0EES1A_IbLb1EEEEDaS16_S17_EUlS16_E_NS1_11comp_targetILNS1_3genE10ELNS1_11target_archE1200ELNS1_3gpuE4ELNS1_3repE0EEENS1_30default_config_static_selectorELNS0_4arch9wavefront6targetE0EEEvT1_,@function
_ZN7rocprim17ROCPRIM_400000_NS6detail17trampoline_kernelINS0_14default_configENS1_25partition_config_selectorILNS1_17partition_subalgoE5ElNS0_10empty_typeEbEEZZNS1_14partition_implILS5_5ELb0ES3_mN6hipcub16HIPCUB_304000_NS21CountingInputIteratorIllEEPS6_NSA_22TransformInputIteratorIbN2at6native12_GLOBAL__N_19NonZeroOpIaEEPKalEENS0_5tupleIJPlS6_EEENSN_IJSD_SD_EEES6_PiJS6_EEE10hipError_tPvRmT3_T4_T5_T6_T7_T9_mT8_P12ihipStream_tbDpT10_ENKUlT_T0_E_clISt17integral_constantIbLb0EES1A_IbLb1EEEEDaS16_S17_EUlS16_E_NS1_11comp_targetILNS1_3genE10ELNS1_11target_archE1200ELNS1_3gpuE4ELNS1_3repE0EEENS1_30default_config_static_selectorELNS0_4arch9wavefront6targetE0EEEvT1_: ; @_ZN7rocprim17ROCPRIM_400000_NS6detail17trampoline_kernelINS0_14default_configENS1_25partition_config_selectorILNS1_17partition_subalgoE5ElNS0_10empty_typeEbEEZZNS1_14partition_implILS5_5ELb0ES3_mN6hipcub16HIPCUB_304000_NS21CountingInputIteratorIllEEPS6_NSA_22TransformInputIteratorIbN2at6native12_GLOBAL__N_19NonZeroOpIaEEPKalEENS0_5tupleIJPlS6_EEENSN_IJSD_SD_EEES6_PiJS6_EEE10hipError_tPvRmT3_T4_T5_T6_T7_T9_mT8_P12ihipStream_tbDpT10_ENKUlT_T0_E_clISt17integral_constantIbLb0EES1A_IbLb1EEEEDaS16_S17_EUlS16_E_NS1_11comp_targetILNS1_3genE10ELNS1_11target_archE1200ELNS1_3gpuE4ELNS1_3repE0EEENS1_30default_config_static_selectorELNS0_4arch9wavefront6targetE0EEEvT1_
; %bb.0:
	s_clause 0x3
	s_load_b64 s[12:13], s[0:1], 0x30
	s_load_b128 s[4:7], s[0:1], 0x48
	s_load_b64 s[18:19], s[0:1], 0x58
	s_load_b64 s[14:15], s[0:1], 0x68
	v_cmp_eq_u32_e64 s2, 0, v0
	s_and_saveexec_b32 s3, s2
	s_cbranch_execz .LBB147_4
; %bb.1:
	s_mov_b32 s9, exec_lo
	s_mov_b32 s8, exec_lo
	v_mbcnt_lo_u32_b32 v1, s9, 0
                                        ; implicit-def: $vgpr2
	s_delay_alu instid0(VALU_DEP_1)
	v_cmpx_eq_u32_e32 0, v1
	s_cbranch_execz .LBB147_3
; %bb.2:
	s_load_b64 s[10:11], s[0:1], 0x78
	s_bcnt1_i32_b32 s9, s9
	s_wait_alu 0xfffe
	v_dual_mov_b32 v2, 0 :: v_dual_mov_b32 v3, s9
	s_wait_kmcnt 0x0
	global_atomic_add_u32 v2, v2, v3, s[10:11] th:TH_ATOMIC_RETURN scope:SCOPE_DEV
.LBB147_3:
	s_or_b32 exec_lo, exec_lo, s8
	s_wait_loadcnt 0x0
	v_readfirstlane_b32 s8, v2
	s_wait_alu 0xf1ff
	s_delay_alu instid0(VALU_DEP_1)
	v_dual_mov_b32 v2, 0 :: v_dual_add_nc_u32 v1, s8, v1
	ds_store_b32 v2, v1
.LBB147_4:
	s_or_b32 exec_lo, exec_lo, s3
	v_mov_b32_e32 v1, 0
	s_clause 0x2
	s_load_b128 s[8:11], s[0:1], 0x8
	s_load_b64 s[16:17], s[0:1], 0x20
	s_load_b32 s0, s[0:1], 0x70
	s_wait_dscnt 0x0
	s_barrier_signal -1
	s_barrier_wait -1
	global_inv scope:SCOPE_SE
	ds_load_b32 v2, v1
	s_wait_loadcnt_dscnt 0x0
	s_barrier_signal -1
	s_barrier_wait -1
	global_inv scope:SCOPE_SE
	s_wait_kmcnt 0x0
	global_load_b64 v[17:18], v1, s[6:7]
	s_mov_b32 s7, 0
	v_lshrrev_b32_e32 v1, 2, v0
	v_or_b32_e32 v10, 0x200, v0
	v_or_b32_e32 v9, 0x300, v0
	s_add_nc_u64 s[8:9], s[10:11], s[8:9]
	s_lshl_b32 s6, s0, 10
	s_add_co_i32 s20, s0, -1
	s_add_nc_u64 s[0:1], s[10:11], s[6:7]
	s_lshl_b32 s6, s20, 10
	v_cmp_le_u64_e64 s1, s[18:19], s[0:1]
	v_readfirstlane_b32 s21, v2
	s_add_co_i32 s0, s10, s6
	s_lshl_b32 s3, s21, 10
	s_cmp_eq_u32 s21, s20
	s_mov_b32 s6, s3
	s_cselect_b32 s19, -1, 0
	s_wait_alu 0xfffe
	s_and_b32 s1, s1, s19
	s_wait_alu 0xfffe
	s_xor_b32 s20, s1, -1
	s_mov_b32 s1, -1
	s_and_b32 vcc_lo, exec_lo, s20
	s_cbranch_vccz .LBB147_6
; %bb.5:
	v_or_b32_e32 v8, 0x100, v0
	s_add_nc_u64 s[22:23], s[6:7], s[8:9]
	v_lshrrev_b32_e32 v11, 2, v10
	v_add_co_u32 v2, s1, s22, v0
	s_delay_alu instid0(VALU_DEP_3)
	v_lshrrev_b32_e32 v8, 2, v8
	v_lshrrev_b32_e32 v12, 2, v9
	s_wait_alu 0xf1fe
	v_add_co_ci_u32_e64 v3, null, s23, 0, s1
	v_and_b32_e32 v13, 56, v1
	v_lshlrev_b32_e32 v14, 3, v0
	v_and_b32_e32 v8, 0x78, v8
	v_add_co_u32 v4, vcc_lo, 0x100, v2
	v_and_b32_e32 v15, 0xb8, v11
	v_and_b32_e32 v16, 0xf8, v12
	v_add_co_ci_u32_e64 v5, null, 0, v3, vcc_lo
	v_add_co_u32 v6, vcc_lo, 0x200, v2
	v_add_nc_u32_e32 v13, v13, v14
	s_wait_alu 0xfffd
	v_add_co_ci_u32_e64 v7, null, 0, v3, vcc_lo
	v_add_co_u32 v11, vcc_lo, 0x300, v2
	v_add_nc_u32_e32 v8, v8, v14
	v_add_nc_u32_e32 v15, v15, v14
	s_wait_alu 0xfffd
	v_add_co_ci_u32_e64 v12, null, 0, v3, vcc_lo
	v_add_nc_u32_e32 v14, v16, v14
	ds_store_b64 v13, v[2:3]
	ds_store_b64 v8, v[4:5] offset:2048
	ds_store_b64 v15, v[6:7] offset:4096
	;; [unrolled: 1-line block ×3, first 2 shown]
	s_wait_loadcnt_dscnt 0x0
	s_barrier_signal -1
	s_mov_b32 s1, s7
	s_barrier_wait -1
.LBB147_6:
	s_sub_co_i32 s3, s18, s0
	s_wait_alu 0xfffe
	s_and_not1_b32 vcc_lo, exec_lo, s1
	v_cmp_gt_u32_e64 s0, s3, v0
	s_wait_alu 0xfffe
	s_cbranch_vccnz .LBB147_8
; %bb.7:
	v_or_b32_e32 v8, 0x100, v0
	s_add_nc_u64 s[8:9], s[8:9], s[6:7]
	v_lshrrev_b32_e32 v13, 2, v10
	s_wait_alu 0xfffe
	v_add_co_u32 v2, s1, s8, v0
	s_wait_alu 0xf1ff
	v_add_co_ci_u32_e64 v3, null, s9, 0, s1
	v_add_co_u32 v4, s1, s8, v8
	s_wait_alu 0xf1ff
	v_add_co_ci_u32_e64 v5, null, s9, 0, s1
	v_cmp_gt_u32_e32 vcc_lo, s3, v8
	v_add_co_u32 v11, s1, s8, v9
	s_wait_alu 0xf1ff
	v_add_co_ci_u32_e64 v12, null, s9, 0, s1
	s_wait_alu 0xfffd
	v_dual_cndmask_b32 v5, 0, v5 :: v_dual_cndmask_b32 v4, 0, v4
	v_cmp_gt_u32_e32 vcc_lo, s3, v9
	v_lshrrev_b32_e32 v8, 2, v8
	v_lshrrev_b32_e32 v14, 2, v9
	v_cndmask_b32_e64 v3, 0, v3, s0
	v_cndmask_b32_e64 v2, 0, v2, s0
	v_add_co_u32 v6, s0, s8, v10
	s_wait_alu 0xfffd
	v_dual_cndmask_b32 v12, 0, v12 :: v_dual_and_b32 v1, 56, v1
	v_lshlrev_b32_e32 v15, 3, v0
	v_dual_cndmask_b32 v11, 0, v11 :: v_dual_and_b32 v8, 0x78, v8
	s_wait_alu 0xf1ff
	v_add_co_ci_u32_e64 v7, null, s9, 0, s0
	v_cmp_gt_u32_e64 s0, s3, v10
	v_and_b32_e32 v13, 0xb8, v13
	v_and_b32_e32 v14, 0xf8, v14
	v_add_nc_u32_e32 v1, v1, v15
	v_add_nc_u32_e32 v8, v8, v15
	s_wait_alu 0xf1ff
	v_cndmask_b32_e64 v7, 0, v7, s0
	v_cndmask_b32_e64 v6, 0, v6, s0
	v_add_nc_u32_e32 v13, v13, v15
	v_add_nc_u32_e32 v14, v14, v15
	ds_store_b64 v1, v[2:3]
	ds_store_b64 v8, v[4:5] offset:2048
	ds_store_b64 v13, v[6:7] offset:4096
	;; [unrolled: 1-line block ×3, first 2 shown]
	s_wait_loadcnt_dscnt 0x0
	s_barrier_signal -1
	s_barrier_wait -1
.LBB147_8:
	v_and_b32_e32 v1, 0xf8, v0
	s_wait_loadcnt 0x0
	global_inv scope:SCOPE_SE
	v_lshrrev_b32_e32 v28, 5, v0
	s_add_nc_u64 s[0:1], s[16:17], s[10:11]
	s_and_b32 vcc_lo, exec_lo, s20
	v_lshl_add_u32 v1, v0, 5, v1
	s_wait_alu 0xfffe
	s_add_nc_u64 s[0:1], s[0:1], s[6:7]
	s_mov_b32 s6, -1
	ds_load_2addr_b64 v[5:8], v1 offset1:1
	ds_load_2addr_b64 v[1:4], v1 offset0:2 offset1:3
	s_wait_loadcnt_dscnt 0x0
	s_barrier_signal -1
	s_barrier_wait -1
	global_inv scope:SCOPE_SE
	s_cbranch_vccz .LBB147_10
; %bb.9:
	s_clause 0x3
	global_load_u8 v11, v0, s[0:1]
	global_load_u8 v12, v0, s[0:1] offset:256
	global_load_u8 v13, v0, s[0:1] offset:512
	;; [unrolled: 1-line block ×3, first 2 shown]
	v_or_b32_e32 v15, 0x100, v0
	v_lshrrev_b32_e32 v16, 5, v10
	v_lshrrev_b32_e32 v19, 5, v9
	v_and_b32_e32 v20, 4, v28
	s_mov_b32 s6, 0
	v_lshrrev_b32_e32 v15, 5, v15
	v_and_b32_e32 v16, 20, v16
	v_and_b32_e32 v19, 28, v19
	v_add_nc_u32_e32 v20, v20, v0
	s_delay_alu instid0(VALU_DEP_4) | instskip(NEXT) | instid1(VALU_DEP_4)
	v_and_b32_e32 v15, 12, v15
	v_add_nc_u32_e32 v16, v16, v0
	s_delay_alu instid0(VALU_DEP_4) | instskip(NEXT) | instid1(VALU_DEP_3)
	v_add_nc_u32_e32 v19, v19, v0
	v_add_nc_u32_e32 v15, v15, v0
	s_wait_loadcnt 0x3
	v_cmp_ne_u16_e32 vcc_lo, 0, v11
	s_wait_alu 0xfffd
	v_cndmask_b32_e64 v11, 0, 1, vcc_lo
	s_wait_loadcnt 0x2
	v_cmp_ne_u16_e32 vcc_lo, 0, v12
	s_wait_alu 0xfffd
	v_cndmask_b32_e64 v12, 0, 1, vcc_lo
	;; [unrolled: 4-line block ×4, first 2 shown]
	ds_store_b8 v20, v11
	ds_store_b8 v15, v12 offset:256
	ds_store_b8 v16, v13 offset:512
	;; [unrolled: 1-line block ×3, first 2 shown]
	s_wait_dscnt 0x0
	s_barrier_signal -1
	s_barrier_wait -1
.LBB147_10:
	v_lshlrev_b32_e32 v11, 2, v0
	v_lshrrev_b32_e32 v12, 3, v0
	s_and_not1_b32 vcc_lo, exec_lo, s6
	s_wait_alu 0xfffe
	s_cbranch_vccnz .LBB147_18
; %bb.11:
	v_dual_mov_b32 v13, 0 :: v_dual_mov_b32 v14, 0
	s_mov_b32 s6, exec_lo
	v_cmpx_gt_u32_e64 s3, v0
	s_cbranch_execz .LBB147_13
; %bb.12:
	global_load_u8 v13, v0, s[0:1]
	s_wait_loadcnt 0x0
	v_cmp_ne_u16_e32 vcc_lo, 0, v13
	s_wait_alu 0xfffd
	v_cndmask_b32_e64 v13, 0, 1, vcc_lo
	v_cndmask_b32_e64 v14, 0, 1, vcc_lo
.LBB147_13:
	s_or_b32 exec_lo, exec_lo, s6
	v_or_b32_e32 v15, 0x100, v0
	s_mov_b32 s6, exec_lo
	s_delay_alu instid0(VALU_DEP_1)
	v_cmpx_gt_u32_e64 s3, v15
	s_cbranch_execnz .LBB147_132
; %bb.14:
	s_or_b32 exec_lo, exec_lo, s6
	s_delay_alu instid0(SALU_CYCLE_1)
	s_mov_b32 s6, exec_lo
	v_cmpx_gt_u32_e64 s3, v10
	s_cbranch_execnz .LBB147_133
.LBB147_15:
	s_or_b32 exec_lo, exec_lo, s6
	v_cmp_gt_u32_e32 vcc_lo, s3, v9
	s_and_saveexec_b32 s3, vcc_lo
	s_cbranch_execz .LBB147_17
.LBB147_16:
	global_load_u8 v16, v0, s[0:1] offset:768
	v_lshrrev_b32_e32 v19, 16, v14
	s_wait_loadcnt 0x0
	v_cmp_ne_u16_e32 vcc_lo, 0, v16
	s_wait_alu 0xfffd
	v_cndmask_b32_e64 v16, 0, 1, vcc_lo
	s_delay_alu instid0(VALU_DEP_1) | instskip(NEXT) | instid1(VALU_DEP_1)
	v_lshlrev_b16 v16, 8, v16
	v_or_b32_e32 v16, v19, v16
	s_delay_alu instid0(VALU_DEP_1) | instskip(NEXT) | instid1(VALU_DEP_1)
	v_lshlrev_b32_e32 v16, 16, v16
	v_and_or_b32 v14, 0xffff, v14, v16
.LBB147_17:
	s_wait_alu 0xfffe
	s_or_b32 exec_lo, exec_lo, s3
	v_lshrrev_b32_e32 v15, 5, v15
	v_lshrrev_b32_e32 v10, 5, v10
	;; [unrolled: 1-line block ×3, first 2 shown]
	v_and_b32_e32 v16, 4, v28
	v_lshrrev_b32_e32 v19, 8, v14
	v_and_b32_e32 v15, 12, v15
	v_and_b32_e32 v10, 28, v10
	;; [unrolled: 1-line block ×3, first 2 shown]
	v_add_nc_u32_e32 v16, v16, v0
	v_lshrrev_b32_e32 v20, 24, v14
	v_add_nc_u32_e32 v15, v15, v0
	v_add_nc_u32_e32 v10, v10, v0
	;; [unrolled: 1-line block ×3, first 2 shown]
	ds_store_b8 v16, v13
	ds_store_b8 v15, v19 offset:256
	ds_store_b8_d16_hi v10, v14 offset:512
	ds_store_b8 v9, v20 offset:768
	s_wait_loadcnt_dscnt 0x0
	s_barrier_signal -1
	s_barrier_wait -1
.LBB147_18:
	s_delay_alu instid0(VALU_DEP_1)
	v_dual_mov_b32 v10, 0 :: v_dual_and_b32 v9, 28, v12
	s_wait_loadcnt 0x0
	global_inv scope:SCOPE_SE
	v_mbcnt_lo_u32_b32 v33, -1, 0
	s_cmp_lg_u32 s21, 0
	v_add_nc_u32_e32 v9, v9, v11
	s_mov_b32 s1, -1
	s_delay_alu instid0(VALU_DEP_2)
	v_and_b32_e32 v34, 15, v33
	ds_load_b32 v29, v9
	s_wait_loadcnt_dscnt 0x0
	s_barrier_signal -1
	s_barrier_wait -1
	global_inv scope:SCOPE_SE
	v_and_b32_e32 v32, 0xff, v29
	v_bfe_u32 v31, v29, 8, 8
	v_bfe_u32 v30, v29, 16, 8
	v_lshrrev_b32_e32 v27, 24, v29
	s_delay_alu instid0(VALU_DEP_2) | instskip(NEXT) | instid1(VALU_DEP_1)
	v_add3_u32 v9, v31, v32, v30
	v_add_co_u32 v19, s0, v9, v27
	s_wait_alu 0xf1ff
	v_add_co_ci_u32_e64 v20, null, 0, 0, s0
	v_cmp_ne_u32_e64 s0, 0, v34
	s_cbranch_scc0 .LBB147_75
; %bb.19:
	v_mov_b32_e32 v11, v19
	v_mov_b32_dpp v9, v19 row_shr:1 row_mask:0xf bank_mask:0xf
	v_mov_b32_dpp v14, v10 row_shr:1 row_mask:0xf bank_mask:0xf
	v_dual_mov_b32 v13, v19 :: v_dual_mov_b32 v12, v20
	s_and_saveexec_b32 s1, s0
; %bb.20:
	s_delay_alu instid0(VALU_DEP_3) | instskip(SKIP_2) | instid1(VALU_DEP_2)
	v_add_co_u32 v13, vcc_lo, v19, v9
	s_wait_alu 0xfffd
	v_add_co_ci_u32_e64 v10, null, 0, v20, vcc_lo
	v_add_co_u32 v9, vcc_lo, 0, v13
	s_wait_alu 0xfffd
	s_delay_alu instid0(VALU_DEP_2) | instskip(NEXT) | instid1(VALU_DEP_1)
	v_add_co_ci_u32_e64 v10, null, v14, v10, vcc_lo
	v_dual_mov_b32 v12, v10 :: v_dual_mov_b32 v11, v9
; %bb.21:
	s_wait_alu 0xfffe
	s_or_b32 exec_lo, exec_lo, s1
	v_mov_b32_dpp v9, v13 row_shr:2 row_mask:0xf bank_mask:0xf
	v_mov_b32_dpp v14, v10 row_shr:2 row_mask:0xf bank_mask:0xf
	s_mov_b32 s1, exec_lo
	v_cmpx_lt_u32_e32 1, v34
; %bb.22:
	s_delay_alu instid0(VALU_DEP_3) | instskip(SKIP_2) | instid1(VALU_DEP_2)
	v_add_co_u32 v13, vcc_lo, v11, v9
	s_wait_alu 0xfffd
	v_add_co_ci_u32_e64 v10, null, 0, v12, vcc_lo
	v_add_co_u32 v9, vcc_lo, 0, v13
	s_wait_alu 0xfffd
	s_delay_alu instid0(VALU_DEP_2) | instskip(NEXT) | instid1(VALU_DEP_1)
	v_add_co_ci_u32_e64 v10, null, v14, v10, vcc_lo
	v_dual_mov_b32 v12, v10 :: v_dual_mov_b32 v11, v9
; %bb.23:
	s_wait_alu 0xfffe
	s_or_b32 exec_lo, exec_lo, s1
	v_mov_b32_dpp v9, v13 row_shr:4 row_mask:0xf bank_mask:0xf
	v_mov_b32_dpp v14, v10 row_shr:4 row_mask:0xf bank_mask:0xf
	s_mov_b32 s1, exec_lo
	v_cmpx_lt_u32_e32 3, v34
; %bb.24:
	s_delay_alu instid0(VALU_DEP_3) | instskip(SKIP_2) | instid1(VALU_DEP_2)
	v_add_co_u32 v13, vcc_lo, v11, v9
	s_wait_alu 0xfffd
	v_add_co_ci_u32_e64 v10, null, 0, v12, vcc_lo
	v_add_co_u32 v9, vcc_lo, 0, v13
	s_wait_alu 0xfffd
	s_delay_alu instid0(VALU_DEP_2) | instskip(NEXT) | instid1(VALU_DEP_1)
	v_add_co_ci_u32_e64 v10, null, v14, v10, vcc_lo
	v_dual_mov_b32 v12, v10 :: v_dual_mov_b32 v11, v9
; %bb.25:
	s_wait_alu 0xfffe
	s_or_b32 exec_lo, exec_lo, s1
	v_mov_b32_dpp v14, v13 row_shr:8 row_mask:0xf bank_mask:0xf
	v_mov_b32_dpp v9, v10 row_shr:8 row_mask:0xf bank_mask:0xf
	s_mov_b32 s1, exec_lo
	v_cmpx_lt_u32_e32 7, v34
; %bb.26:
	s_delay_alu instid0(VALU_DEP_3) | instskip(SKIP_2) | instid1(VALU_DEP_2)
	v_add_co_u32 v13, vcc_lo, v11, v14
	s_wait_alu 0xfffd
	v_add_co_ci_u32_e64 v10, null, 0, v12, vcc_lo
	v_add_co_u32 v11, vcc_lo, 0, v13
	s_wait_alu 0xfffd
	s_delay_alu instid0(VALU_DEP_2) | instskip(NEXT) | instid1(VALU_DEP_1)
	v_add_co_ci_u32_e64 v12, null, v9, v10, vcc_lo
	v_mov_b32_e32 v10, v12
; %bb.27:
	s_wait_alu 0xfffe
	s_or_b32 exec_lo, exec_lo, s1
	ds_swizzle_b32 v9, v13 offset:swizzle(BROADCAST,32,15)
	ds_swizzle_b32 v14, v10 offset:swizzle(BROADCAST,32,15)
	v_and_b32_e32 v15, 16, v33
	s_mov_b32 s1, exec_lo
	s_delay_alu instid0(VALU_DEP_1)
	v_cmpx_ne_u32_e32 0, v15
	s_cbranch_execz .LBB147_29
; %bb.28:
	s_wait_dscnt 0x1
	v_add_co_u32 v13, vcc_lo, v11, v9
	s_wait_alu 0xfffd
	v_add_co_ci_u32_e64 v10, null, 0, v12, vcc_lo
	s_delay_alu instid0(VALU_DEP_2) | instskip(SKIP_2) | instid1(VALU_DEP_2)
	v_add_co_u32 v9, vcc_lo, 0, v13
	s_wait_dscnt 0x0
	s_wait_alu 0xfffd
	v_add_co_ci_u32_e64 v10, null, v14, v10, vcc_lo
	s_delay_alu instid0(VALU_DEP_1)
	v_dual_mov_b32 v12, v10 :: v_dual_mov_b32 v11, v9
.LBB147_29:
	s_wait_alu 0xfffe
	s_or_b32 exec_lo, exec_lo, s1
	s_wait_dscnt 0x1
	v_or_b32_e32 v9, 31, v0
	s_mov_b32 s1, exec_lo
	s_delay_alu instid0(VALU_DEP_1)
	v_cmpx_eq_u32_e64 v0, v9
; %bb.30:
	v_lshlrev_b32_e32 v9, 3, v28
	ds_store_b64 v9, v[11:12]
; %bb.31:
	s_wait_alu 0xfffe
	s_or_b32 exec_lo, exec_lo, s1
	s_delay_alu instid0(SALU_CYCLE_1)
	s_mov_b32 s1, exec_lo
	s_wait_loadcnt_dscnt 0x0
	s_barrier_signal -1
	s_barrier_wait -1
	global_inv scope:SCOPE_SE
	v_cmpx_gt_u32_e32 8, v0
	s_cbranch_execz .LBB147_39
; %bb.32:
	v_lshlrev_b32_e32 v9, 3, v0
	s_mov_b32 s3, exec_lo
	ds_load_b64 v[11:12], v9
	s_wait_dscnt 0x0
	v_dual_mov_b32 v15, v11 :: v_dual_and_b32 v14, 7, v33
	v_mov_b32_dpp v21, v11 row_shr:1 row_mask:0xf bank_mask:0xf
	v_mov_b32_dpp v16, v12 row_shr:1 row_mask:0xf bank_mask:0xf
	s_delay_alu instid0(VALU_DEP_3)
	v_cmpx_ne_u32_e32 0, v14
; %bb.33:
	s_delay_alu instid0(VALU_DEP_3) | instskip(SKIP_2) | instid1(VALU_DEP_2)
	v_add_co_u32 v15, vcc_lo, v11, v21
	s_wait_alu 0xfffd
	v_add_co_ci_u32_e64 v12, null, 0, v12, vcc_lo
	v_add_co_u32 v11, vcc_lo, 0, v15
	s_wait_alu 0xfffd
	s_delay_alu instid0(VALU_DEP_2)
	v_add_co_ci_u32_e64 v12, null, v16, v12, vcc_lo
; %bb.34:
	s_wait_alu 0xfffe
	s_or_b32 exec_lo, exec_lo, s3
	v_mov_b32_dpp v21, v15 row_shr:2 row_mask:0xf bank_mask:0xf
	s_delay_alu instid0(VALU_DEP_2)
	v_mov_b32_dpp v16, v12 row_shr:2 row_mask:0xf bank_mask:0xf
	s_mov_b32 s3, exec_lo
	v_cmpx_lt_u32_e32 1, v14
; %bb.35:
	s_delay_alu instid0(VALU_DEP_3) | instskip(SKIP_2) | instid1(VALU_DEP_2)
	v_add_co_u32 v15, vcc_lo, v11, v21
	s_wait_alu 0xfffd
	v_add_co_ci_u32_e64 v12, null, 0, v12, vcc_lo
	v_add_co_u32 v11, vcc_lo, 0, v15
	s_wait_alu 0xfffd
	s_delay_alu instid0(VALU_DEP_2)
	v_add_co_ci_u32_e64 v12, null, v16, v12, vcc_lo
; %bb.36:
	s_wait_alu 0xfffe
	s_or_b32 exec_lo, exec_lo, s3
	v_mov_b32_dpp v16, v15 row_shr:4 row_mask:0xf bank_mask:0xf
	s_delay_alu instid0(VALU_DEP_2)
	v_mov_b32_dpp v15, v12 row_shr:4 row_mask:0xf bank_mask:0xf
	s_mov_b32 s3, exec_lo
	v_cmpx_lt_u32_e32 3, v14
; %bb.37:
	s_delay_alu instid0(VALU_DEP_3) | instskip(SKIP_2) | instid1(VALU_DEP_2)
	v_add_co_u32 v11, vcc_lo, v11, v16
	s_wait_alu 0xfffd
	v_add_co_ci_u32_e64 v12, null, 0, v12, vcc_lo
	v_add_co_u32 v11, vcc_lo, v11, 0
	s_wait_alu 0xfffd
	s_delay_alu instid0(VALU_DEP_2)
	v_add_co_ci_u32_e64 v12, null, v12, v15, vcc_lo
; %bb.38:
	s_wait_alu 0xfffe
	s_or_b32 exec_lo, exec_lo, s3
	ds_store_b64 v9, v[11:12]
.LBB147_39:
	s_wait_alu 0xfffe
	s_or_b32 exec_lo, exec_lo, s1
	s_delay_alu instid0(SALU_CYCLE_1)
	s_mov_b32 s3, exec_lo
	v_cmp_gt_u32_e32 vcc_lo, 32, v0
	s_wait_loadcnt_dscnt 0x0
	s_barrier_signal -1
	s_barrier_wait -1
	global_inv scope:SCOPE_SE
                                        ; implicit-def: $vgpr21_vgpr22
	v_cmpx_lt_u32_e32 31, v0
	s_cbranch_execz .LBB147_41
; %bb.40:
	v_lshl_add_u32 v9, v28, 3, -8
	ds_load_b64 v[21:22], v9
	s_wait_dscnt 0x0
	v_add_co_u32 v13, s1, v13, v21
	s_wait_alu 0xf1ff
	v_add_co_ci_u32_e64 v10, null, v10, v22, s1
.LBB147_41:
	s_wait_alu 0xfffe
	s_or_b32 exec_lo, exec_lo, s3
	v_sub_co_u32 v9, s1, v33, 1
	s_delay_alu instid0(VALU_DEP_1) | instskip(SKIP_1) | instid1(VALU_DEP_1)
	v_cmp_gt_i32_e64 s3, 0, v9
	s_wait_alu 0xf1ff
	v_cndmask_b32_e64 v9, v9, v33, s3
	s_delay_alu instid0(VALU_DEP_1)
	v_lshlrev_b32_e32 v9, 2, v9
	ds_bpermute_b32 v35, v9, v13
	ds_bpermute_b32 v36, v9, v10
	s_and_saveexec_b32 s3, vcc_lo
	s_cbranch_execz .LBB147_80
; %bb.42:
	v_mov_b32_e32 v12, 0
	ds_load_b64 v[9:10], v12 offset:56
	s_and_saveexec_b32 s6, s1
	s_cbranch_execz .LBB147_44
; %bb.43:
	s_add_co_i32 s8, s21, 32
	s_mov_b32 s9, 0
	s_wait_alu 0xfffe
	s_lshl_b64 s[8:9], s[8:9], 4
	s_wait_alu 0xfffe
	s_add_nc_u64 s[8:9], s[14:15], s[8:9]
	s_wait_alu 0xfffe
	v_dual_mov_b32 v11, 1 :: v_dual_mov_b32 v14, s9
	v_mov_b32_e32 v13, s8
	s_wait_dscnt 0x0
	;;#ASMSTART
	global_store_b128 v[13:14], v[9:12] off scope:SCOPE_DEV	
s_wait_storecnt 0x0
	;;#ASMEND
.LBB147_44:
	s_or_b32 exec_lo, exec_lo, s6
	v_xad_u32 v23, v33, -1, s21
	s_mov_b32 s6, exec_lo
	s_delay_alu instid0(VALU_DEP_1) | instskip(NEXT) | instid1(VALU_DEP_1)
	v_add_nc_u32_e32 v11, 32, v23
	v_lshlrev_b64_e32 v[11:12], 4, v[11:12]
	s_delay_alu instid0(VALU_DEP_1) | instskip(SKIP_1) | instid1(VALU_DEP_2)
	v_add_co_u32 v11, vcc_lo, s14, v11
	s_wait_alu 0xfffd
	v_add_co_ci_u32_e64 v12, null, s15, v12, vcc_lo
	;;#ASMSTART
	global_load_b128 v[13:16], v[11:12] off scope:SCOPE_DEV	
s_wait_loadcnt 0x0
	;;#ASMEND
	v_and_b32_e32 v16, 0xff, v15
	s_delay_alu instid0(VALU_DEP_1)
	v_cmpx_eq_u16_e32 0, v16
	s_cbranch_execz .LBB147_47
.LBB147_45:                             ; =>This Inner Loop Header: Depth=1
	;;#ASMSTART
	global_load_b128 v[13:16], v[11:12] off scope:SCOPE_DEV	
s_wait_loadcnt 0x0
	;;#ASMEND
	v_and_b32_e32 v16, 0xff, v15
	s_delay_alu instid0(VALU_DEP_1) | instskip(SKIP_1) | instid1(SALU_CYCLE_1)
	v_cmp_ne_u16_e32 vcc_lo, 0, v16
	s_or_b32 s7, vcc_lo, s7
	s_and_not1_b32 exec_lo, exec_lo, s7
	s_cbranch_execnz .LBB147_45
; %bb.46:
	s_or_b32 exec_lo, exec_lo, s7
.LBB147_47:
	s_delay_alu instid0(SALU_CYCLE_1)
	s_or_b32 exec_lo, exec_lo, s6
	v_cmp_ne_u32_e32 vcc_lo, 31, v33
	v_and_b32_e32 v12, 0xff, v15
	v_lshlrev_b32_e64 v38, v33, -1
	s_mov_b32 s6, exec_lo
	s_wait_alu 0xfffd
	v_add_co_ci_u32_e64 v11, null, 0, v33, vcc_lo
	v_cmp_eq_u16_e32 vcc_lo, 2, v12
	s_delay_alu instid0(VALU_DEP_2)
	v_dual_mov_b32 v12, v13 :: v_dual_lshlrev_b32 v37, 2, v11
	s_wait_alu 0xfffd
	v_and_or_b32 v11, vcc_lo, v38, 0x80000000
	ds_bpermute_b32 v24, v37, v13
	ds_bpermute_b32 v16, v37, v14
	v_ctz_i32_b32_e32 v11, v11
	s_delay_alu instid0(VALU_DEP_1)
	v_cmpx_lt_u32_e64 v33, v11
	s_cbranch_execz .LBB147_49
; %bb.48:
	s_wait_dscnt 0x1
	v_add_co_u32 v12, vcc_lo, v13, v24
	s_wait_alu 0xfffd
	v_add_co_ci_u32_e64 v14, null, 0, v14, vcc_lo
	s_delay_alu instid0(VALU_DEP_2) | instskip(SKIP_2) | instid1(VALU_DEP_2)
	v_add_co_u32 v13, vcc_lo, 0, v12
	s_wait_dscnt 0x0
	s_wait_alu 0xfffd
	v_add_co_ci_u32_e64 v14, null, v16, v14, vcc_lo
.LBB147_49:
	s_or_b32 exec_lo, exec_lo, s6
	v_cmp_gt_u32_e32 vcc_lo, 30, v33
	v_add_nc_u32_e32 v40, 2, v33
	s_mov_b32 s6, exec_lo
	s_wait_dscnt 0x0
	s_wait_alu 0xfffd
	v_cndmask_b32_e64 v16, 0, 2, vcc_lo
	s_delay_alu instid0(VALU_DEP_1)
	v_add_lshl_u32 v39, v16, v33, 2
	ds_bpermute_b32 v24, v39, v12
	ds_bpermute_b32 v16, v39, v14
	v_cmpx_le_u32_e64 v40, v11
	s_cbranch_execz .LBB147_51
; %bb.50:
	s_wait_dscnt 0x1
	v_add_co_u32 v12, vcc_lo, v13, v24
	s_wait_alu 0xfffd
	v_add_co_ci_u32_e64 v14, null, 0, v14, vcc_lo
	s_delay_alu instid0(VALU_DEP_2) | instskip(SKIP_2) | instid1(VALU_DEP_2)
	v_add_co_u32 v13, vcc_lo, 0, v12
	s_wait_dscnt 0x0
	s_wait_alu 0xfffd
	v_add_co_ci_u32_e64 v14, null, v16, v14, vcc_lo
.LBB147_51:
	s_or_b32 exec_lo, exec_lo, s6
	v_cmp_gt_u32_e32 vcc_lo, 28, v33
	v_add_nc_u32_e32 v42, 4, v33
	s_mov_b32 s6, exec_lo
	s_wait_dscnt 0x0
	s_wait_alu 0xfffd
	v_cndmask_b32_e64 v16, 0, 4, vcc_lo
	s_delay_alu instid0(VALU_DEP_1)
	v_add_lshl_u32 v41, v16, v33, 2
	ds_bpermute_b32 v24, v41, v12
	ds_bpermute_b32 v16, v41, v14
	v_cmpx_le_u32_e64 v42, v11
	;; [unrolled: 24-line block ×3, first 2 shown]
	s_cbranch_execz .LBB147_55
; %bb.54:
	s_wait_dscnt 0x1
	v_add_co_u32 v12, vcc_lo, v13, v24
	s_wait_alu 0xfffd
	v_add_co_ci_u32_e64 v14, null, 0, v14, vcc_lo
	s_delay_alu instid0(VALU_DEP_2) | instskip(SKIP_2) | instid1(VALU_DEP_2)
	v_add_co_u32 v13, vcc_lo, 0, v12
	s_wait_dscnt 0x0
	s_wait_alu 0xfffd
	v_add_co_ci_u32_e64 v14, null, v16, v14, vcc_lo
.LBB147_55:
	s_or_b32 exec_lo, exec_lo, s6
	v_lshl_or_b32 v45, v33, 2, 64
	v_add_nc_u32_e32 v46, 16, v33
	s_mov_b32 s6, exec_lo
	s_wait_dscnt 0x0
	ds_bpermute_b32 v16, v45, v12
	ds_bpermute_b32 v12, v45, v14
	v_cmpx_le_u32_e64 v46, v11
	s_cbranch_execz .LBB147_57
; %bb.56:
	s_wait_dscnt 0x1
	v_add_co_u32 v11, vcc_lo, v13, v16
	s_wait_alu 0xfffd
	v_add_co_ci_u32_e64 v14, null, 0, v14, vcc_lo
	s_delay_alu instid0(VALU_DEP_2) | instskip(SKIP_2) | instid1(VALU_DEP_2)
	v_add_co_u32 v13, vcc_lo, v11, 0
	s_wait_dscnt 0x0
	s_wait_alu 0xfffd
	v_add_co_ci_u32_e64 v14, null, v14, v12, vcc_lo
.LBB147_57:
	s_or_b32 exec_lo, exec_lo, s6
	v_mov_b32_e32 v24, 0
	s_branch .LBB147_60
.LBB147_58:                             ;   in Loop: Header=BB147_60 Depth=1
	s_or_b32 exec_lo, exec_lo, s6
	v_add_co_u32 v13, vcc_lo, v13, v11
	v_subrev_nc_u32_e32 v23, 32, v23
	s_wait_alu 0xfffd
	v_add_co_ci_u32_e64 v14, null, v14, v12, vcc_lo
	s_mov_b32 s6, 0
.LBB147_59:                             ;   in Loop: Header=BB147_60 Depth=1
	s_delay_alu instid0(SALU_CYCLE_1)
	s_and_b32 vcc_lo, exec_lo, s6
	s_wait_alu 0xfffe
	s_cbranch_vccnz .LBB147_76
.LBB147_60:                             ; =>This Loop Header: Depth=1
                                        ;     Child Loop BB147_63 Depth 2
	v_and_b32_e32 v11, 0xff, v15
	s_mov_b32 s6, -1
	s_delay_alu instid0(VALU_DEP_1)
	v_cmp_ne_u16_e32 vcc_lo, 2, v11
	s_wait_dscnt 0x0
	v_dual_mov_b32 v11, v13 :: v_dual_mov_b32 v12, v14
                                        ; implicit-def: $vgpr13_vgpr14
	s_cmp_lg_u32 vcc_lo, exec_lo
	s_cbranch_scc1 .LBB147_59
; %bb.61:                               ;   in Loop: Header=BB147_60 Depth=1
	v_lshlrev_b64_e32 v[13:14], 4, v[23:24]
	s_mov_b32 s6, exec_lo
	s_delay_alu instid0(VALU_DEP_1) | instskip(SKIP_1) | instid1(VALU_DEP_2)
	v_add_co_u32 v25, vcc_lo, s14, v13
	s_wait_alu 0xfffd
	v_add_co_ci_u32_e64 v26, null, s15, v14, vcc_lo
	;;#ASMSTART
	global_load_b128 v[13:16], v[25:26] off scope:SCOPE_DEV	
s_wait_loadcnt 0x0
	;;#ASMEND
	v_and_b32_e32 v16, 0xff, v15
	s_delay_alu instid0(VALU_DEP_1)
	v_cmpx_eq_u16_e32 0, v16
	s_cbranch_execz .LBB147_65
; %bb.62:                               ;   in Loop: Header=BB147_60 Depth=1
	s_mov_b32 s7, 0
.LBB147_63:                             ;   Parent Loop BB147_60 Depth=1
                                        ; =>  This Inner Loop Header: Depth=2
	;;#ASMSTART
	global_load_b128 v[13:16], v[25:26] off scope:SCOPE_DEV	
s_wait_loadcnt 0x0
	;;#ASMEND
	v_and_b32_e32 v16, 0xff, v15
	s_delay_alu instid0(VALU_DEP_1) | instskip(SKIP_1) | instid1(SALU_CYCLE_1)
	v_cmp_ne_u16_e32 vcc_lo, 0, v16
	s_or_b32 s7, vcc_lo, s7
	s_and_not1_b32 exec_lo, exec_lo, s7
	s_cbranch_execnz .LBB147_63
; %bb.64:                               ;   in Loop: Header=BB147_60 Depth=1
	s_or_b32 exec_lo, exec_lo, s7
.LBB147_65:                             ;   in Loop: Header=BB147_60 Depth=1
	s_delay_alu instid0(SALU_CYCLE_1)
	s_or_b32 exec_lo, exec_lo, s6
	v_dual_mov_b32 v25, v13 :: v_dual_and_b32 v16, 0xff, v15
	ds_bpermute_b32 v47, v37, v13
	ds_bpermute_b32 v26, v37, v14
	s_mov_b32 s6, exec_lo
	v_cmp_eq_u16_e32 vcc_lo, 2, v16
	s_wait_alu 0xfffd
	v_and_or_b32 v16, vcc_lo, v38, 0x80000000
	s_delay_alu instid0(VALU_DEP_1) | instskip(NEXT) | instid1(VALU_DEP_1)
	v_ctz_i32_b32_e32 v16, v16
	v_cmpx_lt_u32_e64 v33, v16
	s_cbranch_execz .LBB147_67
; %bb.66:                               ;   in Loop: Header=BB147_60 Depth=1
	s_wait_dscnt 0x1
	v_add_co_u32 v25, vcc_lo, v13, v47
	s_wait_alu 0xfffd
	v_add_co_ci_u32_e64 v14, null, 0, v14, vcc_lo
	s_delay_alu instid0(VALU_DEP_2) | instskip(SKIP_2) | instid1(VALU_DEP_2)
	v_add_co_u32 v13, vcc_lo, 0, v25
	s_wait_dscnt 0x0
	s_wait_alu 0xfffd
	v_add_co_ci_u32_e64 v14, null, v26, v14, vcc_lo
.LBB147_67:                             ;   in Loop: Header=BB147_60 Depth=1
	s_or_b32 exec_lo, exec_lo, s6
	s_wait_dscnt 0x1
	ds_bpermute_b32 v47, v39, v25
	s_wait_dscnt 0x1
	ds_bpermute_b32 v26, v39, v14
	s_mov_b32 s6, exec_lo
	v_cmpx_le_u32_e64 v40, v16
	s_cbranch_execz .LBB147_69
; %bb.68:                               ;   in Loop: Header=BB147_60 Depth=1
	s_wait_dscnt 0x1
	v_add_co_u32 v25, vcc_lo, v13, v47
	s_wait_alu 0xfffd
	v_add_co_ci_u32_e64 v14, null, 0, v14, vcc_lo
	s_delay_alu instid0(VALU_DEP_2) | instskip(SKIP_2) | instid1(VALU_DEP_2)
	v_add_co_u32 v13, vcc_lo, 0, v25
	s_wait_dscnt 0x0
	s_wait_alu 0xfffd
	v_add_co_ci_u32_e64 v14, null, v26, v14, vcc_lo
.LBB147_69:                             ;   in Loop: Header=BB147_60 Depth=1
	s_or_b32 exec_lo, exec_lo, s6
	s_wait_dscnt 0x1
	ds_bpermute_b32 v47, v41, v25
	s_wait_dscnt 0x1
	ds_bpermute_b32 v26, v41, v14
	s_mov_b32 s6, exec_lo
	v_cmpx_le_u32_e64 v42, v16
	;; [unrolled: 19-line block ×3, first 2 shown]
	s_cbranch_execz .LBB147_73
; %bb.72:                               ;   in Loop: Header=BB147_60 Depth=1
	s_wait_dscnt 0x1
	v_add_co_u32 v25, vcc_lo, v13, v47
	s_wait_alu 0xfffd
	v_add_co_ci_u32_e64 v14, null, 0, v14, vcc_lo
	s_delay_alu instid0(VALU_DEP_2) | instskip(SKIP_2) | instid1(VALU_DEP_2)
	v_add_co_u32 v13, vcc_lo, 0, v25
	s_wait_dscnt 0x0
	s_wait_alu 0xfffd
	v_add_co_ci_u32_e64 v14, null, v26, v14, vcc_lo
.LBB147_73:                             ;   in Loop: Header=BB147_60 Depth=1
	s_or_b32 exec_lo, exec_lo, s6
	s_wait_dscnt 0x0
	ds_bpermute_b32 v26, v45, v25
	ds_bpermute_b32 v25, v45, v14
	s_mov_b32 s6, exec_lo
	v_cmpx_le_u32_e64 v46, v16
	s_cbranch_execz .LBB147_58
; %bb.74:                               ;   in Loop: Header=BB147_60 Depth=1
	s_wait_dscnt 0x1
	v_add_co_u32 v13, vcc_lo, v13, v26
	s_wait_alu 0xfffd
	v_add_co_ci_u32_e64 v14, null, 0, v14, vcc_lo
	s_delay_alu instid0(VALU_DEP_2) | instskip(SKIP_2) | instid1(VALU_DEP_2)
	v_add_co_u32 v13, vcc_lo, v13, 0
	s_wait_dscnt 0x0
	s_wait_alu 0xfffd
	v_add_co_ci_u32_e64 v14, null, v14, v25, vcc_lo
	s_branch .LBB147_58
.LBB147_75:
                                        ; implicit-def: $vgpr15_vgpr16
                                        ; implicit-def: $vgpr13_vgpr14
                                        ; implicit-def: $vgpr21_vgpr22
                                        ; implicit-def: $vgpr23_vgpr24
                                        ; implicit-def: $vgpr11_vgpr12
	s_wait_alu 0xfffe
	s_and_b32 vcc_lo, exec_lo, s1
	s_wait_alu 0xfffe
	s_cbranch_vccnz .LBB147_81
	s_branch .LBB147_106
.LBB147_76:
	s_and_saveexec_b32 s6, s1
	s_cbranch_execz .LBB147_78
; %bb.77:
	s_add_co_i32 s8, s21, 32
	s_mov_b32 s9, 0
	v_add_co_u32 v13, vcc_lo, v11, v9
	s_wait_alu 0xfffe
	s_lshl_b64 s[8:9], s[8:9], 4
	v_dual_mov_b32 v15, 2 :: v_dual_mov_b32 v16, 0
	s_wait_alu 0xfffe
	s_add_nc_u64 s[8:9], s[14:15], s[8:9]
	s_wait_alu 0xfffd
	v_add_co_ci_u32_e64 v14, null, v12, v10, vcc_lo
	s_wait_alu 0xfffe
	v_dual_mov_b32 v24, s9 :: v_dual_mov_b32 v23, s8
	;;#ASMSTART
	global_store_b128 v[23:24], v[13:16] off scope:SCOPE_DEV	
s_wait_storecnt 0x0
	;;#ASMEND
	ds_store_b128 v16, v[9:12] offset:8448
.LBB147_78:
	s_or_b32 exec_lo, exec_lo, s6
	s_delay_alu instid0(SALU_CYCLE_1)
	s_and_b32 exec_lo, exec_lo, s2
; %bb.79:
	v_mov_b32_e32 v9, 0
	ds_store_b64 v9, v[11:12] offset:56
.LBB147_80:
	s_wait_alu 0xfffe
	s_or_b32 exec_lo, exec_lo, s3
	v_mov_b32_e32 v9, 0
	s_wait_loadcnt_dscnt 0x0
	s_barrier_signal -1
	s_barrier_wait -1
	global_inv scope:SCOPE_SE
	ds_load_b64 v[13:14], v9 offset:56
	v_cndmask_b32_e64 v11, v35, v21, s1
	v_cndmask_b32_e64 v10, v36, v22, s1
	s_wait_loadcnt_dscnt 0x0
	s_barrier_signal -1
	s_barrier_wait -1
	v_cndmask_b32_e64 v16, v11, 0, s2
	v_cndmask_b32_e64 v15, v10, 0, s2
	global_inv scope:SCOPE_SE
	ds_load_b128 v[9:12], v9 offset:8448
	v_add_co_u32 v23, vcc_lo, v13, v16
	s_wait_alu 0xfffd
	v_add_co_ci_u32_e64 v24, null, v14, v15, vcc_lo
	s_delay_alu instid0(VALU_DEP_2) | instskip(SKIP_1) | instid1(VALU_DEP_2)
	v_add_co_u32 v21, vcc_lo, v23, v32
	s_wait_alu 0xfffd
	v_add_co_ci_u32_e64 v22, null, 0, v24, vcc_lo
	s_delay_alu instid0(VALU_DEP_2) | instskip(SKIP_1) | instid1(VALU_DEP_2)
	;; [unrolled: 4-line block ×3, first 2 shown]
	v_add_co_u32 v15, vcc_lo, v13, v30
	s_wait_alu 0xfffd
	v_add_co_ci_u32_e64 v16, null, 0, v14, vcc_lo
	s_branch .LBB147_106
.LBB147_81:
	s_wait_dscnt 0x0
	v_dual_mov_b32 v10, 0 :: v_dual_mov_b32 v11, v19
	v_mov_b32_dpp v12, v19 row_shr:1 row_mask:0xf bank_mask:0xf
	s_delay_alu instid0(VALU_DEP_2)
	v_mov_b32_dpp v9, v10 row_shr:1 row_mask:0xf bank_mask:0xf
	s_and_saveexec_b32 s1, s0
; %bb.82:
	s_delay_alu instid0(VALU_DEP_2) | instskip(SKIP_2) | instid1(VALU_DEP_2)
	v_add_co_u32 v11, vcc_lo, v19, v12
	s_wait_alu 0xfffd
	v_add_co_ci_u32_e64 v10, null, 0, v20, vcc_lo
	v_add_co_u32 v19, vcc_lo, 0, v11
	s_wait_alu 0xfffd
	s_delay_alu instid0(VALU_DEP_2) | instskip(NEXT) | instid1(VALU_DEP_1)
	v_add_co_ci_u32_e64 v20, null, v9, v10, vcc_lo
	v_mov_b32_e32 v10, v20
; %bb.83:
	s_wait_alu 0xfffe
	s_or_b32 exec_lo, exec_lo, s1
	v_mov_b32_dpp v9, v11 row_shr:2 row_mask:0xf bank_mask:0xf
	s_delay_alu instid0(VALU_DEP_2)
	v_mov_b32_dpp v12, v10 row_shr:2 row_mask:0xf bank_mask:0xf
	s_mov_b32 s0, exec_lo
	v_cmpx_lt_u32_e32 1, v34
; %bb.84:
	s_delay_alu instid0(VALU_DEP_3) | instskip(SKIP_2) | instid1(VALU_DEP_2)
	v_add_co_u32 v11, vcc_lo, v19, v9
	s_wait_alu 0xfffd
	v_add_co_ci_u32_e64 v10, null, 0, v20, vcc_lo
	v_add_co_u32 v9, vcc_lo, 0, v11
	s_wait_alu 0xfffd
	s_delay_alu instid0(VALU_DEP_2) | instskip(NEXT) | instid1(VALU_DEP_1)
	v_add_co_ci_u32_e64 v10, null, v12, v10, vcc_lo
	v_dual_mov_b32 v20, v10 :: v_dual_mov_b32 v19, v9
; %bb.85:
	s_wait_alu 0xfffe
	s_or_b32 exec_lo, exec_lo, s0
	v_mov_b32_dpp v9, v11 row_shr:4 row_mask:0xf bank_mask:0xf
	v_mov_b32_dpp v12, v10 row_shr:4 row_mask:0xf bank_mask:0xf
	s_mov_b32 s0, exec_lo
	v_cmpx_lt_u32_e32 3, v34
; %bb.86:
	s_delay_alu instid0(VALU_DEP_3) | instskip(SKIP_2) | instid1(VALU_DEP_2)
	v_add_co_u32 v11, vcc_lo, v19, v9
	s_wait_alu 0xfffd
	v_add_co_ci_u32_e64 v10, null, 0, v20, vcc_lo
	v_add_co_u32 v9, vcc_lo, 0, v11
	s_wait_alu 0xfffd
	s_delay_alu instid0(VALU_DEP_2) | instskip(NEXT) | instid1(VALU_DEP_1)
	v_add_co_ci_u32_e64 v10, null, v12, v10, vcc_lo
	v_dual_mov_b32 v20, v10 :: v_dual_mov_b32 v19, v9
; %bb.87:
	s_wait_alu 0xfffe
	s_or_b32 exec_lo, exec_lo, s0
	v_mov_b32_dpp v12, v11 row_shr:8 row_mask:0xf bank_mask:0xf
	v_mov_b32_dpp v9, v10 row_shr:8 row_mask:0xf bank_mask:0xf
	s_mov_b32 s0, exec_lo
	v_cmpx_lt_u32_e32 7, v34
; %bb.88:
	s_delay_alu instid0(VALU_DEP_3) | instskip(SKIP_2) | instid1(VALU_DEP_2)
	v_add_co_u32 v11, vcc_lo, v19, v12
	s_wait_alu 0xfffd
	v_add_co_ci_u32_e64 v10, null, 0, v20, vcc_lo
	v_add_co_u32 v19, vcc_lo, 0, v11
	s_wait_alu 0xfffd
	s_delay_alu instid0(VALU_DEP_2) | instskip(NEXT) | instid1(VALU_DEP_1)
	v_add_co_ci_u32_e64 v20, null, v9, v10, vcc_lo
	v_mov_b32_e32 v10, v20
; %bb.89:
	s_wait_alu 0xfffe
	s_or_b32 exec_lo, exec_lo, s0
	ds_swizzle_b32 v11, v11 offset:swizzle(BROADCAST,32,15)
	ds_swizzle_b32 v9, v10 offset:swizzle(BROADCAST,32,15)
	v_and_b32_e32 v10, 16, v33
	s_mov_b32 s0, exec_lo
	s_delay_alu instid0(VALU_DEP_1)
	v_cmpx_ne_u32_e32 0, v10
	s_cbranch_execz .LBB147_91
; %bb.90:
	s_wait_dscnt 0x1
	v_add_co_u32 v10, vcc_lo, v19, v11
	s_wait_alu 0xfffd
	v_add_co_ci_u32_e64 v11, null, 0, v20, vcc_lo
	s_delay_alu instid0(VALU_DEP_2) | instskip(SKIP_2) | instid1(VALU_DEP_2)
	v_add_co_u32 v19, vcc_lo, v10, 0
	s_wait_dscnt 0x0
	s_wait_alu 0xfffd
	v_add_co_ci_u32_e64 v20, null, v11, v9, vcc_lo
.LBB147_91:
	s_wait_alu 0xfffe
	s_or_b32 exec_lo, exec_lo, s0
	s_wait_dscnt 0x0
	v_or_b32_e32 v9, 31, v0
	s_mov_b32 s0, exec_lo
	s_delay_alu instid0(VALU_DEP_1)
	v_cmpx_eq_u32_e64 v0, v9
; %bb.92:
	v_lshlrev_b32_e32 v9, 3, v28
	ds_store_b64 v9, v[19:20]
; %bb.93:
	s_wait_alu 0xfffe
	s_or_b32 exec_lo, exec_lo, s0
	s_delay_alu instid0(SALU_CYCLE_1)
	s_mov_b32 s0, exec_lo
	s_wait_loadcnt_dscnt 0x0
	s_barrier_signal -1
	s_barrier_wait -1
	global_inv scope:SCOPE_SE
	v_cmpx_gt_u32_e32 8, v0
	s_cbranch_execz .LBB147_101
; %bb.94:
	v_lshlrev_b32_e32 v11, 3, v0
	s_mov_b32 s1, exec_lo
	ds_load_b64 v[9:10], v11
	s_wait_dscnt 0x0
	v_dual_mov_b32 v13, v9 :: v_dual_and_b32 v12, 7, v33
	v_mov_b32_dpp v15, v9 row_shr:1 row_mask:0xf bank_mask:0xf
	v_mov_b32_dpp v14, v10 row_shr:1 row_mask:0xf bank_mask:0xf
	s_delay_alu instid0(VALU_DEP_3)
	v_cmpx_ne_u32_e32 0, v12
; %bb.95:
	s_delay_alu instid0(VALU_DEP_3) | instskip(SKIP_2) | instid1(VALU_DEP_2)
	v_add_co_u32 v13, vcc_lo, v9, v15
	s_wait_alu 0xfffd
	v_add_co_ci_u32_e64 v10, null, 0, v10, vcc_lo
	v_add_co_u32 v9, vcc_lo, 0, v13
	s_wait_alu 0xfffd
	s_delay_alu instid0(VALU_DEP_2)
	v_add_co_ci_u32_e64 v10, null, v14, v10, vcc_lo
; %bb.96:
	s_wait_alu 0xfffe
	s_or_b32 exec_lo, exec_lo, s1
	v_mov_b32_dpp v15, v13 row_shr:2 row_mask:0xf bank_mask:0xf
	s_delay_alu instid0(VALU_DEP_2)
	v_mov_b32_dpp v14, v10 row_shr:2 row_mask:0xf bank_mask:0xf
	s_mov_b32 s1, exec_lo
	v_cmpx_lt_u32_e32 1, v12
; %bb.97:
	s_delay_alu instid0(VALU_DEP_3) | instskip(SKIP_2) | instid1(VALU_DEP_2)
	v_add_co_u32 v13, vcc_lo, v9, v15
	s_wait_alu 0xfffd
	v_add_co_ci_u32_e64 v10, null, 0, v10, vcc_lo
	v_add_co_u32 v9, vcc_lo, 0, v13
	s_wait_alu 0xfffd
	s_delay_alu instid0(VALU_DEP_2)
	v_add_co_ci_u32_e64 v10, null, v14, v10, vcc_lo
; %bb.98:
	s_wait_alu 0xfffe
	s_or_b32 exec_lo, exec_lo, s1
	v_mov_b32_dpp v14, v13 row_shr:4 row_mask:0xf bank_mask:0xf
	s_delay_alu instid0(VALU_DEP_2)
	v_mov_b32_dpp v13, v10 row_shr:4 row_mask:0xf bank_mask:0xf
	s_mov_b32 s1, exec_lo
	v_cmpx_lt_u32_e32 3, v12
; %bb.99:
	s_delay_alu instid0(VALU_DEP_3) | instskip(SKIP_2) | instid1(VALU_DEP_2)
	v_add_co_u32 v9, vcc_lo, v9, v14
	s_wait_alu 0xfffd
	v_add_co_ci_u32_e64 v10, null, 0, v10, vcc_lo
	v_add_co_u32 v9, vcc_lo, v9, 0
	s_wait_alu 0xfffd
	s_delay_alu instid0(VALU_DEP_2)
	v_add_co_ci_u32_e64 v10, null, v10, v13, vcc_lo
; %bb.100:
	s_wait_alu 0xfffe
	s_or_b32 exec_lo, exec_lo, s1
	ds_store_b64 v11, v[9:10]
.LBB147_101:
	s_wait_alu 0xfffe
	s_or_b32 exec_lo, exec_lo, s0
	v_mov_b32_e32 v13, 0
	v_mov_b32_e32 v14, 0
	s_mov_b32 s0, exec_lo
	s_wait_loadcnt_dscnt 0x0
	s_barrier_signal -1
	s_barrier_wait -1
	global_inv scope:SCOPE_SE
	v_cmpx_lt_u32_e32 31, v0
; %bb.102:
	v_lshl_add_u32 v9, v28, 3, -8
	ds_load_b64 v[13:14], v9
; %bb.103:
	s_wait_alu 0xfffe
	s_or_b32 exec_lo, exec_lo, s0
	v_sub_co_u32 v9, vcc_lo, v33, 1
	v_mov_b32_e32 v12, 0
	s_delay_alu instid0(VALU_DEP_2) | instskip(SKIP_1) | instid1(VALU_DEP_1)
	v_cmp_gt_i32_e64 s0, 0, v9
	s_wait_alu 0xf1ff
	v_cndmask_b32_e64 v9, v9, v33, s0
	s_wait_dscnt 0x0
	v_add_co_u32 v10, s0, v13, v19
	s_wait_alu 0xf1ff
	v_add_co_ci_u32_e64 v11, null, v14, v20, s0
	v_lshlrev_b32_e32 v9, 2, v9
	ds_bpermute_b32 v15, v9, v10
	ds_bpermute_b32 v16, v9, v11
	ds_load_b64 v[9:10], v12 offset:56
	s_and_saveexec_b32 s0, s2
	s_cbranch_execz .LBB147_105
; %bb.104:
	s_add_nc_u64 s[6:7], s[14:15], 0x200
	s_delay_alu instid0(SALU_CYCLE_1)
	v_dual_mov_b32 v11, 2 :: v_dual_mov_b32 v20, s7
	v_mov_b32_e32 v19, s6
	s_wait_dscnt 0x0
	;;#ASMSTART
	global_store_b128 v[19:20], v[9:12] off scope:SCOPE_DEV	
s_wait_storecnt 0x0
	;;#ASMEND
.LBB147_105:
	s_wait_alu 0xfffe
	s_or_b32 exec_lo, exec_lo, s0
	s_wait_dscnt 0x1
	s_wait_alu 0xfffd
	v_dual_cndmask_b32 v11, v15, v13 :: v_dual_cndmask_b32 v12, v16, v14
	s_wait_loadcnt_dscnt 0x0
	s_barrier_signal -1
	s_barrier_wait -1
	s_delay_alu instid0(VALU_DEP_1)
	v_cndmask_b32_e64 v23, v11, 0, s2
	v_cndmask_b32_e64 v24, v12, 0, s2
	v_mov_b32_e32 v11, 0
	v_mov_b32_e32 v12, 0
	global_inv scope:SCOPE_SE
	v_add_co_u32 v21, vcc_lo, v23, v32
	s_wait_alu 0xfffd
	v_add_co_ci_u32_e64 v22, null, 0, v24, vcc_lo
	s_delay_alu instid0(VALU_DEP_2) | instskip(SKIP_1) | instid1(VALU_DEP_2)
	v_add_co_u32 v13, vcc_lo, v21, v31
	s_wait_alu 0xfffd
	v_add_co_ci_u32_e64 v14, null, 0, v22, vcc_lo
	s_delay_alu instid0(VALU_DEP_2) | instskip(SKIP_1) | instid1(VALU_DEP_2)
	v_add_co_u32 v15, vcc_lo, v13, v30
	s_wait_alu 0xfffd
	v_add_co_ci_u32_e64 v16, null, 0, v14, vcc_lo
.LBB147_106:
	v_and_b32_e32 v28, 1, v29
	s_wait_dscnt 0x0
	v_cmp_gt_u64_e32 vcc_lo, 0x101, v[9:10]
	v_lshrrev_b32_e32 v25, 16, v29
	v_lshrrev_b32_e32 v26, 8, v29
	s_mov_b32 s1, -1
	v_cmp_eq_u32_e64 s0, 1, v28
	s_cbranch_vccnz .LBB147_110
; %bb.107:
	s_wait_alu 0xfffe
	s_and_b32 vcc_lo, exec_lo, s1
	s_wait_alu 0xfffe
	s_cbranch_vccnz .LBB147_119
.LBB147_108:
	s_and_b32 s0, s2, s19
	s_wait_alu 0xfffe
	s_and_saveexec_b32 s1, s0
	s_cbranch_execnz .LBB147_131
.LBB147_109:
	s_endpgm
.LBB147_110:
	v_add_co_u32 v19, vcc_lo, v11, v9
	s_wait_alu 0xfffd
	v_add_co_ci_u32_e64 v20, null, v12, v10, vcc_lo
	s_delay_alu instid0(VALU_DEP_1)
	v_cmp_lt_u64_e32 vcc_lo, v[23:24], v[19:20]
	s_or_b32 s1, s20, vcc_lo
	s_wait_alu 0xfffe
	s_and_b32 s1, s1, s0
	s_wait_alu 0xfffe
	s_and_saveexec_b32 s0, s1
	s_cbranch_execz .LBB147_112
; %bb.111:
	v_lshlrev_b64_e32 v[29:30], 3, v[17:18]
	v_lshlrev_b64_e32 v[31:32], 3, v[23:24]
	s_delay_alu instid0(VALU_DEP_2) | instskip(SKIP_1) | instid1(VALU_DEP_3)
	v_add_co_u32 v24, vcc_lo, s12, v29
	s_wait_alu 0xfffd
	v_add_co_ci_u32_e64 v30, null, s13, v30, vcc_lo
	s_delay_alu instid0(VALU_DEP_2) | instskip(SKIP_1) | instid1(VALU_DEP_2)
	v_add_co_u32 v29, vcc_lo, v24, v31
	s_wait_alu 0xfffd
	v_add_co_ci_u32_e64 v30, null, v30, v32, vcc_lo
	global_store_b64 v[29:30], v[5:6], off
.LBB147_112:
	s_wait_alu 0xfffe
	s_or_b32 exec_lo, exec_lo, s0
	v_and_b32_e32 v24, 1, v26
	v_cmp_lt_u64_e32 vcc_lo, v[21:22], v[19:20]
	s_delay_alu instid0(VALU_DEP_2)
	v_cmp_eq_u32_e64 s0, 1, v24
	s_or_b32 s1, s20, vcc_lo
	s_wait_alu 0xfffe
	s_and_b32 s1, s1, s0
	s_wait_alu 0xfffe
	s_and_saveexec_b32 s0, s1
	s_cbranch_execz .LBB147_114
; %bb.113:
	v_lshlrev_b64_e32 v[29:30], 3, v[17:18]
	v_lshlrev_b64_e32 v[31:32], 3, v[21:22]
	s_delay_alu instid0(VALU_DEP_2) | instskip(SKIP_1) | instid1(VALU_DEP_3)
	v_add_co_u32 v22, vcc_lo, s12, v29
	s_wait_alu 0xfffd
	v_add_co_ci_u32_e64 v24, null, s13, v30, vcc_lo
	s_delay_alu instid0(VALU_DEP_2) | instskip(SKIP_1) | instid1(VALU_DEP_2)
	v_add_co_u32 v29, vcc_lo, v22, v31
	s_wait_alu 0xfffd
	v_add_co_ci_u32_e64 v30, null, v24, v32, vcc_lo
	global_store_b64 v[29:30], v[7:8], off
.LBB147_114:
	s_wait_alu 0xfffe
	s_or_b32 exec_lo, exec_lo, s0
	v_and_b32_e32 v22, 1, v25
	v_cmp_lt_u64_e32 vcc_lo, v[13:14], v[19:20]
	s_delay_alu instid0(VALU_DEP_2)
	v_cmp_eq_u32_e64 s0, 1, v22
	s_or_b32 s1, s20, vcc_lo
	s_wait_alu 0xfffe
	s_and_b32 s1, s1, s0
	s_wait_alu 0xfffe
	s_and_saveexec_b32 s0, s1
	s_cbranch_execz .LBB147_116
; %bb.115:
	v_lshlrev_b64_e32 v[29:30], 3, v[17:18]
	v_lshlrev_b64_e32 v[31:32], 3, v[13:14]
	s_delay_alu instid0(VALU_DEP_2) | instskip(SKIP_1) | instid1(VALU_DEP_3)
	v_add_co_u32 v14, vcc_lo, s12, v29
	s_wait_alu 0xfffd
	v_add_co_ci_u32_e64 v22, null, s13, v30, vcc_lo
	s_delay_alu instid0(VALU_DEP_2) | instskip(SKIP_1) | instid1(VALU_DEP_2)
	v_add_co_u32 v29, vcc_lo, v14, v31
	s_wait_alu 0xfffd
	v_add_co_ci_u32_e64 v30, null, v22, v32, vcc_lo
	global_store_b64 v[29:30], v[1:2], off
.LBB147_116:
	s_wait_alu 0xfffe
	s_or_b32 exec_lo, exec_lo, s0
	v_and_b32_e32 v14, 1, v27
	v_cmp_lt_u64_e32 vcc_lo, v[15:16], v[19:20]
	s_delay_alu instid0(VALU_DEP_2)
	v_cmp_eq_u32_e64 s0, 1, v14
	s_or_b32 s1, s20, vcc_lo
	s_wait_alu 0xfffe
	s_and_b32 s1, s1, s0
	s_wait_alu 0xfffe
	s_and_saveexec_b32 s0, s1
	s_cbranch_execz .LBB147_118
; %bb.117:
	v_lshlrev_b64_e32 v[19:20], 3, v[17:18]
	v_lshlrev_b64_e32 v[29:30], 3, v[15:16]
	s_delay_alu instid0(VALU_DEP_2) | instskip(SKIP_1) | instid1(VALU_DEP_3)
	v_add_co_u32 v14, vcc_lo, s12, v19
	s_wait_alu 0xfffd
	v_add_co_ci_u32_e64 v16, null, s13, v20, vcc_lo
	s_delay_alu instid0(VALU_DEP_2) | instskip(SKIP_1) | instid1(VALU_DEP_2)
	v_add_co_u32 v19, vcc_lo, v14, v29
	s_wait_alu 0xfffd
	v_add_co_ci_u32_e64 v20, null, v16, v30, vcc_lo
	global_store_b64 v[19:20], v[3:4], off
.LBB147_118:
	s_wait_alu 0xfffe
	s_or_b32 exec_lo, exec_lo, s0
	s_branch .LBB147_108
.LBB147_119:
	s_mov_b32 s0, exec_lo
	v_cmpx_eq_u32_e32 1, v28
; %bb.120:
	v_sub_nc_u32_e32 v14, v23, v11
	s_delay_alu instid0(VALU_DEP_1)
	v_lshlrev_b32_e32 v14, 3, v14
	ds_store_b64 v14, v[5:6]
; %bb.121:
	s_wait_alu 0xfffe
	s_or_b32 exec_lo, exec_lo, s0
	v_and_b32_e32 v5, 1, v26
	s_mov_b32 s0, exec_lo
	s_delay_alu instid0(VALU_DEP_1)
	v_cmpx_eq_u32_e32 1, v5
; %bb.122:
	v_sub_nc_u32_e32 v5, v21, v11
	s_delay_alu instid0(VALU_DEP_1)
	v_lshlrev_b32_e32 v5, 3, v5
	ds_store_b64 v5, v[7:8]
; %bb.123:
	s_wait_alu 0xfffe
	s_or_b32 exec_lo, exec_lo, s0
	v_and_b32_e32 v5, 1, v25
	s_mov_b32 s0, exec_lo
	s_delay_alu instid0(VALU_DEP_1)
	;; [unrolled: 12-line block ×3, first 2 shown]
	v_cmpx_eq_u32_e32 1, v1
; %bb.126:
	v_sub_nc_u32_e32 v1, v15, v11
	s_delay_alu instid0(VALU_DEP_1)
	v_lshlrev_b32_e32 v1, 3, v1
	ds_store_b64 v1, v[3:4]
; %bb.127:
	s_wait_alu 0xfffe
	s_or_b32 exec_lo, exec_lo, s0
	v_mov_b32_e32 v1, 0
	s_mov_b32 s1, exec_lo
	s_wait_storecnt 0x0
	s_wait_loadcnt_dscnt 0x0
	s_barrier_signal -1
	s_barrier_wait -1
	global_inv scope:SCOPE_SE
	v_cmpx_gt_u64_e64 v[9:10], v[0:1]
	s_cbranch_execz .LBB147_130
; %bb.128:
	v_lshlrev_b64_e32 v[2:3], 3, v[11:12]
	v_lshlrev_b64_e32 v[4:5], 3, v[17:18]
	s_mov_b32 s3, 0
	s_delay_alu instid0(VALU_DEP_2) | instskip(SKIP_1) | instid1(VALU_DEP_3)
	v_add_co_u32 v6, vcc_lo, s12, v2
	s_wait_alu 0xfffd
	v_add_co_ci_u32_e64 v7, null, s13, v3, vcc_lo
	v_dual_mov_b32 v3, v1 :: v_dual_mov_b32 v2, v0
	s_delay_alu instid0(VALU_DEP_3) | instskip(SKIP_1) | instid1(VALU_DEP_3)
	v_add_co_u32 v4, vcc_lo, v6, v4
	s_wait_alu 0xfffd
	v_add_co_ci_u32_e64 v5, null, v7, v5, vcc_lo
	v_or_b32_e32 v0, 0x100, v0
.LBB147_129:                            ; =>This Inner Loop Header: Depth=1
	v_lshlrev_b32_e32 v6, 3, v2
	v_lshlrev_b64_e32 v[13:14], 3, v[2:3]
	v_mov_b32_e32 v3, v1
	s_delay_alu instid0(VALU_DEP_4)
	v_cmp_le_u64_e32 vcc_lo, v[9:10], v[0:1]
	v_mov_b32_e32 v2, v0
	ds_load_b64 v[6:7], v6
	v_add_nc_u32_e32 v0, 0x100, v0
	v_add_co_u32 v13, s0, v4, v13
	s_wait_alu 0xf1ff
	v_add_co_ci_u32_e64 v14, null, v5, v14, s0
	s_wait_alu 0xfffe
	s_or_b32 s3, vcc_lo, s3
	s_wait_dscnt 0x0
	global_store_b64 v[13:14], v[6:7], off
	s_wait_alu 0xfffe
	s_and_not1_b32 exec_lo, exec_lo, s3
	s_cbranch_execnz .LBB147_129
.LBB147_130:
	s_wait_alu 0xfffe
	s_or_b32 exec_lo, exec_lo, s1
	s_and_b32 s0, s2, s19
	s_wait_alu 0xfffe
	s_and_saveexec_b32 s1, s0
	s_cbranch_execz .LBB147_109
.LBB147_131:
	v_add_co_u32 v0, vcc_lo, v11, v9
	s_wait_alu 0xfffd
	v_add_co_ci_u32_e64 v1, null, v12, v10, vcc_lo
	v_mov_b32_e32 v2, 0
	s_delay_alu instid0(VALU_DEP_3) | instskip(SKIP_1) | instid1(VALU_DEP_3)
	v_add_co_u32 v0, vcc_lo, v0, v17
	s_wait_alu 0xfffd
	v_add_co_ci_u32_e64 v1, null, v1, v18, vcc_lo
	global_store_b64 v2, v[0:1], s[4:5]
	s_endpgm
.LBB147_132:
	global_load_u8 v16, v0, s[0:1] offset:256
	s_wait_loadcnt 0x0
	v_cmp_ne_u16_e32 vcc_lo, 0, v16
	s_wait_alu 0xfffd
	v_cndmask_b32_e64 v16, 0, 1, vcc_lo
	s_delay_alu instid0(VALU_DEP_1) | instskip(NEXT) | instid1(VALU_DEP_1)
	v_lshlrev_b16 v16, 8, v16
	v_or_b32_e32 v14, v14, v16
	s_delay_alu instid0(VALU_DEP_1) | instskip(SKIP_1) | instid1(SALU_CYCLE_1)
	v_and_b32_e32 v14, 0xffff, v14
	s_or_b32 exec_lo, exec_lo, s6
	s_mov_b32 s6, exec_lo
	v_cmpx_gt_u32_e64 s3, v10
	s_cbranch_execz .LBB147_15
.LBB147_133:
	global_load_u8 v16, v0, s[0:1] offset:512
	s_wait_loadcnt 0x0
	v_cmp_ne_u16_e32 vcc_lo, 0, v16
	s_wait_alu 0xfffd
	v_cndmask_b32_e64 v16, 0, 1, vcc_lo
	s_delay_alu instid0(VALU_DEP_1)
	v_lshl_or_b32 v14, v16, 16, v14
	s_or_b32 exec_lo, exec_lo, s6
	v_cmp_gt_u32_e32 vcc_lo, s3, v9
	s_and_saveexec_b32 s3, vcc_lo
	s_cbranch_execnz .LBB147_16
	s_branch .LBB147_17
	.section	.rodata,"a",@progbits
	.p2align	6, 0x0
	.amdhsa_kernel _ZN7rocprim17ROCPRIM_400000_NS6detail17trampoline_kernelINS0_14default_configENS1_25partition_config_selectorILNS1_17partition_subalgoE5ElNS0_10empty_typeEbEEZZNS1_14partition_implILS5_5ELb0ES3_mN6hipcub16HIPCUB_304000_NS21CountingInputIteratorIllEEPS6_NSA_22TransformInputIteratorIbN2at6native12_GLOBAL__N_19NonZeroOpIaEEPKalEENS0_5tupleIJPlS6_EEENSN_IJSD_SD_EEES6_PiJS6_EEE10hipError_tPvRmT3_T4_T5_T6_T7_T9_mT8_P12ihipStream_tbDpT10_ENKUlT_T0_E_clISt17integral_constantIbLb0EES1A_IbLb1EEEEDaS16_S17_EUlS16_E_NS1_11comp_targetILNS1_3genE10ELNS1_11target_archE1200ELNS1_3gpuE4ELNS1_3repE0EEENS1_30default_config_static_selectorELNS0_4arch9wavefront6targetE0EEEvT1_
		.amdhsa_group_segment_fixed_size 8464
		.amdhsa_private_segment_fixed_size 0
		.amdhsa_kernarg_size 136
		.amdhsa_user_sgpr_count 2
		.amdhsa_user_sgpr_dispatch_ptr 0
		.amdhsa_user_sgpr_queue_ptr 0
		.amdhsa_user_sgpr_kernarg_segment_ptr 1
		.amdhsa_user_sgpr_dispatch_id 0
		.amdhsa_user_sgpr_private_segment_size 0
		.amdhsa_wavefront_size32 1
		.amdhsa_uses_dynamic_stack 0
		.amdhsa_enable_private_segment 0
		.amdhsa_system_sgpr_workgroup_id_x 1
		.amdhsa_system_sgpr_workgroup_id_y 0
		.amdhsa_system_sgpr_workgroup_id_z 0
		.amdhsa_system_sgpr_workgroup_info 0
		.amdhsa_system_vgpr_workitem_id 0
		.amdhsa_next_free_vgpr 48
		.amdhsa_next_free_sgpr 24
		.amdhsa_reserve_vcc 1
		.amdhsa_float_round_mode_32 0
		.amdhsa_float_round_mode_16_64 0
		.amdhsa_float_denorm_mode_32 3
		.amdhsa_float_denorm_mode_16_64 3
		.amdhsa_fp16_overflow 0
		.amdhsa_workgroup_processor_mode 1
		.amdhsa_memory_ordered 1
		.amdhsa_forward_progress 1
		.amdhsa_inst_pref_size 54
		.amdhsa_round_robin_scheduling 0
		.amdhsa_exception_fp_ieee_invalid_op 0
		.amdhsa_exception_fp_denorm_src 0
		.amdhsa_exception_fp_ieee_div_zero 0
		.amdhsa_exception_fp_ieee_overflow 0
		.amdhsa_exception_fp_ieee_underflow 0
		.amdhsa_exception_fp_ieee_inexact 0
		.amdhsa_exception_int_div_zero 0
	.end_amdhsa_kernel
	.section	.text._ZN7rocprim17ROCPRIM_400000_NS6detail17trampoline_kernelINS0_14default_configENS1_25partition_config_selectorILNS1_17partition_subalgoE5ElNS0_10empty_typeEbEEZZNS1_14partition_implILS5_5ELb0ES3_mN6hipcub16HIPCUB_304000_NS21CountingInputIteratorIllEEPS6_NSA_22TransformInputIteratorIbN2at6native12_GLOBAL__N_19NonZeroOpIaEEPKalEENS0_5tupleIJPlS6_EEENSN_IJSD_SD_EEES6_PiJS6_EEE10hipError_tPvRmT3_T4_T5_T6_T7_T9_mT8_P12ihipStream_tbDpT10_ENKUlT_T0_E_clISt17integral_constantIbLb0EES1A_IbLb1EEEEDaS16_S17_EUlS16_E_NS1_11comp_targetILNS1_3genE10ELNS1_11target_archE1200ELNS1_3gpuE4ELNS1_3repE0EEENS1_30default_config_static_selectorELNS0_4arch9wavefront6targetE0EEEvT1_,"axG",@progbits,_ZN7rocprim17ROCPRIM_400000_NS6detail17trampoline_kernelINS0_14default_configENS1_25partition_config_selectorILNS1_17partition_subalgoE5ElNS0_10empty_typeEbEEZZNS1_14partition_implILS5_5ELb0ES3_mN6hipcub16HIPCUB_304000_NS21CountingInputIteratorIllEEPS6_NSA_22TransformInputIteratorIbN2at6native12_GLOBAL__N_19NonZeroOpIaEEPKalEENS0_5tupleIJPlS6_EEENSN_IJSD_SD_EEES6_PiJS6_EEE10hipError_tPvRmT3_T4_T5_T6_T7_T9_mT8_P12ihipStream_tbDpT10_ENKUlT_T0_E_clISt17integral_constantIbLb0EES1A_IbLb1EEEEDaS16_S17_EUlS16_E_NS1_11comp_targetILNS1_3genE10ELNS1_11target_archE1200ELNS1_3gpuE4ELNS1_3repE0EEENS1_30default_config_static_selectorELNS0_4arch9wavefront6targetE0EEEvT1_,comdat
.Lfunc_end147:
	.size	_ZN7rocprim17ROCPRIM_400000_NS6detail17trampoline_kernelINS0_14default_configENS1_25partition_config_selectorILNS1_17partition_subalgoE5ElNS0_10empty_typeEbEEZZNS1_14partition_implILS5_5ELb0ES3_mN6hipcub16HIPCUB_304000_NS21CountingInputIteratorIllEEPS6_NSA_22TransformInputIteratorIbN2at6native12_GLOBAL__N_19NonZeroOpIaEEPKalEENS0_5tupleIJPlS6_EEENSN_IJSD_SD_EEES6_PiJS6_EEE10hipError_tPvRmT3_T4_T5_T6_T7_T9_mT8_P12ihipStream_tbDpT10_ENKUlT_T0_E_clISt17integral_constantIbLb0EES1A_IbLb1EEEEDaS16_S17_EUlS16_E_NS1_11comp_targetILNS1_3genE10ELNS1_11target_archE1200ELNS1_3gpuE4ELNS1_3repE0EEENS1_30default_config_static_selectorELNS0_4arch9wavefront6targetE0EEEvT1_, .Lfunc_end147-_ZN7rocprim17ROCPRIM_400000_NS6detail17trampoline_kernelINS0_14default_configENS1_25partition_config_selectorILNS1_17partition_subalgoE5ElNS0_10empty_typeEbEEZZNS1_14partition_implILS5_5ELb0ES3_mN6hipcub16HIPCUB_304000_NS21CountingInputIteratorIllEEPS6_NSA_22TransformInputIteratorIbN2at6native12_GLOBAL__N_19NonZeroOpIaEEPKalEENS0_5tupleIJPlS6_EEENSN_IJSD_SD_EEES6_PiJS6_EEE10hipError_tPvRmT3_T4_T5_T6_T7_T9_mT8_P12ihipStream_tbDpT10_ENKUlT_T0_E_clISt17integral_constantIbLb0EES1A_IbLb1EEEEDaS16_S17_EUlS16_E_NS1_11comp_targetILNS1_3genE10ELNS1_11target_archE1200ELNS1_3gpuE4ELNS1_3repE0EEENS1_30default_config_static_selectorELNS0_4arch9wavefront6targetE0EEEvT1_
                                        ; -- End function
	.set _ZN7rocprim17ROCPRIM_400000_NS6detail17trampoline_kernelINS0_14default_configENS1_25partition_config_selectorILNS1_17partition_subalgoE5ElNS0_10empty_typeEbEEZZNS1_14partition_implILS5_5ELb0ES3_mN6hipcub16HIPCUB_304000_NS21CountingInputIteratorIllEEPS6_NSA_22TransformInputIteratorIbN2at6native12_GLOBAL__N_19NonZeroOpIaEEPKalEENS0_5tupleIJPlS6_EEENSN_IJSD_SD_EEES6_PiJS6_EEE10hipError_tPvRmT3_T4_T5_T6_T7_T9_mT8_P12ihipStream_tbDpT10_ENKUlT_T0_E_clISt17integral_constantIbLb0EES1A_IbLb1EEEEDaS16_S17_EUlS16_E_NS1_11comp_targetILNS1_3genE10ELNS1_11target_archE1200ELNS1_3gpuE4ELNS1_3repE0EEENS1_30default_config_static_selectorELNS0_4arch9wavefront6targetE0EEEvT1_.num_vgpr, 48
	.set _ZN7rocprim17ROCPRIM_400000_NS6detail17trampoline_kernelINS0_14default_configENS1_25partition_config_selectorILNS1_17partition_subalgoE5ElNS0_10empty_typeEbEEZZNS1_14partition_implILS5_5ELb0ES3_mN6hipcub16HIPCUB_304000_NS21CountingInputIteratorIllEEPS6_NSA_22TransformInputIteratorIbN2at6native12_GLOBAL__N_19NonZeroOpIaEEPKalEENS0_5tupleIJPlS6_EEENSN_IJSD_SD_EEES6_PiJS6_EEE10hipError_tPvRmT3_T4_T5_T6_T7_T9_mT8_P12ihipStream_tbDpT10_ENKUlT_T0_E_clISt17integral_constantIbLb0EES1A_IbLb1EEEEDaS16_S17_EUlS16_E_NS1_11comp_targetILNS1_3genE10ELNS1_11target_archE1200ELNS1_3gpuE4ELNS1_3repE0EEENS1_30default_config_static_selectorELNS0_4arch9wavefront6targetE0EEEvT1_.num_agpr, 0
	.set _ZN7rocprim17ROCPRIM_400000_NS6detail17trampoline_kernelINS0_14default_configENS1_25partition_config_selectorILNS1_17partition_subalgoE5ElNS0_10empty_typeEbEEZZNS1_14partition_implILS5_5ELb0ES3_mN6hipcub16HIPCUB_304000_NS21CountingInputIteratorIllEEPS6_NSA_22TransformInputIteratorIbN2at6native12_GLOBAL__N_19NonZeroOpIaEEPKalEENS0_5tupleIJPlS6_EEENSN_IJSD_SD_EEES6_PiJS6_EEE10hipError_tPvRmT3_T4_T5_T6_T7_T9_mT8_P12ihipStream_tbDpT10_ENKUlT_T0_E_clISt17integral_constantIbLb0EES1A_IbLb1EEEEDaS16_S17_EUlS16_E_NS1_11comp_targetILNS1_3genE10ELNS1_11target_archE1200ELNS1_3gpuE4ELNS1_3repE0EEENS1_30default_config_static_selectorELNS0_4arch9wavefront6targetE0EEEvT1_.numbered_sgpr, 24
	.set _ZN7rocprim17ROCPRIM_400000_NS6detail17trampoline_kernelINS0_14default_configENS1_25partition_config_selectorILNS1_17partition_subalgoE5ElNS0_10empty_typeEbEEZZNS1_14partition_implILS5_5ELb0ES3_mN6hipcub16HIPCUB_304000_NS21CountingInputIteratorIllEEPS6_NSA_22TransformInputIteratorIbN2at6native12_GLOBAL__N_19NonZeroOpIaEEPKalEENS0_5tupleIJPlS6_EEENSN_IJSD_SD_EEES6_PiJS6_EEE10hipError_tPvRmT3_T4_T5_T6_T7_T9_mT8_P12ihipStream_tbDpT10_ENKUlT_T0_E_clISt17integral_constantIbLb0EES1A_IbLb1EEEEDaS16_S17_EUlS16_E_NS1_11comp_targetILNS1_3genE10ELNS1_11target_archE1200ELNS1_3gpuE4ELNS1_3repE0EEENS1_30default_config_static_selectorELNS0_4arch9wavefront6targetE0EEEvT1_.num_named_barrier, 0
	.set _ZN7rocprim17ROCPRIM_400000_NS6detail17trampoline_kernelINS0_14default_configENS1_25partition_config_selectorILNS1_17partition_subalgoE5ElNS0_10empty_typeEbEEZZNS1_14partition_implILS5_5ELb0ES3_mN6hipcub16HIPCUB_304000_NS21CountingInputIteratorIllEEPS6_NSA_22TransformInputIteratorIbN2at6native12_GLOBAL__N_19NonZeroOpIaEEPKalEENS0_5tupleIJPlS6_EEENSN_IJSD_SD_EEES6_PiJS6_EEE10hipError_tPvRmT3_T4_T5_T6_T7_T9_mT8_P12ihipStream_tbDpT10_ENKUlT_T0_E_clISt17integral_constantIbLb0EES1A_IbLb1EEEEDaS16_S17_EUlS16_E_NS1_11comp_targetILNS1_3genE10ELNS1_11target_archE1200ELNS1_3gpuE4ELNS1_3repE0EEENS1_30default_config_static_selectorELNS0_4arch9wavefront6targetE0EEEvT1_.private_seg_size, 0
	.set _ZN7rocprim17ROCPRIM_400000_NS6detail17trampoline_kernelINS0_14default_configENS1_25partition_config_selectorILNS1_17partition_subalgoE5ElNS0_10empty_typeEbEEZZNS1_14partition_implILS5_5ELb0ES3_mN6hipcub16HIPCUB_304000_NS21CountingInputIteratorIllEEPS6_NSA_22TransformInputIteratorIbN2at6native12_GLOBAL__N_19NonZeroOpIaEEPKalEENS0_5tupleIJPlS6_EEENSN_IJSD_SD_EEES6_PiJS6_EEE10hipError_tPvRmT3_T4_T5_T6_T7_T9_mT8_P12ihipStream_tbDpT10_ENKUlT_T0_E_clISt17integral_constantIbLb0EES1A_IbLb1EEEEDaS16_S17_EUlS16_E_NS1_11comp_targetILNS1_3genE10ELNS1_11target_archE1200ELNS1_3gpuE4ELNS1_3repE0EEENS1_30default_config_static_selectorELNS0_4arch9wavefront6targetE0EEEvT1_.uses_vcc, 1
	.set _ZN7rocprim17ROCPRIM_400000_NS6detail17trampoline_kernelINS0_14default_configENS1_25partition_config_selectorILNS1_17partition_subalgoE5ElNS0_10empty_typeEbEEZZNS1_14partition_implILS5_5ELb0ES3_mN6hipcub16HIPCUB_304000_NS21CountingInputIteratorIllEEPS6_NSA_22TransformInputIteratorIbN2at6native12_GLOBAL__N_19NonZeroOpIaEEPKalEENS0_5tupleIJPlS6_EEENSN_IJSD_SD_EEES6_PiJS6_EEE10hipError_tPvRmT3_T4_T5_T6_T7_T9_mT8_P12ihipStream_tbDpT10_ENKUlT_T0_E_clISt17integral_constantIbLb0EES1A_IbLb1EEEEDaS16_S17_EUlS16_E_NS1_11comp_targetILNS1_3genE10ELNS1_11target_archE1200ELNS1_3gpuE4ELNS1_3repE0EEENS1_30default_config_static_selectorELNS0_4arch9wavefront6targetE0EEEvT1_.uses_flat_scratch, 0
	.set _ZN7rocprim17ROCPRIM_400000_NS6detail17trampoline_kernelINS0_14default_configENS1_25partition_config_selectorILNS1_17partition_subalgoE5ElNS0_10empty_typeEbEEZZNS1_14partition_implILS5_5ELb0ES3_mN6hipcub16HIPCUB_304000_NS21CountingInputIteratorIllEEPS6_NSA_22TransformInputIteratorIbN2at6native12_GLOBAL__N_19NonZeroOpIaEEPKalEENS0_5tupleIJPlS6_EEENSN_IJSD_SD_EEES6_PiJS6_EEE10hipError_tPvRmT3_T4_T5_T6_T7_T9_mT8_P12ihipStream_tbDpT10_ENKUlT_T0_E_clISt17integral_constantIbLb0EES1A_IbLb1EEEEDaS16_S17_EUlS16_E_NS1_11comp_targetILNS1_3genE10ELNS1_11target_archE1200ELNS1_3gpuE4ELNS1_3repE0EEENS1_30default_config_static_selectorELNS0_4arch9wavefront6targetE0EEEvT1_.has_dyn_sized_stack, 0
	.set _ZN7rocprim17ROCPRIM_400000_NS6detail17trampoline_kernelINS0_14default_configENS1_25partition_config_selectorILNS1_17partition_subalgoE5ElNS0_10empty_typeEbEEZZNS1_14partition_implILS5_5ELb0ES3_mN6hipcub16HIPCUB_304000_NS21CountingInputIteratorIllEEPS6_NSA_22TransformInputIteratorIbN2at6native12_GLOBAL__N_19NonZeroOpIaEEPKalEENS0_5tupleIJPlS6_EEENSN_IJSD_SD_EEES6_PiJS6_EEE10hipError_tPvRmT3_T4_T5_T6_T7_T9_mT8_P12ihipStream_tbDpT10_ENKUlT_T0_E_clISt17integral_constantIbLb0EES1A_IbLb1EEEEDaS16_S17_EUlS16_E_NS1_11comp_targetILNS1_3genE10ELNS1_11target_archE1200ELNS1_3gpuE4ELNS1_3repE0EEENS1_30default_config_static_selectorELNS0_4arch9wavefront6targetE0EEEvT1_.has_recursion, 0
	.set _ZN7rocprim17ROCPRIM_400000_NS6detail17trampoline_kernelINS0_14default_configENS1_25partition_config_selectorILNS1_17partition_subalgoE5ElNS0_10empty_typeEbEEZZNS1_14partition_implILS5_5ELb0ES3_mN6hipcub16HIPCUB_304000_NS21CountingInputIteratorIllEEPS6_NSA_22TransformInputIteratorIbN2at6native12_GLOBAL__N_19NonZeroOpIaEEPKalEENS0_5tupleIJPlS6_EEENSN_IJSD_SD_EEES6_PiJS6_EEE10hipError_tPvRmT3_T4_T5_T6_T7_T9_mT8_P12ihipStream_tbDpT10_ENKUlT_T0_E_clISt17integral_constantIbLb0EES1A_IbLb1EEEEDaS16_S17_EUlS16_E_NS1_11comp_targetILNS1_3genE10ELNS1_11target_archE1200ELNS1_3gpuE4ELNS1_3repE0EEENS1_30default_config_static_selectorELNS0_4arch9wavefront6targetE0EEEvT1_.has_indirect_call, 0
	.section	.AMDGPU.csdata,"",@progbits
; Kernel info:
; codeLenInByte = 6904
; TotalNumSgprs: 26
; NumVgprs: 48
; ScratchSize: 0
; MemoryBound: 0
; FloatMode: 240
; IeeeMode: 1
; LDSByteSize: 8464 bytes/workgroup (compile time only)
; SGPRBlocks: 0
; VGPRBlocks: 5
; NumSGPRsForWavesPerEU: 26
; NumVGPRsForWavesPerEU: 48
; Occupancy: 16
; WaveLimiterHint : 1
; COMPUTE_PGM_RSRC2:SCRATCH_EN: 0
; COMPUTE_PGM_RSRC2:USER_SGPR: 2
; COMPUTE_PGM_RSRC2:TRAP_HANDLER: 0
; COMPUTE_PGM_RSRC2:TGID_X_EN: 1
; COMPUTE_PGM_RSRC2:TGID_Y_EN: 0
; COMPUTE_PGM_RSRC2:TGID_Z_EN: 0
; COMPUTE_PGM_RSRC2:TIDIG_COMP_CNT: 0
	.section	.text._ZN7rocprim17ROCPRIM_400000_NS6detail17trampoline_kernelINS0_14default_configENS1_25partition_config_selectorILNS1_17partition_subalgoE5ElNS0_10empty_typeEbEEZZNS1_14partition_implILS5_5ELb0ES3_mN6hipcub16HIPCUB_304000_NS21CountingInputIteratorIllEEPS6_NSA_22TransformInputIteratorIbN2at6native12_GLOBAL__N_19NonZeroOpIaEEPKalEENS0_5tupleIJPlS6_EEENSN_IJSD_SD_EEES6_PiJS6_EEE10hipError_tPvRmT3_T4_T5_T6_T7_T9_mT8_P12ihipStream_tbDpT10_ENKUlT_T0_E_clISt17integral_constantIbLb0EES1A_IbLb1EEEEDaS16_S17_EUlS16_E_NS1_11comp_targetILNS1_3genE9ELNS1_11target_archE1100ELNS1_3gpuE3ELNS1_3repE0EEENS1_30default_config_static_selectorELNS0_4arch9wavefront6targetE0EEEvT1_,"axG",@progbits,_ZN7rocprim17ROCPRIM_400000_NS6detail17trampoline_kernelINS0_14default_configENS1_25partition_config_selectorILNS1_17partition_subalgoE5ElNS0_10empty_typeEbEEZZNS1_14partition_implILS5_5ELb0ES3_mN6hipcub16HIPCUB_304000_NS21CountingInputIteratorIllEEPS6_NSA_22TransformInputIteratorIbN2at6native12_GLOBAL__N_19NonZeroOpIaEEPKalEENS0_5tupleIJPlS6_EEENSN_IJSD_SD_EEES6_PiJS6_EEE10hipError_tPvRmT3_T4_T5_T6_T7_T9_mT8_P12ihipStream_tbDpT10_ENKUlT_T0_E_clISt17integral_constantIbLb0EES1A_IbLb1EEEEDaS16_S17_EUlS16_E_NS1_11comp_targetILNS1_3genE9ELNS1_11target_archE1100ELNS1_3gpuE3ELNS1_3repE0EEENS1_30default_config_static_selectorELNS0_4arch9wavefront6targetE0EEEvT1_,comdat
	.globl	_ZN7rocprim17ROCPRIM_400000_NS6detail17trampoline_kernelINS0_14default_configENS1_25partition_config_selectorILNS1_17partition_subalgoE5ElNS0_10empty_typeEbEEZZNS1_14partition_implILS5_5ELb0ES3_mN6hipcub16HIPCUB_304000_NS21CountingInputIteratorIllEEPS6_NSA_22TransformInputIteratorIbN2at6native12_GLOBAL__N_19NonZeroOpIaEEPKalEENS0_5tupleIJPlS6_EEENSN_IJSD_SD_EEES6_PiJS6_EEE10hipError_tPvRmT3_T4_T5_T6_T7_T9_mT8_P12ihipStream_tbDpT10_ENKUlT_T0_E_clISt17integral_constantIbLb0EES1A_IbLb1EEEEDaS16_S17_EUlS16_E_NS1_11comp_targetILNS1_3genE9ELNS1_11target_archE1100ELNS1_3gpuE3ELNS1_3repE0EEENS1_30default_config_static_selectorELNS0_4arch9wavefront6targetE0EEEvT1_ ; -- Begin function _ZN7rocprim17ROCPRIM_400000_NS6detail17trampoline_kernelINS0_14default_configENS1_25partition_config_selectorILNS1_17partition_subalgoE5ElNS0_10empty_typeEbEEZZNS1_14partition_implILS5_5ELb0ES3_mN6hipcub16HIPCUB_304000_NS21CountingInputIteratorIllEEPS6_NSA_22TransformInputIteratorIbN2at6native12_GLOBAL__N_19NonZeroOpIaEEPKalEENS0_5tupleIJPlS6_EEENSN_IJSD_SD_EEES6_PiJS6_EEE10hipError_tPvRmT3_T4_T5_T6_T7_T9_mT8_P12ihipStream_tbDpT10_ENKUlT_T0_E_clISt17integral_constantIbLb0EES1A_IbLb1EEEEDaS16_S17_EUlS16_E_NS1_11comp_targetILNS1_3genE9ELNS1_11target_archE1100ELNS1_3gpuE3ELNS1_3repE0EEENS1_30default_config_static_selectorELNS0_4arch9wavefront6targetE0EEEvT1_
	.p2align	8
	.type	_ZN7rocprim17ROCPRIM_400000_NS6detail17trampoline_kernelINS0_14default_configENS1_25partition_config_selectorILNS1_17partition_subalgoE5ElNS0_10empty_typeEbEEZZNS1_14partition_implILS5_5ELb0ES3_mN6hipcub16HIPCUB_304000_NS21CountingInputIteratorIllEEPS6_NSA_22TransformInputIteratorIbN2at6native12_GLOBAL__N_19NonZeroOpIaEEPKalEENS0_5tupleIJPlS6_EEENSN_IJSD_SD_EEES6_PiJS6_EEE10hipError_tPvRmT3_T4_T5_T6_T7_T9_mT8_P12ihipStream_tbDpT10_ENKUlT_T0_E_clISt17integral_constantIbLb0EES1A_IbLb1EEEEDaS16_S17_EUlS16_E_NS1_11comp_targetILNS1_3genE9ELNS1_11target_archE1100ELNS1_3gpuE3ELNS1_3repE0EEENS1_30default_config_static_selectorELNS0_4arch9wavefront6targetE0EEEvT1_,@function
_ZN7rocprim17ROCPRIM_400000_NS6detail17trampoline_kernelINS0_14default_configENS1_25partition_config_selectorILNS1_17partition_subalgoE5ElNS0_10empty_typeEbEEZZNS1_14partition_implILS5_5ELb0ES3_mN6hipcub16HIPCUB_304000_NS21CountingInputIteratorIllEEPS6_NSA_22TransformInputIteratorIbN2at6native12_GLOBAL__N_19NonZeroOpIaEEPKalEENS0_5tupleIJPlS6_EEENSN_IJSD_SD_EEES6_PiJS6_EEE10hipError_tPvRmT3_T4_T5_T6_T7_T9_mT8_P12ihipStream_tbDpT10_ENKUlT_T0_E_clISt17integral_constantIbLb0EES1A_IbLb1EEEEDaS16_S17_EUlS16_E_NS1_11comp_targetILNS1_3genE9ELNS1_11target_archE1100ELNS1_3gpuE3ELNS1_3repE0EEENS1_30default_config_static_selectorELNS0_4arch9wavefront6targetE0EEEvT1_: ; @_ZN7rocprim17ROCPRIM_400000_NS6detail17trampoline_kernelINS0_14default_configENS1_25partition_config_selectorILNS1_17partition_subalgoE5ElNS0_10empty_typeEbEEZZNS1_14partition_implILS5_5ELb0ES3_mN6hipcub16HIPCUB_304000_NS21CountingInputIteratorIllEEPS6_NSA_22TransformInputIteratorIbN2at6native12_GLOBAL__N_19NonZeroOpIaEEPKalEENS0_5tupleIJPlS6_EEENSN_IJSD_SD_EEES6_PiJS6_EEE10hipError_tPvRmT3_T4_T5_T6_T7_T9_mT8_P12ihipStream_tbDpT10_ENKUlT_T0_E_clISt17integral_constantIbLb0EES1A_IbLb1EEEEDaS16_S17_EUlS16_E_NS1_11comp_targetILNS1_3genE9ELNS1_11target_archE1100ELNS1_3gpuE3ELNS1_3repE0EEENS1_30default_config_static_selectorELNS0_4arch9wavefront6targetE0EEEvT1_
; %bb.0:
	.section	.rodata,"a",@progbits
	.p2align	6, 0x0
	.amdhsa_kernel _ZN7rocprim17ROCPRIM_400000_NS6detail17trampoline_kernelINS0_14default_configENS1_25partition_config_selectorILNS1_17partition_subalgoE5ElNS0_10empty_typeEbEEZZNS1_14partition_implILS5_5ELb0ES3_mN6hipcub16HIPCUB_304000_NS21CountingInputIteratorIllEEPS6_NSA_22TransformInputIteratorIbN2at6native12_GLOBAL__N_19NonZeroOpIaEEPKalEENS0_5tupleIJPlS6_EEENSN_IJSD_SD_EEES6_PiJS6_EEE10hipError_tPvRmT3_T4_T5_T6_T7_T9_mT8_P12ihipStream_tbDpT10_ENKUlT_T0_E_clISt17integral_constantIbLb0EES1A_IbLb1EEEEDaS16_S17_EUlS16_E_NS1_11comp_targetILNS1_3genE9ELNS1_11target_archE1100ELNS1_3gpuE3ELNS1_3repE0EEENS1_30default_config_static_selectorELNS0_4arch9wavefront6targetE0EEEvT1_
		.amdhsa_group_segment_fixed_size 0
		.amdhsa_private_segment_fixed_size 0
		.amdhsa_kernarg_size 136
		.amdhsa_user_sgpr_count 2
		.amdhsa_user_sgpr_dispatch_ptr 0
		.amdhsa_user_sgpr_queue_ptr 0
		.amdhsa_user_sgpr_kernarg_segment_ptr 1
		.amdhsa_user_sgpr_dispatch_id 0
		.amdhsa_user_sgpr_private_segment_size 0
		.amdhsa_wavefront_size32 1
		.amdhsa_uses_dynamic_stack 0
		.amdhsa_enable_private_segment 0
		.amdhsa_system_sgpr_workgroup_id_x 1
		.amdhsa_system_sgpr_workgroup_id_y 0
		.amdhsa_system_sgpr_workgroup_id_z 0
		.amdhsa_system_sgpr_workgroup_info 0
		.amdhsa_system_vgpr_workitem_id 0
		.amdhsa_next_free_vgpr 1
		.amdhsa_next_free_sgpr 1
		.amdhsa_reserve_vcc 0
		.amdhsa_float_round_mode_32 0
		.amdhsa_float_round_mode_16_64 0
		.amdhsa_float_denorm_mode_32 3
		.amdhsa_float_denorm_mode_16_64 3
		.amdhsa_fp16_overflow 0
		.amdhsa_workgroup_processor_mode 1
		.amdhsa_memory_ordered 1
		.amdhsa_forward_progress 1
		.amdhsa_inst_pref_size 0
		.amdhsa_round_robin_scheduling 0
		.amdhsa_exception_fp_ieee_invalid_op 0
		.amdhsa_exception_fp_denorm_src 0
		.amdhsa_exception_fp_ieee_div_zero 0
		.amdhsa_exception_fp_ieee_overflow 0
		.amdhsa_exception_fp_ieee_underflow 0
		.amdhsa_exception_fp_ieee_inexact 0
		.amdhsa_exception_int_div_zero 0
	.end_amdhsa_kernel
	.section	.text._ZN7rocprim17ROCPRIM_400000_NS6detail17trampoline_kernelINS0_14default_configENS1_25partition_config_selectorILNS1_17partition_subalgoE5ElNS0_10empty_typeEbEEZZNS1_14partition_implILS5_5ELb0ES3_mN6hipcub16HIPCUB_304000_NS21CountingInputIteratorIllEEPS6_NSA_22TransformInputIteratorIbN2at6native12_GLOBAL__N_19NonZeroOpIaEEPKalEENS0_5tupleIJPlS6_EEENSN_IJSD_SD_EEES6_PiJS6_EEE10hipError_tPvRmT3_T4_T5_T6_T7_T9_mT8_P12ihipStream_tbDpT10_ENKUlT_T0_E_clISt17integral_constantIbLb0EES1A_IbLb1EEEEDaS16_S17_EUlS16_E_NS1_11comp_targetILNS1_3genE9ELNS1_11target_archE1100ELNS1_3gpuE3ELNS1_3repE0EEENS1_30default_config_static_selectorELNS0_4arch9wavefront6targetE0EEEvT1_,"axG",@progbits,_ZN7rocprim17ROCPRIM_400000_NS6detail17trampoline_kernelINS0_14default_configENS1_25partition_config_selectorILNS1_17partition_subalgoE5ElNS0_10empty_typeEbEEZZNS1_14partition_implILS5_5ELb0ES3_mN6hipcub16HIPCUB_304000_NS21CountingInputIteratorIllEEPS6_NSA_22TransformInputIteratorIbN2at6native12_GLOBAL__N_19NonZeroOpIaEEPKalEENS0_5tupleIJPlS6_EEENSN_IJSD_SD_EEES6_PiJS6_EEE10hipError_tPvRmT3_T4_T5_T6_T7_T9_mT8_P12ihipStream_tbDpT10_ENKUlT_T0_E_clISt17integral_constantIbLb0EES1A_IbLb1EEEEDaS16_S17_EUlS16_E_NS1_11comp_targetILNS1_3genE9ELNS1_11target_archE1100ELNS1_3gpuE3ELNS1_3repE0EEENS1_30default_config_static_selectorELNS0_4arch9wavefront6targetE0EEEvT1_,comdat
.Lfunc_end148:
	.size	_ZN7rocprim17ROCPRIM_400000_NS6detail17trampoline_kernelINS0_14default_configENS1_25partition_config_selectorILNS1_17partition_subalgoE5ElNS0_10empty_typeEbEEZZNS1_14partition_implILS5_5ELb0ES3_mN6hipcub16HIPCUB_304000_NS21CountingInputIteratorIllEEPS6_NSA_22TransformInputIteratorIbN2at6native12_GLOBAL__N_19NonZeroOpIaEEPKalEENS0_5tupleIJPlS6_EEENSN_IJSD_SD_EEES6_PiJS6_EEE10hipError_tPvRmT3_T4_T5_T6_T7_T9_mT8_P12ihipStream_tbDpT10_ENKUlT_T0_E_clISt17integral_constantIbLb0EES1A_IbLb1EEEEDaS16_S17_EUlS16_E_NS1_11comp_targetILNS1_3genE9ELNS1_11target_archE1100ELNS1_3gpuE3ELNS1_3repE0EEENS1_30default_config_static_selectorELNS0_4arch9wavefront6targetE0EEEvT1_, .Lfunc_end148-_ZN7rocprim17ROCPRIM_400000_NS6detail17trampoline_kernelINS0_14default_configENS1_25partition_config_selectorILNS1_17partition_subalgoE5ElNS0_10empty_typeEbEEZZNS1_14partition_implILS5_5ELb0ES3_mN6hipcub16HIPCUB_304000_NS21CountingInputIteratorIllEEPS6_NSA_22TransformInputIteratorIbN2at6native12_GLOBAL__N_19NonZeroOpIaEEPKalEENS0_5tupleIJPlS6_EEENSN_IJSD_SD_EEES6_PiJS6_EEE10hipError_tPvRmT3_T4_T5_T6_T7_T9_mT8_P12ihipStream_tbDpT10_ENKUlT_T0_E_clISt17integral_constantIbLb0EES1A_IbLb1EEEEDaS16_S17_EUlS16_E_NS1_11comp_targetILNS1_3genE9ELNS1_11target_archE1100ELNS1_3gpuE3ELNS1_3repE0EEENS1_30default_config_static_selectorELNS0_4arch9wavefront6targetE0EEEvT1_
                                        ; -- End function
	.set _ZN7rocprim17ROCPRIM_400000_NS6detail17trampoline_kernelINS0_14default_configENS1_25partition_config_selectorILNS1_17partition_subalgoE5ElNS0_10empty_typeEbEEZZNS1_14partition_implILS5_5ELb0ES3_mN6hipcub16HIPCUB_304000_NS21CountingInputIteratorIllEEPS6_NSA_22TransformInputIteratorIbN2at6native12_GLOBAL__N_19NonZeroOpIaEEPKalEENS0_5tupleIJPlS6_EEENSN_IJSD_SD_EEES6_PiJS6_EEE10hipError_tPvRmT3_T4_T5_T6_T7_T9_mT8_P12ihipStream_tbDpT10_ENKUlT_T0_E_clISt17integral_constantIbLb0EES1A_IbLb1EEEEDaS16_S17_EUlS16_E_NS1_11comp_targetILNS1_3genE9ELNS1_11target_archE1100ELNS1_3gpuE3ELNS1_3repE0EEENS1_30default_config_static_selectorELNS0_4arch9wavefront6targetE0EEEvT1_.num_vgpr, 0
	.set _ZN7rocprim17ROCPRIM_400000_NS6detail17trampoline_kernelINS0_14default_configENS1_25partition_config_selectorILNS1_17partition_subalgoE5ElNS0_10empty_typeEbEEZZNS1_14partition_implILS5_5ELb0ES3_mN6hipcub16HIPCUB_304000_NS21CountingInputIteratorIllEEPS6_NSA_22TransformInputIteratorIbN2at6native12_GLOBAL__N_19NonZeroOpIaEEPKalEENS0_5tupleIJPlS6_EEENSN_IJSD_SD_EEES6_PiJS6_EEE10hipError_tPvRmT3_T4_T5_T6_T7_T9_mT8_P12ihipStream_tbDpT10_ENKUlT_T0_E_clISt17integral_constantIbLb0EES1A_IbLb1EEEEDaS16_S17_EUlS16_E_NS1_11comp_targetILNS1_3genE9ELNS1_11target_archE1100ELNS1_3gpuE3ELNS1_3repE0EEENS1_30default_config_static_selectorELNS0_4arch9wavefront6targetE0EEEvT1_.num_agpr, 0
	.set _ZN7rocprim17ROCPRIM_400000_NS6detail17trampoline_kernelINS0_14default_configENS1_25partition_config_selectorILNS1_17partition_subalgoE5ElNS0_10empty_typeEbEEZZNS1_14partition_implILS5_5ELb0ES3_mN6hipcub16HIPCUB_304000_NS21CountingInputIteratorIllEEPS6_NSA_22TransformInputIteratorIbN2at6native12_GLOBAL__N_19NonZeroOpIaEEPKalEENS0_5tupleIJPlS6_EEENSN_IJSD_SD_EEES6_PiJS6_EEE10hipError_tPvRmT3_T4_T5_T6_T7_T9_mT8_P12ihipStream_tbDpT10_ENKUlT_T0_E_clISt17integral_constantIbLb0EES1A_IbLb1EEEEDaS16_S17_EUlS16_E_NS1_11comp_targetILNS1_3genE9ELNS1_11target_archE1100ELNS1_3gpuE3ELNS1_3repE0EEENS1_30default_config_static_selectorELNS0_4arch9wavefront6targetE0EEEvT1_.numbered_sgpr, 0
	.set _ZN7rocprim17ROCPRIM_400000_NS6detail17trampoline_kernelINS0_14default_configENS1_25partition_config_selectorILNS1_17partition_subalgoE5ElNS0_10empty_typeEbEEZZNS1_14partition_implILS5_5ELb0ES3_mN6hipcub16HIPCUB_304000_NS21CountingInputIteratorIllEEPS6_NSA_22TransformInputIteratorIbN2at6native12_GLOBAL__N_19NonZeroOpIaEEPKalEENS0_5tupleIJPlS6_EEENSN_IJSD_SD_EEES6_PiJS6_EEE10hipError_tPvRmT3_T4_T5_T6_T7_T9_mT8_P12ihipStream_tbDpT10_ENKUlT_T0_E_clISt17integral_constantIbLb0EES1A_IbLb1EEEEDaS16_S17_EUlS16_E_NS1_11comp_targetILNS1_3genE9ELNS1_11target_archE1100ELNS1_3gpuE3ELNS1_3repE0EEENS1_30default_config_static_selectorELNS0_4arch9wavefront6targetE0EEEvT1_.num_named_barrier, 0
	.set _ZN7rocprim17ROCPRIM_400000_NS6detail17trampoline_kernelINS0_14default_configENS1_25partition_config_selectorILNS1_17partition_subalgoE5ElNS0_10empty_typeEbEEZZNS1_14partition_implILS5_5ELb0ES3_mN6hipcub16HIPCUB_304000_NS21CountingInputIteratorIllEEPS6_NSA_22TransformInputIteratorIbN2at6native12_GLOBAL__N_19NonZeroOpIaEEPKalEENS0_5tupleIJPlS6_EEENSN_IJSD_SD_EEES6_PiJS6_EEE10hipError_tPvRmT3_T4_T5_T6_T7_T9_mT8_P12ihipStream_tbDpT10_ENKUlT_T0_E_clISt17integral_constantIbLb0EES1A_IbLb1EEEEDaS16_S17_EUlS16_E_NS1_11comp_targetILNS1_3genE9ELNS1_11target_archE1100ELNS1_3gpuE3ELNS1_3repE0EEENS1_30default_config_static_selectorELNS0_4arch9wavefront6targetE0EEEvT1_.private_seg_size, 0
	.set _ZN7rocprim17ROCPRIM_400000_NS6detail17trampoline_kernelINS0_14default_configENS1_25partition_config_selectorILNS1_17partition_subalgoE5ElNS0_10empty_typeEbEEZZNS1_14partition_implILS5_5ELb0ES3_mN6hipcub16HIPCUB_304000_NS21CountingInputIteratorIllEEPS6_NSA_22TransformInputIteratorIbN2at6native12_GLOBAL__N_19NonZeroOpIaEEPKalEENS0_5tupleIJPlS6_EEENSN_IJSD_SD_EEES6_PiJS6_EEE10hipError_tPvRmT3_T4_T5_T6_T7_T9_mT8_P12ihipStream_tbDpT10_ENKUlT_T0_E_clISt17integral_constantIbLb0EES1A_IbLb1EEEEDaS16_S17_EUlS16_E_NS1_11comp_targetILNS1_3genE9ELNS1_11target_archE1100ELNS1_3gpuE3ELNS1_3repE0EEENS1_30default_config_static_selectorELNS0_4arch9wavefront6targetE0EEEvT1_.uses_vcc, 0
	.set _ZN7rocprim17ROCPRIM_400000_NS6detail17trampoline_kernelINS0_14default_configENS1_25partition_config_selectorILNS1_17partition_subalgoE5ElNS0_10empty_typeEbEEZZNS1_14partition_implILS5_5ELb0ES3_mN6hipcub16HIPCUB_304000_NS21CountingInputIteratorIllEEPS6_NSA_22TransformInputIteratorIbN2at6native12_GLOBAL__N_19NonZeroOpIaEEPKalEENS0_5tupleIJPlS6_EEENSN_IJSD_SD_EEES6_PiJS6_EEE10hipError_tPvRmT3_T4_T5_T6_T7_T9_mT8_P12ihipStream_tbDpT10_ENKUlT_T0_E_clISt17integral_constantIbLb0EES1A_IbLb1EEEEDaS16_S17_EUlS16_E_NS1_11comp_targetILNS1_3genE9ELNS1_11target_archE1100ELNS1_3gpuE3ELNS1_3repE0EEENS1_30default_config_static_selectorELNS0_4arch9wavefront6targetE0EEEvT1_.uses_flat_scratch, 0
	.set _ZN7rocprim17ROCPRIM_400000_NS6detail17trampoline_kernelINS0_14default_configENS1_25partition_config_selectorILNS1_17partition_subalgoE5ElNS0_10empty_typeEbEEZZNS1_14partition_implILS5_5ELb0ES3_mN6hipcub16HIPCUB_304000_NS21CountingInputIteratorIllEEPS6_NSA_22TransformInputIteratorIbN2at6native12_GLOBAL__N_19NonZeroOpIaEEPKalEENS0_5tupleIJPlS6_EEENSN_IJSD_SD_EEES6_PiJS6_EEE10hipError_tPvRmT3_T4_T5_T6_T7_T9_mT8_P12ihipStream_tbDpT10_ENKUlT_T0_E_clISt17integral_constantIbLb0EES1A_IbLb1EEEEDaS16_S17_EUlS16_E_NS1_11comp_targetILNS1_3genE9ELNS1_11target_archE1100ELNS1_3gpuE3ELNS1_3repE0EEENS1_30default_config_static_selectorELNS0_4arch9wavefront6targetE0EEEvT1_.has_dyn_sized_stack, 0
	.set _ZN7rocprim17ROCPRIM_400000_NS6detail17trampoline_kernelINS0_14default_configENS1_25partition_config_selectorILNS1_17partition_subalgoE5ElNS0_10empty_typeEbEEZZNS1_14partition_implILS5_5ELb0ES3_mN6hipcub16HIPCUB_304000_NS21CountingInputIteratorIllEEPS6_NSA_22TransformInputIteratorIbN2at6native12_GLOBAL__N_19NonZeroOpIaEEPKalEENS0_5tupleIJPlS6_EEENSN_IJSD_SD_EEES6_PiJS6_EEE10hipError_tPvRmT3_T4_T5_T6_T7_T9_mT8_P12ihipStream_tbDpT10_ENKUlT_T0_E_clISt17integral_constantIbLb0EES1A_IbLb1EEEEDaS16_S17_EUlS16_E_NS1_11comp_targetILNS1_3genE9ELNS1_11target_archE1100ELNS1_3gpuE3ELNS1_3repE0EEENS1_30default_config_static_selectorELNS0_4arch9wavefront6targetE0EEEvT1_.has_recursion, 0
	.set _ZN7rocprim17ROCPRIM_400000_NS6detail17trampoline_kernelINS0_14default_configENS1_25partition_config_selectorILNS1_17partition_subalgoE5ElNS0_10empty_typeEbEEZZNS1_14partition_implILS5_5ELb0ES3_mN6hipcub16HIPCUB_304000_NS21CountingInputIteratorIllEEPS6_NSA_22TransformInputIteratorIbN2at6native12_GLOBAL__N_19NonZeroOpIaEEPKalEENS0_5tupleIJPlS6_EEENSN_IJSD_SD_EEES6_PiJS6_EEE10hipError_tPvRmT3_T4_T5_T6_T7_T9_mT8_P12ihipStream_tbDpT10_ENKUlT_T0_E_clISt17integral_constantIbLb0EES1A_IbLb1EEEEDaS16_S17_EUlS16_E_NS1_11comp_targetILNS1_3genE9ELNS1_11target_archE1100ELNS1_3gpuE3ELNS1_3repE0EEENS1_30default_config_static_selectorELNS0_4arch9wavefront6targetE0EEEvT1_.has_indirect_call, 0
	.section	.AMDGPU.csdata,"",@progbits
; Kernel info:
; codeLenInByte = 0
; TotalNumSgprs: 0
; NumVgprs: 0
; ScratchSize: 0
; MemoryBound: 0
; FloatMode: 240
; IeeeMode: 1
; LDSByteSize: 0 bytes/workgroup (compile time only)
; SGPRBlocks: 0
; VGPRBlocks: 0
; NumSGPRsForWavesPerEU: 1
; NumVGPRsForWavesPerEU: 1
; Occupancy: 16
; WaveLimiterHint : 0
; COMPUTE_PGM_RSRC2:SCRATCH_EN: 0
; COMPUTE_PGM_RSRC2:USER_SGPR: 2
; COMPUTE_PGM_RSRC2:TRAP_HANDLER: 0
; COMPUTE_PGM_RSRC2:TGID_X_EN: 1
; COMPUTE_PGM_RSRC2:TGID_Y_EN: 0
; COMPUTE_PGM_RSRC2:TGID_Z_EN: 0
; COMPUTE_PGM_RSRC2:TIDIG_COMP_CNT: 0
	.section	.text._ZN7rocprim17ROCPRIM_400000_NS6detail17trampoline_kernelINS0_14default_configENS1_25partition_config_selectorILNS1_17partition_subalgoE5ElNS0_10empty_typeEbEEZZNS1_14partition_implILS5_5ELb0ES3_mN6hipcub16HIPCUB_304000_NS21CountingInputIteratorIllEEPS6_NSA_22TransformInputIteratorIbN2at6native12_GLOBAL__N_19NonZeroOpIaEEPKalEENS0_5tupleIJPlS6_EEENSN_IJSD_SD_EEES6_PiJS6_EEE10hipError_tPvRmT3_T4_T5_T6_T7_T9_mT8_P12ihipStream_tbDpT10_ENKUlT_T0_E_clISt17integral_constantIbLb0EES1A_IbLb1EEEEDaS16_S17_EUlS16_E_NS1_11comp_targetILNS1_3genE8ELNS1_11target_archE1030ELNS1_3gpuE2ELNS1_3repE0EEENS1_30default_config_static_selectorELNS0_4arch9wavefront6targetE0EEEvT1_,"axG",@progbits,_ZN7rocprim17ROCPRIM_400000_NS6detail17trampoline_kernelINS0_14default_configENS1_25partition_config_selectorILNS1_17partition_subalgoE5ElNS0_10empty_typeEbEEZZNS1_14partition_implILS5_5ELb0ES3_mN6hipcub16HIPCUB_304000_NS21CountingInputIteratorIllEEPS6_NSA_22TransformInputIteratorIbN2at6native12_GLOBAL__N_19NonZeroOpIaEEPKalEENS0_5tupleIJPlS6_EEENSN_IJSD_SD_EEES6_PiJS6_EEE10hipError_tPvRmT3_T4_T5_T6_T7_T9_mT8_P12ihipStream_tbDpT10_ENKUlT_T0_E_clISt17integral_constantIbLb0EES1A_IbLb1EEEEDaS16_S17_EUlS16_E_NS1_11comp_targetILNS1_3genE8ELNS1_11target_archE1030ELNS1_3gpuE2ELNS1_3repE0EEENS1_30default_config_static_selectorELNS0_4arch9wavefront6targetE0EEEvT1_,comdat
	.globl	_ZN7rocprim17ROCPRIM_400000_NS6detail17trampoline_kernelINS0_14default_configENS1_25partition_config_selectorILNS1_17partition_subalgoE5ElNS0_10empty_typeEbEEZZNS1_14partition_implILS5_5ELb0ES3_mN6hipcub16HIPCUB_304000_NS21CountingInputIteratorIllEEPS6_NSA_22TransformInputIteratorIbN2at6native12_GLOBAL__N_19NonZeroOpIaEEPKalEENS0_5tupleIJPlS6_EEENSN_IJSD_SD_EEES6_PiJS6_EEE10hipError_tPvRmT3_T4_T5_T6_T7_T9_mT8_P12ihipStream_tbDpT10_ENKUlT_T0_E_clISt17integral_constantIbLb0EES1A_IbLb1EEEEDaS16_S17_EUlS16_E_NS1_11comp_targetILNS1_3genE8ELNS1_11target_archE1030ELNS1_3gpuE2ELNS1_3repE0EEENS1_30default_config_static_selectorELNS0_4arch9wavefront6targetE0EEEvT1_ ; -- Begin function _ZN7rocprim17ROCPRIM_400000_NS6detail17trampoline_kernelINS0_14default_configENS1_25partition_config_selectorILNS1_17partition_subalgoE5ElNS0_10empty_typeEbEEZZNS1_14partition_implILS5_5ELb0ES3_mN6hipcub16HIPCUB_304000_NS21CountingInputIteratorIllEEPS6_NSA_22TransformInputIteratorIbN2at6native12_GLOBAL__N_19NonZeroOpIaEEPKalEENS0_5tupleIJPlS6_EEENSN_IJSD_SD_EEES6_PiJS6_EEE10hipError_tPvRmT3_T4_T5_T6_T7_T9_mT8_P12ihipStream_tbDpT10_ENKUlT_T0_E_clISt17integral_constantIbLb0EES1A_IbLb1EEEEDaS16_S17_EUlS16_E_NS1_11comp_targetILNS1_3genE8ELNS1_11target_archE1030ELNS1_3gpuE2ELNS1_3repE0EEENS1_30default_config_static_selectorELNS0_4arch9wavefront6targetE0EEEvT1_
	.p2align	8
	.type	_ZN7rocprim17ROCPRIM_400000_NS6detail17trampoline_kernelINS0_14default_configENS1_25partition_config_selectorILNS1_17partition_subalgoE5ElNS0_10empty_typeEbEEZZNS1_14partition_implILS5_5ELb0ES3_mN6hipcub16HIPCUB_304000_NS21CountingInputIteratorIllEEPS6_NSA_22TransformInputIteratorIbN2at6native12_GLOBAL__N_19NonZeroOpIaEEPKalEENS0_5tupleIJPlS6_EEENSN_IJSD_SD_EEES6_PiJS6_EEE10hipError_tPvRmT3_T4_T5_T6_T7_T9_mT8_P12ihipStream_tbDpT10_ENKUlT_T0_E_clISt17integral_constantIbLb0EES1A_IbLb1EEEEDaS16_S17_EUlS16_E_NS1_11comp_targetILNS1_3genE8ELNS1_11target_archE1030ELNS1_3gpuE2ELNS1_3repE0EEENS1_30default_config_static_selectorELNS0_4arch9wavefront6targetE0EEEvT1_,@function
_ZN7rocprim17ROCPRIM_400000_NS6detail17trampoline_kernelINS0_14default_configENS1_25partition_config_selectorILNS1_17partition_subalgoE5ElNS0_10empty_typeEbEEZZNS1_14partition_implILS5_5ELb0ES3_mN6hipcub16HIPCUB_304000_NS21CountingInputIteratorIllEEPS6_NSA_22TransformInputIteratorIbN2at6native12_GLOBAL__N_19NonZeroOpIaEEPKalEENS0_5tupleIJPlS6_EEENSN_IJSD_SD_EEES6_PiJS6_EEE10hipError_tPvRmT3_T4_T5_T6_T7_T9_mT8_P12ihipStream_tbDpT10_ENKUlT_T0_E_clISt17integral_constantIbLb0EES1A_IbLb1EEEEDaS16_S17_EUlS16_E_NS1_11comp_targetILNS1_3genE8ELNS1_11target_archE1030ELNS1_3gpuE2ELNS1_3repE0EEENS1_30default_config_static_selectorELNS0_4arch9wavefront6targetE0EEEvT1_: ; @_ZN7rocprim17ROCPRIM_400000_NS6detail17trampoline_kernelINS0_14default_configENS1_25partition_config_selectorILNS1_17partition_subalgoE5ElNS0_10empty_typeEbEEZZNS1_14partition_implILS5_5ELb0ES3_mN6hipcub16HIPCUB_304000_NS21CountingInputIteratorIllEEPS6_NSA_22TransformInputIteratorIbN2at6native12_GLOBAL__N_19NonZeroOpIaEEPKalEENS0_5tupleIJPlS6_EEENSN_IJSD_SD_EEES6_PiJS6_EEE10hipError_tPvRmT3_T4_T5_T6_T7_T9_mT8_P12ihipStream_tbDpT10_ENKUlT_T0_E_clISt17integral_constantIbLb0EES1A_IbLb1EEEEDaS16_S17_EUlS16_E_NS1_11comp_targetILNS1_3genE8ELNS1_11target_archE1030ELNS1_3gpuE2ELNS1_3repE0EEENS1_30default_config_static_selectorELNS0_4arch9wavefront6targetE0EEEvT1_
; %bb.0:
	.section	.rodata,"a",@progbits
	.p2align	6, 0x0
	.amdhsa_kernel _ZN7rocprim17ROCPRIM_400000_NS6detail17trampoline_kernelINS0_14default_configENS1_25partition_config_selectorILNS1_17partition_subalgoE5ElNS0_10empty_typeEbEEZZNS1_14partition_implILS5_5ELb0ES3_mN6hipcub16HIPCUB_304000_NS21CountingInputIteratorIllEEPS6_NSA_22TransformInputIteratorIbN2at6native12_GLOBAL__N_19NonZeroOpIaEEPKalEENS0_5tupleIJPlS6_EEENSN_IJSD_SD_EEES6_PiJS6_EEE10hipError_tPvRmT3_T4_T5_T6_T7_T9_mT8_P12ihipStream_tbDpT10_ENKUlT_T0_E_clISt17integral_constantIbLb0EES1A_IbLb1EEEEDaS16_S17_EUlS16_E_NS1_11comp_targetILNS1_3genE8ELNS1_11target_archE1030ELNS1_3gpuE2ELNS1_3repE0EEENS1_30default_config_static_selectorELNS0_4arch9wavefront6targetE0EEEvT1_
		.amdhsa_group_segment_fixed_size 0
		.amdhsa_private_segment_fixed_size 0
		.amdhsa_kernarg_size 136
		.amdhsa_user_sgpr_count 2
		.amdhsa_user_sgpr_dispatch_ptr 0
		.amdhsa_user_sgpr_queue_ptr 0
		.amdhsa_user_sgpr_kernarg_segment_ptr 1
		.amdhsa_user_sgpr_dispatch_id 0
		.amdhsa_user_sgpr_private_segment_size 0
		.amdhsa_wavefront_size32 1
		.amdhsa_uses_dynamic_stack 0
		.amdhsa_enable_private_segment 0
		.amdhsa_system_sgpr_workgroup_id_x 1
		.amdhsa_system_sgpr_workgroup_id_y 0
		.amdhsa_system_sgpr_workgroup_id_z 0
		.amdhsa_system_sgpr_workgroup_info 0
		.amdhsa_system_vgpr_workitem_id 0
		.amdhsa_next_free_vgpr 1
		.amdhsa_next_free_sgpr 1
		.amdhsa_reserve_vcc 0
		.amdhsa_float_round_mode_32 0
		.amdhsa_float_round_mode_16_64 0
		.amdhsa_float_denorm_mode_32 3
		.amdhsa_float_denorm_mode_16_64 3
		.amdhsa_fp16_overflow 0
		.amdhsa_workgroup_processor_mode 1
		.amdhsa_memory_ordered 1
		.amdhsa_forward_progress 1
		.amdhsa_inst_pref_size 0
		.amdhsa_round_robin_scheduling 0
		.amdhsa_exception_fp_ieee_invalid_op 0
		.amdhsa_exception_fp_denorm_src 0
		.amdhsa_exception_fp_ieee_div_zero 0
		.amdhsa_exception_fp_ieee_overflow 0
		.amdhsa_exception_fp_ieee_underflow 0
		.amdhsa_exception_fp_ieee_inexact 0
		.amdhsa_exception_int_div_zero 0
	.end_amdhsa_kernel
	.section	.text._ZN7rocprim17ROCPRIM_400000_NS6detail17trampoline_kernelINS0_14default_configENS1_25partition_config_selectorILNS1_17partition_subalgoE5ElNS0_10empty_typeEbEEZZNS1_14partition_implILS5_5ELb0ES3_mN6hipcub16HIPCUB_304000_NS21CountingInputIteratorIllEEPS6_NSA_22TransformInputIteratorIbN2at6native12_GLOBAL__N_19NonZeroOpIaEEPKalEENS0_5tupleIJPlS6_EEENSN_IJSD_SD_EEES6_PiJS6_EEE10hipError_tPvRmT3_T4_T5_T6_T7_T9_mT8_P12ihipStream_tbDpT10_ENKUlT_T0_E_clISt17integral_constantIbLb0EES1A_IbLb1EEEEDaS16_S17_EUlS16_E_NS1_11comp_targetILNS1_3genE8ELNS1_11target_archE1030ELNS1_3gpuE2ELNS1_3repE0EEENS1_30default_config_static_selectorELNS0_4arch9wavefront6targetE0EEEvT1_,"axG",@progbits,_ZN7rocprim17ROCPRIM_400000_NS6detail17trampoline_kernelINS0_14default_configENS1_25partition_config_selectorILNS1_17partition_subalgoE5ElNS0_10empty_typeEbEEZZNS1_14partition_implILS5_5ELb0ES3_mN6hipcub16HIPCUB_304000_NS21CountingInputIteratorIllEEPS6_NSA_22TransformInputIteratorIbN2at6native12_GLOBAL__N_19NonZeroOpIaEEPKalEENS0_5tupleIJPlS6_EEENSN_IJSD_SD_EEES6_PiJS6_EEE10hipError_tPvRmT3_T4_T5_T6_T7_T9_mT8_P12ihipStream_tbDpT10_ENKUlT_T0_E_clISt17integral_constantIbLb0EES1A_IbLb1EEEEDaS16_S17_EUlS16_E_NS1_11comp_targetILNS1_3genE8ELNS1_11target_archE1030ELNS1_3gpuE2ELNS1_3repE0EEENS1_30default_config_static_selectorELNS0_4arch9wavefront6targetE0EEEvT1_,comdat
.Lfunc_end149:
	.size	_ZN7rocprim17ROCPRIM_400000_NS6detail17trampoline_kernelINS0_14default_configENS1_25partition_config_selectorILNS1_17partition_subalgoE5ElNS0_10empty_typeEbEEZZNS1_14partition_implILS5_5ELb0ES3_mN6hipcub16HIPCUB_304000_NS21CountingInputIteratorIllEEPS6_NSA_22TransformInputIteratorIbN2at6native12_GLOBAL__N_19NonZeroOpIaEEPKalEENS0_5tupleIJPlS6_EEENSN_IJSD_SD_EEES6_PiJS6_EEE10hipError_tPvRmT3_T4_T5_T6_T7_T9_mT8_P12ihipStream_tbDpT10_ENKUlT_T0_E_clISt17integral_constantIbLb0EES1A_IbLb1EEEEDaS16_S17_EUlS16_E_NS1_11comp_targetILNS1_3genE8ELNS1_11target_archE1030ELNS1_3gpuE2ELNS1_3repE0EEENS1_30default_config_static_selectorELNS0_4arch9wavefront6targetE0EEEvT1_, .Lfunc_end149-_ZN7rocprim17ROCPRIM_400000_NS6detail17trampoline_kernelINS0_14default_configENS1_25partition_config_selectorILNS1_17partition_subalgoE5ElNS0_10empty_typeEbEEZZNS1_14partition_implILS5_5ELb0ES3_mN6hipcub16HIPCUB_304000_NS21CountingInputIteratorIllEEPS6_NSA_22TransformInputIteratorIbN2at6native12_GLOBAL__N_19NonZeroOpIaEEPKalEENS0_5tupleIJPlS6_EEENSN_IJSD_SD_EEES6_PiJS6_EEE10hipError_tPvRmT3_T4_T5_T6_T7_T9_mT8_P12ihipStream_tbDpT10_ENKUlT_T0_E_clISt17integral_constantIbLb0EES1A_IbLb1EEEEDaS16_S17_EUlS16_E_NS1_11comp_targetILNS1_3genE8ELNS1_11target_archE1030ELNS1_3gpuE2ELNS1_3repE0EEENS1_30default_config_static_selectorELNS0_4arch9wavefront6targetE0EEEvT1_
                                        ; -- End function
	.set _ZN7rocprim17ROCPRIM_400000_NS6detail17trampoline_kernelINS0_14default_configENS1_25partition_config_selectorILNS1_17partition_subalgoE5ElNS0_10empty_typeEbEEZZNS1_14partition_implILS5_5ELb0ES3_mN6hipcub16HIPCUB_304000_NS21CountingInputIteratorIllEEPS6_NSA_22TransformInputIteratorIbN2at6native12_GLOBAL__N_19NonZeroOpIaEEPKalEENS0_5tupleIJPlS6_EEENSN_IJSD_SD_EEES6_PiJS6_EEE10hipError_tPvRmT3_T4_T5_T6_T7_T9_mT8_P12ihipStream_tbDpT10_ENKUlT_T0_E_clISt17integral_constantIbLb0EES1A_IbLb1EEEEDaS16_S17_EUlS16_E_NS1_11comp_targetILNS1_3genE8ELNS1_11target_archE1030ELNS1_3gpuE2ELNS1_3repE0EEENS1_30default_config_static_selectorELNS0_4arch9wavefront6targetE0EEEvT1_.num_vgpr, 0
	.set _ZN7rocprim17ROCPRIM_400000_NS6detail17trampoline_kernelINS0_14default_configENS1_25partition_config_selectorILNS1_17partition_subalgoE5ElNS0_10empty_typeEbEEZZNS1_14partition_implILS5_5ELb0ES3_mN6hipcub16HIPCUB_304000_NS21CountingInputIteratorIllEEPS6_NSA_22TransformInputIteratorIbN2at6native12_GLOBAL__N_19NonZeroOpIaEEPKalEENS0_5tupleIJPlS6_EEENSN_IJSD_SD_EEES6_PiJS6_EEE10hipError_tPvRmT3_T4_T5_T6_T7_T9_mT8_P12ihipStream_tbDpT10_ENKUlT_T0_E_clISt17integral_constantIbLb0EES1A_IbLb1EEEEDaS16_S17_EUlS16_E_NS1_11comp_targetILNS1_3genE8ELNS1_11target_archE1030ELNS1_3gpuE2ELNS1_3repE0EEENS1_30default_config_static_selectorELNS0_4arch9wavefront6targetE0EEEvT1_.num_agpr, 0
	.set _ZN7rocprim17ROCPRIM_400000_NS6detail17trampoline_kernelINS0_14default_configENS1_25partition_config_selectorILNS1_17partition_subalgoE5ElNS0_10empty_typeEbEEZZNS1_14partition_implILS5_5ELb0ES3_mN6hipcub16HIPCUB_304000_NS21CountingInputIteratorIllEEPS6_NSA_22TransformInputIteratorIbN2at6native12_GLOBAL__N_19NonZeroOpIaEEPKalEENS0_5tupleIJPlS6_EEENSN_IJSD_SD_EEES6_PiJS6_EEE10hipError_tPvRmT3_T4_T5_T6_T7_T9_mT8_P12ihipStream_tbDpT10_ENKUlT_T0_E_clISt17integral_constantIbLb0EES1A_IbLb1EEEEDaS16_S17_EUlS16_E_NS1_11comp_targetILNS1_3genE8ELNS1_11target_archE1030ELNS1_3gpuE2ELNS1_3repE0EEENS1_30default_config_static_selectorELNS0_4arch9wavefront6targetE0EEEvT1_.numbered_sgpr, 0
	.set _ZN7rocprim17ROCPRIM_400000_NS6detail17trampoline_kernelINS0_14default_configENS1_25partition_config_selectorILNS1_17partition_subalgoE5ElNS0_10empty_typeEbEEZZNS1_14partition_implILS5_5ELb0ES3_mN6hipcub16HIPCUB_304000_NS21CountingInputIteratorIllEEPS6_NSA_22TransformInputIteratorIbN2at6native12_GLOBAL__N_19NonZeroOpIaEEPKalEENS0_5tupleIJPlS6_EEENSN_IJSD_SD_EEES6_PiJS6_EEE10hipError_tPvRmT3_T4_T5_T6_T7_T9_mT8_P12ihipStream_tbDpT10_ENKUlT_T0_E_clISt17integral_constantIbLb0EES1A_IbLb1EEEEDaS16_S17_EUlS16_E_NS1_11comp_targetILNS1_3genE8ELNS1_11target_archE1030ELNS1_3gpuE2ELNS1_3repE0EEENS1_30default_config_static_selectorELNS0_4arch9wavefront6targetE0EEEvT1_.num_named_barrier, 0
	.set _ZN7rocprim17ROCPRIM_400000_NS6detail17trampoline_kernelINS0_14default_configENS1_25partition_config_selectorILNS1_17partition_subalgoE5ElNS0_10empty_typeEbEEZZNS1_14partition_implILS5_5ELb0ES3_mN6hipcub16HIPCUB_304000_NS21CountingInputIteratorIllEEPS6_NSA_22TransformInputIteratorIbN2at6native12_GLOBAL__N_19NonZeroOpIaEEPKalEENS0_5tupleIJPlS6_EEENSN_IJSD_SD_EEES6_PiJS6_EEE10hipError_tPvRmT3_T4_T5_T6_T7_T9_mT8_P12ihipStream_tbDpT10_ENKUlT_T0_E_clISt17integral_constantIbLb0EES1A_IbLb1EEEEDaS16_S17_EUlS16_E_NS1_11comp_targetILNS1_3genE8ELNS1_11target_archE1030ELNS1_3gpuE2ELNS1_3repE0EEENS1_30default_config_static_selectorELNS0_4arch9wavefront6targetE0EEEvT1_.private_seg_size, 0
	.set _ZN7rocprim17ROCPRIM_400000_NS6detail17trampoline_kernelINS0_14default_configENS1_25partition_config_selectorILNS1_17partition_subalgoE5ElNS0_10empty_typeEbEEZZNS1_14partition_implILS5_5ELb0ES3_mN6hipcub16HIPCUB_304000_NS21CountingInputIteratorIllEEPS6_NSA_22TransformInputIteratorIbN2at6native12_GLOBAL__N_19NonZeroOpIaEEPKalEENS0_5tupleIJPlS6_EEENSN_IJSD_SD_EEES6_PiJS6_EEE10hipError_tPvRmT3_T4_T5_T6_T7_T9_mT8_P12ihipStream_tbDpT10_ENKUlT_T0_E_clISt17integral_constantIbLb0EES1A_IbLb1EEEEDaS16_S17_EUlS16_E_NS1_11comp_targetILNS1_3genE8ELNS1_11target_archE1030ELNS1_3gpuE2ELNS1_3repE0EEENS1_30default_config_static_selectorELNS0_4arch9wavefront6targetE0EEEvT1_.uses_vcc, 0
	.set _ZN7rocprim17ROCPRIM_400000_NS6detail17trampoline_kernelINS0_14default_configENS1_25partition_config_selectorILNS1_17partition_subalgoE5ElNS0_10empty_typeEbEEZZNS1_14partition_implILS5_5ELb0ES3_mN6hipcub16HIPCUB_304000_NS21CountingInputIteratorIllEEPS6_NSA_22TransformInputIteratorIbN2at6native12_GLOBAL__N_19NonZeroOpIaEEPKalEENS0_5tupleIJPlS6_EEENSN_IJSD_SD_EEES6_PiJS6_EEE10hipError_tPvRmT3_T4_T5_T6_T7_T9_mT8_P12ihipStream_tbDpT10_ENKUlT_T0_E_clISt17integral_constantIbLb0EES1A_IbLb1EEEEDaS16_S17_EUlS16_E_NS1_11comp_targetILNS1_3genE8ELNS1_11target_archE1030ELNS1_3gpuE2ELNS1_3repE0EEENS1_30default_config_static_selectorELNS0_4arch9wavefront6targetE0EEEvT1_.uses_flat_scratch, 0
	.set _ZN7rocprim17ROCPRIM_400000_NS6detail17trampoline_kernelINS0_14default_configENS1_25partition_config_selectorILNS1_17partition_subalgoE5ElNS0_10empty_typeEbEEZZNS1_14partition_implILS5_5ELb0ES3_mN6hipcub16HIPCUB_304000_NS21CountingInputIteratorIllEEPS6_NSA_22TransformInputIteratorIbN2at6native12_GLOBAL__N_19NonZeroOpIaEEPKalEENS0_5tupleIJPlS6_EEENSN_IJSD_SD_EEES6_PiJS6_EEE10hipError_tPvRmT3_T4_T5_T6_T7_T9_mT8_P12ihipStream_tbDpT10_ENKUlT_T0_E_clISt17integral_constantIbLb0EES1A_IbLb1EEEEDaS16_S17_EUlS16_E_NS1_11comp_targetILNS1_3genE8ELNS1_11target_archE1030ELNS1_3gpuE2ELNS1_3repE0EEENS1_30default_config_static_selectorELNS0_4arch9wavefront6targetE0EEEvT1_.has_dyn_sized_stack, 0
	.set _ZN7rocprim17ROCPRIM_400000_NS6detail17trampoline_kernelINS0_14default_configENS1_25partition_config_selectorILNS1_17partition_subalgoE5ElNS0_10empty_typeEbEEZZNS1_14partition_implILS5_5ELb0ES3_mN6hipcub16HIPCUB_304000_NS21CountingInputIteratorIllEEPS6_NSA_22TransformInputIteratorIbN2at6native12_GLOBAL__N_19NonZeroOpIaEEPKalEENS0_5tupleIJPlS6_EEENSN_IJSD_SD_EEES6_PiJS6_EEE10hipError_tPvRmT3_T4_T5_T6_T7_T9_mT8_P12ihipStream_tbDpT10_ENKUlT_T0_E_clISt17integral_constantIbLb0EES1A_IbLb1EEEEDaS16_S17_EUlS16_E_NS1_11comp_targetILNS1_3genE8ELNS1_11target_archE1030ELNS1_3gpuE2ELNS1_3repE0EEENS1_30default_config_static_selectorELNS0_4arch9wavefront6targetE0EEEvT1_.has_recursion, 0
	.set _ZN7rocprim17ROCPRIM_400000_NS6detail17trampoline_kernelINS0_14default_configENS1_25partition_config_selectorILNS1_17partition_subalgoE5ElNS0_10empty_typeEbEEZZNS1_14partition_implILS5_5ELb0ES3_mN6hipcub16HIPCUB_304000_NS21CountingInputIteratorIllEEPS6_NSA_22TransformInputIteratorIbN2at6native12_GLOBAL__N_19NonZeroOpIaEEPKalEENS0_5tupleIJPlS6_EEENSN_IJSD_SD_EEES6_PiJS6_EEE10hipError_tPvRmT3_T4_T5_T6_T7_T9_mT8_P12ihipStream_tbDpT10_ENKUlT_T0_E_clISt17integral_constantIbLb0EES1A_IbLb1EEEEDaS16_S17_EUlS16_E_NS1_11comp_targetILNS1_3genE8ELNS1_11target_archE1030ELNS1_3gpuE2ELNS1_3repE0EEENS1_30default_config_static_selectorELNS0_4arch9wavefront6targetE0EEEvT1_.has_indirect_call, 0
	.section	.AMDGPU.csdata,"",@progbits
; Kernel info:
; codeLenInByte = 0
; TotalNumSgprs: 0
; NumVgprs: 0
; ScratchSize: 0
; MemoryBound: 0
; FloatMode: 240
; IeeeMode: 1
; LDSByteSize: 0 bytes/workgroup (compile time only)
; SGPRBlocks: 0
; VGPRBlocks: 0
; NumSGPRsForWavesPerEU: 1
; NumVGPRsForWavesPerEU: 1
; Occupancy: 16
; WaveLimiterHint : 0
; COMPUTE_PGM_RSRC2:SCRATCH_EN: 0
; COMPUTE_PGM_RSRC2:USER_SGPR: 2
; COMPUTE_PGM_RSRC2:TRAP_HANDLER: 0
; COMPUTE_PGM_RSRC2:TGID_X_EN: 1
; COMPUTE_PGM_RSRC2:TGID_Y_EN: 0
; COMPUTE_PGM_RSRC2:TGID_Z_EN: 0
; COMPUTE_PGM_RSRC2:TIDIG_COMP_CNT: 0
	.section	.text._ZN7rocprim17ROCPRIM_400000_NS6detail17trampoline_kernelINS0_14default_configENS1_22reduce_config_selectorIiEEZNS1_11reduce_implILb1ES3_PiS7_iN6hipcub16HIPCUB_304000_NS6detail34convert_binary_result_type_wrapperINS9_3SumENS9_22TransformInputIteratorIbN2at6native12_GLOBAL__N_19NonZeroOpIiEEPKilEEiEEEE10hipError_tPvRmT1_T2_T3_mT4_P12ihipStream_tbEUlT_E0_NS1_11comp_targetILNS1_3genE0ELNS1_11target_archE4294967295ELNS1_3gpuE0ELNS1_3repE0EEENS1_30default_config_static_selectorELNS0_4arch9wavefront6targetE0EEEvSQ_,"axG",@progbits,_ZN7rocprim17ROCPRIM_400000_NS6detail17trampoline_kernelINS0_14default_configENS1_22reduce_config_selectorIiEEZNS1_11reduce_implILb1ES3_PiS7_iN6hipcub16HIPCUB_304000_NS6detail34convert_binary_result_type_wrapperINS9_3SumENS9_22TransformInputIteratorIbN2at6native12_GLOBAL__N_19NonZeroOpIiEEPKilEEiEEEE10hipError_tPvRmT1_T2_T3_mT4_P12ihipStream_tbEUlT_E0_NS1_11comp_targetILNS1_3genE0ELNS1_11target_archE4294967295ELNS1_3gpuE0ELNS1_3repE0EEENS1_30default_config_static_selectorELNS0_4arch9wavefront6targetE0EEEvSQ_,comdat
	.globl	_ZN7rocprim17ROCPRIM_400000_NS6detail17trampoline_kernelINS0_14default_configENS1_22reduce_config_selectorIiEEZNS1_11reduce_implILb1ES3_PiS7_iN6hipcub16HIPCUB_304000_NS6detail34convert_binary_result_type_wrapperINS9_3SumENS9_22TransformInputIteratorIbN2at6native12_GLOBAL__N_19NonZeroOpIiEEPKilEEiEEEE10hipError_tPvRmT1_T2_T3_mT4_P12ihipStream_tbEUlT_E0_NS1_11comp_targetILNS1_3genE0ELNS1_11target_archE4294967295ELNS1_3gpuE0ELNS1_3repE0EEENS1_30default_config_static_selectorELNS0_4arch9wavefront6targetE0EEEvSQ_ ; -- Begin function _ZN7rocprim17ROCPRIM_400000_NS6detail17trampoline_kernelINS0_14default_configENS1_22reduce_config_selectorIiEEZNS1_11reduce_implILb1ES3_PiS7_iN6hipcub16HIPCUB_304000_NS6detail34convert_binary_result_type_wrapperINS9_3SumENS9_22TransformInputIteratorIbN2at6native12_GLOBAL__N_19NonZeroOpIiEEPKilEEiEEEE10hipError_tPvRmT1_T2_T3_mT4_P12ihipStream_tbEUlT_E0_NS1_11comp_targetILNS1_3genE0ELNS1_11target_archE4294967295ELNS1_3gpuE0ELNS1_3repE0EEENS1_30default_config_static_selectorELNS0_4arch9wavefront6targetE0EEEvSQ_
	.p2align	8
	.type	_ZN7rocprim17ROCPRIM_400000_NS6detail17trampoline_kernelINS0_14default_configENS1_22reduce_config_selectorIiEEZNS1_11reduce_implILb1ES3_PiS7_iN6hipcub16HIPCUB_304000_NS6detail34convert_binary_result_type_wrapperINS9_3SumENS9_22TransformInputIteratorIbN2at6native12_GLOBAL__N_19NonZeroOpIiEEPKilEEiEEEE10hipError_tPvRmT1_T2_T3_mT4_P12ihipStream_tbEUlT_E0_NS1_11comp_targetILNS1_3genE0ELNS1_11target_archE4294967295ELNS1_3gpuE0ELNS1_3repE0EEENS1_30default_config_static_selectorELNS0_4arch9wavefront6targetE0EEEvSQ_,@function
_ZN7rocprim17ROCPRIM_400000_NS6detail17trampoline_kernelINS0_14default_configENS1_22reduce_config_selectorIiEEZNS1_11reduce_implILb1ES3_PiS7_iN6hipcub16HIPCUB_304000_NS6detail34convert_binary_result_type_wrapperINS9_3SumENS9_22TransformInputIteratorIbN2at6native12_GLOBAL__N_19NonZeroOpIiEEPKilEEiEEEE10hipError_tPvRmT1_T2_T3_mT4_P12ihipStream_tbEUlT_E0_NS1_11comp_targetILNS1_3genE0ELNS1_11target_archE4294967295ELNS1_3gpuE0ELNS1_3repE0EEENS1_30default_config_static_selectorELNS0_4arch9wavefront6targetE0EEEvSQ_: ; @_ZN7rocprim17ROCPRIM_400000_NS6detail17trampoline_kernelINS0_14default_configENS1_22reduce_config_selectorIiEEZNS1_11reduce_implILb1ES3_PiS7_iN6hipcub16HIPCUB_304000_NS6detail34convert_binary_result_type_wrapperINS9_3SumENS9_22TransformInputIteratorIbN2at6native12_GLOBAL__N_19NonZeroOpIiEEPKilEEiEEEE10hipError_tPvRmT1_T2_T3_mT4_P12ihipStream_tbEUlT_E0_NS1_11comp_targetILNS1_3genE0ELNS1_11target_archE4294967295ELNS1_3gpuE0ELNS1_3repE0EEENS1_30default_config_static_selectorELNS0_4arch9wavefront6targetE0EEEvSQ_
; %bb.0:
	.section	.rodata,"a",@progbits
	.p2align	6, 0x0
	.amdhsa_kernel _ZN7rocprim17ROCPRIM_400000_NS6detail17trampoline_kernelINS0_14default_configENS1_22reduce_config_selectorIiEEZNS1_11reduce_implILb1ES3_PiS7_iN6hipcub16HIPCUB_304000_NS6detail34convert_binary_result_type_wrapperINS9_3SumENS9_22TransformInputIteratorIbN2at6native12_GLOBAL__N_19NonZeroOpIiEEPKilEEiEEEE10hipError_tPvRmT1_T2_T3_mT4_P12ihipStream_tbEUlT_E0_NS1_11comp_targetILNS1_3genE0ELNS1_11target_archE4294967295ELNS1_3gpuE0ELNS1_3repE0EEENS1_30default_config_static_selectorELNS0_4arch9wavefront6targetE0EEEvSQ_
		.amdhsa_group_segment_fixed_size 0
		.amdhsa_private_segment_fixed_size 0
		.amdhsa_kernarg_size 56
		.amdhsa_user_sgpr_count 2
		.amdhsa_user_sgpr_dispatch_ptr 0
		.amdhsa_user_sgpr_queue_ptr 0
		.amdhsa_user_sgpr_kernarg_segment_ptr 1
		.amdhsa_user_sgpr_dispatch_id 0
		.amdhsa_user_sgpr_private_segment_size 0
		.amdhsa_wavefront_size32 1
		.amdhsa_uses_dynamic_stack 0
		.amdhsa_enable_private_segment 0
		.amdhsa_system_sgpr_workgroup_id_x 1
		.amdhsa_system_sgpr_workgroup_id_y 0
		.amdhsa_system_sgpr_workgroup_id_z 0
		.amdhsa_system_sgpr_workgroup_info 0
		.amdhsa_system_vgpr_workitem_id 0
		.amdhsa_next_free_vgpr 1
		.amdhsa_next_free_sgpr 1
		.amdhsa_reserve_vcc 0
		.amdhsa_float_round_mode_32 0
		.amdhsa_float_round_mode_16_64 0
		.amdhsa_float_denorm_mode_32 3
		.amdhsa_float_denorm_mode_16_64 3
		.amdhsa_fp16_overflow 0
		.amdhsa_workgroup_processor_mode 1
		.amdhsa_memory_ordered 1
		.amdhsa_forward_progress 1
		.amdhsa_inst_pref_size 0
		.amdhsa_round_robin_scheduling 0
		.amdhsa_exception_fp_ieee_invalid_op 0
		.amdhsa_exception_fp_denorm_src 0
		.amdhsa_exception_fp_ieee_div_zero 0
		.amdhsa_exception_fp_ieee_overflow 0
		.amdhsa_exception_fp_ieee_underflow 0
		.amdhsa_exception_fp_ieee_inexact 0
		.amdhsa_exception_int_div_zero 0
	.end_amdhsa_kernel
	.section	.text._ZN7rocprim17ROCPRIM_400000_NS6detail17trampoline_kernelINS0_14default_configENS1_22reduce_config_selectorIiEEZNS1_11reduce_implILb1ES3_PiS7_iN6hipcub16HIPCUB_304000_NS6detail34convert_binary_result_type_wrapperINS9_3SumENS9_22TransformInputIteratorIbN2at6native12_GLOBAL__N_19NonZeroOpIiEEPKilEEiEEEE10hipError_tPvRmT1_T2_T3_mT4_P12ihipStream_tbEUlT_E0_NS1_11comp_targetILNS1_3genE0ELNS1_11target_archE4294967295ELNS1_3gpuE0ELNS1_3repE0EEENS1_30default_config_static_selectorELNS0_4arch9wavefront6targetE0EEEvSQ_,"axG",@progbits,_ZN7rocprim17ROCPRIM_400000_NS6detail17trampoline_kernelINS0_14default_configENS1_22reduce_config_selectorIiEEZNS1_11reduce_implILb1ES3_PiS7_iN6hipcub16HIPCUB_304000_NS6detail34convert_binary_result_type_wrapperINS9_3SumENS9_22TransformInputIteratorIbN2at6native12_GLOBAL__N_19NonZeroOpIiEEPKilEEiEEEE10hipError_tPvRmT1_T2_T3_mT4_P12ihipStream_tbEUlT_E0_NS1_11comp_targetILNS1_3genE0ELNS1_11target_archE4294967295ELNS1_3gpuE0ELNS1_3repE0EEENS1_30default_config_static_selectorELNS0_4arch9wavefront6targetE0EEEvSQ_,comdat
.Lfunc_end150:
	.size	_ZN7rocprim17ROCPRIM_400000_NS6detail17trampoline_kernelINS0_14default_configENS1_22reduce_config_selectorIiEEZNS1_11reduce_implILb1ES3_PiS7_iN6hipcub16HIPCUB_304000_NS6detail34convert_binary_result_type_wrapperINS9_3SumENS9_22TransformInputIteratorIbN2at6native12_GLOBAL__N_19NonZeroOpIiEEPKilEEiEEEE10hipError_tPvRmT1_T2_T3_mT4_P12ihipStream_tbEUlT_E0_NS1_11comp_targetILNS1_3genE0ELNS1_11target_archE4294967295ELNS1_3gpuE0ELNS1_3repE0EEENS1_30default_config_static_selectorELNS0_4arch9wavefront6targetE0EEEvSQ_, .Lfunc_end150-_ZN7rocprim17ROCPRIM_400000_NS6detail17trampoline_kernelINS0_14default_configENS1_22reduce_config_selectorIiEEZNS1_11reduce_implILb1ES3_PiS7_iN6hipcub16HIPCUB_304000_NS6detail34convert_binary_result_type_wrapperINS9_3SumENS9_22TransformInputIteratorIbN2at6native12_GLOBAL__N_19NonZeroOpIiEEPKilEEiEEEE10hipError_tPvRmT1_T2_T3_mT4_P12ihipStream_tbEUlT_E0_NS1_11comp_targetILNS1_3genE0ELNS1_11target_archE4294967295ELNS1_3gpuE0ELNS1_3repE0EEENS1_30default_config_static_selectorELNS0_4arch9wavefront6targetE0EEEvSQ_
                                        ; -- End function
	.set _ZN7rocprim17ROCPRIM_400000_NS6detail17trampoline_kernelINS0_14default_configENS1_22reduce_config_selectorIiEEZNS1_11reduce_implILb1ES3_PiS7_iN6hipcub16HIPCUB_304000_NS6detail34convert_binary_result_type_wrapperINS9_3SumENS9_22TransformInputIteratorIbN2at6native12_GLOBAL__N_19NonZeroOpIiEEPKilEEiEEEE10hipError_tPvRmT1_T2_T3_mT4_P12ihipStream_tbEUlT_E0_NS1_11comp_targetILNS1_3genE0ELNS1_11target_archE4294967295ELNS1_3gpuE0ELNS1_3repE0EEENS1_30default_config_static_selectorELNS0_4arch9wavefront6targetE0EEEvSQ_.num_vgpr, 0
	.set _ZN7rocprim17ROCPRIM_400000_NS6detail17trampoline_kernelINS0_14default_configENS1_22reduce_config_selectorIiEEZNS1_11reduce_implILb1ES3_PiS7_iN6hipcub16HIPCUB_304000_NS6detail34convert_binary_result_type_wrapperINS9_3SumENS9_22TransformInputIteratorIbN2at6native12_GLOBAL__N_19NonZeroOpIiEEPKilEEiEEEE10hipError_tPvRmT1_T2_T3_mT4_P12ihipStream_tbEUlT_E0_NS1_11comp_targetILNS1_3genE0ELNS1_11target_archE4294967295ELNS1_3gpuE0ELNS1_3repE0EEENS1_30default_config_static_selectorELNS0_4arch9wavefront6targetE0EEEvSQ_.num_agpr, 0
	.set _ZN7rocprim17ROCPRIM_400000_NS6detail17trampoline_kernelINS0_14default_configENS1_22reduce_config_selectorIiEEZNS1_11reduce_implILb1ES3_PiS7_iN6hipcub16HIPCUB_304000_NS6detail34convert_binary_result_type_wrapperINS9_3SumENS9_22TransformInputIteratorIbN2at6native12_GLOBAL__N_19NonZeroOpIiEEPKilEEiEEEE10hipError_tPvRmT1_T2_T3_mT4_P12ihipStream_tbEUlT_E0_NS1_11comp_targetILNS1_3genE0ELNS1_11target_archE4294967295ELNS1_3gpuE0ELNS1_3repE0EEENS1_30default_config_static_selectorELNS0_4arch9wavefront6targetE0EEEvSQ_.numbered_sgpr, 0
	.set _ZN7rocprim17ROCPRIM_400000_NS6detail17trampoline_kernelINS0_14default_configENS1_22reduce_config_selectorIiEEZNS1_11reduce_implILb1ES3_PiS7_iN6hipcub16HIPCUB_304000_NS6detail34convert_binary_result_type_wrapperINS9_3SumENS9_22TransformInputIteratorIbN2at6native12_GLOBAL__N_19NonZeroOpIiEEPKilEEiEEEE10hipError_tPvRmT1_T2_T3_mT4_P12ihipStream_tbEUlT_E0_NS1_11comp_targetILNS1_3genE0ELNS1_11target_archE4294967295ELNS1_3gpuE0ELNS1_3repE0EEENS1_30default_config_static_selectorELNS0_4arch9wavefront6targetE0EEEvSQ_.num_named_barrier, 0
	.set _ZN7rocprim17ROCPRIM_400000_NS6detail17trampoline_kernelINS0_14default_configENS1_22reduce_config_selectorIiEEZNS1_11reduce_implILb1ES3_PiS7_iN6hipcub16HIPCUB_304000_NS6detail34convert_binary_result_type_wrapperINS9_3SumENS9_22TransformInputIteratorIbN2at6native12_GLOBAL__N_19NonZeroOpIiEEPKilEEiEEEE10hipError_tPvRmT1_T2_T3_mT4_P12ihipStream_tbEUlT_E0_NS1_11comp_targetILNS1_3genE0ELNS1_11target_archE4294967295ELNS1_3gpuE0ELNS1_3repE0EEENS1_30default_config_static_selectorELNS0_4arch9wavefront6targetE0EEEvSQ_.private_seg_size, 0
	.set _ZN7rocprim17ROCPRIM_400000_NS6detail17trampoline_kernelINS0_14default_configENS1_22reduce_config_selectorIiEEZNS1_11reduce_implILb1ES3_PiS7_iN6hipcub16HIPCUB_304000_NS6detail34convert_binary_result_type_wrapperINS9_3SumENS9_22TransformInputIteratorIbN2at6native12_GLOBAL__N_19NonZeroOpIiEEPKilEEiEEEE10hipError_tPvRmT1_T2_T3_mT4_P12ihipStream_tbEUlT_E0_NS1_11comp_targetILNS1_3genE0ELNS1_11target_archE4294967295ELNS1_3gpuE0ELNS1_3repE0EEENS1_30default_config_static_selectorELNS0_4arch9wavefront6targetE0EEEvSQ_.uses_vcc, 0
	.set _ZN7rocprim17ROCPRIM_400000_NS6detail17trampoline_kernelINS0_14default_configENS1_22reduce_config_selectorIiEEZNS1_11reduce_implILb1ES3_PiS7_iN6hipcub16HIPCUB_304000_NS6detail34convert_binary_result_type_wrapperINS9_3SumENS9_22TransformInputIteratorIbN2at6native12_GLOBAL__N_19NonZeroOpIiEEPKilEEiEEEE10hipError_tPvRmT1_T2_T3_mT4_P12ihipStream_tbEUlT_E0_NS1_11comp_targetILNS1_3genE0ELNS1_11target_archE4294967295ELNS1_3gpuE0ELNS1_3repE0EEENS1_30default_config_static_selectorELNS0_4arch9wavefront6targetE0EEEvSQ_.uses_flat_scratch, 0
	.set _ZN7rocprim17ROCPRIM_400000_NS6detail17trampoline_kernelINS0_14default_configENS1_22reduce_config_selectorIiEEZNS1_11reduce_implILb1ES3_PiS7_iN6hipcub16HIPCUB_304000_NS6detail34convert_binary_result_type_wrapperINS9_3SumENS9_22TransformInputIteratorIbN2at6native12_GLOBAL__N_19NonZeroOpIiEEPKilEEiEEEE10hipError_tPvRmT1_T2_T3_mT4_P12ihipStream_tbEUlT_E0_NS1_11comp_targetILNS1_3genE0ELNS1_11target_archE4294967295ELNS1_3gpuE0ELNS1_3repE0EEENS1_30default_config_static_selectorELNS0_4arch9wavefront6targetE0EEEvSQ_.has_dyn_sized_stack, 0
	.set _ZN7rocprim17ROCPRIM_400000_NS6detail17trampoline_kernelINS0_14default_configENS1_22reduce_config_selectorIiEEZNS1_11reduce_implILb1ES3_PiS7_iN6hipcub16HIPCUB_304000_NS6detail34convert_binary_result_type_wrapperINS9_3SumENS9_22TransformInputIteratorIbN2at6native12_GLOBAL__N_19NonZeroOpIiEEPKilEEiEEEE10hipError_tPvRmT1_T2_T3_mT4_P12ihipStream_tbEUlT_E0_NS1_11comp_targetILNS1_3genE0ELNS1_11target_archE4294967295ELNS1_3gpuE0ELNS1_3repE0EEENS1_30default_config_static_selectorELNS0_4arch9wavefront6targetE0EEEvSQ_.has_recursion, 0
	.set _ZN7rocprim17ROCPRIM_400000_NS6detail17trampoline_kernelINS0_14default_configENS1_22reduce_config_selectorIiEEZNS1_11reduce_implILb1ES3_PiS7_iN6hipcub16HIPCUB_304000_NS6detail34convert_binary_result_type_wrapperINS9_3SumENS9_22TransformInputIteratorIbN2at6native12_GLOBAL__N_19NonZeroOpIiEEPKilEEiEEEE10hipError_tPvRmT1_T2_T3_mT4_P12ihipStream_tbEUlT_E0_NS1_11comp_targetILNS1_3genE0ELNS1_11target_archE4294967295ELNS1_3gpuE0ELNS1_3repE0EEENS1_30default_config_static_selectorELNS0_4arch9wavefront6targetE0EEEvSQ_.has_indirect_call, 0
	.section	.AMDGPU.csdata,"",@progbits
; Kernel info:
; codeLenInByte = 0
; TotalNumSgprs: 0
; NumVgprs: 0
; ScratchSize: 0
; MemoryBound: 0
; FloatMode: 240
; IeeeMode: 1
; LDSByteSize: 0 bytes/workgroup (compile time only)
; SGPRBlocks: 0
; VGPRBlocks: 0
; NumSGPRsForWavesPerEU: 1
; NumVGPRsForWavesPerEU: 1
; Occupancy: 16
; WaveLimiterHint : 0
; COMPUTE_PGM_RSRC2:SCRATCH_EN: 0
; COMPUTE_PGM_RSRC2:USER_SGPR: 2
; COMPUTE_PGM_RSRC2:TRAP_HANDLER: 0
; COMPUTE_PGM_RSRC2:TGID_X_EN: 1
; COMPUTE_PGM_RSRC2:TGID_Y_EN: 0
; COMPUTE_PGM_RSRC2:TGID_Z_EN: 0
; COMPUTE_PGM_RSRC2:TIDIG_COMP_CNT: 0
	.section	.text._ZN7rocprim17ROCPRIM_400000_NS6detail17trampoline_kernelINS0_14default_configENS1_22reduce_config_selectorIiEEZNS1_11reduce_implILb1ES3_PiS7_iN6hipcub16HIPCUB_304000_NS6detail34convert_binary_result_type_wrapperINS9_3SumENS9_22TransformInputIteratorIbN2at6native12_GLOBAL__N_19NonZeroOpIiEEPKilEEiEEEE10hipError_tPvRmT1_T2_T3_mT4_P12ihipStream_tbEUlT_E0_NS1_11comp_targetILNS1_3genE5ELNS1_11target_archE942ELNS1_3gpuE9ELNS1_3repE0EEENS1_30default_config_static_selectorELNS0_4arch9wavefront6targetE0EEEvSQ_,"axG",@progbits,_ZN7rocprim17ROCPRIM_400000_NS6detail17trampoline_kernelINS0_14default_configENS1_22reduce_config_selectorIiEEZNS1_11reduce_implILb1ES3_PiS7_iN6hipcub16HIPCUB_304000_NS6detail34convert_binary_result_type_wrapperINS9_3SumENS9_22TransformInputIteratorIbN2at6native12_GLOBAL__N_19NonZeroOpIiEEPKilEEiEEEE10hipError_tPvRmT1_T2_T3_mT4_P12ihipStream_tbEUlT_E0_NS1_11comp_targetILNS1_3genE5ELNS1_11target_archE942ELNS1_3gpuE9ELNS1_3repE0EEENS1_30default_config_static_selectorELNS0_4arch9wavefront6targetE0EEEvSQ_,comdat
	.globl	_ZN7rocprim17ROCPRIM_400000_NS6detail17trampoline_kernelINS0_14default_configENS1_22reduce_config_selectorIiEEZNS1_11reduce_implILb1ES3_PiS7_iN6hipcub16HIPCUB_304000_NS6detail34convert_binary_result_type_wrapperINS9_3SumENS9_22TransformInputIteratorIbN2at6native12_GLOBAL__N_19NonZeroOpIiEEPKilEEiEEEE10hipError_tPvRmT1_T2_T3_mT4_P12ihipStream_tbEUlT_E0_NS1_11comp_targetILNS1_3genE5ELNS1_11target_archE942ELNS1_3gpuE9ELNS1_3repE0EEENS1_30default_config_static_selectorELNS0_4arch9wavefront6targetE0EEEvSQ_ ; -- Begin function _ZN7rocprim17ROCPRIM_400000_NS6detail17trampoline_kernelINS0_14default_configENS1_22reduce_config_selectorIiEEZNS1_11reduce_implILb1ES3_PiS7_iN6hipcub16HIPCUB_304000_NS6detail34convert_binary_result_type_wrapperINS9_3SumENS9_22TransformInputIteratorIbN2at6native12_GLOBAL__N_19NonZeroOpIiEEPKilEEiEEEE10hipError_tPvRmT1_T2_T3_mT4_P12ihipStream_tbEUlT_E0_NS1_11comp_targetILNS1_3genE5ELNS1_11target_archE942ELNS1_3gpuE9ELNS1_3repE0EEENS1_30default_config_static_selectorELNS0_4arch9wavefront6targetE0EEEvSQ_
	.p2align	8
	.type	_ZN7rocprim17ROCPRIM_400000_NS6detail17trampoline_kernelINS0_14default_configENS1_22reduce_config_selectorIiEEZNS1_11reduce_implILb1ES3_PiS7_iN6hipcub16HIPCUB_304000_NS6detail34convert_binary_result_type_wrapperINS9_3SumENS9_22TransformInputIteratorIbN2at6native12_GLOBAL__N_19NonZeroOpIiEEPKilEEiEEEE10hipError_tPvRmT1_T2_T3_mT4_P12ihipStream_tbEUlT_E0_NS1_11comp_targetILNS1_3genE5ELNS1_11target_archE942ELNS1_3gpuE9ELNS1_3repE0EEENS1_30default_config_static_selectorELNS0_4arch9wavefront6targetE0EEEvSQ_,@function
_ZN7rocprim17ROCPRIM_400000_NS6detail17trampoline_kernelINS0_14default_configENS1_22reduce_config_selectorIiEEZNS1_11reduce_implILb1ES3_PiS7_iN6hipcub16HIPCUB_304000_NS6detail34convert_binary_result_type_wrapperINS9_3SumENS9_22TransformInputIteratorIbN2at6native12_GLOBAL__N_19NonZeroOpIiEEPKilEEiEEEE10hipError_tPvRmT1_T2_T3_mT4_P12ihipStream_tbEUlT_E0_NS1_11comp_targetILNS1_3genE5ELNS1_11target_archE942ELNS1_3gpuE9ELNS1_3repE0EEENS1_30default_config_static_selectorELNS0_4arch9wavefront6targetE0EEEvSQ_: ; @_ZN7rocprim17ROCPRIM_400000_NS6detail17trampoline_kernelINS0_14default_configENS1_22reduce_config_selectorIiEEZNS1_11reduce_implILb1ES3_PiS7_iN6hipcub16HIPCUB_304000_NS6detail34convert_binary_result_type_wrapperINS9_3SumENS9_22TransformInputIteratorIbN2at6native12_GLOBAL__N_19NonZeroOpIiEEPKilEEiEEEE10hipError_tPvRmT1_T2_T3_mT4_P12ihipStream_tbEUlT_E0_NS1_11comp_targetILNS1_3genE5ELNS1_11target_archE942ELNS1_3gpuE9ELNS1_3repE0EEENS1_30default_config_static_selectorELNS0_4arch9wavefront6targetE0EEEvSQ_
; %bb.0:
	.section	.rodata,"a",@progbits
	.p2align	6, 0x0
	.amdhsa_kernel _ZN7rocprim17ROCPRIM_400000_NS6detail17trampoline_kernelINS0_14default_configENS1_22reduce_config_selectorIiEEZNS1_11reduce_implILb1ES3_PiS7_iN6hipcub16HIPCUB_304000_NS6detail34convert_binary_result_type_wrapperINS9_3SumENS9_22TransformInputIteratorIbN2at6native12_GLOBAL__N_19NonZeroOpIiEEPKilEEiEEEE10hipError_tPvRmT1_T2_T3_mT4_P12ihipStream_tbEUlT_E0_NS1_11comp_targetILNS1_3genE5ELNS1_11target_archE942ELNS1_3gpuE9ELNS1_3repE0EEENS1_30default_config_static_selectorELNS0_4arch9wavefront6targetE0EEEvSQ_
		.amdhsa_group_segment_fixed_size 0
		.amdhsa_private_segment_fixed_size 0
		.amdhsa_kernarg_size 56
		.amdhsa_user_sgpr_count 2
		.amdhsa_user_sgpr_dispatch_ptr 0
		.amdhsa_user_sgpr_queue_ptr 0
		.amdhsa_user_sgpr_kernarg_segment_ptr 1
		.amdhsa_user_sgpr_dispatch_id 0
		.amdhsa_user_sgpr_private_segment_size 0
		.amdhsa_wavefront_size32 1
		.amdhsa_uses_dynamic_stack 0
		.amdhsa_enable_private_segment 0
		.amdhsa_system_sgpr_workgroup_id_x 1
		.amdhsa_system_sgpr_workgroup_id_y 0
		.amdhsa_system_sgpr_workgroup_id_z 0
		.amdhsa_system_sgpr_workgroup_info 0
		.amdhsa_system_vgpr_workitem_id 0
		.amdhsa_next_free_vgpr 1
		.amdhsa_next_free_sgpr 1
		.amdhsa_reserve_vcc 0
		.amdhsa_float_round_mode_32 0
		.amdhsa_float_round_mode_16_64 0
		.amdhsa_float_denorm_mode_32 3
		.amdhsa_float_denorm_mode_16_64 3
		.amdhsa_fp16_overflow 0
		.amdhsa_workgroup_processor_mode 1
		.amdhsa_memory_ordered 1
		.amdhsa_forward_progress 1
		.amdhsa_inst_pref_size 0
		.amdhsa_round_robin_scheduling 0
		.amdhsa_exception_fp_ieee_invalid_op 0
		.amdhsa_exception_fp_denorm_src 0
		.amdhsa_exception_fp_ieee_div_zero 0
		.amdhsa_exception_fp_ieee_overflow 0
		.amdhsa_exception_fp_ieee_underflow 0
		.amdhsa_exception_fp_ieee_inexact 0
		.amdhsa_exception_int_div_zero 0
	.end_amdhsa_kernel
	.section	.text._ZN7rocprim17ROCPRIM_400000_NS6detail17trampoline_kernelINS0_14default_configENS1_22reduce_config_selectorIiEEZNS1_11reduce_implILb1ES3_PiS7_iN6hipcub16HIPCUB_304000_NS6detail34convert_binary_result_type_wrapperINS9_3SumENS9_22TransformInputIteratorIbN2at6native12_GLOBAL__N_19NonZeroOpIiEEPKilEEiEEEE10hipError_tPvRmT1_T2_T3_mT4_P12ihipStream_tbEUlT_E0_NS1_11comp_targetILNS1_3genE5ELNS1_11target_archE942ELNS1_3gpuE9ELNS1_3repE0EEENS1_30default_config_static_selectorELNS0_4arch9wavefront6targetE0EEEvSQ_,"axG",@progbits,_ZN7rocprim17ROCPRIM_400000_NS6detail17trampoline_kernelINS0_14default_configENS1_22reduce_config_selectorIiEEZNS1_11reduce_implILb1ES3_PiS7_iN6hipcub16HIPCUB_304000_NS6detail34convert_binary_result_type_wrapperINS9_3SumENS9_22TransformInputIteratorIbN2at6native12_GLOBAL__N_19NonZeroOpIiEEPKilEEiEEEE10hipError_tPvRmT1_T2_T3_mT4_P12ihipStream_tbEUlT_E0_NS1_11comp_targetILNS1_3genE5ELNS1_11target_archE942ELNS1_3gpuE9ELNS1_3repE0EEENS1_30default_config_static_selectorELNS0_4arch9wavefront6targetE0EEEvSQ_,comdat
.Lfunc_end151:
	.size	_ZN7rocprim17ROCPRIM_400000_NS6detail17trampoline_kernelINS0_14default_configENS1_22reduce_config_selectorIiEEZNS1_11reduce_implILb1ES3_PiS7_iN6hipcub16HIPCUB_304000_NS6detail34convert_binary_result_type_wrapperINS9_3SumENS9_22TransformInputIteratorIbN2at6native12_GLOBAL__N_19NonZeroOpIiEEPKilEEiEEEE10hipError_tPvRmT1_T2_T3_mT4_P12ihipStream_tbEUlT_E0_NS1_11comp_targetILNS1_3genE5ELNS1_11target_archE942ELNS1_3gpuE9ELNS1_3repE0EEENS1_30default_config_static_selectorELNS0_4arch9wavefront6targetE0EEEvSQ_, .Lfunc_end151-_ZN7rocprim17ROCPRIM_400000_NS6detail17trampoline_kernelINS0_14default_configENS1_22reduce_config_selectorIiEEZNS1_11reduce_implILb1ES3_PiS7_iN6hipcub16HIPCUB_304000_NS6detail34convert_binary_result_type_wrapperINS9_3SumENS9_22TransformInputIteratorIbN2at6native12_GLOBAL__N_19NonZeroOpIiEEPKilEEiEEEE10hipError_tPvRmT1_T2_T3_mT4_P12ihipStream_tbEUlT_E0_NS1_11comp_targetILNS1_3genE5ELNS1_11target_archE942ELNS1_3gpuE9ELNS1_3repE0EEENS1_30default_config_static_selectorELNS0_4arch9wavefront6targetE0EEEvSQ_
                                        ; -- End function
	.set _ZN7rocprim17ROCPRIM_400000_NS6detail17trampoline_kernelINS0_14default_configENS1_22reduce_config_selectorIiEEZNS1_11reduce_implILb1ES3_PiS7_iN6hipcub16HIPCUB_304000_NS6detail34convert_binary_result_type_wrapperINS9_3SumENS9_22TransformInputIteratorIbN2at6native12_GLOBAL__N_19NonZeroOpIiEEPKilEEiEEEE10hipError_tPvRmT1_T2_T3_mT4_P12ihipStream_tbEUlT_E0_NS1_11comp_targetILNS1_3genE5ELNS1_11target_archE942ELNS1_3gpuE9ELNS1_3repE0EEENS1_30default_config_static_selectorELNS0_4arch9wavefront6targetE0EEEvSQ_.num_vgpr, 0
	.set _ZN7rocprim17ROCPRIM_400000_NS6detail17trampoline_kernelINS0_14default_configENS1_22reduce_config_selectorIiEEZNS1_11reduce_implILb1ES3_PiS7_iN6hipcub16HIPCUB_304000_NS6detail34convert_binary_result_type_wrapperINS9_3SumENS9_22TransformInputIteratorIbN2at6native12_GLOBAL__N_19NonZeroOpIiEEPKilEEiEEEE10hipError_tPvRmT1_T2_T3_mT4_P12ihipStream_tbEUlT_E0_NS1_11comp_targetILNS1_3genE5ELNS1_11target_archE942ELNS1_3gpuE9ELNS1_3repE0EEENS1_30default_config_static_selectorELNS0_4arch9wavefront6targetE0EEEvSQ_.num_agpr, 0
	.set _ZN7rocprim17ROCPRIM_400000_NS6detail17trampoline_kernelINS0_14default_configENS1_22reduce_config_selectorIiEEZNS1_11reduce_implILb1ES3_PiS7_iN6hipcub16HIPCUB_304000_NS6detail34convert_binary_result_type_wrapperINS9_3SumENS9_22TransformInputIteratorIbN2at6native12_GLOBAL__N_19NonZeroOpIiEEPKilEEiEEEE10hipError_tPvRmT1_T2_T3_mT4_P12ihipStream_tbEUlT_E0_NS1_11comp_targetILNS1_3genE5ELNS1_11target_archE942ELNS1_3gpuE9ELNS1_3repE0EEENS1_30default_config_static_selectorELNS0_4arch9wavefront6targetE0EEEvSQ_.numbered_sgpr, 0
	.set _ZN7rocprim17ROCPRIM_400000_NS6detail17trampoline_kernelINS0_14default_configENS1_22reduce_config_selectorIiEEZNS1_11reduce_implILb1ES3_PiS7_iN6hipcub16HIPCUB_304000_NS6detail34convert_binary_result_type_wrapperINS9_3SumENS9_22TransformInputIteratorIbN2at6native12_GLOBAL__N_19NonZeroOpIiEEPKilEEiEEEE10hipError_tPvRmT1_T2_T3_mT4_P12ihipStream_tbEUlT_E0_NS1_11comp_targetILNS1_3genE5ELNS1_11target_archE942ELNS1_3gpuE9ELNS1_3repE0EEENS1_30default_config_static_selectorELNS0_4arch9wavefront6targetE0EEEvSQ_.num_named_barrier, 0
	.set _ZN7rocprim17ROCPRIM_400000_NS6detail17trampoline_kernelINS0_14default_configENS1_22reduce_config_selectorIiEEZNS1_11reduce_implILb1ES3_PiS7_iN6hipcub16HIPCUB_304000_NS6detail34convert_binary_result_type_wrapperINS9_3SumENS9_22TransformInputIteratorIbN2at6native12_GLOBAL__N_19NonZeroOpIiEEPKilEEiEEEE10hipError_tPvRmT1_T2_T3_mT4_P12ihipStream_tbEUlT_E0_NS1_11comp_targetILNS1_3genE5ELNS1_11target_archE942ELNS1_3gpuE9ELNS1_3repE0EEENS1_30default_config_static_selectorELNS0_4arch9wavefront6targetE0EEEvSQ_.private_seg_size, 0
	.set _ZN7rocprim17ROCPRIM_400000_NS6detail17trampoline_kernelINS0_14default_configENS1_22reduce_config_selectorIiEEZNS1_11reduce_implILb1ES3_PiS7_iN6hipcub16HIPCUB_304000_NS6detail34convert_binary_result_type_wrapperINS9_3SumENS9_22TransformInputIteratorIbN2at6native12_GLOBAL__N_19NonZeroOpIiEEPKilEEiEEEE10hipError_tPvRmT1_T2_T3_mT4_P12ihipStream_tbEUlT_E0_NS1_11comp_targetILNS1_3genE5ELNS1_11target_archE942ELNS1_3gpuE9ELNS1_3repE0EEENS1_30default_config_static_selectorELNS0_4arch9wavefront6targetE0EEEvSQ_.uses_vcc, 0
	.set _ZN7rocprim17ROCPRIM_400000_NS6detail17trampoline_kernelINS0_14default_configENS1_22reduce_config_selectorIiEEZNS1_11reduce_implILb1ES3_PiS7_iN6hipcub16HIPCUB_304000_NS6detail34convert_binary_result_type_wrapperINS9_3SumENS9_22TransformInputIteratorIbN2at6native12_GLOBAL__N_19NonZeroOpIiEEPKilEEiEEEE10hipError_tPvRmT1_T2_T3_mT4_P12ihipStream_tbEUlT_E0_NS1_11comp_targetILNS1_3genE5ELNS1_11target_archE942ELNS1_3gpuE9ELNS1_3repE0EEENS1_30default_config_static_selectorELNS0_4arch9wavefront6targetE0EEEvSQ_.uses_flat_scratch, 0
	.set _ZN7rocprim17ROCPRIM_400000_NS6detail17trampoline_kernelINS0_14default_configENS1_22reduce_config_selectorIiEEZNS1_11reduce_implILb1ES3_PiS7_iN6hipcub16HIPCUB_304000_NS6detail34convert_binary_result_type_wrapperINS9_3SumENS9_22TransformInputIteratorIbN2at6native12_GLOBAL__N_19NonZeroOpIiEEPKilEEiEEEE10hipError_tPvRmT1_T2_T3_mT4_P12ihipStream_tbEUlT_E0_NS1_11comp_targetILNS1_3genE5ELNS1_11target_archE942ELNS1_3gpuE9ELNS1_3repE0EEENS1_30default_config_static_selectorELNS0_4arch9wavefront6targetE0EEEvSQ_.has_dyn_sized_stack, 0
	.set _ZN7rocprim17ROCPRIM_400000_NS6detail17trampoline_kernelINS0_14default_configENS1_22reduce_config_selectorIiEEZNS1_11reduce_implILb1ES3_PiS7_iN6hipcub16HIPCUB_304000_NS6detail34convert_binary_result_type_wrapperINS9_3SumENS9_22TransformInputIteratorIbN2at6native12_GLOBAL__N_19NonZeroOpIiEEPKilEEiEEEE10hipError_tPvRmT1_T2_T3_mT4_P12ihipStream_tbEUlT_E0_NS1_11comp_targetILNS1_3genE5ELNS1_11target_archE942ELNS1_3gpuE9ELNS1_3repE0EEENS1_30default_config_static_selectorELNS0_4arch9wavefront6targetE0EEEvSQ_.has_recursion, 0
	.set _ZN7rocprim17ROCPRIM_400000_NS6detail17trampoline_kernelINS0_14default_configENS1_22reduce_config_selectorIiEEZNS1_11reduce_implILb1ES3_PiS7_iN6hipcub16HIPCUB_304000_NS6detail34convert_binary_result_type_wrapperINS9_3SumENS9_22TransformInputIteratorIbN2at6native12_GLOBAL__N_19NonZeroOpIiEEPKilEEiEEEE10hipError_tPvRmT1_T2_T3_mT4_P12ihipStream_tbEUlT_E0_NS1_11comp_targetILNS1_3genE5ELNS1_11target_archE942ELNS1_3gpuE9ELNS1_3repE0EEENS1_30default_config_static_selectorELNS0_4arch9wavefront6targetE0EEEvSQ_.has_indirect_call, 0
	.section	.AMDGPU.csdata,"",@progbits
; Kernel info:
; codeLenInByte = 0
; TotalNumSgprs: 0
; NumVgprs: 0
; ScratchSize: 0
; MemoryBound: 0
; FloatMode: 240
; IeeeMode: 1
; LDSByteSize: 0 bytes/workgroup (compile time only)
; SGPRBlocks: 0
; VGPRBlocks: 0
; NumSGPRsForWavesPerEU: 1
; NumVGPRsForWavesPerEU: 1
; Occupancy: 16
; WaveLimiterHint : 0
; COMPUTE_PGM_RSRC2:SCRATCH_EN: 0
; COMPUTE_PGM_RSRC2:USER_SGPR: 2
; COMPUTE_PGM_RSRC2:TRAP_HANDLER: 0
; COMPUTE_PGM_RSRC2:TGID_X_EN: 1
; COMPUTE_PGM_RSRC2:TGID_Y_EN: 0
; COMPUTE_PGM_RSRC2:TGID_Z_EN: 0
; COMPUTE_PGM_RSRC2:TIDIG_COMP_CNT: 0
	.section	.text._ZN7rocprim17ROCPRIM_400000_NS6detail17trampoline_kernelINS0_14default_configENS1_22reduce_config_selectorIiEEZNS1_11reduce_implILb1ES3_PiS7_iN6hipcub16HIPCUB_304000_NS6detail34convert_binary_result_type_wrapperINS9_3SumENS9_22TransformInputIteratorIbN2at6native12_GLOBAL__N_19NonZeroOpIiEEPKilEEiEEEE10hipError_tPvRmT1_T2_T3_mT4_P12ihipStream_tbEUlT_E0_NS1_11comp_targetILNS1_3genE4ELNS1_11target_archE910ELNS1_3gpuE8ELNS1_3repE0EEENS1_30default_config_static_selectorELNS0_4arch9wavefront6targetE0EEEvSQ_,"axG",@progbits,_ZN7rocprim17ROCPRIM_400000_NS6detail17trampoline_kernelINS0_14default_configENS1_22reduce_config_selectorIiEEZNS1_11reduce_implILb1ES3_PiS7_iN6hipcub16HIPCUB_304000_NS6detail34convert_binary_result_type_wrapperINS9_3SumENS9_22TransformInputIteratorIbN2at6native12_GLOBAL__N_19NonZeroOpIiEEPKilEEiEEEE10hipError_tPvRmT1_T2_T3_mT4_P12ihipStream_tbEUlT_E0_NS1_11comp_targetILNS1_3genE4ELNS1_11target_archE910ELNS1_3gpuE8ELNS1_3repE0EEENS1_30default_config_static_selectorELNS0_4arch9wavefront6targetE0EEEvSQ_,comdat
	.globl	_ZN7rocprim17ROCPRIM_400000_NS6detail17trampoline_kernelINS0_14default_configENS1_22reduce_config_selectorIiEEZNS1_11reduce_implILb1ES3_PiS7_iN6hipcub16HIPCUB_304000_NS6detail34convert_binary_result_type_wrapperINS9_3SumENS9_22TransformInputIteratorIbN2at6native12_GLOBAL__N_19NonZeroOpIiEEPKilEEiEEEE10hipError_tPvRmT1_T2_T3_mT4_P12ihipStream_tbEUlT_E0_NS1_11comp_targetILNS1_3genE4ELNS1_11target_archE910ELNS1_3gpuE8ELNS1_3repE0EEENS1_30default_config_static_selectorELNS0_4arch9wavefront6targetE0EEEvSQ_ ; -- Begin function _ZN7rocprim17ROCPRIM_400000_NS6detail17trampoline_kernelINS0_14default_configENS1_22reduce_config_selectorIiEEZNS1_11reduce_implILb1ES3_PiS7_iN6hipcub16HIPCUB_304000_NS6detail34convert_binary_result_type_wrapperINS9_3SumENS9_22TransformInputIteratorIbN2at6native12_GLOBAL__N_19NonZeroOpIiEEPKilEEiEEEE10hipError_tPvRmT1_T2_T3_mT4_P12ihipStream_tbEUlT_E0_NS1_11comp_targetILNS1_3genE4ELNS1_11target_archE910ELNS1_3gpuE8ELNS1_3repE0EEENS1_30default_config_static_selectorELNS0_4arch9wavefront6targetE0EEEvSQ_
	.p2align	8
	.type	_ZN7rocprim17ROCPRIM_400000_NS6detail17trampoline_kernelINS0_14default_configENS1_22reduce_config_selectorIiEEZNS1_11reduce_implILb1ES3_PiS7_iN6hipcub16HIPCUB_304000_NS6detail34convert_binary_result_type_wrapperINS9_3SumENS9_22TransformInputIteratorIbN2at6native12_GLOBAL__N_19NonZeroOpIiEEPKilEEiEEEE10hipError_tPvRmT1_T2_T3_mT4_P12ihipStream_tbEUlT_E0_NS1_11comp_targetILNS1_3genE4ELNS1_11target_archE910ELNS1_3gpuE8ELNS1_3repE0EEENS1_30default_config_static_selectorELNS0_4arch9wavefront6targetE0EEEvSQ_,@function
_ZN7rocprim17ROCPRIM_400000_NS6detail17trampoline_kernelINS0_14default_configENS1_22reduce_config_selectorIiEEZNS1_11reduce_implILb1ES3_PiS7_iN6hipcub16HIPCUB_304000_NS6detail34convert_binary_result_type_wrapperINS9_3SumENS9_22TransformInputIteratorIbN2at6native12_GLOBAL__N_19NonZeroOpIiEEPKilEEiEEEE10hipError_tPvRmT1_T2_T3_mT4_P12ihipStream_tbEUlT_E0_NS1_11comp_targetILNS1_3genE4ELNS1_11target_archE910ELNS1_3gpuE8ELNS1_3repE0EEENS1_30default_config_static_selectorELNS0_4arch9wavefront6targetE0EEEvSQ_: ; @_ZN7rocprim17ROCPRIM_400000_NS6detail17trampoline_kernelINS0_14default_configENS1_22reduce_config_selectorIiEEZNS1_11reduce_implILb1ES3_PiS7_iN6hipcub16HIPCUB_304000_NS6detail34convert_binary_result_type_wrapperINS9_3SumENS9_22TransformInputIteratorIbN2at6native12_GLOBAL__N_19NonZeroOpIiEEPKilEEiEEEE10hipError_tPvRmT1_T2_T3_mT4_P12ihipStream_tbEUlT_E0_NS1_11comp_targetILNS1_3genE4ELNS1_11target_archE910ELNS1_3gpuE8ELNS1_3repE0EEENS1_30default_config_static_selectorELNS0_4arch9wavefront6targetE0EEEvSQ_
; %bb.0:
	.section	.rodata,"a",@progbits
	.p2align	6, 0x0
	.amdhsa_kernel _ZN7rocprim17ROCPRIM_400000_NS6detail17trampoline_kernelINS0_14default_configENS1_22reduce_config_selectorIiEEZNS1_11reduce_implILb1ES3_PiS7_iN6hipcub16HIPCUB_304000_NS6detail34convert_binary_result_type_wrapperINS9_3SumENS9_22TransformInputIteratorIbN2at6native12_GLOBAL__N_19NonZeroOpIiEEPKilEEiEEEE10hipError_tPvRmT1_T2_T3_mT4_P12ihipStream_tbEUlT_E0_NS1_11comp_targetILNS1_3genE4ELNS1_11target_archE910ELNS1_3gpuE8ELNS1_3repE0EEENS1_30default_config_static_selectorELNS0_4arch9wavefront6targetE0EEEvSQ_
		.amdhsa_group_segment_fixed_size 0
		.amdhsa_private_segment_fixed_size 0
		.amdhsa_kernarg_size 56
		.amdhsa_user_sgpr_count 2
		.amdhsa_user_sgpr_dispatch_ptr 0
		.amdhsa_user_sgpr_queue_ptr 0
		.amdhsa_user_sgpr_kernarg_segment_ptr 1
		.amdhsa_user_sgpr_dispatch_id 0
		.amdhsa_user_sgpr_private_segment_size 0
		.amdhsa_wavefront_size32 1
		.amdhsa_uses_dynamic_stack 0
		.amdhsa_enable_private_segment 0
		.amdhsa_system_sgpr_workgroup_id_x 1
		.amdhsa_system_sgpr_workgroup_id_y 0
		.amdhsa_system_sgpr_workgroup_id_z 0
		.amdhsa_system_sgpr_workgroup_info 0
		.amdhsa_system_vgpr_workitem_id 0
		.amdhsa_next_free_vgpr 1
		.amdhsa_next_free_sgpr 1
		.amdhsa_reserve_vcc 0
		.amdhsa_float_round_mode_32 0
		.amdhsa_float_round_mode_16_64 0
		.amdhsa_float_denorm_mode_32 3
		.amdhsa_float_denorm_mode_16_64 3
		.amdhsa_fp16_overflow 0
		.amdhsa_workgroup_processor_mode 1
		.amdhsa_memory_ordered 1
		.amdhsa_forward_progress 1
		.amdhsa_inst_pref_size 0
		.amdhsa_round_robin_scheduling 0
		.amdhsa_exception_fp_ieee_invalid_op 0
		.amdhsa_exception_fp_denorm_src 0
		.amdhsa_exception_fp_ieee_div_zero 0
		.amdhsa_exception_fp_ieee_overflow 0
		.amdhsa_exception_fp_ieee_underflow 0
		.amdhsa_exception_fp_ieee_inexact 0
		.amdhsa_exception_int_div_zero 0
	.end_amdhsa_kernel
	.section	.text._ZN7rocprim17ROCPRIM_400000_NS6detail17trampoline_kernelINS0_14default_configENS1_22reduce_config_selectorIiEEZNS1_11reduce_implILb1ES3_PiS7_iN6hipcub16HIPCUB_304000_NS6detail34convert_binary_result_type_wrapperINS9_3SumENS9_22TransformInputIteratorIbN2at6native12_GLOBAL__N_19NonZeroOpIiEEPKilEEiEEEE10hipError_tPvRmT1_T2_T3_mT4_P12ihipStream_tbEUlT_E0_NS1_11comp_targetILNS1_3genE4ELNS1_11target_archE910ELNS1_3gpuE8ELNS1_3repE0EEENS1_30default_config_static_selectorELNS0_4arch9wavefront6targetE0EEEvSQ_,"axG",@progbits,_ZN7rocprim17ROCPRIM_400000_NS6detail17trampoline_kernelINS0_14default_configENS1_22reduce_config_selectorIiEEZNS1_11reduce_implILb1ES3_PiS7_iN6hipcub16HIPCUB_304000_NS6detail34convert_binary_result_type_wrapperINS9_3SumENS9_22TransformInputIteratorIbN2at6native12_GLOBAL__N_19NonZeroOpIiEEPKilEEiEEEE10hipError_tPvRmT1_T2_T3_mT4_P12ihipStream_tbEUlT_E0_NS1_11comp_targetILNS1_3genE4ELNS1_11target_archE910ELNS1_3gpuE8ELNS1_3repE0EEENS1_30default_config_static_selectorELNS0_4arch9wavefront6targetE0EEEvSQ_,comdat
.Lfunc_end152:
	.size	_ZN7rocprim17ROCPRIM_400000_NS6detail17trampoline_kernelINS0_14default_configENS1_22reduce_config_selectorIiEEZNS1_11reduce_implILb1ES3_PiS7_iN6hipcub16HIPCUB_304000_NS6detail34convert_binary_result_type_wrapperINS9_3SumENS9_22TransformInputIteratorIbN2at6native12_GLOBAL__N_19NonZeroOpIiEEPKilEEiEEEE10hipError_tPvRmT1_T2_T3_mT4_P12ihipStream_tbEUlT_E0_NS1_11comp_targetILNS1_3genE4ELNS1_11target_archE910ELNS1_3gpuE8ELNS1_3repE0EEENS1_30default_config_static_selectorELNS0_4arch9wavefront6targetE0EEEvSQ_, .Lfunc_end152-_ZN7rocprim17ROCPRIM_400000_NS6detail17trampoline_kernelINS0_14default_configENS1_22reduce_config_selectorIiEEZNS1_11reduce_implILb1ES3_PiS7_iN6hipcub16HIPCUB_304000_NS6detail34convert_binary_result_type_wrapperINS9_3SumENS9_22TransformInputIteratorIbN2at6native12_GLOBAL__N_19NonZeroOpIiEEPKilEEiEEEE10hipError_tPvRmT1_T2_T3_mT4_P12ihipStream_tbEUlT_E0_NS1_11comp_targetILNS1_3genE4ELNS1_11target_archE910ELNS1_3gpuE8ELNS1_3repE0EEENS1_30default_config_static_selectorELNS0_4arch9wavefront6targetE0EEEvSQ_
                                        ; -- End function
	.set _ZN7rocprim17ROCPRIM_400000_NS6detail17trampoline_kernelINS0_14default_configENS1_22reduce_config_selectorIiEEZNS1_11reduce_implILb1ES3_PiS7_iN6hipcub16HIPCUB_304000_NS6detail34convert_binary_result_type_wrapperINS9_3SumENS9_22TransformInputIteratorIbN2at6native12_GLOBAL__N_19NonZeroOpIiEEPKilEEiEEEE10hipError_tPvRmT1_T2_T3_mT4_P12ihipStream_tbEUlT_E0_NS1_11comp_targetILNS1_3genE4ELNS1_11target_archE910ELNS1_3gpuE8ELNS1_3repE0EEENS1_30default_config_static_selectorELNS0_4arch9wavefront6targetE0EEEvSQ_.num_vgpr, 0
	.set _ZN7rocprim17ROCPRIM_400000_NS6detail17trampoline_kernelINS0_14default_configENS1_22reduce_config_selectorIiEEZNS1_11reduce_implILb1ES3_PiS7_iN6hipcub16HIPCUB_304000_NS6detail34convert_binary_result_type_wrapperINS9_3SumENS9_22TransformInputIteratorIbN2at6native12_GLOBAL__N_19NonZeroOpIiEEPKilEEiEEEE10hipError_tPvRmT1_T2_T3_mT4_P12ihipStream_tbEUlT_E0_NS1_11comp_targetILNS1_3genE4ELNS1_11target_archE910ELNS1_3gpuE8ELNS1_3repE0EEENS1_30default_config_static_selectorELNS0_4arch9wavefront6targetE0EEEvSQ_.num_agpr, 0
	.set _ZN7rocprim17ROCPRIM_400000_NS6detail17trampoline_kernelINS0_14default_configENS1_22reduce_config_selectorIiEEZNS1_11reduce_implILb1ES3_PiS7_iN6hipcub16HIPCUB_304000_NS6detail34convert_binary_result_type_wrapperINS9_3SumENS9_22TransformInputIteratorIbN2at6native12_GLOBAL__N_19NonZeroOpIiEEPKilEEiEEEE10hipError_tPvRmT1_T2_T3_mT4_P12ihipStream_tbEUlT_E0_NS1_11comp_targetILNS1_3genE4ELNS1_11target_archE910ELNS1_3gpuE8ELNS1_3repE0EEENS1_30default_config_static_selectorELNS0_4arch9wavefront6targetE0EEEvSQ_.numbered_sgpr, 0
	.set _ZN7rocprim17ROCPRIM_400000_NS6detail17trampoline_kernelINS0_14default_configENS1_22reduce_config_selectorIiEEZNS1_11reduce_implILb1ES3_PiS7_iN6hipcub16HIPCUB_304000_NS6detail34convert_binary_result_type_wrapperINS9_3SumENS9_22TransformInputIteratorIbN2at6native12_GLOBAL__N_19NonZeroOpIiEEPKilEEiEEEE10hipError_tPvRmT1_T2_T3_mT4_P12ihipStream_tbEUlT_E0_NS1_11comp_targetILNS1_3genE4ELNS1_11target_archE910ELNS1_3gpuE8ELNS1_3repE0EEENS1_30default_config_static_selectorELNS0_4arch9wavefront6targetE0EEEvSQ_.num_named_barrier, 0
	.set _ZN7rocprim17ROCPRIM_400000_NS6detail17trampoline_kernelINS0_14default_configENS1_22reduce_config_selectorIiEEZNS1_11reduce_implILb1ES3_PiS7_iN6hipcub16HIPCUB_304000_NS6detail34convert_binary_result_type_wrapperINS9_3SumENS9_22TransformInputIteratorIbN2at6native12_GLOBAL__N_19NonZeroOpIiEEPKilEEiEEEE10hipError_tPvRmT1_T2_T3_mT4_P12ihipStream_tbEUlT_E0_NS1_11comp_targetILNS1_3genE4ELNS1_11target_archE910ELNS1_3gpuE8ELNS1_3repE0EEENS1_30default_config_static_selectorELNS0_4arch9wavefront6targetE0EEEvSQ_.private_seg_size, 0
	.set _ZN7rocprim17ROCPRIM_400000_NS6detail17trampoline_kernelINS0_14default_configENS1_22reduce_config_selectorIiEEZNS1_11reduce_implILb1ES3_PiS7_iN6hipcub16HIPCUB_304000_NS6detail34convert_binary_result_type_wrapperINS9_3SumENS9_22TransformInputIteratorIbN2at6native12_GLOBAL__N_19NonZeroOpIiEEPKilEEiEEEE10hipError_tPvRmT1_T2_T3_mT4_P12ihipStream_tbEUlT_E0_NS1_11comp_targetILNS1_3genE4ELNS1_11target_archE910ELNS1_3gpuE8ELNS1_3repE0EEENS1_30default_config_static_selectorELNS0_4arch9wavefront6targetE0EEEvSQ_.uses_vcc, 0
	.set _ZN7rocprim17ROCPRIM_400000_NS6detail17trampoline_kernelINS0_14default_configENS1_22reduce_config_selectorIiEEZNS1_11reduce_implILb1ES3_PiS7_iN6hipcub16HIPCUB_304000_NS6detail34convert_binary_result_type_wrapperINS9_3SumENS9_22TransformInputIteratorIbN2at6native12_GLOBAL__N_19NonZeroOpIiEEPKilEEiEEEE10hipError_tPvRmT1_T2_T3_mT4_P12ihipStream_tbEUlT_E0_NS1_11comp_targetILNS1_3genE4ELNS1_11target_archE910ELNS1_3gpuE8ELNS1_3repE0EEENS1_30default_config_static_selectorELNS0_4arch9wavefront6targetE0EEEvSQ_.uses_flat_scratch, 0
	.set _ZN7rocprim17ROCPRIM_400000_NS6detail17trampoline_kernelINS0_14default_configENS1_22reduce_config_selectorIiEEZNS1_11reduce_implILb1ES3_PiS7_iN6hipcub16HIPCUB_304000_NS6detail34convert_binary_result_type_wrapperINS9_3SumENS9_22TransformInputIteratorIbN2at6native12_GLOBAL__N_19NonZeroOpIiEEPKilEEiEEEE10hipError_tPvRmT1_T2_T3_mT4_P12ihipStream_tbEUlT_E0_NS1_11comp_targetILNS1_3genE4ELNS1_11target_archE910ELNS1_3gpuE8ELNS1_3repE0EEENS1_30default_config_static_selectorELNS0_4arch9wavefront6targetE0EEEvSQ_.has_dyn_sized_stack, 0
	.set _ZN7rocprim17ROCPRIM_400000_NS6detail17trampoline_kernelINS0_14default_configENS1_22reduce_config_selectorIiEEZNS1_11reduce_implILb1ES3_PiS7_iN6hipcub16HIPCUB_304000_NS6detail34convert_binary_result_type_wrapperINS9_3SumENS9_22TransformInputIteratorIbN2at6native12_GLOBAL__N_19NonZeroOpIiEEPKilEEiEEEE10hipError_tPvRmT1_T2_T3_mT4_P12ihipStream_tbEUlT_E0_NS1_11comp_targetILNS1_3genE4ELNS1_11target_archE910ELNS1_3gpuE8ELNS1_3repE0EEENS1_30default_config_static_selectorELNS0_4arch9wavefront6targetE0EEEvSQ_.has_recursion, 0
	.set _ZN7rocprim17ROCPRIM_400000_NS6detail17trampoline_kernelINS0_14default_configENS1_22reduce_config_selectorIiEEZNS1_11reduce_implILb1ES3_PiS7_iN6hipcub16HIPCUB_304000_NS6detail34convert_binary_result_type_wrapperINS9_3SumENS9_22TransformInputIteratorIbN2at6native12_GLOBAL__N_19NonZeroOpIiEEPKilEEiEEEE10hipError_tPvRmT1_T2_T3_mT4_P12ihipStream_tbEUlT_E0_NS1_11comp_targetILNS1_3genE4ELNS1_11target_archE910ELNS1_3gpuE8ELNS1_3repE0EEENS1_30default_config_static_selectorELNS0_4arch9wavefront6targetE0EEEvSQ_.has_indirect_call, 0
	.section	.AMDGPU.csdata,"",@progbits
; Kernel info:
; codeLenInByte = 0
; TotalNumSgprs: 0
; NumVgprs: 0
; ScratchSize: 0
; MemoryBound: 0
; FloatMode: 240
; IeeeMode: 1
; LDSByteSize: 0 bytes/workgroup (compile time only)
; SGPRBlocks: 0
; VGPRBlocks: 0
; NumSGPRsForWavesPerEU: 1
; NumVGPRsForWavesPerEU: 1
; Occupancy: 16
; WaveLimiterHint : 0
; COMPUTE_PGM_RSRC2:SCRATCH_EN: 0
; COMPUTE_PGM_RSRC2:USER_SGPR: 2
; COMPUTE_PGM_RSRC2:TRAP_HANDLER: 0
; COMPUTE_PGM_RSRC2:TGID_X_EN: 1
; COMPUTE_PGM_RSRC2:TGID_Y_EN: 0
; COMPUTE_PGM_RSRC2:TGID_Z_EN: 0
; COMPUTE_PGM_RSRC2:TIDIG_COMP_CNT: 0
	.section	.text._ZN7rocprim17ROCPRIM_400000_NS6detail17trampoline_kernelINS0_14default_configENS1_22reduce_config_selectorIiEEZNS1_11reduce_implILb1ES3_PiS7_iN6hipcub16HIPCUB_304000_NS6detail34convert_binary_result_type_wrapperINS9_3SumENS9_22TransformInputIteratorIbN2at6native12_GLOBAL__N_19NonZeroOpIiEEPKilEEiEEEE10hipError_tPvRmT1_T2_T3_mT4_P12ihipStream_tbEUlT_E0_NS1_11comp_targetILNS1_3genE3ELNS1_11target_archE908ELNS1_3gpuE7ELNS1_3repE0EEENS1_30default_config_static_selectorELNS0_4arch9wavefront6targetE0EEEvSQ_,"axG",@progbits,_ZN7rocprim17ROCPRIM_400000_NS6detail17trampoline_kernelINS0_14default_configENS1_22reduce_config_selectorIiEEZNS1_11reduce_implILb1ES3_PiS7_iN6hipcub16HIPCUB_304000_NS6detail34convert_binary_result_type_wrapperINS9_3SumENS9_22TransformInputIteratorIbN2at6native12_GLOBAL__N_19NonZeroOpIiEEPKilEEiEEEE10hipError_tPvRmT1_T2_T3_mT4_P12ihipStream_tbEUlT_E0_NS1_11comp_targetILNS1_3genE3ELNS1_11target_archE908ELNS1_3gpuE7ELNS1_3repE0EEENS1_30default_config_static_selectorELNS0_4arch9wavefront6targetE0EEEvSQ_,comdat
	.globl	_ZN7rocprim17ROCPRIM_400000_NS6detail17trampoline_kernelINS0_14default_configENS1_22reduce_config_selectorIiEEZNS1_11reduce_implILb1ES3_PiS7_iN6hipcub16HIPCUB_304000_NS6detail34convert_binary_result_type_wrapperINS9_3SumENS9_22TransformInputIteratorIbN2at6native12_GLOBAL__N_19NonZeroOpIiEEPKilEEiEEEE10hipError_tPvRmT1_T2_T3_mT4_P12ihipStream_tbEUlT_E0_NS1_11comp_targetILNS1_3genE3ELNS1_11target_archE908ELNS1_3gpuE7ELNS1_3repE0EEENS1_30default_config_static_selectorELNS0_4arch9wavefront6targetE0EEEvSQ_ ; -- Begin function _ZN7rocprim17ROCPRIM_400000_NS6detail17trampoline_kernelINS0_14default_configENS1_22reduce_config_selectorIiEEZNS1_11reduce_implILb1ES3_PiS7_iN6hipcub16HIPCUB_304000_NS6detail34convert_binary_result_type_wrapperINS9_3SumENS9_22TransformInputIteratorIbN2at6native12_GLOBAL__N_19NonZeroOpIiEEPKilEEiEEEE10hipError_tPvRmT1_T2_T3_mT4_P12ihipStream_tbEUlT_E0_NS1_11comp_targetILNS1_3genE3ELNS1_11target_archE908ELNS1_3gpuE7ELNS1_3repE0EEENS1_30default_config_static_selectorELNS0_4arch9wavefront6targetE0EEEvSQ_
	.p2align	8
	.type	_ZN7rocprim17ROCPRIM_400000_NS6detail17trampoline_kernelINS0_14default_configENS1_22reduce_config_selectorIiEEZNS1_11reduce_implILb1ES3_PiS7_iN6hipcub16HIPCUB_304000_NS6detail34convert_binary_result_type_wrapperINS9_3SumENS9_22TransformInputIteratorIbN2at6native12_GLOBAL__N_19NonZeroOpIiEEPKilEEiEEEE10hipError_tPvRmT1_T2_T3_mT4_P12ihipStream_tbEUlT_E0_NS1_11comp_targetILNS1_3genE3ELNS1_11target_archE908ELNS1_3gpuE7ELNS1_3repE0EEENS1_30default_config_static_selectorELNS0_4arch9wavefront6targetE0EEEvSQ_,@function
_ZN7rocprim17ROCPRIM_400000_NS6detail17trampoline_kernelINS0_14default_configENS1_22reduce_config_selectorIiEEZNS1_11reduce_implILb1ES3_PiS7_iN6hipcub16HIPCUB_304000_NS6detail34convert_binary_result_type_wrapperINS9_3SumENS9_22TransformInputIteratorIbN2at6native12_GLOBAL__N_19NonZeroOpIiEEPKilEEiEEEE10hipError_tPvRmT1_T2_T3_mT4_P12ihipStream_tbEUlT_E0_NS1_11comp_targetILNS1_3genE3ELNS1_11target_archE908ELNS1_3gpuE7ELNS1_3repE0EEENS1_30default_config_static_selectorELNS0_4arch9wavefront6targetE0EEEvSQ_: ; @_ZN7rocprim17ROCPRIM_400000_NS6detail17trampoline_kernelINS0_14default_configENS1_22reduce_config_selectorIiEEZNS1_11reduce_implILb1ES3_PiS7_iN6hipcub16HIPCUB_304000_NS6detail34convert_binary_result_type_wrapperINS9_3SumENS9_22TransformInputIteratorIbN2at6native12_GLOBAL__N_19NonZeroOpIiEEPKilEEiEEEE10hipError_tPvRmT1_T2_T3_mT4_P12ihipStream_tbEUlT_E0_NS1_11comp_targetILNS1_3genE3ELNS1_11target_archE908ELNS1_3gpuE7ELNS1_3repE0EEENS1_30default_config_static_selectorELNS0_4arch9wavefront6targetE0EEEvSQ_
; %bb.0:
	.section	.rodata,"a",@progbits
	.p2align	6, 0x0
	.amdhsa_kernel _ZN7rocprim17ROCPRIM_400000_NS6detail17trampoline_kernelINS0_14default_configENS1_22reduce_config_selectorIiEEZNS1_11reduce_implILb1ES3_PiS7_iN6hipcub16HIPCUB_304000_NS6detail34convert_binary_result_type_wrapperINS9_3SumENS9_22TransformInputIteratorIbN2at6native12_GLOBAL__N_19NonZeroOpIiEEPKilEEiEEEE10hipError_tPvRmT1_T2_T3_mT4_P12ihipStream_tbEUlT_E0_NS1_11comp_targetILNS1_3genE3ELNS1_11target_archE908ELNS1_3gpuE7ELNS1_3repE0EEENS1_30default_config_static_selectorELNS0_4arch9wavefront6targetE0EEEvSQ_
		.amdhsa_group_segment_fixed_size 0
		.amdhsa_private_segment_fixed_size 0
		.amdhsa_kernarg_size 56
		.amdhsa_user_sgpr_count 2
		.amdhsa_user_sgpr_dispatch_ptr 0
		.amdhsa_user_sgpr_queue_ptr 0
		.amdhsa_user_sgpr_kernarg_segment_ptr 1
		.amdhsa_user_sgpr_dispatch_id 0
		.amdhsa_user_sgpr_private_segment_size 0
		.amdhsa_wavefront_size32 1
		.amdhsa_uses_dynamic_stack 0
		.amdhsa_enable_private_segment 0
		.amdhsa_system_sgpr_workgroup_id_x 1
		.amdhsa_system_sgpr_workgroup_id_y 0
		.amdhsa_system_sgpr_workgroup_id_z 0
		.amdhsa_system_sgpr_workgroup_info 0
		.amdhsa_system_vgpr_workitem_id 0
		.amdhsa_next_free_vgpr 1
		.amdhsa_next_free_sgpr 1
		.amdhsa_reserve_vcc 0
		.amdhsa_float_round_mode_32 0
		.amdhsa_float_round_mode_16_64 0
		.amdhsa_float_denorm_mode_32 3
		.amdhsa_float_denorm_mode_16_64 3
		.amdhsa_fp16_overflow 0
		.amdhsa_workgroup_processor_mode 1
		.amdhsa_memory_ordered 1
		.amdhsa_forward_progress 1
		.amdhsa_inst_pref_size 0
		.amdhsa_round_robin_scheduling 0
		.amdhsa_exception_fp_ieee_invalid_op 0
		.amdhsa_exception_fp_denorm_src 0
		.amdhsa_exception_fp_ieee_div_zero 0
		.amdhsa_exception_fp_ieee_overflow 0
		.amdhsa_exception_fp_ieee_underflow 0
		.amdhsa_exception_fp_ieee_inexact 0
		.amdhsa_exception_int_div_zero 0
	.end_amdhsa_kernel
	.section	.text._ZN7rocprim17ROCPRIM_400000_NS6detail17trampoline_kernelINS0_14default_configENS1_22reduce_config_selectorIiEEZNS1_11reduce_implILb1ES3_PiS7_iN6hipcub16HIPCUB_304000_NS6detail34convert_binary_result_type_wrapperINS9_3SumENS9_22TransformInputIteratorIbN2at6native12_GLOBAL__N_19NonZeroOpIiEEPKilEEiEEEE10hipError_tPvRmT1_T2_T3_mT4_P12ihipStream_tbEUlT_E0_NS1_11comp_targetILNS1_3genE3ELNS1_11target_archE908ELNS1_3gpuE7ELNS1_3repE0EEENS1_30default_config_static_selectorELNS0_4arch9wavefront6targetE0EEEvSQ_,"axG",@progbits,_ZN7rocprim17ROCPRIM_400000_NS6detail17trampoline_kernelINS0_14default_configENS1_22reduce_config_selectorIiEEZNS1_11reduce_implILb1ES3_PiS7_iN6hipcub16HIPCUB_304000_NS6detail34convert_binary_result_type_wrapperINS9_3SumENS9_22TransformInputIteratorIbN2at6native12_GLOBAL__N_19NonZeroOpIiEEPKilEEiEEEE10hipError_tPvRmT1_T2_T3_mT4_P12ihipStream_tbEUlT_E0_NS1_11comp_targetILNS1_3genE3ELNS1_11target_archE908ELNS1_3gpuE7ELNS1_3repE0EEENS1_30default_config_static_selectorELNS0_4arch9wavefront6targetE0EEEvSQ_,comdat
.Lfunc_end153:
	.size	_ZN7rocprim17ROCPRIM_400000_NS6detail17trampoline_kernelINS0_14default_configENS1_22reduce_config_selectorIiEEZNS1_11reduce_implILb1ES3_PiS7_iN6hipcub16HIPCUB_304000_NS6detail34convert_binary_result_type_wrapperINS9_3SumENS9_22TransformInputIteratorIbN2at6native12_GLOBAL__N_19NonZeroOpIiEEPKilEEiEEEE10hipError_tPvRmT1_T2_T3_mT4_P12ihipStream_tbEUlT_E0_NS1_11comp_targetILNS1_3genE3ELNS1_11target_archE908ELNS1_3gpuE7ELNS1_3repE0EEENS1_30default_config_static_selectorELNS0_4arch9wavefront6targetE0EEEvSQ_, .Lfunc_end153-_ZN7rocprim17ROCPRIM_400000_NS6detail17trampoline_kernelINS0_14default_configENS1_22reduce_config_selectorIiEEZNS1_11reduce_implILb1ES3_PiS7_iN6hipcub16HIPCUB_304000_NS6detail34convert_binary_result_type_wrapperINS9_3SumENS9_22TransformInputIteratorIbN2at6native12_GLOBAL__N_19NonZeroOpIiEEPKilEEiEEEE10hipError_tPvRmT1_T2_T3_mT4_P12ihipStream_tbEUlT_E0_NS1_11comp_targetILNS1_3genE3ELNS1_11target_archE908ELNS1_3gpuE7ELNS1_3repE0EEENS1_30default_config_static_selectorELNS0_4arch9wavefront6targetE0EEEvSQ_
                                        ; -- End function
	.set _ZN7rocprim17ROCPRIM_400000_NS6detail17trampoline_kernelINS0_14default_configENS1_22reduce_config_selectorIiEEZNS1_11reduce_implILb1ES3_PiS7_iN6hipcub16HIPCUB_304000_NS6detail34convert_binary_result_type_wrapperINS9_3SumENS9_22TransformInputIteratorIbN2at6native12_GLOBAL__N_19NonZeroOpIiEEPKilEEiEEEE10hipError_tPvRmT1_T2_T3_mT4_P12ihipStream_tbEUlT_E0_NS1_11comp_targetILNS1_3genE3ELNS1_11target_archE908ELNS1_3gpuE7ELNS1_3repE0EEENS1_30default_config_static_selectorELNS0_4arch9wavefront6targetE0EEEvSQ_.num_vgpr, 0
	.set _ZN7rocprim17ROCPRIM_400000_NS6detail17trampoline_kernelINS0_14default_configENS1_22reduce_config_selectorIiEEZNS1_11reduce_implILb1ES3_PiS7_iN6hipcub16HIPCUB_304000_NS6detail34convert_binary_result_type_wrapperINS9_3SumENS9_22TransformInputIteratorIbN2at6native12_GLOBAL__N_19NonZeroOpIiEEPKilEEiEEEE10hipError_tPvRmT1_T2_T3_mT4_P12ihipStream_tbEUlT_E0_NS1_11comp_targetILNS1_3genE3ELNS1_11target_archE908ELNS1_3gpuE7ELNS1_3repE0EEENS1_30default_config_static_selectorELNS0_4arch9wavefront6targetE0EEEvSQ_.num_agpr, 0
	.set _ZN7rocprim17ROCPRIM_400000_NS6detail17trampoline_kernelINS0_14default_configENS1_22reduce_config_selectorIiEEZNS1_11reduce_implILb1ES3_PiS7_iN6hipcub16HIPCUB_304000_NS6detail34convert_binary_result_type_wrapperINS9_3SumENS9_22TransformInputIteratorIbN2at6native12_GLOBAL__N_19NonZeroOpIiEEPKilEEiEEEE10hipError_tPvRmT1_T2_T3_mT4_P12ihipStream_tbEUlT_E0_NS1_11comp_targetILNS1_3genE3ELNS1_11target_archE908ELNS1_3gpuE7ELNS1_3repE0EEENS1_30default_config_static_selectorELNS0_4arch9wavefront6targetE0EEEvSQ_.numbered_sgpr, 0
	.set _ZN7rocprim17ROCPRIM_400000_NS6detail17trampoline_kernelINS0_14default_configENS1_22reduce_config_selectorIiEEZNS1_11reduce_implILb1ES3_PiS7_iN6hipcub16HIPCUB_304000_NS6detail34convert_binary_result_type_wrapperINS9_3SumENS9_22TransformInputIteratorIbN2at6native12_GLOBAL__N_19NonZeroOpIiEEPKilEEiEEEE10hipError_tPvRmT1_T2_T3_mT4_P12ihipStream_tbEUlT_E0_NS1_11comp_targetILNS1_3genE3ELNS1_11target_archE908ELNS1_3gpuE7ELNS1_3repE0EEENS1_30default_config_static_selectorELNS0_4arch9wavefront6targetE0EEEvSQ_.num_named_barrier, 0
	.set _ZN7rocprim17ROCPRIM_400000_NS6detail17trampoline_kernelINS0_14default_configENS1_22reduce_config_selectorIiEEZNS1_11reduce_implILb1ES3_PiS7_iN6hipcub16HIPCUB_304000_NS6detail34convert_binary_result_type_wrapperINS9_3SumENS9_22TransformInputIteratorIbN2at6native12_GLOBAL__N_19NonZeroOpIiEEPKilEEiEEEE10hipError_tPvRmT1_T2_T3_mT4_P12ihipStream_tbEUlT_E0_NS1_11comp_targetILNS1_3genE3ELNS1_11target_archE908ELNS1_3gpuE7ELNS1_3repE0EEENS1_30default_config_static_selectorELNS0_4arch9wavefront6targetE0EEEvSQ_.private_seg_size, 0
	.set _ZN7rocprim17ROCPRIM_400000_NS6detail17trampoline_kernelINS0_14default_configENS1_22reduce_config_selectorIiEEZNS1_11reduce_implILb1ES3_PiS7_iN6hipcub16HIPCUB_304000_NS6detail34convert_binary_result_type_wrapperINS9_3SumENS9_22TransformInputIteratorIbN2at6native12_GLOBAL__N_19NonZeroOpIiEEPKilEEiEEEE10hipError_tPvRmT1_T2_T3_mT4_P12ihipStream_tbEUlT_E0_NS1_11comp_targetILNS1_3genE3ELNS1_11target_archE908ELNS1_3gpuE7ELNS1_3repE0EEENS1_30default_config_static_selectorELNS0_4arch9wavefront6targetE0EEEvSQ_.uses_vcc, 0
	.set _ZN7rocprim17ROCPRIM_400000_NS6detail17trampoline_kernelINS0_14default_configENS1_22reduce_config_selectorIiEEZNS1_11reduce_implILb1ES3_PiS7_iN6hipcub16HIPCUB_304000_NS6detail34convert_binary_result_type_wrapperINS9_3SumENS9_22TransformInputIteratorIbN2at6native12_GLOBAL__N_19NonZeroOpIiEEPKilEEiEEEE10hipError_tPvRmT1_T2_T3_mT4_P12ihipStream_tbEUlT_E0_NS1_11comp_targetILNS1_3genE3ELNS1_11target_archE908ELNS1_3gpuE7ELNS1_3repE0EEENS1_30default_config_static_selectorELNS0_4arch9wavefront6targetE0EEEvSQ_.uses_flat_scratch, 0
	.set _ZN7rocprim17ROCPRIM_400000_NS6detail17trampoline_kernelINS0_14default_configENS1_22reduce_config_selectorIiEEZNS1_11reduce_implILb1ES3_PiS7_iN6hipcub16HIPCUB_304000_NS6detail34convert_binary_result_type_wrapperINS9_3SumENS9_22TransformInputIteratorIbN2at6native12_GLOBAL__N_19NonZeroOpIiEEPKilEEiEEEE10hipError_tPvRmT1_T2_T3_mT4_P12ihipStream_tbEUlT_E0_NS1_11comp_targetILNS1_3genE3ELNS1_11target_archE908ELNS1_3gpuE7ELNS1_3repE0EEENS1_30default_config_static_selectorELNS0_4arch9wavefront6targetE0EEEvSQ_.has_dyn_sized_stack, 0
	.set _ZN7rocprim17ROCPRIM_400000_NS6detail17trampoline_kernelINS0_14default_configENS1_22reduce_config_selectorIiEEZNS1_11reduce_implILb1ES3_PiS7_iN6hipcub16HIPCUB_304000_NS6detail34convert_binary_result_type_wrapperINS9_3SumENS9_22TransformInputIteratorIbN2at6native12_GLOBAL__N_19NonZeroOpIiEEPKilEEiEEEE10hipError_tPvRmT1_T2_T3_mT4_P12ihipStream_tbEUlT_E0_NS1_11comp_targetILNS1_3genE3ELNS1_11target_archE908ELNS1_3gpuE7ELNS1_3repE0EEENS1_30default_config_static_selectorELNS0_4arch9wavefront6targetE0EEEvSQ_.has_recursion, 0
	.set _ZN7rocprim17ROCPRIM_400000_NS6detail17trampoline_kernelINS0_14default_configENS1_22reduce_config_selectorIiEEZNS1_11reduce_implILb1ES3_PiS7_iN6hipcub16HIPCUB_304000_NS6detail34convert_binary_result_type_wrapperINS9_3SumENS9_22TransformInputIteratorIbN2at6native12_GLOBAL__N_19NonZeroOpIiEEPKilEEiEEEE10hipError_tPvRmT1_T2_T3_mT4_P12ihipStream_tbEUlT_E0_NS1_11comp_targetILNS1_3genE3ELNS1_11target_archE908ELNS1_3gpuE7ELNS1_3repE0EEENS1_30default_config_static_selectorELNS0_4arch9wavefront6targetE0EEEvSQ_.has_indirect_call, 0
	.section	.AMDGPU.csdata,"",@progbits
; Kernel info:
; codeLenInByte = 0
; TotalNumSgprs: 0
; NumVgprs: 0
; ScratchSize: 0
; MemoryBound: 0
; FloatMode: 240
; IeeeMode: 1
; LDSByteSize: 0 bytes/workgroup (compile time only)
; SGPRBlocks: 0
; VGPRBlocks: 0
; NumSGPRsForWavesPerEU: 1
; NumVGPRsForWavesPerEU: 1
; Occupancy: 16
; WaveLimiterHint : 0
; COMPUTE_PGM_RSRC2:SCRATCH_EN: 0
; COMPUTE_PGM_RSRC2:USER_SGPR: 2
; COMPUTE_PGM_RSRC2:TRAP_HANDLER: 0
; COMPUTE_PGM_RSRC2:TGID_X_EN: 1
; COMPUTE_PGM_RSRC2:TGID_Y_EN: 0
; COMPUTE_PGM_RSRC2:TGID_Z_EN: 0
; COMPUTE_PGM_RSRC2:TIDIG_COMP_CNT: 0
	.section	.text._ZN7rocprim17ROCPRIM_400000_NS6detail17trampoline_kernelINS0_14default_configENS1_22reduce_config_selectorIiEEZNS1_11reduce_implILb1ES3_PiS7_iN6hipcub16HIPCUB_304000_NS6detail34convert_binary_result_type_wrapperINS9_3SumENS9_22TransformInputIteratorIbN2at6native12_GLOBAL__N_19NonZeroOpIiEEPKilEEiEEEE10hipError_tPvRmT1_T2_T3_mT4_P12ihipStream_tbEUlT_E0_NS1_11comp_targetILNS1_3genE2ELNS1_11target_archE906ELNS1_3gpuE6ELNS1_3repE0EEENS1_30default_config_static_selectorELNS0_4arch9wavefront6targetE0EEEvSQ_,"axG",@progbits,_ZN7rocprim17ROCPRIM_400000_NS6detail17trampoline_kernelINS0_14default_configENS1_22reduce_config_selectorIiEEZNS1_11reduce_implILb1ES3_PiS7_iN6hipcub16HIPCUB_304000_NS6detail34convert_binary_result_type_wrapperINS9_3SumENS9_22TransformInputIteratorIbN2at6native12_GLOBAL__N_19NonZeroOpIiEEPKilEEiEEEE10hipError_tPvRmT1_T2_T3_mT4_P12ihipStream_tbEUlT_E0_NS1_11comp_targetILNS1_3genE2ELNS1_11target_archE906ELNS1_3gpuE6ELNS1_3repE0EEENS1_30default_config_static_selectorELNS0_4arch9wavefront6targetE0EEEvSQ_,comdat
	.globl	_ZN7rocprim17ROCPRIM_400000_NS6detail17trampoline_kernelINS0_14default_configENS1_22reduce_config_selectorIiEEZNS1_11reduce_implILb1ES3_PiS7_iN6hipcub16HIPCUB_304000_NS6detail34convert_binary_result_type_wrapperINS9_3SumENS9_22TransformInputIteratorIbN2at6native12_GLOBAL__N_19NonZeroOpIiEEPKilEEiEEEE10hipError_tPvRmT1_T2_T3_mT4_P12ihipStream_tbEUlT_E0_NS1_11comp_targetILNS1_3genE2ELNS1_11target_archE906ELNS1_3gpuE6ELNS1_3repE0EEENS1_30default_config_static_selectorELNS0_4arch9wavefront6targetE0EEEvSQ_ ; -- Begin function _ZN7rocprim17ROCPRIM_400000_NS6detail17trampoline_kernelINS0_14default_configENS1_22reduce_config_selectorIiEEZNS1_11reduce_implILb1ES3_PiS7_iN6hipcub16HIPCUB_304000_NS6detail34convert_binary_result_type_wrapperINS9_3SumENS9_22TransformInputIteratorIbN2at6native12_GLOBAL__N_19NonZeroOpIiEEPKilEEiEEEE10hipError_tPvRmT1_T2_T3_mT4_P12ihipStream_tbEUlT_E0_NS1_11comp_targetILNS1_3genE2ELNS1_11target_archE906ELNS1_3gpuE6ELNS1_3repE0EEENS1_30default_config_static_selectorELNS0_4arch9wavefront6targetE0EEEvSQ_
	.p2align	8
	.type	_ZN7rocprim17ROCPRIM_400000_NS6detail17trampoline_kernelINS0_14default_configENS1_22reduce_config_selectorIiEEZNS1_11reduce_implILb1ES3_PiS7_iN6hipcub16HIPCUB_304000_NS6detail34convert_binary_result_type_wrapperINS9_3SumENS9_22TransformInputIteratorIbN2at6native12_GLOBAL__N_19NonZeroOpIiEEPKilEEiEEEE10hipError_tPvRmT1_T2_T3_mT4_P12ihipStream_tbEUlT_E0_NS1_11comp_targetILNS1_3genE2ELNS1_11target_archE906ELNS1_3gpuE6ELNS1_3repE0EEENS1_30default_config_static_selectorELNS0_4arch9wavefront6targetE0EEEvSQ_,@function
_ZN7rocprim17ROCPRIM_400000_NS6detail17trampoline_kernelINS0_14default_configENS1_22reduce_config_selectorIiEEZNS1_11reduce_implILb1ES3_PiS7_iN6hipcub16HIPCUB_304000_NS6detail34convert_binary_result_type_wrapperINS9_3SumENS9_22TransformInputIteratorIbN2at6native12_GLOBAL__N_19NonZeroOpIiEEPKilEEiEEEE10hipError_tPvRmT1_T2_T3_mT4_P12ihipStream_tbEUlT_E0_NS1_11comp_targetILNS1_3genE2ELNS1_11target_archE906ELNS1_3gpuE6ELNS1_3repE0EEENS1_30default_config_static_selectorELNS0_4arch9wavefront6targetE0EEEvSQ_: ; @_ZN7rocprim17ROCPRIM_400000_NS6detail17trampoline_kernelINS0_14default_configENS1_22reduce_config_selectorIiEEZNS1_11reduce_implILb1ES3_PiS7_iN6hipcub16HIPCUB_304000_NS6detail34convert_binary_result_type_wrapperINS9_3SumENS9_22TransformInputIteratorIbN2at6native12_GLOBAL__N_19NonZeroOpIiEEPKilEEiEEEE10hipError_tPvRmT1_T2_T3_mT4_P12ihipStream_tbEUlT_E0_NS1_11comp_targetILNS1_3genE2ELNS1_11target_archE906ELNS1_3gpuE6ELNS1_3repE0EEENS1_30default_config_static_selectorELNS0_4arch9wavefront6targetE0EEEvSQ_
; %bb.0:
	.section	.rodata,"a",@progbits
	.p2align	6, 0x0
	.amdhsa_kernel _ZN7rocprim17ROCPRIM_400000_NS6detail17trampoline_kernelINS0_14default_configENS1_22reduce_config_selectorIiEEZNS1_11reduce_implILb1ES3_PiS7_iN6hipcub16HIPCUB_304000_NS6detail34convert_binary_result_type_wrapperINS9_3SumENS9_22TransformInputIteratorIbN2at6native12_GLOBAL__N_19NonZeroOpIiEEPKilEEiEEEE10hipError_tPvRmT1_T2_T3_mT4_P12ihipStream_tbEUlT_E0_NS1_11comp_targetILNS1_3genE2ELNS1_11target_archE906ELNS1_3gpuE6ELNS1_3repE0EEENS1_30default_config_static_selectorELNS0_4arch9wavefront6targetE0EEEvSQ_
		.amdhsa_group_segment_fixed_size 0
		.amdhsa_private_segment_fixed_size 0
		.amdhsa_kernarg_size 56
		.amdhsa_user_sgpr_count 2
		.amdhsa_user_sgpr_dispatch_ptr 0
		.amdhsa_user_sgpr_queue_ptr 0
		.amdhsa_user_sgpr_kernarg_segment_ptr 1
		.amdhsa_user_sgpr_dispatch_id 0
		.amdhsa_user_sgpr_private_segment_size 0
		.amdhsa_wavefront_size32 1
		.amdhsa_uses_dynamic_stack 0
		.amdhsa_enable_private_segment 0
		.amdhsa_system_sgpr_workgroup_id_x 1
		.amdhsa_system_sgpr_workgroup_id_y 0
		.amdhsa_system_sgpr_workgroup_id_z 0
		.amdhsa_system_sgpr_workgroup_info 0
		.amdhsa_system_vgpr_workitem_id 0
		.amdhsa_next_free_vgpr 1
		.amdhsa_next_free_sgpr 1
		.amdhsa_reserve_vcc 0
		.amdhsa_float_round_mode_32 0
		.amdhsa_float_round_mode_16_64 0
		.amdhsa_float_denorm_mode_32 3
		.amdhsa_float_denorm_mode_16_64 3
		.amdhsa_fp16_overflow 0
		.amdhsa_workgroup_processor_mode 1
		.amdhsa_memory_ordered 1
		.amdhsa_forward_progress 1
		.amdhsa_inst_pref_size 0
		.amdhsa_round_robin_scheduling 0
		.amdhsa_exception_fp_ieee_invalid_op 0
		.amdhsa_exception_fp_denorm_src 0
		.amdhsa_exception_fp_ieee_div_zero 0
		.amdhsa_exception_fp_ieee_overflow 0
		.amdhsa_exception_fp_ieee_underflow 0
		.amdhsa_exception_fp_ieee_inexact 0
		.amdhsa_exception_int_div_zero 0
	.end_amdhsa_kernel
	.section	.text._ZN7rocprim17ROCPRIM_400000_NS6detail17trampoline_kernelINS0_14default_configENS1_22reduce_config_selectorIiEEZNS1_11reduce_implILb1ES3_PiS7_iN6hipcub16HIPCUB_304000_NS6detail34convert_binary_result_type_wrapperINS9_3SumENS9_22TransformInputIteratorIbN2at6native12_GLOBAL__N_19NonZeroOpIiEEPKilEEiEEEE10hipError_tPvRmT1_T2_T3_mT4_P12ihipStream_tbEUlT_E0_NS1_11comp_targetILNS1_3genE2ELNS1_11target_archE906ELNS1_3gpuE6ELNS1_3repE0EEENS1_30default_config_static_selectorELNS0_4arch9wavefront6targetE0EEEvSQ_,"axG",@progbits,_ZN7rocprim17ROCPRIM_400000_NS6detail17trampoline_kernelINS0_14default_configENS1_22reduce_config_selectorIiEEZNS1_11reduce_implILb1ES3_PiS7_iN6hipcub16HIPCUB_304000_NS6detail34convert_binary_result_type_wrapperINS9_3SumENS9_22TransformInputIteratorIbN2at6native12_GLOBAL__N_19NonZeroOpIiEEPKilEEiEEEE10hipError_tPvRmT1_T2_T3_mT4_P12ihipStream_tbEUlT_E0_NS1_11comp_targetILNS1_3genE2ELNS1_11target_archE906ELNS1_3gpuE6ELNS1_3repE0EEENS1_30default_config_static_selectorELNS0_4arch9wavefront6targetE0EEEvSQ_,comdat
.Lfunc_end154:
	.size	_ZN7rocprim17ROCPRIM_400000_NS6detail17trampoline_kernelINS0_14default_configENS1_22reduce_config_selectorIiEEZNS1_11reduce_implILb1ES3_PiS7_iN6hipcub16HIPCUB_304000_NS6detail34convert_binary_result_type_wrapperINS9_3SumENS9_22TransformInputIteratorIbN2at6native12_GLOBAL__N_19NonZeroOpIiEEPKilEEiEEEE10hipError_tPvRmT1_T2_T3_mT4_P12ihipStream_tbEUlT_E0_NS1_11comp_targetILNS1_3genE2ELNS1_11target_archE906ELNS1_3gpuE6ELNS1_3repE0EEENS1_30default_config_static_selectorELNS0_4arch9wavefront6targetE0EEEvSQ_, .Lfunc_end154-_ZN7rocprim17ROCPRIM_400000_NS6detail17trampoline_kernelINS0_14default_configENS1_22reduce_config_selectorIiEEZNS1_11reduce_implILb1ES3_PiS7_iN6hipcub16HIPCUB_304000_NS6detail34convert_binary_result_type_wrapperINS9_3SumENS9_22TransformInputIteratorIbN2at6native12_GLOBAL__N_19NonZeroOpIiEEPKilEEiEEEE10hipError_tPvRmT1_T2_T3_mT4_P12ihipStream_tbEUlT_E0_NS1_11comp_targetILNS1_3genE2ELNS1_11target_archE906ELNS1_3gpuE6ELNS1_3repE0EEENS1_30default_config_static_selectorELNS0_4arch9wavefront6targetE0EEEvSQ_
                                        ; -- End function
	.set _ZN7rocprim17ROCPRIM_400000_NS6detail17trampoline_kernelINS0_14default_configENS1_22reduce_config_selectorIiEEZNS1_11reduce_implILb1ES3_PiS7_iN6hipcub16HIPCUB_304000_NS6detail34convert_binary_result_type_wrapperINS9_3SumENS9_22TransformInputIteratorIbN2at6native12_GLOBAL__N_19NonZeroOpIiEEPKilEEiEEEE10hipError_tPvRmT1_T2_T3_mT4_P12ihipStream_tbEUlT_E0_NS1_11comp_targetILNS1_3genE2ELNS1_11target_archE906ELNS1_3gpuE6ELNS1_3repE0EEENS1_30default_config_static_selectorELNS0_4arch9wavefront6targetE0EEEvSQ_.num_vgpr, 0
	.set _ZN7rocprim17ROCPRIM_400000_NS6detail17trampoline_kernelINS0_14default_configENS1_22reduce_config_selectorIiEEZNS1_11reduce_implILb1ES3_PiS7_iN6hipcub16HIPCUB_304000_NS6detail34convert_binary_result_type_wrapperINS9_3SumENS9_22TransformInputIteratorIbN2at6native12_GLOBAL__N_19NonZeroOpIiEEPKilEEiEEEE10hipError_tPvRmT1_T2_T3_mT4_P12ihipStream_tbEUlT_E0_NS1_11comp_targetILNS1_3genE2ELNS1_11target_archE906ELNS1_3gpuE6ELNS1_3repE0EEENS1_30default_config_static_selectorELNS0_4arch9wavefront6targetE0EEEvSQ_.num_agpr, 0
	.set _ZN7rocprim17ROCPRIM_400000_NS6detail17trampoline_kernelINS0_14default_configENS1_22reduce_config_selectorIiEEZNS1_11reduce_implILb1ES3_PiS7_iN6hipcub16HIPCUB_304000_NS6detail34convert_binary_result_type_wrapperINS9_3SumENS9_22TransformInputIteratorIbN2at6native12_GLOBAL__N_19NonZeroOpIiEEPKilEEiEEEE10hipError_tPvRmT1_T2_T3_mT4_P12ihipStream_tbEUlT_E0_NS1_11comp_targetILNS1_3genE2ELNS1_11target_archE906ELNS1_3gpuE6ELNS1_3repE0EEENS1_30default_config_static_selectorELNS0_4arch9wavefront6targetE0EEEvSQ_.numbered_sgpr, 0
	.set _ZN7rocprim17ROCPRIM_400000_NS6detail17trampoline_kernelINS0_14default_configENS1_22reduce_config_selectorIiEEZNS1_11reduce_implILb1ES3_PiS7_iN6hipcub16HIPCUB_304000_NS6detail34convert_binary_result_type_wrapperINS9_3SumENS9_22TransformInputIteratorIbN2at6native12_GLOBAL__N_19NonZeroOpIiEEPKilEEiEEEE10hipError_tPvRmT1_T2_T3_mT4_P12ihipStream_tbEUlT_E0_NS1_11comp_targetILNS1_3genE2ELNS1_11target_archE906ELNS1_3gpuE6ELNS1_3repE0EEENS1_30default_config_static_selectorELNS0_4arch9wavefront6targetE0EEEvSQ_.num_named_barrier, 0
	.set _ZN7rocprim17ROCPRIM_400000_NS6detail17trampoline_kernelINS0_14default_configENS1_22reduce_config_selectorIiEEZNS1_11reduce_implILb1ES3_PiS7_iN6hipcub16HIPCUB_304000_NS6detail34convert_binary_result_type_wrapperINS9_3SumENS9_22TransformInputIteratorIbN2at6native12_GLOBAL__N_19NonZeroOpIiEEPKilEEiEEEE10hipError_tPvRmT1_T2_T3_mT4_P12ihipStream_tbEUlT_E0_NS1_11comp_targetILNS1_3genE2ELNS1_11target_archE906ELNS1_3gpuE6ELNS1_3repE0EEENS1_30default_config_static_selectorELNS0_4arch9wavefront6targetE0EEEvSQ_.private_seg_size, 0
	.set _ZN7rocprim17ROCPRIM_400000_NS6detail17trampoline_kernelINS0_14default_configENS1_22reduce_config_selectorIiEEZNS1_11reduce_implILb1ES3_PiS7_iN6hipcub16HIPCUB_304000_NS6detail34convert_binary_result_type_wrapperINS9_3SumENS9_22TransformInputIteratorIbN2at6native12_GLOBAL__N_19NonZeroOpIiEEPKilEEiEEEE10hipError_tPvRmT1_T2_T3_mT4_P12ihipStream_tbEUlT_E0_NS1_11comp_targetILNS1_3genE2ELNS1_11target_archE906ELNS1_3gpuE6ELNS1_3repE0EEENS1_30default_config_static_selectorELNS0_4arch9wavefront6targetE0EEEvSQ_.uses_vcc, 0
	.set _ZN7rocprim17ROCPRIM_400000_NS6detail17trampoline_kernelINS0_14default_configENS1_22reduce_config_selectorIiEEZNS1_11reduce_implILb1ES3_PiS7_iN6hipcub16HIPCUB_304000_NS6detail34convert_binary_result_type_wrapperINS9_3SumENS9_22TransformInputIteratorIbN2at6native12_GLOBAL__N_19NonZeroOpIiEEPKilEEiEEEE10hipError_tPvRmT1_T2_T3_mT4_P12ihipStream_tbEUlT_E0_NS1_11comp_targetILNS1_3genE2ELNS1_11target_archE906ELNS1_3gpuE6ELNS1_3repE0EEENS1_30default_config_static_selectorELNS0_4arch9wavefront6targetE0EEEvSQ_.uses_flat_scratch, 0
	.set _ZN7rocprim17ROCPRIM_400000_NS6detail17trampoline_kernelINS0_14default_configENS1_22reduce_config_selectorIiEEZNS1_11reduce_implILb1ES3_PiS7_iN6hipcub16HIPCUB_304000_NS6detail34convert_binary_result_type_wrapperINS9_3SumENS9_22TransformInputIteratorIbN2at6native12_GLOBAL__N_19NonZeroOpIiEEPKilEEiEEEE10hipError_tPvRmT1_T2_T3_mT4_P12ihipStream_tbEUlT_E0_NS1_11comp_targetILNS1_3genE2ELNS1_11target_archE906ELNS1_3gpuE6ELNS1_3repE0EEENS1_30default_config_static_selectorELNS0_4arch9wavefront6targetE0EEEvSQ_.has_dyn_sized_stack, 0
	.set _ZN7rocprim17ROCPRIM_400000_NS6detail17trampoline_kernelINS0_14default_configENS1_22reduce_config_selectorIiEEZNS1_11reduce_implILb1ES3_PiS7_iN6hipcub16HIPCUB_304000_NS6detail34convert_binary_result_type_wrapperINS9_3SumENS9_22TransformInputIteratorIbN2at6native12_GLOBAL__N_19NonZeroOpIiEEPKilEEiEEEE10hipError_tPvRmT1_T2_T3_mT4_P12ihipStream_tbEUlT_E0_NS1_11comp_targetILNS1_3genE2ELNS1_11target_archE906ELNS1_3gpuE6ELNS1_3repE0EEENS1_30default_config_static_selectorELNS0_4arch9wavefront6targetE0EEEvSQ_.has_recursion, 0
	.set _ZN7rocprim17ROCPRIM_400000_NS6detail17trampoline_kernelINS0_14default_configENS1_22reduce_config_selectorIiEEZNS1_11reduce_implILb1ES3_PiS7_iN6hipcub16HIPCUB_304000_NS6detail34convert_binary_result_type_wrapperINS9_3SumENS9_22TransformInputIteratorIbN2at6native12_GLOBAL__N_19NonZeroOpIiEEPKilEEiEEEE10hipError_tPvRmT1_T2_T3_mT4_P12ihipStream_tbEUlT_E0_NS1_11comp_targetILNS1_3genE2ELNS1_11target_archE906ELNS1_3gpuE6ELNS1_3repE0EEENS1_30default_config_static_selectorELNS0_4arch9wavefront6targetE0EEEvSQ_.has_indirect_call, 0
	.section	.AMDGPU.csdata,"",@progbits
; Kernel info:
; codeLenInByte = 0
; TotalNumSgprs: 0
; NumVgprs: 0
; ScratchSize: 0
; MemoryBound: 0
; FloatMode: 240
; IeeeMode: 1
; LDSByteSize: 0 bytes/workgroup (compile time only)
; SGPRBlocks: 0
; VGPRBlocks: 0
; NumSGPRsForWavesPerEU: 1
; NumVGPRsForWavesPerEU: 1
; Occupancy: 16
; WaveLimiterHint : 0
; COMPUTE_PGM_RSRC2:SCRATCH_EN: 0
; COMPUTE_PGM_RSRC2:USER_SGPR: 2
; COMPUTE_PGM_RSRC2:TRAP_HANDLER: 0
; COMPUTE_PGM_RSRC2:TGID_X_EN: 1
; COMPUTE_PGM_RSRC2:TGID_Y_EN: 0
; COMPUTE_PGM_RSRC2:TGID_Z_EN: 0
; COMPUTE_PGM_RSRC2:TIDIG_COMP_CNT: 0
	.section	.text._ZN7rocprim17ROCPRIM_400000_NS6detail17trampoline_kernelINS0_14default_configENS1_22reduce_config_selectorIiEEZNS1_11reduce_implILb1ES3_PiS7_iN6hipcub16HIPCUB_304000_NS6detail34convert_binary_result_type_wrapperINS9_3SumENS9_22TransformInputIteratorIbN2at6native12_GLOBAL__N_19NonZeroOpIiEEPKilEEiEEEE10hipError_tPvRmT1_T2_T3_mT4_P12ihipStream_tbEUlT_E0_NS1_11comp_targetILNS1_3genE10ELNS1_11target_archE1201ELNS1_3gpuE5ELNS1_3repE0EEENS1_30default_config_static_selectorELNS0_4arch9wavefront6targetE0EEEvSQ_,"axG",@progbits,_ZN7rocprim17ROCPRIM_400000_NS6detail17trampoline_kernelINS0_14default_configENS1_22reduce_config_selectorIiEEZNS1_11reduce_implILb1ES3_PiS7_iN6hipcub16HIPCUB_304000_NS6detail34convert_binary_result_type_wrapperINS9_3SumENS9_22TransformInputIteratorIbN2at6native12_GLOBAL__N_19NonZeroOpIiEEPKilEEiEEEE10hipError_tPvRmT1_T2_T3_mT4_P12ihipStream_tbEUlT_E0_NS1_11comp_targetILNS1_3genE10ELNS1_11target_archE1201ELNS1_3gpuE5ELNS1_3repE0EEENS1_30default_config_static_selectorELNS0_4arch9wavefront6targetE0EEEvSQ_,comdat
	.globl	_ZN7rocprim17ROCPRIM_400000_NS6detail17trampoline_kernelINS0_14default_configENS1_22reduce_config_selectorIiEEZNS1_11reduce_implILb1ES3_PiS7_iN6hipcub16HIPCUB_304000_NS6detail34convert_binary_result_type_wrapperINS9_3SumENS9_22TransformInputIteratorIbN2at6native12_GLOBAL__N_19NonZeroOpIiEEPKilEEiEEEE10hipError_tPvRmT1_T2_T3_mT4_P12ihipStream_tbEUlT_E0_NS1_11comp_targetILNS1_3genE10ELNS1_11target_archE1201ELNS1_3gpuE5ELNS1_3repE0EEENS1_30default_config_static_selectorELNS0_4arch9wavefront6targetE0EEEvSQ_ ; -- Begin function _ZN7rocprim17ROCPRIM_400000_NS6detail17trampoline_kernelINS0_14default_configENS1_22reduce_config_selectorIiEEZNS1_11reduce_implILb1ES3_PiS7_iN6hipcub16HIPCUB_304000_NS6detail34convert_binary_result_type_wrapperINS9_3SumENS9_22TransformInputIteratorIbN2at6native12_GLOBAL__N_19NonZeroOpIiEEPKilEEiEEEE10hipError_tPvRmT1_T2_T3_mT4_P12ihipStream_tbEUlT_E0_NS1_11comp_targetILNS1_3genE10ELNS1_11target_archE1201ELNS1_3gpuE5ELNS1_3repE0EEENS1_30default_config_static_selectorELNS0_4arch9wavefront6targetE0EEEvSQ_
	.p2align	8
	.type	_ZN7rocprim17ROCPRIM_400000_NS6detail17trampoline_kernelINS0_14default_configENS1_22reduce_config_selectorIiEEZNS1_11reduce_implILb1ES3_PiS7_iN6hipcub16HIPCUB_304000_NS6detail34convert_binary_result_type_wrapperINS9_3SumENS9_22TransformInputIteratorIbN2at6native12_GLOBAL__N_19NonZeroOpIiEEPKilEEiEEEE10hipError_tPvRmT1_T2_T3_mT4_P12ihipStream_tbEUlT_E0_NS1_11comp_targetILNS1_3genE10ELNS1_11target_archE1201ELNS1_3gpuE5ELNS1_3repE0EEENS1_30default_config_static_selectorELNS0_4arch9wavefront6targetE0EEEvSQ_,@function
_ZN7rocprim17ROCPRIM_400000_NS6detail17trampoline_kernelINS0_14default_configENS1_22reduce_config_selectorIiEEZNS1_11reduce_implILb1ES3_PiS7_iN6hipcub16HIPCUB_304000_NS6detail34convert_binary_result_type_wrapperINS9_3SumENS9_22TransformInputIteratorIbN2at6native12_GLOBAL__N_19NonZeroOpIiEEPKilEEiEEEE10hipError_tPvRmT1_T2_T3_mT4_P12ihipStream_tbEUlT_E0_NS1_11comp_targetILNS1_3genE10ELNS1_11target_archE1201ELNS1_3gpuE5ELNS1_3repE0EEENS1_30default_config_static_selectorELNS0_4arch9wavefront6targetE0EEEvSQ_: ; @_ZN7rocprim17ROCPRIM_400000_NS6detail17trampoline_kernelINS0_14default_configENS1_22reduce_config_selectorIiEEZNS1_11reduce_implILb1ES3_PiS7_iN6hipcub16HIPCUB_304000_NS6detail34convert_binary_result_type_wrapperINS9_3SumENS9_22TransformInputIteratorIbN2at6native12_GLOBAL__N_19NonZeroOpIiEEPKilEEiEEEE10hipError_tPvRmT1_T2_T3_mT4_P12ihipStream_tbEUlT_E0_NS1_11comp_targetILNS1_3genE10ELNS1_11target_archE1201ELNS1_3gpuE5ELNS1_3repE0EEENS1_30default_config_static_selectorELNS0_4arch9wavefront6targetE0EEEvSQ_
; %bb.0:
	s_clause 0x1
	s_load_b256 s[12:19], s[0:1], 0x0
	s_load_b128 s[20:23], s[0:1], 0x20
	s_lshl_b32 s2, ttmp9, 12
	s_mov_b32 s3, 0
	v_mbcnt_lo_u32_b32 v18, -1, 0
	v_lshlrev_b32_e32 v19, 2, v0
	s_mov_b32 s24, ttmp9
	s_mov_b32 s25, s3
	s_lshl_b64 s[8:9], s[2:3], 2
	s_wait_kmcnt 0x0
	s_lshl_b64 s[4:5], s[14:15], 2
	s_lshr_b64 s[6:7], s[16:17], 12
	s_add_nc_u64 s[4:5], s[12:13], s[4:5]
	s_cmp_lg_u64 s[6:7], s[24:25]
	s_add_nc_u64 s[26:27], s[4:5], s[8:9]
	s_cbranch_scc0 .LBB155_6
; %bb.1:
	s_clause 0xf
	global_load_b32 v1, v19, s[26:27]
	global_load_b32 v2, v19, s[26:27] offset:1024
	global_load_b32 v3, v19, s[26:27] offset:2048
	;; [unrolled: 1-line block ×15, first 2 shown]
	s_mov_b32 s3, exec_lo
	s_wait_loadcnt 0xe
	v_add_nc_u32_e32 v1, v2, v1
	s_wait_loadcnt 0xc
	s_delay_alu instid0(VALU_DEP_1) | instskip(SKIP_1) | instid1(VALU_DEP_1)
	v_add3_u32 v1, v1, v3, v4
	s_wait_loadcnt 0xa
	v_add3_u32 v1, v1, v5, v6
	s_wait_loadcnt 0x8
	s_delay_alu instid0(VALU_DEP_1) | instskip(SKIP_1) | instid1(VALU_DEP_1)
	v_add3_u32 v1, v1, v7, v8
	s_wait_loadcnt 0x6
	v_add3_u32 v1, v1, v9, v10
	;; [unrolled: 5-line block ×3, first 2 shown]
	s_wait_loadcnt 0x0
	s_delay_alu instid0(VALU_DEP_1) | instskip(NEXT) | instid1(VALU_DEP_1)
	v_add3_u32 v1, v1, v15, v16
	v_mov_b32_dpp v2, v1 quad_perm:[1,0,3,2] row_mask:0xf bank_mask:0xf
	s_delay_alu instid0(VALU_DEP_1) | instskip(NEXT) | instid1(VALU_DEP_1)
	v_add_nc_u32_e32 v1, v2, v1
	v_mov_b32_dpp v2, v1 quad_perm:[2,3,0,1] row_mask:0xf bank_mask:0xf
	s_delay_alu instid0(VALU_DEP_1) | instskip(NEXT) | instid1(VALU_DEP_1)
	v_add_nc_u32_e32 v1, v1, v2
	v_mov_b32_dpp v2, v1 row_ror:4 row_mask:0xf bank_mask:0xf
	s_delay_alu instid0(VALU_DEP_1) | instskip(NEXT) | instid1(VALU_DEP_1)
	v_add_nc_u32_e32 v1, v1, v2
	v_mov_b32_dpp v2, v1 row_ror:8 row_mask:0xf bank_mask:0xf
	s_delay_alu instid0(VALU_DEP_1)
	v_add_nc_u32_e32 v1, v1, v2
	ds_swizzle_b32 v2, v1 offset:swizzle(BROADCAST,32,15)
	s_wait_dscnt 0x0
	v_dual_mov_b32 v2, 0 :: v_dual_add_nc_u32 v1, v1, v2
	ds_bpermute_b32 v1, v2, v1 offset:124
	v_cmpx_eq_u32_e32 0, v18
	s_cbranch_execz .LBB155_3
; %bb.2:
	v_lshrrev_b32_e32 v2, 3, v0
	s_delay_alu instid0(VALU_DEP_1)
	v_and_b32_e32 v2, 28, v2
	s_wait_dscnt 0x0
	ds_store_b32 v2, v1
.LBB155_3:
	s_or_b32 exec_lo, exec_lo, s3
	s_delay_alu instid0(SALU_CYCLE_1)
	s_mov_b32 s3, exec_lo
	s_wait_dscnt 0x0
	s_barrier_signal -1
	s_barrier_wait -1
	global_inv scope:SCOPE_SE
	v_cmpx_gt_u32_e32 32, v0
	s_cbranch_execz .LBB155_5
; %bb.4:
	v_and_b32_e32 v1, 7, v18
	s_delay_alu instid0(VALU_DEP_1) | instskip(SKIP_4) | instid1(VALU_DEP_2)
	v_lshlrev_b32_e32 v2, 2, v1
	v_cmp_ne_u32_e32 vcc_lo, 7, v1
	ds_load_b32 v2, v2
	v_add_co_ci_u32_e64 v3, null, 0, v18, vcc_lo
	v_cmp_gt_u32_e32 vcc_lo, 6, v1
	v_lshlrev_b32_e32 v3, 2, v3
	s_wait_alu 0xfffd
	v_cndmask_b32_e64 v1, 0, 2, vcc_lo
	s_delay_alu instid0(VALU_DEP_1)
	v_add_lshl_u32 v1, v1, v18, 2
	s_wait_dscnt 0x0
	ds_bpermute_b32 v3, v3, v2
	s_wait_dscnt 0x0
	v_add_nc_u32_e32 v2, v3, v2
	v_lshlrev_b32_e32 v3, 2, v18
	ds_bpermute_b32 v1, v1, v2
	s_wait_dscnt 0x0
	v_add_nc_u32_e32 v1, v1, v2
	v_or_b32_e32 v2, 16, v3
	ds_bpermute_b32 v2, v2, v1
	s_wait_dscnt 0x0
	v_add_nc_u32_e32 v1, v2, v1
.LBB155_5:
	s_or_b32 exec_lo, exec_lo, s3
	s_branch .LBB155_44
.LBB155_6:
                                        ; implicit-def: $vgpr1
	s_cbranch_execz .LBB155_44
; %bb.7:
	v_mov_b32_e32 v1, 0
	s_sub_co_i32 s28, s16, s2
	s_mov_b32 s2, exec_lo
	s_delay_alu instid0(VALU_DEP_1)
	v_dual_mov_b32 v2, v1 :: v_dual_mov_b32 v3, v1
	v_dual_mov_b32 v4, v1 :: v_dual_mov_b32 v5, v1
	;; [unrolled: 1-line block ×7, first 2 shown]
	v_mov_b32_e32 v16, v1
	v_cmpx_gt_u32_e64 s28, v0
	s_cbranch_execz .LBB155_9
; %bb.8:
	global_load_b32 v2, v19, s[26:27]
	v_mov_b32_e32 v17, v1
	v_dual_mov_b32 v3, v1 :: v_dual_mov_b32 v4, v1
	v_dual_mov_b32 v5, v1 :: v_dual_mov_b32 v6, v1
	;; [unrolled: 1-line block ×7, first 2 shown]
	s_wait_loadcnt 0x0
	v_mov_b32_e32 v1, v2
	v_mov_b32_e32 v2, v3
	;; [unrolled: 1-line block ×16, first 2 shown]
.LBB155_9:
	s_or_b32 exec_lo, exec_lo, s2
	v_or_b32_e32 v17, 0x100, v0
	s_delay_alu instid0(VALU_DEP_1)
	v_cmp_gt_u32_e32 vcc_lo, s28, v17
	s_and_saveexec_b32 s2, vcc_lo
	s_cbranch_execz .LBB155_11
; %bb.10:
	global_load_b32 v2, v19, s[26:27] offset:1024
.LBB155_11:
	s_or_b32 exec_lo, exec_lo, s2
	v_or_b32_e32 v17, 0x200, v0
	s_delay_alu instid0(VALU_DEP_1)
	v_cmp_gt_u32_e64 s2, s28, v17
	s_and_saveexec_b32 s3, s2
	s_cbranch_execz .LBB155_13
; %bb.12:
	global_load_b32 v3, v19, s[26:27] offset:2048
.LBB155_13:
	s_or_b32 exec_lo, exec_lo, s3
	v_or_b32_e32 v17, 0x300, v0
	s_delay_alu instid0(VALU_DEP_1)
	v_cmp_gt_u32_e64 s3, s28, v17
	s_and_saveexec_b32 s4, s3
	;; [unrolled: 9-line block ×14, first 2 shown]
	s_cbranch_execz .LBB155_39
; %bb.38:
	global_load_b32 v16, v19, s[26:27] offset:15360
.LBB155_39:
	s_wait_alu 0xfffe
	s_or_b32 exec_lo, exec_lo, s29
	s_wait_loadcnt 0x0
	v_cndmask_b32_e32 v2, 0, v2, vcc_lo
	v_cndmask_b32_e64 v3, 0, v3, s2
	v_cndmask_b32_e64 v4, 0, v4, s3
	v_cmp_ne_u32_e32 vcc_lo, 31, v18
	s_min_u32 s2, s28, 0x100
	v_add_nc_u32_e32 v1, v2, v1
	v_cndmask_b32_e64 v2, 0, v5, s4
	v_cndmask_b32_e64 v5, 0, v6, s5
	;; [unrolled: 1-line block ×3, first 2 shown]
	s_mov_b32 s3, exec_lo
	v_add3_u32 v1, v1, v3, v4
	v_cndmask_b32_e64 v3, 0, v7, s6
	v_cndmask_b32_e64 v4, 0, v8, s7
	s_delay_alu instid0(VALU_DEP_3) | instskip(SKIP_2) | instid1(VALU_DEP_3)
	v_add3_u32 v1, v1, v2, v5
	v_cndmask_b32_e64 v2, 0, v9, s8
	v_cndmask_b32_e64 v5, 0, v10, s9
	v_add3_u32 v1, v1, v3, v4
	v_cndmask_b32_e64 v3, 0, v11, s10
	v_cndmask_b32_e64 v4, 0, v12, s11
	s_delay_alu instid0(VALU_DEP_3) | instskip(SKIP_2) | instid1(VALU_DEP_3)
	v_add3_u32 v1, v1, v2, v5
	v_cndmask_b32_e64 v2, 0, v13, s12
	v_cndmask_b32_e64 v5, 0, v14, s13
	v_add3_u32 v1, v1, v3, v4
	v_cndmask_b32_e64 v3, 0, v16, s15
	s_wait_alu 0xfffd
	v_add_co_ci_u32_e64 v4, null, 0, v18, vcc_lo
	v_cmp_gt_u32_e32 vcc_lo, 30, v18
	v_add3_u32 v1, v1, v2, v5
	s_delay_alu instid0(VALU_DEP_3)
	v_lshlrev_b32_e32 v2, 2, v4
	v_add_nc_u32_e32 v4, 1, v18
	s_wait_alu 0xfffd
	v_cndmask_b32_e64 v5, 0, 2, vcc_lo
	v_add3_u32 v1, v1, v6, v3
	v_and_b32_e32 v3, 0xe0, v0
	ds_bpermute_b32 v2, v2, v1
	s_wait_alu 0xfffe
	v_sub_nc_u32_e64 v3, s2, v3 clamp
	s_delay_alu instid0(VALU_DEP_1)
	v_cmp_lt_u32_e32 vcc_lo, v4, v3
	v_add_lshl_u32 v4, v5, v18, 2
	s_wait_dscnt 0x0
	s_wait_alu 0xfffd
	v_cndmask_b32_e32 v2, 0, v2, vcc_lo
	v_cmp_gt_u32_e32 vcc_lo, 28, v18
	s_delay_alu instid0(VALU_DEP_2) | instskip(SKIP_4) | instid1(VALU_DEP_1)
	v_add_nc_u32_e32 v1, v1, v2
	s_wait_alu 0xfffd
	v_cndmask_b32_e64 v5, 0, 4, vcc_lo
	ds_bpermute_b32 v2, v4, v1
	v_add_nc_u32_e32 v4, 2, v18
	v_cmp_lt_u32_e32 vcc_lo, v4, v3
	v_add_lshl_u32 v4, v5, v18, 2
	s_wait_dscnt 0x0
	s_wait_alu 0xfffd
	v_cndmask_b32_e32 v2, 0, v2, vcc_lo
	v_cmp_gt_u32_e32 vcc_lo, 24, v18
	s_delay_alu instid0(VALU_DEP_2) | instskip(SKIP_4) | instid1(VALU_DEP_1)
	v_add_nc_u32_e32 v1, v1, v2
	s_wait_alu 0xfffd
	v_cndmask_b32_e64 v5, 0, 8, vcc_lo
	ds_bpermute_b32 v2, v4, v1
	v_add_nc_u32_e32 v4, 4, v18
	v_cmp_lt_u32_e32 vcc_lo, v4, v3
	v_add_lshl_u32 v4, v5, v18, 2
	v_add_nc_u32_e32 v5, 8, v18
	s_wait_dscnt 0x0
	s_wait_alu 0xfffd
	v_cndmask_b32_e32 v2, 0, v2, vcc_lo
	s_delay_alu instid0(VALU_DEP_2) | instskip(NEXT) | instid1(VALU_DEP_2)
	v_cmp_lt_u32_e32 vcc_lo, v5, v3
	v_add_nc_u32_e32 v1, v1, v2
	v_lshlrev_b32_e32 v2, 2, v18
	ds_bpermute_b32 v4, v4, v1
	v_or_b32_e32 v5, 64, v2
	s_wait_dscnt 0x0
	s_wait_alu 0xfffd
	v_cndmask_b32_e32 v4, 0, v4, vcc_lo
	s_delay_alu instid0(VALU_DEP_1) | instskip(SKIP_2) | instid1(VALU_DEP_1)
	v_add_nc_u32_e32 v1, v1, v4
	ds_bpermute_b32 v4, v5, v1
	v_add_nc_u32_e32 v5, 16, v18
	v_cmp_lt_u32_e32 vcc_lo, v5, v3
	s_wait_dscnt 0x0
	s_wait_alu 0xfffd
	v_cndmask_b32_e32 v3, 0, v4, vcc_lo
	s_delay_alu instid0(VALU_DEP_1)
	v_add_nc_u32_e32 v1, v1, v3
	v_cmpx_eq_u32_e32 0, v18
; %bb.40:
	v_lshrrev_b32_e32 v3, 3, v0
	s_delay_alu instid0(VALU_DEP_1)
	v_and_b32_e32 v3, 28, v3
	ds_store_b32 v3, v1 offset:32
; %bb.41:
	s_or_b32 exec_lo, exec_lo, s3
	s_delay_alu instid0(SALU_CYCLE_1)
	s_mov_b32 s3, exec_lo
	s_wait_dscnt 0x0
	s_barrier_signal -1
	s_barrier_wait -1
	global_inv scope:SCOPE_SE
	v_cmpx_gt_u32_e32 8, v0
	s_cbranch_execz .LBB155_43
; %bb.42:
	ds_load_b32 v1, v2 offset:32
	v_and_b32_e32 v3, 7, v18
	s_add_co_i32 s2, s2, 31
	v_or_b32_e32 v2, 16, v2
	s_wait_alu 0xfffe
	s_lshr_b32 s2, s2, 5
	v_cmp_ne_u32_e32 vcc_lo, 7, v3
	v_add_nc_u32_e32 v5, 1, v3
	s_wait_alu 0xfffd
	v_add_co_ci_u32_e64 v4, null, 0, v18, vcc_lo
	v_cmp_gt_u32_e32 vcc_lo, 6, v3
	s_delay_alu instid0(VALU_DEP_2)
	v_lshlrev_b32_e32 v4, 2, v4
	s_wait_alu 0xfffd
	v_cndmask_b32_e64 v6, 0, 2, vcc_lo
	s_wait_alu 0xfffe
	v_cmp_gt_u32_e32 vcc_lo, s2, v5
	s_wait_dscnt 0x0
	ds_bpermute_b32 v4, v4, v1
	v_add_lshl_u32 v5, v6, v18, 2
	s_wait_dscnt 0x0
	s_wait_alu 0xfffd
	v_cndmask_b32_e32 v4, 0, v4, vcc_lo
	s_delay_alu instid0(VALU_DEP_1) | instskip(SKIP_3) | instid1(VALU_DEP_2)
	v_add_nc_u32_e32 v1, v4, v1
	ds_bpermute_b32 v4, v5, v1
	v_add_nc_u32_e32 v5, 2, v3
	v_add_nc_u32_e32 v3, 4, v3
	v_cmp_gt_u32_e32 vcc_lo, s2, v5
	s_wait_dscnt 0x0
	s_wait_alu 0xfffd
	v_cndmask_b32_e32 v4, 0, v4, vcc_lo
	v_cmp_gt_u32_e32 vcc_lo, s2, v3
	s_delay_alu instid0(VALU_DEP_2) | instskip(SKIP_4) | instid1(VALU_DEP_1)
	v_add_nc_u32_e32 v1, v1, v4
	ds_bpermute_b32 v2, v2, v1
	s_wait_dscnt 0x0
	s_wait_alu 0xfffd
	v_cndmask_b32_e32 v2, 0, v2, vcc_lo
	v_add_nc_u32_e32 v1, v1, v2
.LBB155_43:
	s_wait_alu 0xfffe
	s_or_b32 exec_lo, exec_lo, s3
.LBB155_44:
	s_load_b32 s0, s[0:1], 0x30
	s_mov_b32 s1, exec_lo
	v_cmpx_eq_u32_e32 0, v0
	s_cbranch_execz .LBB155_46
; %bb.45:
	s_mul_u64 s[2:3], s[22:23], s[20:21]
	s_wait_alu 0xfffe
	s_lshl_b64 s[2:3], s[2:3], 2
	s_cmp_eq_u64 s[16:17], 0
	s_wait_alu 0xfffe
	s_add_nc_u64 s[2:3], s[18:19], s[2:3]
	s_cselect_b32 s1, -1, 0
	s_wait_kmcnt 0x0
	v_cndmask_b32_e64 v0, v1, s0, s1
	v_mov_b32_e32 v1, 0
	s_lshl_b64 s[0:1], s[24:25], 2
	s_wait_alu 0xfffe
	s_add_nc_u64 s[0:1], s[2:3], s[0:1]
	global_store_b32 v1, v0, s[0:1]
.LBB155_46:
	s_endpgm
	.section	.rodata,"a",@progbits
	.p2align	6, 0x0
	.amdhsa_kernel _ZN7rocprim17ROCPRIM_400000_NS6detail17trampoline_kernelINS0_14default_configENS1_22reduce_config_selectorIiEEZNS1_11reduce_implILb1ES3_PiS7_iN6hipcub16HIPCUB_304000_NS6detail34convert_binary_result_type_wrapperINS9_3SumENS9_22TransformInputIteratorIbN2at6native12_GLOBAL__N_19NonZeroOpIiEEPKilEEiEEEE10hipError_tPvRmT1_T2_T3_mT4_P12ihipStream_tbEUlT_E0_NS1_11comp_targetILNS1_3genE10ELNS1_11target_archE1201ELNS1_3gpuE5ELNS1_3repE0EEENS1_30default_config_static_selectorELNS0_4arch9wavefront6targetE0EEEvSQ_
		.amdhsa_group_segment_fixed_size 64
		.amdhsa_private_segment_fixed_size 0
		.amdhsa_kernarg_size 56
		.amdhsa_user_sgpr_count 2
		.amdhsa_user_sgpr_dispatch_ptr 0
		.amdhsa_user_sgpr_queue_ptr 0
		.amdhsa_user_sgpr_kernarg_segment_ptr 1
		.amdhsa_user_sgpr_dispatch_id 0
		.amdhsa_user_sgpr_private_segment_size 0
		.amdhsa_wavefront_size32 1
		.amdhsa_uses_dynamic_stack 0
		.amdhsa_enable_private_segment 0
		.amdhsa_system_sgpr_workgroup_id_x 1
		.amdhsa_system_sgpr_workgroup_id_y 0
		.amdhsa_system_sgpr_workgroup_id_z 0
		.amdhsa_system_sgpr_workgroup_info 0
		.amdhsa_system_vgpr_workitem_id 0
		.amdhsa_next_free_vgpr 20
		.amdhsa_next_free_sgpr 30
		.amdhsa_reserve_vcc 1
		.amdhsa_float_round_mode_32 0
		.amdhsa_float_round_mode_16_64 0
		.amdhsa_float_denorm_mode_32 3
		.amdhsa_float_denorm_mode_16_64 3
		.amdhsa_fp16_overflow 0
		.amdhsa_workgroup_processor_mode 1
		.amdhsa_memory_ordered 1
		.amdhsa_forward_progress 1
		.amdhsa_inst_pref_size 20
		.amdhsa_round_robin_scheduling 0
		.amdhsa_exception_fp_ieee_invalid_op 0
		.amdhsa_exception_fp_denorm_src 0
		.amdhsa_exception_fp_ieee_div_zero 0
		.amdhsa_exception_fp_ieee_overflow 0
		.amdhsa_exception_fp_ieee_underflow 0
		.amdhsa_exception_fp_ieee_inexact 0
		.amdhsa_exception_int_div_zero 0
	.end_amdhsa_kernel
	.section	.text._ZN7rocprim17ROCPRIM_400000_NS6detail17trampoline_kernelINS0_14default_configENS1_22reduce_config_selectorIiEEZNS1_11reduce_implILb1ES3_PiS7_iN6hipcub16HIPCUB_304000_NS6detail34convert_binary_result_type_wrapperINS9_3SumENS9_22TransformInputIteratorIbN2at6native12_GLOBAL__N_19NonZeroOpIiEEPKilEEiEEEE10hipError_tPvRmT1_T2_T3_mT4_P12ihipStream_tbEUlT_E0_NS1_11comp_targetILNS1_3genE10ELNS1_11target_archE1201ELNS1_3gpuE5ELNS1_3repE0EEENS1_30default_config_static_selectorELNS0_4arch9wavefront6targetE0EEEvSQ_,"axG",@progbits,_ZN7rocprim17ROCPRIM_400000_NS6detail17trampoline_kernelINS0_14default_configENS1_22reduce_config_selectorIiEEZNS1_11reduce_implILb1ES3_PiS7_iN6hipcub16HIPCUB_304000_NS6detail34convert_binary_result_type_wrapperINS9_3SumENS9_22TransformInputIteratorIbN2at6native12_GLOBAL__N_19NonZeroOpIiEEPKilEEiEEEE10hipError_tPvRmT1_T2_T3_mT4_P12ihipStream_tbEUlT_E0_NS1_11comp_targetILNS1_3genE10ELNS1_11target_archE1201ELNS1_3gpuE5ELNS1_3repE0EEENS1_30default_config_static_selectorELNS0_4arch9wavefront6targetE0EEEvSQ_,comdat
.Lfunc_end155:
	.size	_ZN7rocprim17ROCPRIM_400000_NS6detail17trampoline_kernelINS0_14default_configENS1_22reduce_config_selectorIiEEZNS1_11reduce_implILb1ES3_PiS7_iN6hipcub16HIPCUB_304000_NS6detail34convert_binary_result_type_wrapperINS9_3SumENS9_22TransformInputIteratorIbN2at6native12_GLOBAL__N_19NonZeroOpIiEEPKilEEiEEEE10hipError_tPvRmT1_T2_T3_mT4_P12ihipStream_tbEUlT_E0_NS1_11comp_targetILNS1_3genE10ELNS1_11target_archE1201ELNS1_3gpuE5ELNS1_3repE0EEENS1_30default_config_static_selectorELNS0_4arch9wavefront6targetE0EEEvSQ_, .Lfunc_end155-_ZN7rocprim17ROCPRIM_400000_NS6detail17trampoline_kernelINS0_14default_configENS1_22reduce_config_selectorIiEEZNS1_11reduce_implILb1ES3_PiS7_iN6hipcub16HIPCUB_304000_NS6detail34convert_binary_result_type_wrapperINS9_3SumENS9_22TransformInputIteratorIbN2at6native12_GLOBAL__N_19NonZeroOpIiEEPKilEEiEEEE10hipError_tPvRmT1_T2_T3_mT4_P12ihipStream_tbEUlT_E0_NS1_11comp_targetILNS1_3genE10ELNS1_11target_archE1201ELNS1_3gpuE5ELNS1_3repE0EEENS1_30default_config_static_selectorELNS0_4arch9wavefront6targetE0EEEvSQ_
                                        ; -- End function
	.set _ZN7rocprim17ROCPRIM_400000_NS6detail17trampoline_kernelINS0_14default_configENS1_22reduce_config_selectorIiEEZNS1_11reduce_implILb1ES3_PiS7_iN6hipcub16HIPCUB_304000_NS6detail34convert_binary_result_type_wrapperINS9_3SumENS9_22TransformInputIteratorIbN2at6native12_GLOBAL__N_19NonZeroOpIiEEPKilEEiEEEE10hipError_tPvRmT1_T2_T3_mT4_P12ihipStream_tbEUlT_E0_NS1_11comp_targetILNS1_3genE10ELNS1_11target_archE1201ELNS1_3gpuE5ELNS1_3repE0EEENS1_30default_config_static_selectorELNS0_4arch9wavefront6targetE0EEEvSQ_.num_vgpr, 20
	.set _ZN7rocprim17ROCPRIM_400000_NS6detail17trampoline_kernelINS0_14default_configENS1_22reduce_config_selectorIiEEZNS1_11reduce_implILb1ES3_PiS7_iN6hipcub16HIPCUB_304000_NS6detail34convert_binary_result_type_wrapperINS9_3SumENS9_22TransformInputIteratorIbN2at6native12_GLOBAL__N_19NonZeroOpIiEEPKilEEiEEEE10hipError_tPvRmT1_T2_T3_mT4_P12ihipStream_tbEUlT_E0_NS1_11comp_targetILNS1_3genE10ELNS1_11target_archE1201ELNS1_3gpuE5ELNS1_3repE0EEENS1_30default_config_static_selectorELNS0_4arch9wavefront6targetE0EEEvSQ_.num_agpr, 0
	.set _ZN7rocprim17ROCPRIM_400000_NS6detail17trampoline_kernelINS0_14default_configENS1_22reduce_config_selectorIiEEZNS1_11reduce_implILb1ES3_PiS7_iN6hipcub16HIPCUB_304000_NS6detail34convert_binary_result_type_wrapperINS9_3SumENS9_22TransformInputIteratorIbN2at6native12_GLOBAL__N_19NonZeroOpIiEEPKilEEiEEEE10hipError_tPvRmT1_T2_T3_mT4_P12ihipStream_tbEUlT_E0_NS1_11comp_targetILNS1_3genE10ELNS1_11target_archE1201ELNS1_3gpuE5ELNS1_3repE0EEENS1_30default_config_static_selectorELNS0_4arch9wavefront6targetE0EEEvSQ_.numbered_sgpr, 30
	.set _ZN7rocprim17ROCPRIM_400000_NS6detail17trampoline_kernelINS0_14default_configENS1_22reduce_config_selectorIiEEZNS1_11reduce_implILb1ES3_PiS7_iN6hipcub16HIPCUB_304000_NS6detail34convert_binary_result_type_wrapperINS9_3SumENS9_22TransformInputIteratorIbN2at6native12_GLOBAL__N_19NonZeroOpIiEEPKilEEiEEEE10hipError_tPvRmT1_T2_T3_mT4_P12ihipStream_tbEUlT_E0_NS1_11comp_targetILNS1_3genE10ELNS1_11target_archE1201ELNS1_3gpuE5ELNS1_3repE0EEENS1_30default_config_static_selectorELNS0_4arch9wavefront6targetE0EEEvSQ_.num_named_barrier, 0
	.set _ZN7rocprim17ROCPRIM_400000_NS6detail17trampoline_kernelINS0_14default_configENS1_22reduce_config_selectorIiEEZNS1_11reduce_implILb1ES3_PiS7_iN6hipcub16HIPCUB_304000_NS6detail34convert_binary_result_type_wrapperINS9_3SumENS9_22TransformInputIteratorIbN2at6native12_GLOBAL__N_19NonZeroOpIiEEPKilEEiEEEE10hipError_tPvRmT1_T2_T3_mT4_P12ihipStream_tbEUlT_E0_NS1_11comp_targetILNS1_3genE10ELNS1_11target_archE1201ELNS1_3gpuE5ELNS1_3repE0EEENS1_30default_config_static_selectorELNS0_4arch9wavefront6targetE0EEEvSQ_.private_seg_size, 0
	.set _ZN7rocprim17ROCPRIM_400000_NS6detail17trampoline_kernelINS0_14default_configENS1_22reduce_config_selectorIiEEZNS1_11reduce_implILb1ES3_PiS7_iN6hipcub16HIPCUB_304000_NS6detail34convert_binary_result_type_wrapperINS9_3SumENS9_22TransformInputIteratorIbN2at6native12_GLOBAL__N_19NonZeroOpIiEEPKilEEiEEEE10hipError_tPvRmT1_T2_T3_mT4_P12ihipStream_tbEUlT_E0_NS1_11comp_targetILNS1_3genE10ELNS1_11target_archE1201ELNS1_3gpuE5ELNS1_3repE0EEENS1_30default_config_static_selectorELNS0_4arch9wavefront6targetE0EEEvSQ_.uses_vcc, 1
	.set _ZN7rocprim17ROCPRIM_400000_NS6detail17trampoline_kernelINS0_14default_configENS1_22reduce_config_selectorIiEEZNS1_11reduce_implILb1ES3_PiS7_iN6hipcub16HIPCUB_304000_NS6detail34convert_binary_result_type_wrapperINS9_3SumENS9_22TransformInputIteratorIbN2at6native12_GLOBAL__N_19NonZeroOpIiEEPKilEEiEEEE10hipError_tPvRmT1_T2_T3_mT4_P12ihipStream_tbEUlT_E0_NS1_11comp_targetILNS1_3genE10ELNS1_11target_archE1201ELNS1_3gpuE5ELNS1_3repE0EEENS1_30default_config_static_selectorELNS0_4arch9wavefront6targetE0EEEvSQ_.uses_flat_scratch, 0
	.set _ZN7rocprim17ROCPRIM_400000_NS6detail17trampoline_kernelINS0_14default_configENS1_22reduce_config_selectorIiEEZNS1_11reduce_implILb1ES3_PiS7_iN6hipcub16HIPCUB_304000_NS6detail34convert_binary_result_type_wrapperINS9_3SumENS9_22TransformInputIteratorIbN2at6native12_GLOBAL__N_19NonZeroOpIiEEPKilEEiEEEE10hipError_tPvRmT1_T2_T3_mT4_P12ihipStream_tbEUlT_E0_NS1_11comp_targetILNS1_3genE10ELNS1_11target_archE1201ELNS1_3gpuE5ELNS1_3repE0EEENS1_30default_config_static_selectorELNS0_4arch9wavefront6targetE0EEEvSQ_.has_dyn_sized_stack, 0
	.set _ZN7rocprim17ROCPRIM_400000_NS6detail17trampoline_kernelINS0_14default_configENS1_22reduce_config_selectorIiEEZNS1_11reduce_implILb1ES3_PiS7_iN6hipcub16HIPCUB_304000_NS6detail34convert_binary_result_type_wrapperINS9_3SumENS9_22TransformInputIteratorIbN2at6native12_GLOBAL__N_19NonZeroOpIiEEPKilEEiEEEE10hipError_tPvRmT1_T2_T3_mT4_P12ihipStream_tbEUlT_E0_NS1_11comp_targetILNS1_3genE10ELNS1_11target_archE1201ELNS1_3gpuE5ELNS1_3repE0EEENS1_30default_config_static_selectorELNS0_4arch9wavefront6targetE0EEEvSQ_.has_recursion, 0
	.set _ZN7rocprim17ROCPRIM_400000_NS6detail17trampoline_kernelINS0_14default_configENS1_22reduce_config_selectorIiEEZNS1_11reduce_implILb1ES3_PiS7_iN6hipcub16HIPCUB_304000_NS6detail34convert_binary_result_type_wrapperINS9_3SumENS9_22TransformInputIteratorIbN2at6native12_GLOBAL__N_19NonZeroOpIiEEPKilEEiEEEE10hipError_tPvRmT1_T2_T3_mT4_P12ihipStream_tbEUlT_E0_NS1_11comp_targetILNS1_3genE10ELNS1_11target_archE1201ELNS1_3gpuE5ELNS1_3repE0EEENS1_30default_config_static_selectorELNS0_4arch9wavefront6targetE0EEEvSQ_.has_indirect_call, 0
	.section	.AMDGPU.csdata,"",@progbits
; Kernel info:
; codeLenInByte = 2448
; TotalNumSgprs: 32
; NumVgprs: 20
; ScratchSize: 0
; MemoryBound: 0
; FloatMode: 240
; IeeeMode: 1
; LDSByteSize: 64 bytes/workgroup (compile time only)
; SGPRBlocks: 0
; VGPRBlocks: 2
; NumSGPRsForWavesPerEU: 32
; NumVGPRsForWavesPerEU: 20
; Occupancy: 16
; WaveLimiterHint : 1
; COMPUTE_PGM_RSRC2:SCRATCH_EN: 0
; COMPUTE_PGM_RSRC2:USER_SGPR: 2
; COMPUTE_PGM_RSRC2:TRAP_HANDLER: 0
; COMPUTE_PGM_RSRC2:TGID_X_EN: 1
; COMPUTE_PGM_RSRC2:TGID_Y_EN: 0
; COMPUTE_PGM_RSRC2:TGID_Z_EN: 0
; COMPUTE_PGM_RSRC2:TIDIG_COMP_CNT: 0
	.section	.text._ZN7rocprim17ROCPRIM_400000_NS6detail17trampoline_kernelINS0_14default_configENS1_22reduce_config_selectorIiEEZNS1_11reduce_implILb1ES3_PiS7_iN6hipcub16HIPCUB_304000_NS6detail34convert_binary_result_type_wrapperINS9_3SumENS9_22TransformInputIteratorIbN2at6native12_GLOBAL__N_19NonZeroOpIiEEPKilEEiEEEE10hipError_tPvRmT1_T2_T3_mT4_P12ihipStream_tbEUlT_E0_NS1_11comp_targetILNS1_3genE10ELNS1_11target_archE1200ELNS1_3gpuE4ELNS1_3repE0EEENS1_30default_config_static_selectorELNS0_4arch9wavefront6targetE0EEEvSQ_,"axG",@progbits,_ZN7rocprim17ROCPRIM_400000_NS6detail17trampoline_kernelINS0_14default_configENS1_22reduce_config_selectorIiEEZNS1_11reduce_implILb1ES3_PiS7_iN6hipcub16HIPCUB_304000_NS6detail34convert_binary_result_type_wrapperINS9_3SumENS9_22TransformInputIteratorIbN2at6native12_GLOBAL__N_19NonZeroOpIiEEPKilEEiEEEE10hipError_tPvRmT1_T2_T3_mT4_P12ihipStream_tbEUlT_E0_NS1_11comp_targetILNS1_3genE10ELNS1_11target_archE1200ELNS1_3gpuE4ELNS1_3repE0EEENS1_30default_config_static_selectorELNS0_4arch9wavefront6targetE0EEEvSQ_,comdat
	.globl	_ZN7rocprim17ROCPRIM_400000_NS6detail17trampoline_kernelINS0_14default_configENS1_22reduce_config_selectorIiEEZNS1_11reduce_implILb1ES3_PiS7_iN6hipcub16HIPCUB_304000_NS6detail34convert_binary_result_type_wrapperINS9_3SumENS9_22TransformInputIteratorIbN2at6native12_GLOBAL__N_19NonZeroOpIiEEPKilEEiEEEE10hipError_tPvRmT1_T2_T3_mT4_P12ihipStream_tbEUlT_E0_NS1_11comp_targetILNS1_3genE10ELNS1_11target_archE1200ELNS1_3gpuE4ELNS1_3repE0EEENS1_30default_config_static_selectorELNS0_4arch9wavefront6targetE0EEEvSQ_ ; -- Begin function _ZN7rocprim17ROCPRIM_400000_NS6detail17trampoline_kernelINS0_14default_configENS1_22reduce_config_selectorIiEEZNS1_11reduce_implILb1ES3_PiS7_iN6hipcub16HIPCUB_304000_NS6detail34convert_binary_result_type_wrapperINS9_3SumENS9_22TransformInputIteratorIbN2at6native12_GLOBAL__N_19NonZeroOpIiEEPKilEEiEEEE10hipError_tPvRmT1_T2_T3_mT4_P12ihipStream_tbEUlT_E0_NS1_11comp_targetILNS1_3genE10ELNS1_11target_archE1200ELNS1_3gpuE4ELNS1_3repE0EEENS1_30default_config_static_selectorELNS0_4arch9wavefront6targetE0EEEvSQ_
	.p2align	8
	.type	_ZN7rocprim17ROCPRIM_400000_NS6detail17trampoline_kernelINS0_14default_configENS1_22reduce_config_selectorIiEEZNS1_11reduce_implILb1ES3_PiS7_iN6hipcub16HIPCUB_304000_NS6detail34convert_binary_result_type_wrapperINS9_3SumENS9_22TransformInputIteratorIbN2at6native12_GLOBAL__N_19NonZeroOpIiEEPKilEEiEEEE10hipError_tPvRmT1_T2_T3_mT4_P12ihipStream_tbEUlT_E0_NS1_11comp_targetILNS1_3genE10ELNS1_11target_archE1200ELNS1_3gpuE4ELNS1_3repE0EEENS1_30default_config_static_selectorELNS0_4arch9wavefront6targetE0EEEvSQ_,@function
_ZN7rocprim17ROCPRIM_400000_NS6detail17trampoline_kernelINS0_14default_configENS1_22reduce_config_selectorIiEEZNS1_11reduce_implILb1ES3_PiS7_iN6hipcub16HIPCUB_304000_NS6detail34convert_binary_result_type_wrapperINS9_3SumENS9_22TransformInputIteratorIbN2at6native12_GLOBAL__N_19NonZeroOpIiEEPKilEEiEEEE10hipError_tPvRmT1_T2_T3_mT4_P12ihipStream_tbEUlT_E0_NS1_11comp_targetILNS1_3genE10ELNS1_11target_archE1200ELNS1_3gpuE4ELNS1_3repE0EEENS1_30default_config_static_selectorELNS0_4arch9wavefront6targetE0EEEvSQ_: ; @_ZN7rocprim17ROCPRIM_400000_NS6detail17trampoline_kernelINS0_14default_configENS1_22reduce_config_selectorIiEEZNS1_11reduce_implILb1ES3_PiS7_iN6hipcub16HIPCUB_304000_NS6detail34convert_binary_result_type_wrapperINS9_3SumENS9_22TransformInputIteratorIbN2at6native12_GLOBAL__N_19NonZeroOpIiEEPKilEEiEEEE10hipError_tPvRmT1_T2_T3_mT4_P12ihipStream_tbEUlT_E0_NS1_11comp_targetILNS1_3genE10ELNS1_11target_archE1200ELNS1_3gpuE4ELNS1_3repE0EEENS1_30default_config_static_selectorELNS0_4arch9wavefront6targetE0EEEvSQ_
; %bb.0:
	.section	.rodata,"a",@progbits
	.p2align	6, 0x0
	.amdhsa_kernel _ZN7rocprim17ROCPRIM_400000_NS6detail17trampoline_kernelINS0_14default_configENS1_22reduce_config_selectorIiEEZNS1_11reduce_implILb1ES3_PiS7_iN6hipcub16HIPCUB_304000_NS6detail34convert_binary_result_type_wrapperINS9_3SumENS9_22TransformInputIteratorIbN2at6native12_GLOBAL__N_19NonZeroOpIiEEPKilEEiEEEE10hipError_tPvRmT1_T2_T3_mT4_P12ihipStream_tbEUlT_E0_NS1_11comp_targetILNS1_3genE10ELNS1_11target_archE1200ELNS1_3gpuE4ELNS1_3repE0EEENS1_30default_config_static_selectorELNS0_4arch9wavefront6targetE0EEEvSQ_
		.amdhsa_group_segment_fixed_size 0
		.amdhsa_private_segment_fixed_size 0
		.amdhsa_kernarg_size 56
		.amdhsa_user_sgpr_count 2
		.amdhsa_user_sgpr_dispatch_ptr 0
		.amdhsa_user_sgpr_queue_ptr 0
		.amdhsa_user_sgpr_kernarg_segment_ptr 1
		.amdhsa_user_sgpr_dispatch_id 0
		.amdhsa_user_sgpr_private_segment_size 0
		.amdhsa_wavefront_size32 1
		.amdhsa_uses_dynamic_stack 0
		.amdhsa_enable_private_segment 0
		.amdhsa_system_sgpr_workgroup_id_x 1
		.amdhsa_system_sgpr_workgroup_id_y 0
		.amdhsa_system_sgpr_workgroup_id_z 0
		.amdhsa_system_sgpr_workgroup_info 0
		.amdhsa_system_vgpr_workitem_id 0
		.amdhsa_next_free_vgpr 1
		.amdhsa_next_free_sgpr 1
		.amdhsa_reserve_vcc 0
		.amdhsa_float_round_mode_32 0
		.amdhsa_float_round_mode_16_64 0
		.amdhsa_float_denorm_mode_32 3
		.amdhsa_float_denorm_mode_16_64 3
		.amdhsa_fp16_overflow 0
		.amdhsa_workgroup_processor_mode 1
		.amdhsa_memory_ordered 1
		.amdhsa_forward_progress 1
		.amdhsa_inst_pref_size 0
		.amdhsa_round_robin_scheduling 0
		.amdhsa_exception_fp_ieee_invalid_op 0
		.amdhsa_exception_fp_denorm_src 0
		.amdhsa_exception_fp_ieee_div_zero 0
		.amdhsa_exception_fp_ieee_overflow 0
		.amdhsa_exception_fp_ieee_underflow 0
		.amdhsa_exception_fp_ieee_inexact 0
		.amdhsa_exception_int_div_zero 0
	.end_amdhsa_kernel
	.section	.text._ZN7rocprim17ROCPRIM_400000_NS6detail17trampoline_kernelINS0_14default_configENS1_22reduce_config_selectorIiEEZNS1_11reduce_implILb1ES3_PiS7_iN6hipcub16HIPCUB_304000_NS6detail34convert_binary_result_type_wrapperINS9_3SumENS9_22TransformInputIteratorIbN2at6native12_GLOBAL__N_19NonZeroOpIiEEPKilEEiEEEE10hipError_tPvRmT1_T2_T3_mT4_P12ihipStream_tbEUlT_E0_NS1_11comp_targetILNS1_3genE10ELNS1_11target_archE1200ELNS1_3gpuE4ELNS1_3repE0EEENS1_30default_config_static_selectorELNS0_4arch9wavefront6targetE0EEEvSQ_,"axG",@progbits,_ZN7rocprim17ROCPRIM_400000_NS6detail17trampoline_kernelINS0_14default_configENS1_22reduce_config_selectorIiEEZNS1_11reduce_implILb1ES3_PiS7_iN6hipcub16HIPCUB_304000_NS6detail34convert_binary_result_type_wrapperINS9_3SumENS9_22TransformInputIteratorIbN2at6native12_GLOBAL__N_19NonZeroOpIiEEPKilEEiEEEE10hipError_tPvRmT1_T2_T3_mT4_P12ihipStream_tbEUlT_E0_NS1_11comp_targetILNS1_3genE10ELNS1_11target_archE1200ELNS1_3gpuE4ELNS1_3repE0EEENS1_30default_config_static_selectorELNS0_4arch9wavefront6targetE0EEEvSQ_,comdat
.Lfunc_end156:
	.size	_ZN7rocprim17ROCPRIM_400000_NS6detail17trampoline_kernelINS0_14default_configENS1_22reduce_config_selectorIiEEZNS1_11reduce_implILb1ES3_PiS7_iN6hipcub16HIPCUB_304000_NS6detail34convert_binary_result_type_wrapperINS9_3SumENS9_22TransformInputIteratorIbN2at6native12_GLOBAL__N_19NonZeroOpIiEEPKilEEiEEEE10hipError_tPvRmT1_T2_T3_mT4_P12ihipStream_tbEUlT_E0_NS1_11comp_targetILNS1_3genE10ELNS1_11target_archE1200ELNS1_3gpuE4ELNS1_3repE0EEENS1_30default_config_static_selectorELNS0_4arch9wavefront6targetE0EEEvSQ_, .Lfunc_end156-_ZN7rocprim17ROCPRIM_400000_NS6detail17trampoline_kernelINS0_14default_configENS1_22reduce_config_selectorIiEEZNS1_11reduce_implILb1ES3_PiS7_iN6hipcub16HIPCUB_304000_NS6detail34convert_binary_result_type_wrapperINS9_3SumENS9_22TransformInputIteratorIbN2at6native12_GLOBAL__N_19NonZeroOpIiEEPKilEEiEEEE10hipError_tPvRmT1_T2_T3_mT4_P12ihipStream_tbEUlT_E0_NS1_11comp_targetILNS1_3genE10ELNS1_11target_archE1200ELNS1_3gpuE4ELNS1_3repE0EEENS1_30default_config_static_selectorELNS0_4arch9wavefront6targetE0EEEvSQ_
                                        ; -- End function
	.set _ZN7rocprim17ROCPRIM_400000_NS6detail17trampoline_kernelINS0_14default_configENS1_22reduce_config_selectorIiEEZNS1_11reduce_implILb1ES3_PiS7_iN6hipcub16HIPCUB_304000_NS6detail34convert_binary_result_type_wrapperINS9_3SumENS9_22TransformInputIteratorIbN2at6native12_GLOBAL__N_19NonZeroOpIiEEPKilEEiEEEE10hipError_tPvRmT1_T2_T3_mT4_P12ihipStream_tbEUlT_E0_NS1_11comp_targetILNS1_3genE10ELNS1_11target_archE1200ELNS1_3gpuE4ELNS1_3repE0EEENS1_30default_config_static_selectorELNS0_4arch9wavefront6targetE0EEEvSQ_.num_vgpr, 0
	.set _ZN7rocprim17ROCPRIM_400000_NS6detail17trampoline_kernelINS0_14default_configENS1_22reduce_config_selectorIiEEZNS1_11reduce_implILb1ES3_PiS7_iN6hipcub16HIPCUB_304000_NS6detail34convert_binary_result_type_wrapperINS9_3SumENS9_22TransformInputIteratorIbN2at6native12_GLOBAL__N_19NonZeroOpIiEEPKilEEiEEEE10hipError_tPvRmT1_T2_T3_mT4_P12ihipStream_tbEUlT_E0_NS1_11comp_targetILNS1_3genE10ELNS1_11target_archE1200ELNS1_3gpuE4ELNS1_3repE0EEENS1_30default_config_static_selectorELNS0_4arch9wavefront6targetE0EEEvSQ_.num_agpr, 0
	.set _ZN7rocprim17ROCPRIM_400000_NS6detail17trampoline_kernelINS0_14default_configENS1_22reduce_config_selectorIiEEZNS1_11reduce_implILb1ES3_PiS7_iN6hipcub16HIPCUB_304000_NS6detail34convert_binary_result_type_wrapperINS9_3SumENS9_22TransformInputIteratorIbN2at6native12_GLOBAL__N_19NonZeroOpIiEEPKilEEiEEEE10hipError_tPvRmT1_T2_T3_mT4_P12ihipStream_tbEUlT_E0_NS1_11comp_targetILNS1_3genE10ELNS1_11target_archE1200ELNS1_3gpuE4ELNS1_3repE0EEENS1_30default_config_static_selectorELNS0_4arch9wavefront6targetE0EEEvSQ_.numbered_sgpr, 0
	.set _ZN7rocprim17ROCPRIM_400000_NS6detail17trampoline_kernelINS0_14default_configENS1_22reduce_config_selectorIiEEZNS1_11reduce_implILb1ES3_PiS7_iN6hipcub16HIPCUB_304000_NS6detail34convert_binary_result_type_wrapperINS9_3SumENS9_22TransformInputIteratorIbN2at6native12_GLOBAL__N_19NonZeroOpIiEEPKilEEiEEEE10hipError_tPvRmT1_T2_T3_mT4_P12ihipStream_tbEUlT_E0_NS1_11comp_targetILNS1_3genE10ELNS1_11target_archE1200ELNS1_3gpuE4ELNS1_3repE0EEENS1_30default_config_static_selectorELNS0_4arch9wavefront6targetE0EEEvSQ_.num_named_barrier, 0
	.set _ZN7rocprim17ROCPRIM_400000_NS6detail17trampoline_kernelINS0_14default_configENS1_22reduce_config_selectorIiEEZNS1_11reduce_implILb1ES3_PiS7_iN6hipcub16HIPCUB_304000_NS6detail34convert_binary_result_type_wrapperINS9_3SumENS9_22TransformInputIteratorIbN2at6native12_GLOBAL__N_19NonZeroOpIiEEPKilEEiEEEE10hipError_tPvRmT1_T2_T3_mT4_P12ihipStream_tbEUlT_E0_NS1_11comp_targetILNS1_3genE10ELNS1_11target_archE1200ELNS1_3gpuE4ELNS1_3repE0EEENS1_30default_config_static_selectorELNS0_4arch9wavefront6targetE0EEEvSQ_.private_seg_size, 0
	.set _ZN7rocprim17ROCPRIM_400000_NS6detail17trampoline_kernelINS0_14default_configENS1_22reduce_config_selectorIiEEZNS1_11reduce_implILb1ES3_PiS7_iN6hipcub16HIPCUB_304000_NS6detail34convert_binary_result_type_wrapperINS9_3SumENS9_22TransformInputIteratorIbN2at6native12_GLOBAL__N_19NonZeroOpIiEEPKilEEiEEEE10hipError_tPvRmT1_T2_T3_mT4_P12ihipStream_tbEUlT_E0_NS1_11comp_targetILNS1_3genE10ELNS1_11target_archE1200ELNS1_3gpuE4ELNS1_3repE0EEENS1_30default_config_static_selectorELNS0_4arch9wavefront6targetE0EEEvSQ_.uses_vcc, 0
	.set _ZN7rocprim17ROCPRIM_400000_NS6detail17trampoline_kernelINS0_14default_configENS1_22reduce_config_selectorIiEEZNS1_11reduce_implILb1ES3_PiS7_iN6hipcub16HIPCUB_304000_NS6detail34convert_binary_result_type_wrapperINS9_3SumENS9_22TransformInputIteratorIbN2at6native12_GLOBAL__N_19NonZeroOpIiEEPKilEEiEEEE10hipError_tPvRmT1_T2_T3_mT4_P12ihipStream_tbEUlT_E0_NS1_11comp_targetILNS1_3genE10ELNS1_11target_archE1200ELNS1_3gpuE4ELNS1_3repE0EEENS1_30default_config_static_selectorELNS0_4arch9wavefront6targetE0EEEvSQ_.uses_flat_scratch, 0
	.set _ZN7rocprim17ROCPRIM_400000_NS6detail17trampoline_kernelINS0_14default_configENS1_22reduce_config_selectorIiEEZNS1_11reduce_implILb1ES3_PiS7_iN6hipcub16HIPCUB_304000_NS6detail34convert_binary_result_type_wrapperINS9_3SumENS9_22TransformInputIteratorIbN2at6native12_GLOBAL__N_19NonZeroOpIiEEPKilEEiEEEE10hipError_tPvRmT1_T2_T3_mT4_P12ihipStream_tbEUlT_E0_NS1_11comp_targetILNS1_3genE10ELNS1_11target_archE1200ELNS1_3gpuE4ELNS1_3repE0EEENS1_30default_config_static_selectorELNS0_4arch9wavefront6targetE0EEEvSQ_.has_dyn_sized_stack, 0
	.set _ZN7rocprim17ROCPRIM_400000_NS6detail17trampoline_kernelINS0_14default_configENS1_22reduce_config_selectorIiEEZNS1_11reduce_implILb1ES3_PiS7_iN6hipcub16HIPCUB_304000_NS6detail34convert_binary_result_type_wrapperINS9_3SumENS9_22TransformInputIteratorIbN2at6native12_GLOBAL__N_19NonZeroOpIiEEPKilEEiEEEE10hipError_tPvRmT1_T2_T3_mT4_P12ihipStream_tbEUlT_E0_NS1_11comp_targetILNS1_3genE10ELNS1_11target_archE1200ELNS1_3gpuE4ELNS1_3repE0EEENS1_30default_config_static_selectorELNS0_4arch9wavefront6targetE0EEEvSQ_.has_recursion, 0
	.set _ZN7rocprim17ROCPRIM_400000_NS6detail17trampoline_kernelINS0_14default_configENS1_22reduce_config_selectorIiEEZNS1_11reduce_implILb1ES3_PiS7_iN6hipcub16HIPCUB_304000_NS6detail34convert_binary_result_type_wrapperINS9_3SumENS9_22TransformInputIteratorIbN2at6native12_GLOBAL__N_19NonZeroOpIiEEPKilEEiEEEE10hipError_tPvRmT1_T2_T3_mT4_P12ihipStream_tbEUlT_E0_NS1_11comp_targetILNS1_3genE10ELNS1_11target_archE1200ELNS1_3gpuE4ELNS1_3repE0EEENS1_30default_config_static_selectorELNS0_4arch9wavefront6targetE0EEEvSQ_.has_indirect_call, 0
	.section	.AMDGPU.csdata,"",@progbits
; Kernel info:
; codeLenInByte = 0
; TotalNumSgprs: 0
; NumVgprs: 0
; ScratchSize: 0
; MemoryBound: 0
; FloatMode: 240
; IeeeMode: 1
; LDSByteSize: 0 bytes/workgroup (compile time only)
; SGPRBlocks: 0
; VGPRBlocks: 0
; NumSGPRsForWavesPerEU: 1
; NumVGPRsForWavesPerEU: 1
; Occupancy: 16
; WaveLimiterHint : 0
; COMPUTE_PGM_RSRC2:SCRATCH_EN: 0
; COMPUTE_PGM_RSRC2:USER_SGPR: 2
; COMPUTE_PGM_RSRC2:TRAP_HANDLER: 0
; COMPUTE_PGM_RSRC2:TGID_X_EN: 1
; COMPUTE_PGM_RSRC2:TGID_Y_EN: 0
; COMPUTE_PGM_RSRC2:TGID_Z_EN: 0
; COMPUTE_PGM_RSRC2:TIDIG_COMP_CNT: 0
	.section	.text._ZN7rocprim17ROCPRIM_400000_NS6detail17trampoline_kernelINS0_14default_configENS1_22reduce_config_selectorIiEEZNS1_11reduce_implILb1ES3_PiS7_iN6hipcub16HIPCUB_304000_NS6detail34convert_binary_result_type_wrapperINS9_3SumENS9_22TransformInputIteratorIbN2at6native12_GLOBAL__N_19NonZeroOpIiEEPKilEEiEEEE10hipError_tPvRmT1_T2_T3_mT4_P12ihipStream_tbEUlT_E0_NS1_11comp_targetILNS1_3genE9ELNS1_11target_archE1100ELNS1_3gpuE3ELNS1_3repE0EEENS1_30default_config_static_selectorELNS0_4arch9wavefront6targetE0EEEvSQ_,"axG",@progbits,_ZN7rocprim17ROCPRIM_400000_NS6detail17trampoline_kernelINS0_14default_configENS1_22reduce_config_selectorIiEEZNS1_11reduce_implILb1ES3_PiS7_iN6hipcub16HIPCUB_304000_NS6detail34convert_binary_result_type_wrapperINS9_3SumENS9_22TransformInputIteratorIbN2at6native12_GLOBAL__N_19NonZeroOpIiEEPKilEEiEEEE10hipError_tPvRmT1_T2_T3_mT4_P12ihipStream_tbEUlT_E0_NS1_11comp_targetILNS1_3genE9ELNS1_11target_archE1100ELNS1_3gpuE3ELNS1_3repE0EEENS1_30default_config_static_selectorELNS0_4arch9wavefront6targetE0EEEvSQ_,comdat
	.globl	_ZN7rocprim17ROCPRIM_400000_NS6detail17trampoline_kernelINS0_14default_configENS1_22reduce_config_selectorIiEEZNS1_11reduce_implILb1ES3_PiS7_iN6hipcub16HIPCUB_304000_NS6detail34convert_binary_result_type_wrapperINS9_3SumENS9_22TransformInputIteratorIbN2at6native12_GLOBAL__N_19NonZeroOpIiEEPKilEEiEEEE10hipError_tPvRmT1_T2_T3_mT4_P12ihipStream_tbEUlT_E0_NS1_11comp_targetILNS1_3genE9ELNS1_11target_archE1100ELNS1_3gpuE3ELNS1_3repE0EEENS1_30default_config_static_selectorELNS0_4arch9wavefront6targetE0EEEvSQ_ ; -- Begin function _ZN7rocprim17ROCPRIM_400000_NS6detail17trampoline_kernelINS0_14default_configENS1_22reduce_config_selectorIiEEZNS1_11reduce_implILb1ES3_PiS7_iN6hipcub16HIPCUB_304000_NS6detail34convert_binary_result_type_wrapperINS9_3SumENS9_22TransformInputIteratorIbN2at6native12_GLOBAL__N_19NonZeroOpIiEEPKilEEiEEEE10hipError_tPvRmT1_T2_T3_mT4_P12ihipStream_tbEUlT_E0_NS1_11comp_targetILNS1_3genE9ELNS1_11target_archE1100ELNS1_3gpuE3ELNS1_3repE0EEENS1_30default_config_static_selectorELNS0_4arch9wavefront6targetE0EEEvSQ_
	.p2align	8
	.type	_ZN7rocprim17ROCPRIM_400000_NS6detail17trampoline_kernelINS0_14default_configENS1_22reduce_config_selectorIiEEZNS1_11reduce_implILb1ES3_PiS7_iN6hipcub16HIPCUB_304000_NS6detail34convert_binary_result_type_wrapperINS9_3SumENS9_22TransformInputIteratorIbN2at6native12_GLOBAL__N_19NonZeroOpIiEEPKilEEiEEEE10hipError_tPvRmT1_T2_T3_mT4_P12ihipStream_tbEUlT_E0_NS1_11comp_targetILNS1_3genE9ELNS1_11target_archE1100ELNS1_3gpuE3ELNS1_3repE0EEENS1_30default_config_static_selectorELNS0_4arch9wavefront6targetE0EEEvSQ_,@function
_ZN7rocprim17ROCPRIM_400000_NS6detail17trampoline_kernelINS0_14default_configENS1_22reduce_config_selectorIiEEZNS1_11reduce_implILb1ES3_PiS7_iN6hipcub16HIPCUB_304000_NS6detail34convert_binary_result_type_wrapperINS9_3SumENS9_22TransformInputIteratorIbN2at6native12_GLOBAL__N_19NonZeroOpIiEEPKilEEiEEEE10hipError_tPvRmT1_T2_T3_mT4_P12ihipStream_tbEUlT_E0_NS1_11comp_targetILNS1_3genE9ELNS1_11target_archE1100ELNS1_3gpuE3ELNS1_3repE0EEENS1_30default_config_static_selectorELNS0_4arch9wavefront6targetE0EEEvSQ_: ; @_ZN7rocprim17ROCPRIM_400000_NS6detail17trampoline_kernelINS0_14default_configENS1_22reduce_config_selectorIiEEZNS1_11reduce_implILb1ES3_PiS7_iN6hipcub16HIPCUB_304000_NS6detail34convert_binary_result_type_wrapperINS9_3SumENS9_22TransformInputIteratorIbN2at6native12_GLOBAL__N_19NonZeroOpIiEEPKilEEiEEEE10hipError_tPvRmT1_T2_T3_mT4_P12ihipStream_tbEUlT_E0_NS1_11comp_targetILNS1_3genE9ELNS1_11target_archE1100ELNS1_3gpuE3ELNS1_3repE0EEENS1_30default_config_static_selectorELNS0_4arch9wavefront6targetE0EEEvSQ_
; %bb.0:
	.section	.rodata,"a",@progbits
	.p2align	6, 0x0
	.amdhsa_kernel _ZN7rocprim17ROCPRIM_400000_NS6detail17trampoline_kernelINS0_14default_configENS1_22reduce_config_selectorIiEEZNS1_11reduce_implILb1ES3_PiS7_iN6hipcub16HIPCUB_304000_NS6detail34convert_binary_result_type_wrapperINS9_3SumENS9_22TransformInputIteratorIbN2at6native12_GLOBAL__N_19NonZeroOpIiEEPKilEEiEEEE10hipError_tPvRmT1_T2_T3_mT4_P12ihipStream_tbEUlT_E0_NS1_11comp_targetILNS1_3genE9ELNS1_11target_archE1100ELNS1_3gpuE3ELNS1_3repE0EEENS1_30default_config_static_selectorELNS0_4arch9wavefront6targetE0EEEvSQ_
		.amdhsa_group_segment_fixed_size 0
		.amdhsa_private_segment_fixed_size 0
		.amdhsa_kernarg_size 56
		.amdhsa_user_sgpr_count 2
		.amdhsa_user_sgpr_dispatch_ptr 0
		.amdhsa_user_sgpr_queue_ptr 0
		.amdhsa_user_sgpr_kernarg_segment_ptr 1
		.amdhsa_user_sgpr_dispatch_id 0
		.amdhsa_user_sgpr_private_segment_size 0
		.amdhsa_wavefront_size32 1
		.amdhsa_uses_dynamic_stack 0
		.amdhsa_enable_private_segment 0
		.amdhsa_system_sgpr_workgroup_id_x 1
		.amdhsa_system_sgpr_workgroup_id_y 0
		.amdhsa_system_sgpr_workgroup_id_z 0
		.amdhsa_system_sgpr_workgroup_info 0
		.amdhsa_system_vgpr_workitem_id 0
		.amdhsa_next_free_vgpr 1
		.amdhsa_next_free_sgpr 1
		.amdhsa_reserve_vcc 0
		.amdhsa_float_round_mode_32 0
		.amdhsa_float_round_mode_16_64 0
		.amdhsa_float_denorm_mode_32 3
		.amdhsa_float_denorm_mode_16_64 3
		.amdhsa_fp16_overflow 0
		.amdhsa_workgroup_processor_mode 1
		.amdhsa_memory_ordered 1
		.amdhsa_forward_progress 1
		.amdhsa_inst_pref_size 0
		.amdhsa_round_robin_scheduling 0
		.amdhsa_exception_fp_ieee_invalid_op 0
		.amdhsa_exception_fp_denorm_src 0
		.amdhsa_exception_fp_ieee_div_zero 0
		.amdhsa_exception_fp_ieee_overflow 0
		.amdhsa_exception_fp_ieee_underflow 0
		.amdhsa_exception_fp_ieee_inexact 0
		.amdhsa_exception_int_div_zero 0
	.end_amdhsa_kernel
	.section	.text._ZN7rocprim17ROCPRIM_400000_NS6detail17trampoline_kernelINS0_14default_configENS1_22reduce_config_selectorIiEEZNS1_11reduce_implILb1ES3_PiS7_iN6hipcub16HIPCUB_304000_NS6detail34convert_binary_result_type_wrapperINS9_3SumENS9_22TransformInputIteratorIbN2at6native12_GLOBAL__N_19NonZeroOpIiEEPKilEEiEEEE10hipError_tPvRmT1_T2_T3_mT4_P12ihipStream_tbEUlT_E0_NS1_11comp_targetILNS1_3genE9ELNS1_11target_archE1100ELNS1_3gpuE3ELNS1_3repE0EEENS1_30default_config_static_selectorELNS0_4arch9wavefront6targetE0EEEvSQ_,"axG",@progbits,_ZN7rocprim17ROCPRIM_400000_NS6detail17trampoline_kernelINS0_14default_configENS1_22reduce_config_selectorIiEEZNS1_11reduce_implILb1ES3_PiS7_iN6hipcub16HIPCUB_304000_NS6detail34convert_binary_result_type_wrapperINS9_3SumENS9_22TransformInputIteratorIbN2at6native12_GLOBAL__N_19NonZeroOpIiEEPKilEEiEEEE10hipError_tPvRmT1_T2_T3_mT4_P12ihipStream_tbEUlT_E0_NS1_11comp_targetILNS1_3genE9ELNS1_11target_archE1100ELNS1_3gpuE3ELNS1_3repE0EEENS1_30default_config_static_selectorELNS0_4arch9wavefront6targetE0EEEvSQ_,comdat
.Lfunc_end157:
	.size	_ZN7rocprim17ROCPRIM_400000_NS6detail17trampoline_kernelINS0_14default_configENS1_22reduce_config_selectorIiEEZNS1_11reduce_implILb1ES3_PiS7_iN6hipcub16HIPCUB_304000_NS6detail34convert_binary_result_type_wrapperINS9_3SumENS9_22TransformInputIteratorIbN2at6native12_GLOBAL__N_19NonZeroOpIiEEPKilEEiEEEE10hipError_tPvRmT1_T2_T3_mT4_P12ihipStream_tbEUlT_E0_NS1_11comp_targetILNS1_3genE9ELNS1_11target_archE1100ELNS1_3gpuE3ELNS1_3repE0EEENS1_30default_config_static_selectorELNS0_4arch9wavefront6targetE0EEEvSQ_, .Lfunc_end157-_ZN7rocprim17ROCPRIM_400000_NS6detail17trampoline_kernelINS0_14default_configENS1_22reduce_config_selectorIiEEZNS1_11reduce_implILb1ES3_PiS7_iN6hipcub16HIPCUB_304000_NS6detail34convert_binary_result_type_wrapperINS9_3SumENS9_22TransformInputIteratorIbN2at6native12_GLOBAL__N_19NonZeroOpIiEEPKilEEiEEEE10hipError_tPvRmT1_T2_T3_mT4_P12ihipStream_tbEUlT_E0_NS1_11comp_targetILNS1_3genE9ELNS1_11target_archE1100ELNS1_3gpuE3ELNS1_3repE0EEENS1_30default_config_static_selectorELNS0_4arch9wavefront6targetE0EEEvSQ_
                                        ; -- End function
	.set _ZN7rocprim17ROCPRIM_400000_NS6detail17trampoline_kernelINS0_14default_configENS1_22reduce_config_selectorIiEEZNS1_11reduce_implILb1ES3_PiS7_iN6hipcub16HIPCUB_304000_NS6detail34convert_binary_result_type_wrapperINS9_3SumENS9_22TransformInputIteratorIbN2at6native12_GLOBAL__N_19NonZeroOpIiEEPKilEEiEEEE10hipError_tPvRmT1_T2_T3_mT4_P12ihipStream_tbEUlT_E0_NS1_11comp_targetILNS1_3genE9ELNS1_11target_archE1100ELNS1_3gpuE3ELNS1_3repE0EEENS1_30default_config_static_selectorELNS0_4arch9wavefront6targetE0EEEvSQ_.num_vgpr, 0
	.set _ZN7rocprim17ROCPRIM_400000_NS6detail17trampoline_kernelINS0_14default_configENS1_22reduce_config_selectorIiEEZNS1_11reduce_implILb1ES3_PiS7_iN6hipcub16HIPCUB_304000_NS6detail34convert_binary_result_type_wrapperINS9_3SumENS9_22TransformInputIteratorIbN2at6native12_GLOBAL__N_19NonZeroOpIiEEPKilEEiEEEE10hipError_tPvRmT1_T2_T3_mT4_P12ihipStream_tbEUlT_E0_NS1_11comp_targetILNS1_3genE9ELNS1_11target_archE1100ELNS1_3gpuE3ELNS1_3repE0EEENS1_30default_config_static_selectorELNS0_4arch9wavefront6targetE0EEEvSQ_.num_agpr, 0
	.set _ZN7rocprim17ROCPRIM_400000_NS6detail17trampoline_kernelINS0_14default_configENS1_22reduce_config_selectorIiEEZNS1_11reduce_implILb1ES3_PiS7_iN6hipcub16HIPCUB_304000_NS6detail34convert_binary_result_type_wrapperINS9_3SumENS9_22TransformInputIteratorIbN2at6native12_GLOBAL__N_19NonZeroOpIiEEPKilEEiEEEE10hipError_tPvRmT1_T2_T3_mT4_P12ihipStream_tbEUlT_E0_NS1_11comp_targetILNS1_3genE9ELNS1_11target_archE1100ELNS1_3gpuE3ELNS1_3repE0EEENS1_30default_config_static_selectorELNS0_4arch9wavefront6targetE0EEEvSQ_.numbered_sgpr, 0
	.set _ZN7rocprim17ROCPRIM_400000_NS6detail17trampoline_kernelINS0_14default_configENS1_22reduce_config_selectorIiEEZNS1_11reduce_implILb1ES3_PiS7_iN6hipcub16HIPCUB_304000_NS6detail34convert_binary_result_type_wrapperINS9_3SumENS9_22TransformInputIteratorIbN2at6native12_GLOBAL__N_19NonZeroOpIiEEPKilEEiEEEE10hipError_tPvRmT1_T2_T3_mT4_P12ihipStream_tbEUlT_E0_NS1_11comp_targetILNS1_3genE9ELNS1_11target_archE1100ELNS1_3gpuE3ELNS1_3repE0EEENS1_30default_config_static_selectorELNS0_4arch9wavefront6targetE0EEEvSQ_.num_named_barrier, 0
	.set _ZN7rocprim17ROCPRIM_400000_NS6detail17trampoline_kernelINS0_14default_configENS1_22reduce_config_selectorIiEEZNS1_11reduce_implILb1ES3_PiS7_iN6hipcub16HIPCUB_304000_NS6detail34convert_binary_result_type_wrapperINS9_3SumENS9_22TransformInputIteratorIbN2at6native12_GLOBAL__N_19NonZeroOpIiEEPKilEEiEEEE10hipError_tPvRmT1_T2_T3_mT4_P12ihipStream_tbEUlT_E0_NS1_11comp_targetILNS1_3genE9ELNS1_11target_archE1100ELNS1_3gpuE3ELNS1_3repE0EEENS1_30default_config_static_selectorELNS0_4arch9wavefront6targetE0EEEvSQ_.private_seg_size, 0
	.set _ZN7rocprim17ROCPRIM_400000_NS6detail17trampoline_kernelINS0_14default_configENS1_22reduce_config_selectorIiEEZNS1_11reduce_implILb1ES3_PiS7_iN6hipcub16HIPCUB_304000_NS6detail34convert_binary_result_type_wrapperINS9_3SumENS9_22TransformInputIteratorIbN2at6native12_GLOBAL__N_19NonZeroOpIiEEPKilEEiEEEE10hipError_tPvRmT1_T2_T3_mT4_P12ihipStream_tbEUlT_E0_NS1_11comp_targetILNS1_3genE9ELNS1_11target_archE1100ELNS1_3gpuE3ELNS1_3repE0EEENS1_30default_config_static_selectorELNS0_4arch9wavefront6targetE0EEEvSQ_.uses_vcc, 0
	.set _ZN7rocprim17ROCPRIM_400000_NS6detail17trampoline_kernelINS0_14default_configENS1_22reduce_config_selectorIiEEZNS1_11reduce_implILb1ES3_PiS7_iN6hipcub16HIPCUB_304000_NS6detail34convert_binary_result_type_wrapperINS9_3SumENS9_22TransformInputIteratorIbN2at6native12_GLOBAL__N_19NonZeroOpIiEEPKilEEiEEEE10hipError_tPvRmT1_T2_T3_mT4_P12ihipStream_tbEUlT_E0_NS1_11comp_targetILNS1_3genE9ELNS1_11target_archE1100ELNS1_3gpuE3ELNS1_3repE0EEENS1_30default_config_static_selectorELNS0_4arch9wavefront6targetE0EEEvSQ_.uses_flat_scratch, 0
	.set _ZN7rocprim17ROCPRIM_400000_NS6detail17trampoline_kernelINS0_14default_configENS1_22reduce_config_selectorIiEEZNS1_11reduce_implILb1ES3_PiS7_iN6hipcub16HIPCUB_304000_NS6detail34convert_binary_result_type_wrapperINS9_3SumENS9_22TransformInputIteratorIbN2at6native12_GLOBAL__N_19NonZeroOpIiEEPKilEEiEEEE10hipError_tPvRmT1_T2_T3_mT4_P12ihipStream_tbEUlT_E0_NS1_11comp_targetILNS1_3genE9ELNS1_11target_archE1100ELNS1_3gpuE3ELNS1_3repE0EEENS1_30default_config_static_selectorELNS0_4arch9wavefront6targetE0EEEvSQ_.has_dyn_sized_stack, 0
	.set _ZN7rocprim17ROCPRIM_400000_NS6detail17trampoline_kernelINS0_14default_configENS1_22reduce_config_selectorIiEEZNS1_11reduce_implILb1ES3_PiS7_iN6hipcub16HIPCUB_304000_NS6detail34convert_binary_result_type_wrapperINS9_3SumENS9_22TransformInputIteratorIbN2at6native12_GLOBAL__N_19NonZeroOpIiEEPKilEEiEEEE10hipError_tPvRmT1_T2_T3_mT4_P12ihipStream_tbEUlT_E0_NS1_11comp_targetILNS1_3genE9ELNS1_11target_archE1100ELNS1_3gpuE3ELNS1_3repE0EEENS1_30default_config_static_selectorELNS0_4arch9wavefront6targetE0EEEvSQ_.has_recursion, 0
	.set _ZN7rocprim17ROCPRIM_400000_NS6detail17trampoline_kernelINS0_14default_configENS1_22reduce_config_selectorIiEEZNS1_11reduce_implILb1ES3_PiS7_iN6hipcub16HIPCUB_304000_NS6detail34convert_binary_result_type_wrapperINS9_3SumENS9_22TransformInputIteratorIbN2at6native12_GLOBAL__N_19NonZeroOpIiEEPKilEEiEEEE10hipError_tPvRmT1_T2_T3_mT4_P12ihipStream_tbEUlT_E0_NS1_11comp_targetILNS1_3genE9ELNS1_11target_archE1100ELNS1_3gpuE3ELNS1_3repE0EEENS1_30default_config_static_selectorELNS0_4arch9wavefront6targetE0EEEvSQ_.has_indirect_call, 0
	.section	.AMDGPU.csdata,"",@progbits
; Kernel info:
; codeLenInByte = 0
; TotalNumSgprs: 0
; NumVgprs: 0
; ScratchSize: 0
; MemoryBound: 0
; FloatMode: 240
; IeeeMode: 1
; LDSByteSize: 0 bytes/workgroup (compile time only)
; SGPRBlocks: 0
; VGPRBlocks: 0
; NumSGPRsForWavesPerEU: 1
; NumVGPRsForWavesPerEU: 1
; Occupancy: 16
; WaveLimiterHint : 0
; COMPUTE_PGM_RSRC2:SCRATCH_EN: 0
; COMPUTE_PGM_RSRC2:USER_SGPR: 2
; COMPUTE_PGM_RSRC2:TRAP_HANDLER: 0
; COMPUTE_PGM_RSRC2:TGID_X_EN: 1
; COMPUTE_PGM_RSRC2:TGID_Y_EN: 0
; COMPUTE_PGM_RSRC2:TGID_Z_EN: 0
; COMPUTE_PGM_RSRC2:TIDIG_COMP_CNT: 0
	.section	.text._ZN7rocprim17ROCPRIM_400000_NS6detail17trampoline_kernelINS0_14default_configENS1_22reduce_config_selectorIiEEZNS1_11reduce_implILb1ES3_PiS7_iN6hipcub16HIPCUB_304000_NS6detail34convert_binary_result_type_wrapperINS9_3SumENS9_22TransformInputIteratorIbN2at6native12_GLOBAL__N_19NonZeroOpIiEEPKilEEiEEEE10hipError_tPvRmT1_T2_T3_mT4_P12ihipStream_tbEUlT_E0_NS1_11comp_targetILNS1_3genE8ELNS1_11target_archE1030ELNS1_3gpuE2ELNS1_3repE0EEENS1_30default_config_static_selectorELNS0_4arch9wavefront6targetE0EEEvSQ_,"axG",@progbits,_ZN7rocprim17ROCPRIM_400000_NS6detail17trampoline_kernelINS0_14default_configENS1_22reduce_config_selectorIiEEZNS1_11reduce_implILb1ES3_PiS7_iN6hipcub16HIPCUB_304000_NS6detail34convert_binary_result_type_wrapperINS9_3SumENS9_22TransformInputIteratorIbN2at6native12_GLOBAL__N_19NonZeroOpIiEEPKilEEiEEEE10hipError_tPvRmT1_T2_T3_mT4_P12ihipStream_tbEUlT_E0_NS1_11comp_targetILNS1_3genE8ELNS1_11target_archE1030ELNS1_3gpuE2ELNS1_3repE0EEENS1_30default_config_static_selectorELNS0_4arch9wavefront6targetE0EEEvSQ_,comdat
	.globl	_ZN7rocprim17ROCPRIM_400000_NS6detail17trampoline_kernelINS0_14default_configENS1_22reduce_config_selectorIiEEZNS1_11reduce_implILb1ES3_PiS7_iN6hipcub16HIPCUB_304000_NS6detail34convert_binary_result_type_wrapperINS9_3SumENS9_22TransformInputIteratorIbN2at6native12_GLOBAL__N_19NonZeroOpIiEEPKilEEiEEEE10hipError_tPvRmT1_T2_T3_mT4_P12ihipStream_tbEUlT_E0_NS1_11comp_targetILNS1_3genE8ELNS1_11target_archE1030ELNS1_3gpuE2ELNS1_3repE0EEENS1_30default_config_static_selectorELNS0_4arch9wavefront6targetE0EEEvSQ_ ; -- Begin function _ZN7rocprim17ROCPRIM_400000_NS6detail17trampoline_kernelINS0_14default_configENS1_22reduce_config_selectorIiEEZNS1_11reduce_implILb1ES3_PiS7_iN6hipcub16HIPCUB_304000_NS6detail34convert_binary_result_type_wrapperINS9_3SumENS9_22TransformInputIteratorIbN2at6native12_GLOBAL__N_19NonZeroOpIiEEPKilEEiEEEE10hipError_tPvRmT1_T2_T3_mT4_P12ihipStream_tbEUlT_E0_NS1_11comp_targetILNS1_3genE8ELNS1_11target_archE1030ELNS1_3gpuE2ELNS1_3repE0EEENS1_30default_config_static_selectorELNS0_4arch9wavefront6targetE0EEEvSQ_
	.p2align	8
	.type	_ZN7rocprim17ROCPRIM_400000_NS6detail17trampoline_kernelINS0_14default_configENS1_22reduce_config_selectorIiEEZNS1_11reduce_implILb1ES3_PiS7_iN6hipcub16HIPCUB_304000_NS6detail34convert_binary_result_type_wrapperINS9_3SumENS9_22TransformInputIteratorIbN2at6native12_GLOBAL__N_19NonZeroOpIiEEPKilEEiEEEE10hipError_tPvRmT1_T2_T3_mT4_P12ihipStream_tbEUlT_E0_NS1_11comp_targetILNS1_3genE8ELNS1_11target_archE1030ELNS1_3gpuE2ELNS1_3repE0EEENS1_30default_config_static_selectorELNS0_4arch9wavefront6targetE0EEEvSQ_,@function
_ZN7rocprim17ROCPRIM_400000_NS6detail17trampoline_kernelINS0_14default_configENS1_22reduce_config_selectorIiEEZNS1_11reduce_implILb1ES3_PiS7_iN6hipcub16HIPCUB_304000_NS6detail34convert_binary_result_type_wrapperINS9_3SumENS9_22TransformInputIteratorIbN2at6native12_GLOBAL__N_19NonZeroOpIiEEPKilEEiEEEE10hipError_tPvRmT1_T2_T3_mT4_P12ihipStream_tbEUlT_E0_NS1_11comp_targetILNS1_3genE8ELNS1_11target_archE1030ELNS1_3gpuE2ELNS1_3repE0EEENS1_30default_config_static_selectorELNS0_4arch9wavefront6targetE0EEEvSQ_: ; @_ZN7rocprim17ROCPRIM_400000_NS6detail17trampoline_kernelINS0_14default_configENS1_22reduce_config_selectorIiEEZNS1_11reduce_implILb1ES3_PiS7_iN6hipcub16HIPCUB_304000_NS6detail34convert_binary_result_type_wrapperINS9_3SumENS9_22TransformInputIteratorIbN2at6native12_GLOBAL__N_19NonZeroOpIiEEPKilEEiEEEE10hipError_tPvRmT1_T2_T3_mT4_P12ihipStream_tbEUlT_E0_NS1_11comp_targetILNS1_3genE8ELNS1_11target_archE1030ELNS1_3gpuE2ELNS1_3repE0EEENS1_30default_config_static_selectorELNS0_4arch9wavefront6targetE0EEEvSQ_
; %bb.0:
	.section	.rodata,"a",@progbits
	.p2align	6, 0x0
	.amdhsa_kernel _ZN7rocprim17ROCPRIM_400000_NS6detail17trampoline_kernelINS0_14default_configENS1_22reduce_config_selectorIiEEZNS1_11reduce_implILb1ES3_PiS7_iN6hipcub16HIPCUB_304000_NS6detail34convert_binary_result_type_wrapperINS9_3SumENS9_22TransformInputIteratorIbN2at6native12_GLOBAL__N_19NonZeroOpIiEEPKilEEiEEEE10hipError_tPvRmT1_T2_T3_mT4_P12ihipStream_tbEUlT_E0_NS1_11comp_targetILNS1_3genE8ELNS1_11target_archE1030ELNS1_3gpuE2ELNS1_3repE0EEENS1_30default_config_static_selectorELNS0_4arch9wavefront6targetE0EEEvSQ_
		.amdhsa_group_segment_fixed_size 0
		.amdhsa_private_segment_fixed_size 0
		.amdhsa_kernarg_size 56
		.amdhsa_user_sgpr_count 2
		.amdhsa_user_sgpr_dispatch_ptr 0
		.amdhsa_user_sgpr_queue_ptr 0
		.amdhsa_user_sgpr_kernarg_segment_ptr 1
		.amdhsa_user_sgpr_dispatch_id 0
		.amdhsa_user_sgpr_private_segment_size 0
		.amdhsa_wavefront_size32 1
		.amdhsa_uses_dynamic_stack 0
		.amdhsa_enable_private_segment 0
		.amdhsa_system_sgpr_workgroup_id_x 1
		.amdhsa_system_sgpr_workgroup_id_y 0
		.amdhsa_system_sgpr_workgroup_id_z 0
		.amdhsa_system_sgpr_workgroup_info 0
		.amdhsa_system_vgpr_workitem_id 0
		.amdhsa_next_free_vgpr 1
		.amdhsa_next_free_sgpr 1
		.amdhsa_reserve_vcc 0
		.amdhsa_float_round_mode_32 0
		.amdhsa_float_round_mode_16_64 0
		.amdhsa_float_denorm_mode_32 3
		.amdhsa_float_denorm_mode_16_64 3
		.amdhsa_fp16_overflow 0
		.amdhsa_workgroup_processor_mode 1
		.amdhsa_memory_ordered 1
		.amdhsa_forward_progress 1
		.amdhsa_inst_pref_size 0
		.amdhsa_round_robin_scheduling 0
		.amdhsa_exception_fp_ieee_invalid_op 0
		.amdhsa_exception_fp_denorm_src 0
		.amdhsa_exception_fp_ieee_div_zero 0
		.amdhsa_exception_fp_ieee_overflow 0
		.amdhsa_exception_fp_ieee_underflow 0
		.amdhsa_exception_fp_ieee_inexact 0
		.amdhsa_exception_int_div_zero 0
	.end_amdhsa_kernel
	.section	.text._ZN7rocprim17ROCPRIM_400000_NS6detail17trampoline_kernelINS0_14default_configENS1_22reduce_config_selectorIiEEZNS1_11reduce_implILb1ES3_PiS7_iN6hipcub16HIPCUB_304000_NS6detail34convert_binary_result_type_wrapperINS9_3SumENS9_22TransformInputIteratorIbN2at6native12_GLOBAL__N_19NonZeroOpIiEEPKilEEiEEEE10hipError_tPvRmT1_T2_T3_mT4_P12ihipStream_tbEUlT_E0_NS1_11comp_targetILNS1_3genE8ELNS1_11target_archE1030ELNS1_3gpuE2ELNS1_3repE0EEENS1_30default_config_static_selectorELNS0_4arch9wavefront6targetE0EEEvSQ_,"axG",@progbits,_ZN7rocprim17ROCPRIM_400000_NS6detail17trampoline_kernelINS0_14default_configENS1_22reduce_config_selectorIiEEZNS1_11reduce_implILb1ES3_PiS7_iN6hipcub16HIPCUB_304000_NS6detail34convert_binary_result_type_wrapperINS9_3SumENS9_22TransformInputIteratorIbN2at6native12_GLOBAL__N_19NonZeroOpIiEEPKilEEiEEEE10hipError_tPvRmT1_T2_T3_mT4_P12ihipStream_tbEUlT_E0_NS1_11comp_targetILNS1_3genE8ELNS1_11target_archE1030ELNS1_3gpuE2ELNS1_3repE0EEENS1_30default_config_static_selectorELNS0_4arch9wavefront6targetE0EEEvSQ_,comdat
.Lfunc_end158:
	.size	_ZN7rocprim17ROCPRIM_400000_NS6detail17trampoline_kernelINS0_14default_configENS1_22reduce_config_selectorIiEEZNS1_11reduce_implILb1ES3_PiS7_iN6hipcub16HIPCUB_304000_NS6detail34convert_binary_result_type_wrapperINS9_3SumENS9_22TransformInputIteratorIbN2at6native12_GLOBAL__N_19NonZeroOpIiEEPKilEEiEEEE10hipError_tPvRmT1_T2_T3_mT4_P12ihipStream_tbEUlT_E0_NS1_11comp_targetILNS1_3genE8ELNS1_11target_archE1030ELNS1_3gpuE2ELNS1_3repE0EEENS1_30default_config_static_selectorELNS0_4arch9wavefront6targetE0EEEvSQ_, .Lfunc_end158-_ZN7rocprim17ROCPRIM_400000_NS6detail17trampoline_kernelINS0_14default_configENS1_22reduce_config_selectorIiEEZNS1_11reduce_implILb1ES3_PiS7_iN6hipcub16HIPCUB_304000_NS6detail34convert_binary_result_type_wrapperINS9_3SumENS9_22TransformInputIteratorIbN2at6native12_GLOBAL__N_19NonZeroOpIiEEPKilEEiEEEE10hipError_tPvRmT1_T2_T3_mT4_P12ihipStream_tbEUlT_E0_NS1_11comp_targetILNS1_3genE8ELNS1_11target_archE1030ELNS1_3gpuE2ELNS1_3repE0EEENS1_30default_config_static_selectorELNS0_4arch9wavefront6targetE0EEEvSQ_
                                        ; -- End function
	.set _ZN7rocprim17ROCPRIM_400000_NS6detail17trampoline_kernelINS0_14default_configENS1_22reduce_config_selectorIiEEZNS1_11reduce_implILb1ES3_PiS7_iN6hipcub16HIPCUB_304000_NS6detail34convert_binary_result_type_wrapperINS9_3SumENS9_22TransformInputIteratorIbN2at6native12_GLOBAL__N_19NonZeroOpIiEEPKilEEiEEEE10hipError_tPvRmT1_T2_T3_mT4_P12ihipStream_tbEUlT_E0_NS1_11comp_targetILNS1_3genE8ELNS1_11target_archE1030ELNS1_3gpuE2ELNS1_3repE0EEENS1_30default_config_static_selectorELNS0_4arch9wavefront6targetE0EEEvSQ_.num_vgpr, 0
	.set _ZN7rocprim17ROCPRIM_400000_NS6detail17trampoline_kernelINS0_14default_configENS1_22reduce_config_selectorIiEEZNS1_11reduce_implILb1ES3_PiS7_iN6hipcub16HIPCUB_304000_NS6detail34convert_binary_result_type_wrapperINS9_3SumENS9_22TransformInputIteratorIbN2at6native12_GLOBAL__N_19NonZeroOpIiEEPKilEEiEEEE10hipError_tPvRmT1_T2_T3_mT4_P12ihipStream_tbEUlT_E0_NS1_11comp_targetILNS1_3genE8ELNS1_11target_archE1030ELNS1_3gpuE2ELNS1_3repE0EEENS1_30default_config_static_selectorELNS0_4arch9wavefront6targetE0EEEvSQ_.num_agpr, 0
	.set _ZN7rocprim17ROCPRIM_400000_NS6detail17trampoline_kernelINS0_14default_configENS1_22reduce_config_selectorIiEEZNS1_11reduce_implILb1ES3_PiS7_iN6hipcub16HIPCUB_304000_NS6detail34convert_binary_result_type_wrapperINS9_3SumENS9_22TransformInputIteratorIbN2at6native12_GLOBAL__N_19NonZeroOpIiEEPKilEEiEEEE10hipError_tPvRmT1_T2_T3_mT4_P12ihipStream_tbEUlT_E0_NS1_11comp_targetILNS1_3genE8ELNS1_11target_archE1030ELNS1_3gpuE2ELNS1_3repE0EEENS1_30default_config_static_selectorELNS0_4arch9wavefront6targetE0EEEvSQ_.numbered_sgpr, 0
	.set _ZN7rocprim17ROCPRIM_400000_NS6detail17trampoline_kernelINS0_14default_configENS1_22reduce_config_selectorIiEEZNS1_11reduce_implILb1ES3_PiS7_iN6hipcub16HIPCUB_304000_NS6detail34convert_binary_result_type_wrapperINS9_3SumENS9_22TransformInputIteratorIbN2at6native12_GLOBAL__N_19NonZeroOpIiEEPKilEEiEEEE10hipError_tPvRmT1_T2_T3_mT4_P12ihipStream_tbEUlT_E0_NS1_11comp_targetILNS1_3genE8ELNS1_11target_archE1030ELNS1_3gpuE2ELNS1_3repE0EEENS1_30default_config_static_selectorELNS0_4arch9wavefront6targetE0EEEvSQ_.num_named_barrier, 0
	.set _ZN7rocprim17ROCPRIM_400000_NS6detail17trampoline_kernelINS0_14default_configENS1_22reduce_config_selectorIiEEZNS1_11reduce_implILb1ES3_PiS7_iN6hipcub16HIPCUB_304000_NS6detail34convert_binary_result_type_wrapperINS9_3SumENS9_22TransformInputIteratorIbN2at6native12_GLOBAL__N_19NonZeroOpIiEEPKilEEiEEEE10hipError_tPvRmT1_T2_T3_mT4_P12ihipStream_tbEUlT_E0_NS1_11comp_targetILNS1_3genE8ELNS1_11target_archE1030ELNS1_3gpuE2ELNS1_3repE0EEENS1_30default_config_static_selectorELNS0_4arch9wavefront6targetE0EEEvSQ_.private_seg_size, 0
	.set _ZN7rocprim17ROCPRIM_400000_NS6detail17trampoline_kernelINS0_14default_configENS1_22reduce_config_selectorIiEEZNS1_11reduce_implILb1ES3_PiS7_iN6hipcub16HIPCUB_304000_NS6detail34convert_binary_result_type_wrapperINS9_3SumENS9_22TransformInputIteratorIbN2at6native12_GLOBAL__N_19NonZeroOpIiEEPKilEEiEEEE10hipError_tPvRmT1_T2_T3_mT4_P12ihipStream_tbEUlT_E0_NS1_11comp_targetILNS1_3genE8ELNS1_11target_archE1030ELNS1_3gpuE2ELNS1_3repE0EEENS1_30default_config_static_selectorELNS0_4arch9wavefront6targetE0EEEvSQ_.uses_vcc, 0
	.set _ZN7rocprim17ROCPRIM_400000_NS6detail17trampoline_kernelINS0_14default_configENS1_22reduce_config_selectorIiEEZNS1_11reduce_implILb1ES3_PiS7_iN6hipcub16HIPCUB_304000_NS6detail34convert_binary_result_type_wrapperINS9_3SumENS9_22TransformInputIteratorIbN2at6native12_GLOBAL__N_19NonZeroOpIiEEPKilEEiEEEE10hipError_tPvRmT1_T2_T3_mT4_P12ihipStream_tbEUlT_E0_NS1_11comp_targetILNS1_3genE8ELNS1_11target_archE1030ELNS1_3gpuE2ELNS1_3repE0EEENS1_30default_config_static_selectorELNS0_4arch9wavefront6targetE0EEEvSQ_.uses_flat_scratch, 0
	.set _ZN7rocprim17ROCPRIM_400000_NS6detail17trampoline_kernelINS0_14default_configENS1_22reduce_config_selectorIiEEZNS1_11reduce_implILb1ES3_PiS7_iN6hipcub16HIPCUB_304000_NS6detail34convert_binary_result_type_wrapperINS9_3SumENS9_22TransformInputIteratorIbN2at6native12_GLOBAL__N_19NonZeroOpIiEEPKilEEiEEEE10hipError_tPvRmT1_T2_T3_mT4_P12ihipStream_tbEUlT_E0_NS1_11comp_targetILNS1_3genE8ELNS1_11target_archE1030ELNS1_3gpuE2ELNS1_3repE0EEENS1_30default_config_static_selectorELNS0_4arch9wavefront6targetE0EEEvSQ_.has_dyn_sized_stack, 0
	.set _ZN7rocprim17ROCPRIM_400000_NS6detail17trampoline_kernelINS0_14default_configENS1_22reduce_config_selectorIiEEZNS1_11reduce_implILb1ES3_PiS7_iN6hipcub16HIPCUB_304000_NS6detail34convert_binary_result_type_wrapperINS9_3SumENS9_22TransformInputIteratorIbN2at6native12_GLOBAL__N_19NonZeroOpIiEEPKilEEiEEEE10hipError_tPvRmT1_T2_T3_mT4_P12ihipStream_tbEUlT_E0_NS1_11comp_targetILNS1_3genE8ELNS1_11target_archE1030ELNS1_3gpuE2ELNS1_3repE0EEENS1_30default_config_static_selectorELNS0_4arch9wavefront6targetE0EEEvSQ_.has_recursion, 0
	.set _ZN7rocprim17ROCPRIM_400000_NS6detail17trampoline_kernelINS0_14default_configENS1_22reduce_config_selectorIiEEZNS1_11reduce_implILb1ES3_PiS7_iN6hipcub16HIPCUB_304000_NS6detail34convert_binary_result_type_wrapperINS9_3SumENS9_22TransformInputIteratorIbN2at6native12_GLOBAL__N_19NonZeroOpIiEEPKilEEiEEEE10hipError_tPvRmT1_T2_T3_mT4_P12ihipStream_tbEUlT_E0_NS1_11comp_targetILNS1_3genE8ELNS1_11target_archE1030ELNS1_3gpuE2ELNS1_3repE0EEENS1_30default_config_static_selectorELNS0_4arch9wavefront6targetE0EEEvSQ_.has_indirect_call, 0
	.section	.AMDGPU.csdata,"",@progbits
; Kernel info:
; codeLenInByte = 0
; TotalNumSgprs: 0
; NumVgprs: 0
; ScratchSize: 0
; MemoryBound: 0
; FloatMode: 240
; IeeeMode: 1
; LDSByteSize: 0 bytes/workgroup (compile time only)
; SGPRBlocks: 0
; VGPRBlocks: 0
; NumSGPRsForWavesPerEU: 1
; NumVGPRsForWavesPerEU: 1
; Occupancy: 16
; WaveLimiterHint : 0
; COMPUTE_PGM_RSRC2:SCRATCH_EN: 0
; COMPUTE_PGM_RSRC2:USER_SGPR: 2
; COMPUTE_PGM_RSRC2:TRAP_HANDLER: 0
; COMPUTE_PGM_RSRC2:TGID_X_EN: 1
; COMPUTE_PGM_RSRC2:TGID_Y_EN: 0
; COMPUTE_PGM_RSRC2:TGID_Z_EN: 0
; COMPUTE_PGM_RSRC2:TIDIG_COMP_CNT: 0
	.section	.text._ZN7rocprim17ROCPRIM_400000_NS6detail17trampoline_kernelINS0_14default_configENS1_22reduce_config_selectorIiEEZNS1_11reduce_implILb1ES3_PiS7_iN6hipcub16HIPCUB_304000_NS6detail34convert_binary_result_type_wrapperINS9_3SumENS9_22TransformInputIteratorIbN2at6native12_GLOBAL__N_19NonZeroOpIiEEPKilEEiEEEE10hipError_tPvRmT1_T2_T3_mT4_P12ihipStream_tbEUlT_E1_NS1_11comp_targetILNS1_3genE0ELNS1_11target_archE4294967295ELNS1_3gpuE0ELNS1_3repE0EEENS1_30default_config_static_selectorELNS0_4arch9wavefront6targetE0EEEvSQ_,"axG",@progbits,_ZN7rocprim17ROCPRIM_400000_NS6detail17trampoline_kernelINS0_14default_configENS1_22reduce_config_selectorIiEEZNS1_11reduce_implILb1ES3_PiS7_iN6hipcub16HIPCUB_304000_NS6detail34convert_binary_result_type_wrapperINS9_3SumENS9_22TransformInputIteratorIbN2at6native12_GLOBAL__N_19NonZeroOpIiEEPKilEEiEEEE10hipError_tPvRmT1_T2_T3_mT4_P12ihipStream_tbEUlT_E1_NS1_11comp_targetILNS1_3genE0ELNS1_11target_archE4294967295ELNS1_3gpuE0ELNS1_3repE0EEENS1_30default_config_static_selectorELNS0_4arch9wavefront6targetE0EEEvSQ_,comdat
	.globl	_ZN7rocprim17ROCPRIM_400000_NS6detail17trampoline_kernelINS0_14default_configENS1_22reduce_config_selectorIiEEZNS1_11reduce_implILb1ES3_PiS7_iN6hipcub16HIPCUB_304000_NS6detail34convert_binary_result_type_wrapperINS9_3SumENS9_22TransformInputIteratorIbN2at6native12_GLOBAL__N_19NonZeroOpIiEEPKilEEiEEEE10hipError_tPvRmT1_T2_T3_mT4_P12ihipStream_tbEUlT_E1_NS1_11comp_targetILNS1_3genE0ELNS1_11target_archE4294967295ELNS1_3gpuE0ELNS1_3repE0EEENS1_30default_config_static_selectorELNS0_4arch9wavefront6targetE0EEEvSQ_ ; -- Begin function _ZN7rocprim17ROCPRIM_400000_NS6detail17trampoline_kernelINS0_14default_configENS1_22reduce_config_selectorIiEEZNS1_11reduce_implILb1ES3_PiS7_iN6hipcub16HIPCUB_304000_NS6detail34convert_binary_result_type_wrapperINS9_3SumENS9_22TransformInputIteratorIbN2at6native12_GLOBAL__N_19NonZeroOpIiEEPKilEEiEEEE10hipError_tPvRmT1_T2_T3_mT4_P12ihipStream_tbEUlT_E1_NS1_11comp_targetILNS1_3genE0ELNS1_11target_archE4294967295ELNS1_3gpuE0ELNS1_3repE0EEENS1_30default_config_static_selectorELNS0_4arch9wavefront6targetE0EEEvSQ_
	.p2align	8
	.type	_ZN7rocprim17ROCPRIM_400000_NS6detail17trampoline_kernelINS0_14default_configENS1_22reduce_config_selectorIiEEZNS1_11reduce_implILb1ES3_PiS7_iN6hipcub16HIPCUB_304000_NS6detail34convert_binary_result_type_wrapperINS9_3SumENS9_22TransformInputIteratorIbN2at6native12_GLOBAL__N_19NonZeroOpIiEEPKilEEiEEEE10hipError_tPvRmT1_T2_T3_mT4_P12ihipStream_tbEUlT_E1_NS1_11comp_targetILNS1_3genE0ELNS1_11target_archE4294967295ELNS1_3gpuE0ELNS1_3repE0EEENS1_30default_config_static_selectorELNS0_4arch9wavefront6targetE0EEEvSQ_,@function
_ZN7rocprim17ROCPRIM_400000_NS6detail17trampoline_kernelINS0_14default_configENS1_22reduce_config_selectorIiEEZNS1_11reduce_implILb1ES3_PiS7_iN6hipcub16HIPCUB_304000_NS6detail34convert_binary_result_type_wrapperINS9_3SumENS9_22TransformInputIteratorIbN2at6native12_GLOBAL__N_19NonZeroOpIiEEPKilEEiEEEE10hipError_tPvRmT1_T2_T3_mT4_P12ihipStream_tbEUlT_E1_NS1_11comp_targetILNS1_3genE0ELNS1_11target_archE4294967295ELNS1_3gpuE0ELNS1_3repE0EEENS1_30default_config_static_selectorELNS0_4arch9wavefront6targetE0EEEvSQ_: ; @_ZN7rocprim17ROCPRIM_400000_NS6detail17trampoline_kernelINS0_14default_configENS1_22reduce_config_selectorIiEEZNS1_11reduce_implILb1ES3_PiS7_iN6hipcub16HIPCUB_304000_NS6detail34convert_binary_result_type_wrapperINS9_3SumENS9_22TransformInputIteratorIbN2at6native12_GLOBAL__N_19NonZeroOpIiEEPKilEEiEEEE10hipError_tPvRmT1_T2_T3_mT4_P12ihipStream_tbEUlT_E1_NS1_11comp_targetILNS1_3genE0ELNS1_11target_archE4294967295ELNS1_3gpuE0ELNS1_3repE0EEENS1_30default_config_static_selectorELNS0_4arch9wavefront6targetE0EEEvSQ_
; %bb.0:
	.section	.rodata,"a",@progbits
	.p2align	6, 0x0
	.amdhsa_kernel _ZN7rocprim17ROCPRIM_400000_NS6detail17trampoline_kernelINS0_14default_configENS1_22reduce_config_selectorIiEEZNS1_11reduce_implILb1ES3_PiS7_iN6hipcub16HIPCUB_304000_NS6detail34convert_binary_result_type_wrapperINS9_3SumENS9_22TransformInputIteratorIbN2at6native12_GLOBAL__N_19NonZeroOpIiEEPKilEEiEEEE10hipError_tPvRmT1_T2_T3_mT4_P12ihipStream_tbEUlT_E1_NS1_11comp_targetILNS1_3genE0ELNS1_11target_archE4294967295ELNS1_3gpuE0ELNS1_3repE0EEENS1_30default_config_static_selectorELNS0_4arch9wavefront6targetE0EEEvSQ_
		.amdhsa_group_segment_fixed_size 0
		.amdhsa_private_segment_fixed_size 0
		.amdhsa_kernarg_size 40
		.amdhsa_user_sgpr_count 2
		.amdhsa_user_sgpr_dispatch_ptr 0
		.amdhsa_user_sgpr_queue_ptr 0
		.amdhsa_user_sgpr_kernarg_segment_ptr 1
		.amdhsa_user_sgpr_dispatch_id 0
		.amdhsa_user_sgpr_private_segment_size 0
		.amdhsa_wavefront_size32 1
		.amdhsa_uses_dynamic_stack 0
		.amdhsa_enable_private_segment 0
		.amdhsa_system_sgpr_workgroup_id_x 1
		.amdhsa_system_sgpr_workgroup_id_y 0
		.amdhsa_system_sgpr_workgroup_id_z 0
		.amdhsa_system_sgpr_workgroup_info 0
		.amdhsa_system_vgpr_workitem_id 0
		.amdhsa_next_free_vgpr 1
		.amdhsa_next_free_sgpr 1
		.amdhsa_reserve_vcc 0
		.amdhsa_float_round_mode_32 0
		.amdhsa_float_round_mode_16_64 0
		.amdhsa_float_denorm_mode_32 3
		.amdhsa_float_denorm_mode_16_64 3
		.amdhsa_fp16_overflow 0
		.amdhsa_workgroup_processor_mode 1
		.amdhsa_memory_ordered 1
		.amdhsa_forward_progress 1
		.amdhsa_inst_pref_size 0
		.amdhsa_round_robin_scheduling 0
		.amdhsa_exception_fp_ieee_invalid_op 0
		.amdhsa_exception_fp_denorm_src 0
		.amdhsa_exception_fp_ieee_div_zero 0
		.amdhsa_exception_fp_ieee_overflow 0
		.amdhsa_exception_fp_ieee_underflow 0
		.amdhsa_exception_fp_ieee_inexact 0
		.amdhsa_exception_int_div_zero 0
	.end_amdhsa_kernel
	.section	.text._ZN7rocprim17ROCPRIM_400000_NS6detail17trampoline_kernelINS0_14default_configENS1_22reduce_config_selectorIiEEZNS1_11reduce_implILb1ES3_PiS7_iN6hipcub16HIPCUB_304000_NS6detail34convert_binary_result_type_wrapperINS9_3SumENS9_22TransformInputIteratorIbN2at6native12_GLOBAL__N_19NonZeroOpIiEEPKilEEiEEEE10hipError_tPvRmT1_T2_T3_mT4_P12ihipStream_tbEUlT_E1_NS1_11comp_targetILNS1_3genE0ELNS1_11target_archE4294967295ELNS1_3gpuE0ELNS1_3repE0EEENS1_30default_config_static_selectorELNS0_4arch9wavefront6targetE0EEEvSQ_,"axG",@progbits,_ZN7rocprim17ROCPRIM_400000_NS6detail17trampoline_kernelINS0_14default_configENS1_22reduce_config_selectorIiEEZNS1_11reduce_implILb1ES3_PiS7_iN6hipcub16HIPCUB_304000_NS6detail34convert_binary_result_type_wrapperINS9_3SumENS9_22TransformInputIteratorIbN2at6native12_GLOBAL__N_19NonZeroOpIiEEPKilEEiEEEE10hipError_tPvRmT1_T2_T3_mT4_P12ihipStream_tbEUlT_E1_NS1_11comp_targetILNS1_3genE0ELNS1_11target_archE4294967295ELNS1_3gpuE0ELNS1_3repE0EEENS1_30default_config_static_selectorELNS0_4arch9wavefront6targetE0EEEvSQ_,comdat
.Lfunc_end159:
	.size	_ZN7rocprim17ROCPRIM_400000_NS6detail17trampoline_kernelINS0_14default_configENS1_22reduce_config_selectorIiEEZNS1_11reduce_implILb1ES3_PiS7_iN6hipcub16HIPCUB_304000_NS6detail34convert_binary_result_type_wrapperINS9_3SumENS9_22TransformInputIteratorIbN2at6native12_GLOBAL__N_19NonZeroOpIiEEPKilEEiEEEE10hipError_tPvRmT1_T2_T3_mT4_P12ihipStream_tbEUlT_E1_NS1_11comp_targetILNS1_3genE0ELNS1_11target_archE4294967295ELNS1_3gpuE0ELNS1_3repE0EEENS1_30default_config_static_selectorELNS0_4arch9wavefront6targetE0EEEvSQ_, .Lfunc_end159-_ZN7rocprim17ROCPRIM_400000_NS6detail17trampoline_kernelINS0_14default_configENS1_22reduce_config_selectorIiEEZNS1_11reduce_implILb1ES3_PiS7_iN6hipcub16HIPCUB_304000_NS6detail34convert_binary_result_type_wrapperINS9_3SumENS9_22TransformInputIteratorIbN2at6native12_GLOBAL__N_19NonZeroOpIiEEPKilEEiEEEE10hipError_tPvRmT1_T2_T3_mT4_P12ihipStream_tbEUlT_E1_NS1_11comp_targetILNS1_3genE0ELNS1_11target_archE4294967295ELNS1_3gpuE0ELNS1_3repE0EEENS1_30default_config_static_selectorELNS0_4arch9wavefront6targetE0EEEvSQ_
                                        ; -- End function
	.set _ZN7rocprim17ROCPRIM_400000_NS6detail17trampoline_kernelINS0_14default_configENS1_22reduce_config_selectorIiEEZNS1_11reduce_implILb1ES3_PiS7_iN6hipcub16HIPCUB_304000_NS6detail34convert_binary_result_type_wrapperINS9_3SumENS9_22TransformInputIteratorIbN2at6native12_GLOBAL__N_19NonZeroOpIiEEPKilEEiEEEE10hipError_tPvRmT1_T2_T3_mT4_P12ihipStream_tbEUlT_E1_NS1_11comp_targetILNS1_3genE0ELNS1_11target_archE4294967295ELNS1_3gpuE0ELNS1_3repE0EEENS1_30default_config_static_selectorELNS0_4arch9wavefront6targetE0EEEvSQ_.num_vgpr, 0
	.set _ZN7rocprim17ROCPRIM_400000_NS6detail17trampoline_kernelINS0_14default_configENS1_22reduce_config_selectorIiEEZNS1_11reduce_implILb1ES3_PiS7_iN6hipcub16HIPCUB_304000_NS6detail34convert_binary_result_type_wrapperINS9_3SumENS9_22TransformInputIteratorIbN2at6native12_GLOBAL__N_19NonZeroOpIiEEPKilEEiEEEE10hipError_tPvRmT1_T2_T3_mT4_P12ihipStream_tbEUlT_E1_NS1_11comp_targetILNS1_3genE0ELNS1_11target_archE4294967295ELNS1_3gpuE0ELNS1_3repE0EEENS1_30default_config_static_selectorELNS0_4arch9wavefront6targetE0EEEvSQ_.num_agpr, 0
	.set _ZN7rocprim17ROCPRIM_400000_NS6detail17trampoline_kernelINS0_14default_configENS1_22reduce_config_selectorIiEEZNS1_11reduce_implILb1ES3_PiS7_iN6hipcub16HIPCUB_304000_NS6detail34convert_binary_result_type_wrapperINS9_3SumENS9_22TransformInputIteratorIbN2at6native12_GLOBAL__N_19NonZeroOpIiEEPKilEEiEEEE10hipError_tPvRmT1_T2_T3_mT4_P12ihipStream_tbEUlT_E1_NS1_11comp_targetILNS1_3genE0ELNS1_11target_archE4294967295ELNS1_3gpuE0ELNS1_3repE0EEENS1_30default_config_static_selectorELNS0_4arch9wavefront6targetE0EEEvSQ_.numbered_sgpr, 0
	.set _ZN7rocprim17ROCPRIM_400000_NS6detail17trampoline_kernelINS0_14default_configENS1_22reduce_config_selectorIiEEZNS1_11reduce_implILb1ES3_PiS7_iN6hipcub16HIPCUB_304000_NS6detail34convert_binary_result_type_wrapperINS9_3SumENS9_22TransformInputIteratorIbN2at6native12_GLOBAL__N_19NonZeroOpIiEEPKilEEiEEEE10hipError_tPvRmT1_T2_T3_mT4_P12ihipStream_tbEUlT_E1_NS1_11comp_targetILNS1_3genE0ELNS1_11target_archE4294967295ELNS1_3gpuE0ELNS1_3repE0EEENS1_30default_config_static_selectorELNS0_4arch9wavefront6targetE0EEEvSQ_.num_named_barrier, 0
	.set _ZN7rocprim17ROCPRIM_400000_NS6detail17trampoline_kernelINS0_14default_configENS1_22reduce_config_selectorIiEEZNS1_11reduce_implILb1ES3_PiS7_iN6hipcub16HIPCUB_304000_NS6detail34convert_binary_result_type_wrapperINS9_3SumENS9_22TransformInputIteratorIbN2at6native12_GLOBAL__N_19NonZeroOpIiEEPKilEEiEEEE10hipError_tPvRmT1_T2_T3_mT4_P12ihipStream_tbEUlT_E1_NS1_11comp_targetILNS1_3genE0ELNS1_11target_archE4294967295ELNS1_3gpuE0ELNS1_3repE0EEENS1_30default_config_static_selectorELNS0_4arch9wavefront6targetE0EEEvSQ_.private_seg_size, 0
	.set _ZN7rocprim17ROCPRIM_400000_NS6detail17trampoline_kernelINS0_14default_configENS1_22reduce_config_selectorIiEEZNS1_11reduce_implILb1ES3_PiS7_iN6hipcub16HIPCUB_304000_NS6detail34convert_binary_result_type_wrapperINS9_3SumENS9_22TransformInputIteratorIbN2at6native12_GLOBAL__N_19NonZeroOpIiEEPKilEEiEEEE10hipError_tPvRmT1_T2_T3_mT4_P12ihipStream_tbEUlT_E1_NS1_11comp_targetILNS1_3genE0ELNS1_11target_archE4294967295ELNS1_3gpuE0ELNS1_3repE0EEENS1_30default_config_static_selectorELNS0_4arch9wavefront6targetE0EEEvSQ_.uses_vcc, 0
	.set _ZN7rocprim17ROCPRIM_400000_NS6detail17trampoline_kernelINS0_14default_configENS1_22reduce_config_selectorIiEEZNS1_11reduce_implILb1ES3_PiS7_iN6hipcub16HIPCUB_304000_NS6detail34convert_binary_result_type_wrapperINS9_3SumENS9_22TransformInputIteratorIbN2at6native12_GLOBAL__N_19NonZeroOpIiEEPKilEEiEEEE10hipError_tPvRmT1_T2_T3_mT4_P12ihipStream_tbEUlT_E1_NS1_11comp_targetILNS1_3genE0ELNS1_11target_archE4294967295ELNS1_3gpuE0ELNS1_3repE0EEENS1_30default_config_static_selectorELNS0_4arch9wavefront6targetE0EEEvSQ_.uses_flat_scratch, 0
	.set _ZN7rocprim17ROCPRIM_400000_NS6detail17trampoline_kernelINS0_14default_configENS1_22reduce_config_selectorIiEEZNS1_11reduce_implILb1ES3_PiS7_iN6hipcub16HIPCUB_304000_NS6detail34convert_binary_result_type_wrapperINS9_3SumENS9_22TransformInputIteratorIbN2at6native12_GLOBAL__N_19NonZeroOpIiEEPKilEEiEEEE10hipError_tPvRmT1_T2_T3_mT4_P12ihipStream_tbEUlT_E1_NS1_11comp_targetILNS1_3genE0ELNS1_11target_archE4294967295ELNS1_3gpuE0ELNS1_3repE0EEENS1_30default_config_static_selectorELNS0_4arch9wavefront6targetE0EEEvSQ_.has_dyn_sized_stack, 0
	.set _ZN7rocprim17ROCPRIM_400000_NS6detail17trampoline_kernelINS0_14default_configENS1_22reduce_config_selectorIiEEZNS1_11reduce_implILb1ES3_PiS7_iN6hipcub16HIPCUB_304000_NS6detail34convert_binary_result_type_wrapperINS9_3SumENS9_22TransformInputIteratorIbN2at6native12_GLOBAL__N_19NonZeroOpIiEEPKilEEiEEEE10hipError_tPvRmT1_T2_T3_mT4_P12ihipStream_tbEUlT_E1_NS1_11comp_targetILNS1_3genE0ELNS1_11target_archE4294967295ELNS1_3gpuE0ELNS1_3repE0EEENS1_30default_config_static_selectorELNS0_4arch9wavefront6targetE0EEEvSQ_.has_recursion, 0
	.set _ZN7rocprim17ROCPRIM_400000_NS6detail17trampoline_kernelINS0_14default_configENS1_22reduce_config_selectorIiEEZNS1_11reduce_implILb1ES3_PiS7_iN6hipcub16HIPCUB_304000_NS6detail34convert_binary_result_type_wrapperINS9_3SumENS9_22TransformInputIteratorIbN2at6native12_GLOBAL__N_19NonZeroOpIiEEPKilEEiEEEE10hipError_tPvRmT1_T2_T3_mT4_P12ihipStream_tbEUlT_E1_NS1_11comp_targetILNS1_3genE0ELNS1_11target_archE4294967295ELNS1_3gpuE0ELNS1_3repE0EEENS1_30default_config_static_selectorELNS0_4arch9wavefront6targetE0EEEvSQ_.has_indirect_call, 0
	.section	.AMDGPU.csdata,"",@progbits
; Kernel info:
; codeLenInByte = 0
; TotalNumSgprs: 0
; NumVgprs: 0
; ScratchSize: 0
; MemoryBound: 0
; FloatMode: 240
; IeeeMode: 1
; LDSByteSize: 0 bytes/workgroup (compile time only)
; SGPRBlocks: 0
; VGPRBlocks: 0
; NumSGPRsForWavesPerEU: 1
; NumVGPRsForWavesPerEU: 1
; Occupancy: 16
; WaveLimiterHint : 0
; COMPUTE_PGM_RSRC2:SCRATCH_EN: 0
; COMPUTE_PGM_RSRC2:USER_SGPR: 2
; COMPUTE_PGM_RSRC2:TRAP_HANDLER: 0
; COMPUTE_PGM_RSRC2:TGID_X_EN: 1
; COMPUTE_PGM_RSRC2:TGID_Y_EN: 0
; COMPUTE_PGM_RSRC2:TGID_Z_EN: 0
; COMPUTE_PGM_RSRC2:TIDIG_COMP_CNT: 0
	.section	.text._ZN7rocprim17ROCPRIM_400000_NS6detail17trampoline_kernelINS0_14default_configENS1_22reduce_config_selectorIiEEZNS1_11reduce_implILb1ES3_PiS7_iN6hipcub16HIPCUB_304000_NS6detail34convert_binary_result_type_wrapperINS9_3SumENS9_22TransformInputIteratorIbN2at6native12_GLOBAL__N_19NonZeroOpIiEEPKilEEiEEEE10hipError_tPvRmT1_T2_T3_mT4_P12ihipStream_tbEUlT_E1_NS1_11comp_targetILNS1_3genE5ELNS1_11target_archE942ELNS1_3gpuE9ELNS1_3repE0EEENS1_30default_config_static_selectorELNS0_4arch9wavefront6targetE0EEEvSQ_,"axG",@progbits,_ZN7rocprim17ROCPRIM_400000_NS6detail17trampoline_kernelINS0_14default_configENS1_22reduce_config_selectorIiEEZNS1_11reduce_implILb1ES3_PiS7_iN6hipcub16HIPCUB_304000_NS6detail34convert_binary_result_type_wrapperINS9_3SumENS9_22TransformInputIteratorIbN2at6native12_GLOBAL__N_19NonZeroOpIiEEPKilEEiEEEE10hipError_tPvRmT1_T2_T3_mT4_P12ihipStream_tbEUlT_E1_NS1_11comp_targetILNS1_3genE5ELNS1_11target_archE942ELNS1_3gpuE9ELNS1_3repE0EEENS1_30default_config_static_selectorELNS0_4arch9wavefront6targetE0EEEvSQ_,comdat
	.globl	_ZN7rocprim17ROCPRIM_400000_NS6detail17trampoline_kernelINS0_14default_configENS1_22reduce_config_selectorIiEEZNS1_11reduce_implILb1ES3_PiS7_iN6hipcub16HIPCUB_304000_NS6detail34convert_binary_result_type_wrapperINS9_3SumENS9_22TransformInputIteratorIbN2at6native12_GLOBAL__N_19NonZeroOpIiEEPKilEEiEEEE10hipError_tPvRmT1_T2_T3_mT4_P12ihipStream_tbEUlT_E1_NS1_11comp_targetILNS1_3genE5ELNS1_11target_archE942ELNS1_3gpuE9ELNS1_3repE0EEENS1_30default_config_static_selectorELNS0_4arch9wavefront6targetE0EEEvSQ_ ; -- Begin function _ZN7rocprim17ROCPRIM_400000_NS6detail17trampoline_kernelINS0_14default_configENS1_22reduce_config_selectorIiEEZNS1_11reduce_implILb1ES3_PiS7_iN6hipcub16HIPCUB_304000_NS6detail34convert_binary_result_type_wrapperINS9_3SumENS9_22TransformInputIteratorIbN2at6native12_GLOBAL__N_19NonZeroOpIiEEPKilEEiEEEE10hipError_tPvRmT1_T2_T3_mT4_P12ihipStream_tbEUlT_E1_NS1_11comp_targetILNS1_3genE5ELNS1_11target_archE942ELNS1_3gpuE9ELNS1_3repE0EEENS1_30default_config_static_selectorELNS0_4arch9wavefront6targetE0EEEvSQ_
	.p2align	8
	.type	_ZN7rocprim17ROCPRIM_400000_NS6detail17trampoline_kernelINS0_14default_configENS1_22reduce_config_selectorIiEEZNS1_11reduce_implILb1ES3_PiS7_iN6hipcub16HIPCUB_304000_NS6detail34convert_binary_result_type_wrapperINS9_3SumENS9_22TransformInputIteratorIbN2at6native12_GLOBAL__N_19NonZeroOpIiEEPKilEEiEEEE10hipError_tPvRmT1_T2_T3_mT4_P12ihipStream_tbEUlT_E1_NS1_11comp_targetILNS1_3genE5ELNS1_11target_archE942ELNS1_3gpuE9ELNS1_3repE0EEENS1_30default_config_static_selectorELNS0_4arch9wavefront6targetE0EEEvSQ_,@function
_ZN7rocprim17ROCPRIM_400000_NS6detail17trampoline_kernelINS0_14default_configENS1_22reduce_config_selectorIiEEZNS1_11reduce_implILb1ES3_PiS7_iN6hipcub16HIPCUB_304000_NS6detail34convert_binary_result_type_wrapperINS9_3SumENS9_22TransformInputIteratorIbN2at6native12_GLOBAL__N_19NonZeroOpIiEEPKilEEiEEEE10hipError_tPvRmT1_T2_T3_mT4_P12ihipStream_tbEUlT_E1_NS1_11comp_targetILNS1_3genE5ELNS1_11target_archE942ELNS1_3gpuE9ELNS1_3repE0EEENS1_30default_config_static_selectorELNS0_4arch9wavefront6targetE0EEEvSQ_: ; @_ZN7rocprim17ROCPRIM_400000_NS6detail17trampoline_kernelINS0_14default_configENS1_22reduce_config_selectorIiEEZNS1_11reduce_implILb1ES3_PiS7_iN6hipcub16HIPCUB_304000_NS6detail34convert_binary_result_type_wrapperINS9_3SumENS9_22TransformInputIteratorIbN2at6native12_GLOBAL__N_19NonZeroOpIiEEPKilEEiEEEE10hipError_tPvRmT1_T2_T3_mT4_P12ihipStream_tbEUlT_E1_NS1_11comp_targetILNS1_3genE5ELNS1_11target_archE942ELNS1_3gpuE9ELNS1_3repE0EEENS1_30default_config_static_selectorELNS0_4arch9wavefront6targetE0EEEvSQ_
; %bb.0:
	.section	.rodata,"a",@progbits
	.p2align	6, 0x0
	.amdhsa_kernel _ZN7rocprim17ROCPRIM_400000_NS6detail17trampoline_kernelINS0_14default_configENS1_22reduce_config_selectorIiEEZNS1_11reduce_implILb1ES3_PiS7_iN6hipcub16HIPCUB_304000_NS6detail34convert_binary_result_type_wrapperINS9_3SumENS9_22TransformInputIteratorIbN2at6native12_GLOBAL__N_19NonZeroOpIiEEPKilEEiEEEE10hipError_tPvRmT1_T2_T3_mT4_P12ihipStream_tbEUlT_E1_NS1_11comp_targetILNS1_3genE5ELNS1_11target_archE942ELNS1_3gpuE9ELNS1_3repE0EEENS1_30default_config_static_selectorELNS0_4arch9wavefront6targetE0EEEvSQ_
		.amdhsa_group_segment_fixed_size 0
		.amdhsa_private_segment_fixed_size 0
		.amdhsa_kernarg_size 40
		.amdhsa_user_sgpr_count 2
		.amdhsa_user_sgpr_dispatch_ptr 0
		.amdhsa_user_sgpr_queue_ptr 0
		.amdhsa_user_sgpr_kernarg_segment_ptr 1
		.amdhsa_user_sgpr_dispatch_id 0
		.amdhsa_user_sgpr_private_segment_size 0
		.amdhsa_wavefront_size32 1
		.amdhsa_uses_dynamic_stack 0
		.amdhsa_enable_private_segment 0
		.amdhsa_system_sgpr_workgroup_id_x 1
		.amdhsa_system_sgpr_workgroup_id_y 0
		.amdhsa_system_sgpr_workgroup_id_z 0
		.amdhsa_system_sgpr_workgroup_info 0
		.amdhsa_system_vgpr_workitem_id 0
		.amdhsa_next_free_vgpr 1
		.amdhsa_next_free_sgpr 1
		.amdhsa_reserve_vcc 0
		.amdhsa_float_round_mode_32 0
		.amdhsa_float_round_mode_16_64 0
		.amdhsa_float_denorm_mode_32 3
		.amdhsa_float_denorm_mode_16_64 3
		.amdhsa_fp16_overflow 0
		.amdhsa_workgroup_processor_mode 1
		.amdhsa_memory_ordered 1
		.amdhsa_forward_progress 1
		.amdhsa_inst_pref_size 0
		.amdhsa_round_robin_scheduling 0
		.amdhsa_exception_fp_ieee_invalid_op 0
		.amdhsa_exception_fp_denorm_src 0
		.amdhsa_exception_fp_ieee_div_zero 0
		.amdhsa_exception_fp_ieee_overflow 0
		.amdhsa_exception_fp_ieee_underflow 0
		.amdhsa_exception_fp_ieee_inexact 0
		.amdhsa_exception_int_div_zero 0
	.end_amdhsa_kernel
	.section	.text._ZN7rocprim17ROCPRIM_400000_NS6detail17trampoline_kernelINS0_14default_configENS1_22reduce_config_selectorIiEEZNS1_11reduce_implILb1ES3_PiS7_iN6hipcub16HIPCUB_304000_NS6detail34convert_binary_result_type_wrapperINS9_3SumENS9_22TransformInputIteratorIbN2at6native12_GLOBAL__N_19NonZeroOpIiEEPKilEEiEEEE10hipError_tPvRmT1_T2_T3_mT4_P12ihipStream_tbEUlT_E1_NS1_11comp_targetILNS1_3genE5ELNS1_11target_archE942ELNS1_3gpuE9ELNS1_3repE0EEENS1_30default_config_static_selectorELNS0_4arch9wavefront6targetE0EEEvSQ_,"axG",@progbits,_ZN7rocprim17ROCPRIM_400000_NS6detail17trampoline_kernelINS0_14default_configENS1_22reduce_config_selectorIiEEZNS1_11reduce_implILb1ES3_PiS7_iN6hipcub16HIPCUB_304000_NS6detail34convert_binary_result_type_wrapperINS9_3SumENS9_22TransformInputIteratorIbN2at6native12_GLOBAL__N_19NonZeroOpIiEEPKilEEiEEEE10hipError_tPvRmT1_T2_T3_mT4_P12ihipStream_tbEUlT_E1_NS1_11comp_targetILNS1_3genE5ELNS1_11target_archE942ELNS1_3gpuE9ELNS1_3repE0EEENS1_30default_config_static_selectorELNS0_4arch9wavefront6targetE0EEEvSQ_,comdat
.Lfunc_end160:
	.size	_ZN7rocprim17ROCPRIM_400000_NS6detail17trampoline_kernelINS0_14default_configENS1_22reduce_config_selectorIiEEZNS1_11reduce_implILb1ES3_PiS7_iN6hipcub16HIPCUB_304000_NS6detail34convert_binary_result_type_wrapperINS9_3SumENS9_22TransformInputIteratorIbN2at6native12_GLOBAL__N_19NonZeroOpIiEEPKilEEiEEEE10hipError_tPvRmT1_T2_T3_mT4_P12ihipStream_tbEUlT_E1_NS1_11comp_targetILNS1_3genE5ELNS1_11target_archE942ELNS1_3gpuE9ELNS1_3repE0EEENS1_30default_config_static_selectorELNS0_4arch9wavefront6targetE0EEEvSQ_, .Lfunc_end160-_ZN7rocprim17ROCPRIM_400000_NS6detail17trampoline_kernelINS0_14default_configENS1_22reduce_config_selectorIiEEZNS1_11reduce_implILb1ES3_PiS7_iN6hipcub16HIPCUB_304000_NS6detail34convert_binary_result_type_wrapperINS9_3SumENS9_22TransformInputIteratorIbN2at6native12_GLOBAL__N_19NonZeroOpIiEEPKilEEiEEEE10hipError_tPvRmT1_T2_T3_mT4_P12ihipStream_tbEUlT_E1_NS1_11comp_targetILNS1_3genE5ELNS1_11target_archE942ELNS1_3gpuE9ELNS1_3repE0EEENS1_30default_config_static_selectorELNS0_4arch9wavefront6targetE0EEEvSQ_
                                        ; -- End function
	.set _ZN7rocprim17ROCPRIM_400000_NS6detail17trampoline_kernelINS0_14default_configENS1_22reduce_config_selectorIiEEZNS1_11reduce_implILb1ES3_PiS7_iN6hipcub16HIPCUB_304000_NS6detail34convert_binary_result_type_wrapperINS9_3SumENS9_22TransformInputIteratorIbN2at6native12_GLOBAL__N_19NonZeroOpIiEEPKilEEiEEEE10hipError_tPvRmT1_T2_T3_mT4_P12ihipStream_tbEUlT_E1_NS1_11comp_targetILNS1_3genE5ELNS1_11target_archE942ELNS1_3gpuE9ELNS1_3repE0EEENS1_30default_config_static_selectorELNS0_4arch9wavefront6targetE0EEEvSQ_.num_vgpr, 0
	.set _ZN7rocprim17ROCPRIM_400000_NS6detail17trampoline_kernelINS0_14default_configENS1_22reduce_config_selectorIiEEZNS1_11reduce_implILb1ES3_PiS7_iN6hipcub16HIPCUB_304000_NS6detail34convert_binary_result_type_wrapperINS9_3SumENS9_22TransformInputIteratorIbN2at6native12_GLOBAL__N_19NonZeroOpIiEEPKilEEiEEEE10hipError_tPvRmT1_T2_T3_mT4_P12ihipStream_tbEUlT_E1_NS1_11comp_targetILNS1_3genE5ELNS1_11target_archE942ELNS1_3gpuE9ELNS1_3repE0EEENS1_30default_config_static_selectorELNS0_4arch9wavefront6targetE0EEEvSQ_.num_agpr, 0
	.set _ZN7rocprim17ROCPRIM_400000_NS6detail17trampoline_kernelINS0_14default_configENS1_22reduce_config_selectorIiEEZNS1_11reduce_implILb1ES3_PiS7_iN6hipcub16HIPCUB_304000_NS6detail34convert_binary_result_type_wrapperINS9_3SumENS9_22TransformInputIteratorIbN2at6native12_GLOBAL__N_19NonZeroOpIiEEPKilEEiEEEE10hipError_tPvRmT1_T2_T3_mT4_P12ihipStream_tbEUlT_E1_NS1_11comp_targetILNS1_3genE5ELNS1_11target_archE942ELNS1_3gpuE9ELNS1_3repE0EEENS1_30default_config_static_selectorELNS0_4arch9wavefront6targetE0EEEvSQ_.numbered_sgpr, 0
	.set _ZN7rocprim17ROCPRIM_400000_NS6detail17trampoline_kernelINS0_14default_configENS1_22reduce_config_selectorIiEEZNS1_11reduce_implILb1ES3_PiS7_iN6hipcub16HIPCUB_304000_NS6detail34convert_binary_result_type_wrapperINS9_3SumENS9_22TransformInputIteratorIbN2at6native12_GLOBAL__N_19NonZeroOpIiEEPKilEEiEEEE10hipError_tPvRmT1_T2_T3_mT4_P12ihipStream_tbEUlT_E1_NS1_11comp_targetILNS1_3genE5ELNS1_11target_archE942ELNS1_3gpuE9ELNS1_3repE0EEENS1_30default_config_static_selectorELNS0_4arch9wavefront6targetE0EEEvSQ_.num_named_barrier, 0
	.set _ZN7rocprim17ROCPRIM_400000_NS6detail17trampoline_kernelINS0_14default_configENS1_22reduce_config_selectorIiEEZNS1_11reduce_implILb1ES3_PiS7_iN6hipcub16HIPCUB_304000_NS6detail34convert_binary_result_type_wrapperINS9_3SumENS9_22TransformInputIteratorIbN2at6native12_GLOBAL__N_19NonZeroOpIiEEPKilEEiEEEE10hipError_tPvRmT1_T2_T3_mT4_P12ihipStream_tbEUlT_E1_NS1_11comp_targetILNS1_3genE5ELNS1_11target_archE942ELNS1_3gpuE9ELNS1_3repE0EEENS1_30default_config_static_selectorELNS0_4arch9wavefront6targetE0EEEvSQ_.private_seg_size, 0
	.set _ZN7rocprim17ROCPRIM_400000_NS6detail17trampoline_kernelINS0_14default_configENS1_22reduce_config_selectorIiEEZNS1_11reduce_implILb1ES3_PiS7_iN6hipcub16HIPCUB_304000_NS6detail34convert_binary_result_type_wrapperINS9_3SumENS9_22TransformInputIteratorIbN2at6native12_GLOBAL__N_19NonZeroOpIiEEPKilEEiEEEE10hipError_tPvRmT1_T2_T3_mT4_P12ihipStream_tbEUlT_E1_NS1_11comp_targetILNS1_3genE5ELNS1_11target_archE942ELNS1_3gpuE9ELNS1_3repE0EEENS1_30default_config_static_selectorELNS0_4arch9wavefront6targetE0EEEvSQ_.uses_vcc, 0
	.set _ZN7rocprim17ROCPRIM_400000_NS6detail17trampoline_kernelINS0_14default_configENS1_22reduce_config_selectorIiEEZNS1_11reduce_implILb1ES3_PiS7_iN6hipcub16HIPCUB_304000_NS6detail34convert_binary_result_type_wrapperINS9_3SumENS9_22TransformInputIteratorIbN2at6native12_GLOBAL__N_19NonZeroOpIiEEPKilEEiEEEE10hipError_tPvRmT1_T2_T3_mT4_P12ihipStream_tbEUlT_E1_NS1_11comp_targetILNS1_3genE5ELNS1_11target_archE942ELNS1_3gpuE9ELNS1_3repE0EEENS1_30default_config_static_selectorELNS0_4arch9wavefront6targetE0EEEvSQ_.uses_flat_scratch, 0
	.set _ZN7rocprim17ROCPRIM_400000_NS6detail17trampoline_kernelINS0_14default_configENS1_22reduce_config_selectorIiEEZNS1_11reduce_implILb1ES3_PiS7_iN6hipcub16HIPCUB_304000_NS6detail34convert_binary_result_type_wrapperINS9_3SumENS9_22TransformInputIteratorIbN2at6native12_GLOBAL__N_19NonZeroOpIiEEPKilEEiEEEE10hipError_tPvRmT1_T2_T3_mT4_P12ihipStream_tbEUlT_E1_NS1_11comp_targetILNS1_3genE5ELNS1_11target_archE942ELNS1_3gpuE9ELNS1_3repE0EEENS1_30default_config_static_selectorELNS0_4arch9wavefront6targetE0EEEvSQ_.has_dyn_sized_stack, 0
	.set _ZN7rocprim17ROCPRIM_400000_NS6detail17trampoline_kernelINS0_14default_configENS1_22reduce_config_selectorIiEEZNS1_11reduce_implILb1ES3_PiS7_iN6hipcub16HIPCUB_304000_NS6detail34convert_binary_result_type_wrapperINS9_3SumENS9_22TransformInputIteratorIbN2at6native12_GLOBAL__N_19NonZeroOpIiEEPKilEEiEEEE10hipError_tPvRmT1_T2_T3_mT4_P12ihipStream_tbEUlT_E1_NS1_11comp_targetILNS1_3genE5ELNS1_11target_archE942ELNS1_3gpuE9ELNS1_3repE0EEENS1_30default_config_static_selectorELNS0_4arch9wavefront6targetE0EEEvSQ_.has_recursion, 0
	.set _ZN7rocprim17ROCPRIM_400000_NS6detail17trampoline_kernelINS0_14default_configENS1_22reduce_config_selectorIiEEZNS1_11reduce_implILb1ES3_PiS7_iN6hipcub16HIPCUB_304000_NS6detail34convert_binary_result_type_wrapperINS9_3SumENS9_22TransformInputIteratorIbN2at6native12_GLOBAL__N_19NonZeroOpIiEEPKilEEiEEEE10hipError_tPvRmT1_T2_T3_mT4_P12ihipStream_tbEUlT_E1_NS1_11comp_targetILNS1_3genE5ELNS1_11target_archE942ELNS1_3gpuE9ELNS1_3repE0EEENS1_30default_config_static_selectorELNS0_4arch9wavefront6targetE0EEEvSQ_.has_indirect_call, 0
	.section	.AMDGPU.csdata,"",@progbits
; Kernel info:
; codeLenInByte = 0
; TotalNumSgprs: 0
; NumVgprs: 0
; ScratchSize: 0
; MemoryBound: 0
; FloatMode: 240
; IeeeMode: 1
; LDSByteSize: 0 bytes/workgroup (compile time only)
; SGPRBlocks: 0
; VGPRBlocks: 0
; NumSGPRsForWavesPerEU: 1
; NumVGPRsForWavesPerEU: 1
; Occupancy: 16
; WaveLimiterHint : 0
; COMPUTE_PGM_RSRC2:SCRATCH_EN: 0
; COMPUTE_PGM_RSRC2:USER_SGPR: 2
; COMPUTE_PGM_RSRC2:TRAP_HANDLER: 0
; COMPUTE_PGM_RSRC2:TGID_X_EN: 1
; COMPUTE_PGM_RSRC2:TGID_Y_EN: 0
; COMPUTE_PGM_RSRC2:TGID_Z_EN: 0
; COMPUTE_PGM_RSRC2:TIDIG_COMP_CNT: 0
	.section	.text._ZN7rocprim17ROCPRIM_400000_NS6detail17trampoline_kernelINS0_14default_configENS1_22reduce_config_selectorIiEEZNS1_11reduce_implILb1ES3_PiS7_iN6hipcub16HIPCUB_304000_NS6detail34convert_binary_result_type_wrapperINS9_3SumENS9_22TransformInputIteratorIbN2at6native12_GLOBAL__N_19NonZeroOpIiEEPKilEEiEEEE10hipError_tPvRmT1_T2_T3_mT4_P12ihipStream_tbEUlT_E1_NS1_11comp_targetILNS1_3genE4ELNS1_11target_archE910ELNS1_3gpuE8ELNS1_3repE0EEENS1_30default_config_static_selectorELNS0_4arch9wavefront6targetE0EEEvSQ_,"axG",@progbits,_ZN7rocprim17ROCPRIM_400000_NS6detail17trampoline_kernelINS0_14default_configENS1_22reduce_config_selectorIiEEZNS1_11reduce_implILb1ES3_PiS7_iN6hipcub16HIPCUB_304000_NS6detail34convert_binary_result_type_wrapperINS9_3SumENS9_22TransformInputIteratorIbN2at6native12_GLOBAL__N_19NonZeroOpIiEEPKilEEiEEEE10hipError_tPvRmT1_T2_T3_mT4_P12ihipStream_tbEUlT_E1_NS1_11comp_targetILNS1_3genE4ELNS1_11target_archE910ELNS1_3gpuE8ELNS1_3repE0EEENS1_30default_config_static_selectorELNS0_4arch9wavefront6targetE0EEEvSQ_,comdat
	.globl	_ZN7rocprim17ROCPRIM_400000_NS6detail17trampoline_kernelINS0_14default_configENS1_22reduce_config_selectorIiEEZNS1_11reduce_implILb1ES3_PiS7_iN6hipcub16HIPCUB_304000_NS6detail34convert_binary_result_type_wrapperINS9_3SumENS9_22TransformInputIteratorIbN2at6native12_GLOBAL__N_19NonZeroOpIiEEPKilEEiEEEE10hipError_tPvRmT1_T2_T3_mT4_P12ihipStream_tbEUlT_E1_NS1_11comp_targetILNS1_3genE4ELNS1_11target_archE910ELNS1_3gpuE8ELNS1_3repE0EEENS1_30default_config_static_selectorELNS0_4arch9wavefront6targetE0EEEvSQ_ ; -- Begin function _ZN7rocprim17ROCPRIM_400000_NS6detail17trampoline_kernelINS0_14default_configENS1_22reduce_config_selectorIiEEZNS1_11reduce_implILb1ES3_PiS7_iN6hipcub16HIPCUB_304000_NS6detail34convert_binary_result_type_wrapperINS9_3SumENS9_22TransformInputIteratorIbN2at6native12_GLOBAL__N_19NonZeroOpIiEEPKilEEiEEEE10hipError_tPvRmT1_T2_T3_mT4_P12ihipStream_tbEUlT_E1_NS1_11comp_targetILNS1_3genE4ELNS1_11target_archE910ELNS1_3gpuE8ELNS1_3repE0EEENS1_30default_config_static_selectorELNS0_4arch9wavefront6targetE0EEEvSQ_
	.p2align	8
	.type	_ZN7rocprim17ROCPRIM_400000_NS6detail17trampoline_kernelINS0_14default_configENS1_22reduce_config_selectorIiEEZNS1_11reduce_implILb1ES3_PiS7_iN6hipcub16HIPCUB_304000_NS6detail34convert_binary_result_type_wrapperINS9_3SumENS9_22TransformInputIteratorIbN2at6native12_GLOBAL__N_19NonZeroOpIiEEPKilEEiEEEE10hipError_tPvRmT1_T2_T3_mT4_P12ihipStream_tbEUlT_E1_NS1_11comp_targetILNS1_3genE4ELNS1_11target_archE910ELNS1_3gpuE8ELNS1_3repE0EEENS1_30default_config_static_selectorELNS0_4arch9wavefront6targetE0EEEvSQ_,@function
_ZN7rocprim17ROCPRIM_400000_NS6detail17trampoline_kernelINS0_14default_configENS1_22reduce_config_selectorIiEEZNS1_11reduce_implILb1ES3_PiS7_iN6hipcub16HIPCUB_304000_NS6detail34convert_binary_result_type_wrapperINS9_3SumENS9_22TransformInputIteratorIbN2at6native12_GLOBAL__N_19NonZeroOpIiEEPKilEEiEEEE10hipError_tPvRmT1_T2_T3_mT4_P12ihipStream_tbEUlT_E1_NS1_11comp_targetILNS1_3genE4ELNS1_11target_archE910ELNS1_3gpuE8ELNS1_3repE0EEENS1_30default_config_static_selectorELNS0_4arch9wavefront6targetE0EEEvSQ_: ; @_ZN7rocprim17ROCPRIM_400000_NS6detail17trampoline_kernelINS0_14default_configENS1_22reduce_config_selectorIiEEZNS1_11reduce_implILb1ES3_PiS7_iN6hipcub16HIPCUB_304000_NS6detail34convert_binary_result_type_wrapperINS9_3SumENS9_22TransformInputIteratorIbN2at6native12_GLOBAL__N_19NonZeroOpIiEEPKilEEiEEEE10hipError_tPvRmT1_T2_T3_mT4_P12ihipStream_tbEUlT_E1_NS1_11comp_targetILNS1_3genE4ELNS1_11target_archE910ELNS1_3gpuE8ELNS1_3repE0EEENS1_30default_config_static_selectorELNS0_4arch9wavefront6targetE0EEEvSQ_
; %bb.0:
	.section	.rodata,"a",@progbits
	.p2align	6, 0x0
	.amdhsa_kernel _ZN7rocprim17ROCPRIM_400000_NS6detail17trampoline_kernelINS0_14default_configENS1_22reduce_config_selectorIiEEZNS1_11reduce_implILb1ES3_PiS7_iN6hipcub16HIPCUB_304000_NS6detail34convert_binary_result_type_wrapperINS9_3SumENS9_22TransformInputIteratorIbN2at6native12_GLOBAL__N_19NonZeroOpIiEEPKilEEiEEEE10hipError_tPvRmT1_T2_T3_mT4_P12ihipStream_tbEUlT_E1_NS1_11comp_targetILNS1_3genE4ELNS1_11target_archE910ELNS1_3gpuE8ELNS1_3repE0EEENS1_30default_config_static_selectorELNS0_4arch9wavefront6targetE0EEEvSQ_
		.amdhsa_group_segment_fixed_size 0
		.amdhsa_private_segment_fixed_size 0
		.amdhsa_kernarg_size 40
		.amdhsa_user_sgpr_count 2
		.amdhsa_user_sgpr_dispatch_ptr 0
		.amdhsa_user_sgpr_queue_ptr 0
		.amdhsa_user_sgpr_kernarg_segment_ptr 1
		.amdhsa_user_sgpr_dispatch_id 0
		.amdhsa_user_sgpr_private_segment_size 0
		.amdhsa_wavefront_size32 1
		.amdhsa_uses_dynamic_stack 0
		.amdhsa_enable_private_segment 0
		.amdhsa_system_sgpr_workgroup_id_x 1
		.amdhsa_system_sgpr_workgroup_id_y 0
		.amdhsa_system_sgpr_workgroup_id_z 0
		.amdhsa_system_sgpr_workgroup_info 0
		.amdhsa_system_vgpr_workitem_id 0
		.amdhsa_next_free_vgpr 1
		.amdhsa_next_free_sgpr 1
		.amdhsa_reserve_vcc 0
		.amdhsa_float_round_mode_32 0
		.amdhsa_float_round_mode_16_64 0
		.amdhsa_float_denorm_mode_32 3
		.amdhsa_float_denorm_mode_16_64 3
		.amdhsa_fp16_overflow 0
		.amdhsa_workgroup_processor_mode 1
		.amdhsa_memory_ordered 1
		.amdhsa_forward_progress 1
		.amdhsa_inst_pref_size 0
		.amdhsa_round_robin_scheduling 0
		.amdhsa_exception_fp_ieee_invalid_op 0
		.amdhsa_exception_fp_denorm_src 0
		.amdhsa_exception_fp_ieee_div_zero 0
		.amdhsa_exception_fp_ieee_overflow 0
		.amdhsa_exception_fp_ieee_underflow 0
		.amdhsa_exception_fp_ieee_inexact 0
		.amdhsa_exception_int_div_zero 0
	.end_amdhsa_kernel
	.section	.text._ZN7rocprim17ROCPRIM_400000_NS6detail17trampoline_kernelINS0_14default_configENS1_22reduce_config_selectorIiEEZNS1_11reduce_implILb1ES3_PiS7_iN6hipcub16HIPCUB_304000_NS6detail34convert_binary_result_type_wrapperINS9_3SumENS9_22TransformInputIteratorIbN2at6native12_GLOBAL__N_19NonZeroOpIiEEPKilEEiEEEE10hipError_tPvRmT1_T2_T3_mT4_P12ihipStream_tbEUlT_E1_NS1_11comp_targetILNS1_3genE4ELNS1_11target_archE910ELNS1_3gpuE8ELNS1_3repE0EEENS1_30default_config_static_selectorELNS0_4arch9wavefront6targetE0EEEvSQ_,"axG",@progbits,_ZN7rocprim17ROCPRIM_400000_NS6detail17trampoline_kernelINS0_14default_configENS1_22reduce_config_selectorIiEEZNS1_11reduce_implILb1ES3_PiS7_iN6hipcub16HIPCUB_304000_NS6detail34convert_binary_result_type_wrapperINS9_3SumENS9_22TransformInputIteratorIbN2at6native12_GLOBAL__N_19NonZeroOpIiEEPKilEEiEEEE10hipError_tPvRmT1_T2_T3_mT4_P12ihipStream_tbEUlT_E1_NS1_11comp_targetILNS1_3genE4ELNS1_11target_archE910ELNS1_3gpuE8ELNS1_3repE0EEENS1_30default_config_static_selectorELNS0_4arch9wavefront6targetE0EEEvSQ_,comdat
.Lfunc_end161:
	.size	_ZN7rocprim17ROCPRIM_400000_NS6detail17trampoline_kernelINS0_14default_configENS1_22reduce_config_selectorIiEEZNS1_11reduce_implILb1ES3_PiS7_iN6hipcub16HIPCUB_304000_NS6detail34convert_binary_result_type_wrapperINS9_3SumENS9_22TransformInputIteratorIbN2at6native12_GLOBAL__N_19NonZeroOpIiEEPKilEEiEEEE10hipError_tPvRmT1_T2_T3_mT4_P12ihipStream_tbEUlT_E1_NS1_11comp_targetILNS1_3genE4ELNS1_11target_archE910ELNS1_3gpuE8ELNS1_3repE0EEENS1_30default_config_static_selectorELNS0_4arch9wavefront6targetE0EEEvSQ_, .Lfunc_end161-_ZN7rocprim17ROCPRIM_400000_NS6detail17trampoline_kernelINS0_14default_configENS1_22reduce_config_selectorIiEEZNS1_11reduce_implILb1ES3_PiS7_iN6hipcub16HIPCUB_304000_NS6detail34convert_binary_result_type_wrapperINS9_3SumENS9_22TransformInputIteratorIbN2at6native12_GLOBAL__N_19NonZeroOpIiEEPKilEEiEEEE10hipError_tPvRmT1_T2_T3_mT4_P12ihipStream_tbEUlT_E1_NS1_11comp_targetILNS1_3genE4ELNS1_11target_archE910ELNS1_3gpuE8ELNS1_3repE0EEENS1_30default_config_static_selectorELNS0_4arch9wavefront6targetE0EEEvSQ_
                                        ; -- End function
	.set _ZN7rocprim17ROCPRIM_400000_NS6detail17trampoline_kernelINS0_14default_configENS1_22reduce_config_selectorIiEEZNS1_11reduce_implILb1ES3_PiS7_iN6hipcub16HIPCUB_304000_NS6detail34convert_binary_result_type_wrapperINS9_3SumENS9_22TransformInputIteratorIbN2at6native12_GLOBAL__N_19NonZeroOpIiEEPKilEEiEEEE10hipError_tPvRmT1_T2_T3_mT4_P12ihipStream_tbEUlT_E1_NS1_11comp_targetILNS1_3genE4ELNS1_11target_archE910ELNS1_3gpuE8ELNS1_3repE0EEENS1_30default_config_static_selectorELNS0_4arch9wavefront6targetE0EEEvSQ_.num_vgpr, 0
	.set _ZN7rocprim17ROCPRIM_400000_NS6detail17trampoline_kernelINS0_14default_configENS1_22reduce_config_selectorIiEEZNS1_11reduce_implILb1ES3_PiS7_iN6hipcub16HIPCUB_304000_NS6detail34convert_binary_result_type_wrapperINS9_3SumENS9_22TransformInputIteratorIbN2at6native12_GLOBAL__N_19NonZeroOpIiEEPKilEEiEEEE10hipError_tPvRmT1_T2_T3_mT4_P12ihipStream_tbEUlT_E1_NS1_11comp_targetILNS1_3genE4ELNS1_11target_archE910ELNS1_3gpuE8ELNS1_3repE0EEENS1_30default_config_static_selectorELNS0_4arch9wavefront6targetE0EEEvSQ_.num_agpr, 0
	.set _ZN7rocprim17ROCPRIM_400000_NS6detail17trampoline_kernelINS0_14default_configENS1_22reduce_config_selectorIiEEZNS1_11reduce_implILb1ES3_PiS7_iN6hipcub16HIPCUB_304000_NS6detail34convert_binary_result_type_wrapperINS9_3SumENS9_22TransformInputIteratorIbN2at6native12_GLOBAL__N_19NonZeroOpIiEEPKilEEiEEEE10hipError_tPvRmT1_T2_T3_mT4_P12ihipStream_tbEUlT_E1_NS1_11comp_targetILNS1_3genE4ELNS1_11target_archE910ELNS1_3gpuE8ELNS1_3repE0EEENS1_30default_config_static_selectorELNS0_4arch9wavefront6targetE0EEEvSQ_.numbered_sgpr, 0
	.set _ZN7rocprim17ROCPRIM_400000_NS6detail17trampoline_kernelINS0_14default_configENS1_22reduce_config_selectorIiEEZNS1_11reduce_implILb1ES3_PiS7_iN6hipcub16HIPCUB_304000_NS6detail34convert_binary_result_type_wrapperINS9_3SumENS9_22TransformInputIteratorIbN2at6native12_GLOBAL__N_19NonZeroOpIiEEPKilEEiEEEE10hipError_tPvRmT1_T2_T3_mT4_P12ihipStream_tbEUlT_E1_NS1_11comp_targetILNS1_3genE4ELNS1_11target_archE910ELNS1_3gpuE8ELNS1_3repE0EEENS1_30default_config_static_selectorELNS0_4arch9wavefront6targetE0EEEvSQ_.num_named_barrier, 0
	.set _ZN7rocprim17ROCPRIM_400000_NS6detail17trampoline_kernelINS0_14default_configENS1_22reduce_config_selectorIiEEZNS1_11reduce_implILb1ES3_PiS7_iN6hipcub16HIPCUB_304000_NS6detail34convert_binary_result_type_wrapperINS9_3SumENS9_22TransformInputIteratorIbN2at6native12_GLOBAL__N_19NonZeroOpIiEEPKilEEiEEEE10hipError_tPvRmT1_T2_T3_mT4_P12ihipStream_tbEUlT_E1_NS1_11comp_targetILNS1_3genE4ELNS1_11target_archE910ELNS1_3gpuE8ELNS1_3repE0EEENS1_30default_config_static_selectorELNS0_4arch9wavefront6targetE0EEEvSQ_.private_seg_size, 0
	.set _ZN7rocprim17ROCPRIM_400000_NS6detail17trampoline_kernelINS0_14default_configENS1_22reduce_config_selectorIiEEZNS1_11reduce_implILb1ES3_PiS7_iN6hipcub16HIPCUB_304000_NS6detail34convert_binary_result_type_wrapperINS9_3SumENS9_22TransformInputIteratorIbN2at6native12_GLOBAL__N_19NonZeroOpIiEEPKilEEiEEEE10hipError_tPvRmT1_T2_T3_mT4_P12ihipStream_tbEUlT_E1_NS1_11comp_targetILNS1_3genE4ELNS1_11target_archE910ELNS1_3gpuE8ELNS1_3repE0EEENS1_30default_config_static_selectorELNS0_4arch9wavefront6targetE0EEEvSQ_.uses_vcc, 0
	.set _ZN7rocprim17ROCPRIM_400000_NS6detail17trampoline_kernelINS0_14default_configENS1_22reduce_config_selectorIiEEZNS1_11reduce_implILb1ES3_PiS7_iN6hipcub16HIPCUB_304000_NS6detail34convert_binary_result_type_wrapperINS9_3SumENS9_22TransformInputIteratorIbN2at6native12_GLOBAL__N_19NonZeroOpIiEEPKilEEiEEEE10hipError_tPvRmT1_T2_T3_mT4_P12ihipStream_tbEUlT_E1_NS1_11comp_targetILNS1_3genE4ELNS1_11target_archE910ELNS1_3gpuE8ELNS1_3repE0EEENS1_30default_config_static_selectorELNS0_4arch9wavefront6targetE0EEEvSQ_.uses_flat_scratch, 0
	.set _ZN7rocprim17ROCPRIM_400000_NS6detail17trampoline_kernelINS0_14default_configENS1_22reduce_config_selectorIiEEZNS1_11reduce_implILb1ES3_PiS7_iN6hipcub16HIPCUB_304000_NS6detail34convert_binary_result_type_wrapperINS9_3SumENS9_22TransformInputIteratorIbN2at6native12_GLOBAL__N_19NonZeroOpIiEEPKilEEiEEEE10hipError_tPvRmT1_T2_T3_mT4_P12ihipStream_tbEUlT_E1_NS1_11comp_targetILNS1_3genE4ELNS1_11target_archE910ELNS1_3gpuE8ELNS1_3repE0EEENS1_30default_config_static_selectorELNS0_4arch9wavefront6targetE0EEEvSQ_.has_dyn_sized_stack, 0
	.set _ZN7rocprim17ROCPRIM_400000_NS6detail17trampoline_kernelINS0_14default_configENS1_22reduce_config_selectorIiEEZNS1_11reduce_implILb1ES3_PiS7_iN6hipcub16HIPCUB_304000_NS6detail34convert_binary_result_type_wrapperINS9_3SumENS9_22TransformInputIteratorIbN2at6native12_GLOBAL__N_19NonZeroOpIiEEPKilEEiEEEE10hipError_tPvRmT1_T2_T3_mT4_P12ihipStream_tbEUlT_E1_NS1_11comp_targetILNS1_3genE4ELNS1_11target_archE910ELNS1_3gpuE8ELNS1_3repE0EEENS1_30default_config_static_selectorELNS0_4arch9wavefront6targetE0EEEvSQ_.has_recursion, 0
	.set _ZN7rocprim17ROCPRIM_400000_NS6detail17trampoline_kernelINS0_14default_configENS1_22reduce_config_selectorIiEEZNS1_11reduce_implILb1ES3_PiS7_iN6hipcub16HIPCUB_304000_NS6detail34convert_binary_result_type_wrapperINS9_3SumENS9_22TransformInputIteratorIbN2at6native12_GLOBAL__N_19NonZeroOpIiEEPKilEEiEEEE10hipError_tPvRmT1_T2_T3_mT4_P12ihipStream_tbEUlT_E1_NS1_11comp_targetILNS1_3genE4ELNS1_11target_archE910ELNS1_3gpuE8ELNS1_3repE0EEENS1_30default_config_static_selectorELNS0_4arch9wavefront6targetE0EEEvSQ_.has_indirect_call, 0
	.section	.AMDGPU.csdata,"",@progbits
; Kernel info:
; codeLenInByte = 0
; TotalNumSgprs: 0
; NumVgprs: 0
; ScratchSize: 0
; MemoryBound: 0
; FloatMode: 240
; IeeeMode: 1
; LDSByteSize: 0 bytes/workgroup (compile time only)
; SGPRBlocks: 0
; VGPRBlocks: 0
; NumSGPRsForWavesPerEU: 1
; NumVGPRsForWavesPerEU: 1
; Occupancy: 16
; WaveLimiterHint : 0
; COMPUTE_PGM_RSRC2:SCRATCH_EN: 0
; COMPUTE_PGM_RSRC2:USER_SGPR: 2
; COMPUTE_PGM_RSRC2:TRAP_HANDLER: 0
; COMPUTE_PGM_RSRC2:TGID_X_EN: 1
; COMPUTE_PGM_RSRC2:TGID_Y_EN: 0
; COMPUTE_PGM_RSRC2:TGID_Z_EN: 0
; COMPUTE_PGM_RSRC2:TIDIG_COMP_CNT: 0
	.section	.text._ZN7rocprim17ROCPRIM_400000_NS6detail17trampoline_kernelINS0_14default_configENS1_22reduce_config_selectorIiEEZNS1_11reduce_implILb1ES3_PiS7_iN6hipcub16HIPCUB_304000_NS6detail34convert_binary_result_type_wrapperINS9_3SumENS9_22TransformInputIteratorIbN2at6native12_GLOBAL__N_19NonZeroOpIiEEPKilEEiEEEE10hipError_tPvRmT1_T2_T3_mT4_P12ihipStream_tbEUlT_E1_NS1_11comp_targetILNS1_3genE3ELNS1_11target_archE908ELNS1_3gpuE7ELNS1_3repE0EEENS1_30default_config_static_selectorELNS0_4arch9wavefront6targetE0EEEvSQ_,"axG",@progbits,_ZN7rocprim17ROCPRIM_400000_NS6detail17trampoline_kernelINS0_14default_configENS1_22reduce_config_selectorIiEEZNS1_11reduce_implILb1ES3_PiS7_iN6hipcub16HIPCUB_304000_NS6detail34convert_binary_result_type_wrapperINS9_3SumENS9_22TransformInputIteratorIbN2at6native12_GLOBAL__N_19NonZeroOpIiEEPKilEEiEEEE10hipError_tPvRmT1_T2_T3_mT4_P12ihipStream_tbEUlT_E1_NS1_11comp_targetILNS1_3genE3ELNS1_11target_archE908ELNS1_3gpuE7ELNS1_3repE0EEENS1_30default_config_static_selectorELNS0_4arch9wavefront6targetE0EEEvSQ_,comdat
	.globl	_ZN7rocprim17ROCPRIM_400000_NS6detail17trampoline_kernelINS0_14default_configENS1_22reduce_config_selectorIiEEZNS1_11reduce_implILb1ES3_PiS7_iN6hipcub16HIPCUB_304000_NS6detail34convert_binary_result_type_wrapperINS9_3SumENS9_22TransformInputIteratorIbN2at6native12_GLOBAL__N_19NonZeroOpIiEEPKilEEiEEEE10hipError_tPvRmT1_T2_T3_mT4_P12ihipStream_tbEUlT_E1_NS1_11comp_targetILNS1_3genE3ELNS1_11target_archE908ELNS1_3gpuE7ELNS1_3repE0EEENS1_30default_config_static_selectorELNS0_4arch9wavefront6targetE0EEEvSQ_ ; -- Begin function _ZN7rocprim17ROCPRIM_400000_NS6detail17trampoline_kernelINS0_14default_configENS1_22reduce_config_selectorIiEEZNS1_11reduce_implILb1ES3_PiS7_iN6hipcub16HIPCUB_304000_NS6detail34convert_binary_result_type_wrapperINS9_3SumENS9_22TransformInputIteratorIbN2at6native12_GLOBAL__N_19NonZeroOpIiEEPKilEEiEEEE10hipError_tPvRmT1_T2_T3_mT4_P12ihipStream_tbEUlT_E1_NS1_11comp_targetILNS1_3genE3ELNS1_11target_archE908ELNS1_3gpuE7ELNS1_3repE0EEENS1_30default_config_static_selectorELNS0_4arch9wavefront6targetE0EEEvSQ_
	.p2align	8
	.type	_ZN7rocprim17ROCPRIM_400000_NS6detail17trampoline_kernelINS0_14default_configENS1_22reduce_config_selectorIiEEZNS1_11reduce_implILb1ES3_PiS7_iN6hipcub16HIPCUB_304000_NS6detail34convert_binary_result_type_wrapperINS9_3SumENS9_22TransformInputIteratorIbN2at6native12_GLOBAL__N_19NonZeroOpIiEEPKilEEiEEEE10hipError_tPvRmT1_T2_T3_mT4_P12ihipStream_tbEUlT_E1_NS1_11comp_targetILNS1_3genE3ELNS1_11target_archE908ELNS1_3gpuE7ELNS1_3repE0EEENS1_30default_config_static_selectorELNS0_4arch9wavefront6targetE0EEEvSQ_,@function
_ZN7rocprim17ROCPRIM_400000_NS6detail17trampoline_kernelINS0_14default_configENS1_22reduce_config_selectorIiEEZNS1_11reduce_implILb1ES3_PiS7_iN6hipcub16HIPCUB_304000_NS6detail34convert_binary_result_type_wrapperINS9_3SumENS9_22TransformInputIteratorIbN2at6native12_GLOBAL__N_19NonZeroOpIiEEPKilEEiEEEE10hipError_tPvRmT1_T2_T3_mT4_P12ihipStream_tbEUlT_E1_NS1_11comp_targetILNS1_3genE3ELNS1_11target_archE908ELNS1_3gpuE7ELNS1_3repE0EEENS1_30default_config_static_selectorELNS0_4arch9wavefront6targetE0EEEvSQ_: ; @_ZN7rocprim17ROCPRIM_400000_NS6detail17trampoline_kernelINS0_14default_configENS1_22reduce_config_selectorIiEEZNS1_11reduce_implILb1ES3_PiS7_iN6hipcub16HIPCUB_304000_NS6detail34convert_binary_result_type_wrapperINS9_3SumENS9_22TransformInputIteratorIbN2at6native12_GLOBAL__N_19NonZeroOpIiEEPKilEEiEEEE10hipError_tPvRmT1_T2_T3_mT4_P12ihipStream_tbEUlT_E1_NS1_11comp_targetILNS1_3genE3ELNS1_11target_archE908ELNS1_3gpuE7ELNS1_3repE0EEENS1_30default_config_static_selectorELNS0_4arch9wavefront6targetE0EEEvSQ_
; %bb.0:
	.section	.rodata,"a",@progbits
	.p2align	6, 0x0
	.amdhsa_kernel _ZN7rocprim17ROCPRIM_400000_NS6detail17trampoline_kernelINS0_14default_configENS1_22reduce_config_selectorIiEEZNS1_11reduce_implILb1ES3_PiS7_iN6hipcub16HIPCUB_304000_NS6detail34convert_binary_result_type_wrapperINS9_3SumENS9_22TransformInputIteratorIbN2at6native12_GLOBAL__N_19NonZeroOpIiEEPKilEEiEEEE10hipError_tPvRmT1_T2_T3_mT4_P12ihipStream_tbEUlT_E1_NS1_11comp_targetILNS1_3genE3ELNS1_11target_archE908ELNS1_3gpuE7ELNS1_3repE0EEENS1_30default_config_static_selectorELNS0_4arch9wavefront6targetE0EEEvSQ_
		.amdhsa_group_segment_fixed_size 0
		.amdhsa_private_segment_fixed_size 0
		.amdhsa_kernarg_size 40
		.amdhsa_user_sgpr_count 2
		.amdhsa_user_sgpr_dispatch_ptr 0
		.amdhsa_user_sgpr_queue_ptr 0
		.amdhsa_user_sgpr_kernarg_segment_ptr 1
		.amdhsa_user_sgpr_dispatch_id 0
		.amdhsa_user_sgpr_private_segment_size 0
		.amdhsa_wavefront_size32 1
		.amdhsa_uses_dynamic_stack 0
		.amdhsa_enable_private_segment 0
		.amdhsa_system_sgpr_workgroup_id_x 1
		.amdhsa_system_sgpr_workgroup_id_y 0
		.amdhsa_system_sgpr_workgroup_id_z 0
		.amdhsa_system_sgpr_workgroup_info 0
		.amdhsa_system_vgpr_workitem_id 0
		.amdhsa_next_free_vgpr 1
		.amdhsa_next_free_sgpr 1
		.amdhsa_reserve_vcc 0
		.amdhsa_float_round_mode_32 0
		.amdhsa_float_round_mode_16_64 0
		.amdhsa_float_denorm_mode_32 3
		.amdhsa_float_denorm_mode_16_64 3
		.amdhsa_fp16_overflow 0
		.amdhsa_workgroup_processor_mode 1
		.amdhsa_memory_ordered 1
		.amdhsa_forward_progress 1
		.amdhsa_inst_pref_size 0
		.amdhsa_round_robin_scheduling 0
		.amdhsa_exception_fp_ieee_invalid_op 0
		.amdhsa_exception_fp_denorm_src 0
		.amdhsa_exception_fp_ieee_div_zero 0
		.amdhsa_exception_fp_ieee_overflow 0
		.amdhsa_exception_fp_ieee_underflow 0
		.amdhsa_exception_fp_ieee_inexact 0
		.amdhsa_exception_int_div_zero 0
	.end_amdhsa_kernel
	.section	.text._ZN7rocprim17ROCPRIM_400000_NS6detail17trampoline_kernelINS0_14default_configENS1_22reduce_config_selectorIiEEZNS1_11reduce_implILb1ES3_PiS7_iN6hipcub16HIPCUB_304000_NS6detail34convert_binary_result_type_wrapperINS9_3SumENS9_22TransformInputIteratorIbN2at6native12_GLOBAL__N_19NonZeroOpIiEEPKilEEiEEEE10hipError_tPvRmT1_T2_T3_mT4_P12ihipStream_tbEUlT_E1_NS1_11comp_targetILNS1_3genE3ELNS1_11target_archE908ELNS1_3gpuE7ELNS1_3repE0EEENS1_30default_config_static_selectorELNS0_4arch9wavefront6targetE0EEEvSQ_,"axG",@progbits,_ZN7rocprim17ROCPRIM_400000_NS6detail17trampoline_kernelINS0_14default_configENS1_22reduce_config_selectorIiEEZNS1_11reduce_implILb1ES3_PiS7_iN6hipcub16HIPCUB_304000_NS6detail34convert_binary_result_type_wrapperINS9_3SumENS9_22TransformInputIteratorIbN2at6native12_GLOBAL__N_19NonZeroOpIiEEPKilEEiEEEE10hipError_tPvRmT1_T2_T3_mT4_P12ihipStream_tbEUlT_E1_NS1_11comp_targetILNS1_3genE3ELNS1_11target_archE908ELNS1_3gpuE7ELNS1_3repE0EEENS1_30default_config_static_selectorELNS0_4arch9wavefront6targetE0EEEvSQ_,comdat
.Lfunc_end162:
	.size	_ZN7rocprim17ROCPRIM_400000_NS6detail17trampoline_kernelINS0_14default_configENS1_22reduce_config_selectorIiEEZNS1_11reduce_implILb1ES3_PiS7_iN6hipcub16HIPCUB_304000_NS6detail34convert_binary_result_type_wrapperINS9_3SumENS9_22TransformInputIteratorIbN2at6native12_GLOBAL__N_19NonZeroOpIiEEPKilEEiEEEE10hipError_tPvRmT1_T2_T3_mT4_P12ihipStream_tbEUlT_E1_NS1_11comp_targetILNS1_3genE3ELNS1_11target_archE908ELNS1_3gpuE7ELNS1_3repE0EEENS1_30default_config_static_selectorELNS0_4arch9wavefront6targetE0EEEvSQ_, .Lfunc_end162-_ZN7rocprim17ROCPRIM_400000_NS6detail17trampoline_kernelINS0_14default_configENS1_22reduce_config_selectorIiEEZNS1_11reduce_implILb1ES3_PiS7_iN6hipcub16HIPCUB_304000_NS6detail34convert_binary_result_type_wrapperINS9_3SumENS9_22TransformInputIteratorIbN2at6native12_GLOBAL__N_19NonZeroOpIiEEPKilEEiEEEE10hipError_tPvRmT1_T2_T3_mT4_P12ihipStream_tbEUlT_E1_NS1_11comp_targetILNS1_3genE3ELNS1_11target_archE908ELNS1_3gpuE7ELNS1_3repE0EEENS1_30default_config_static_selectorELNS0_4arch9wavefront6targetE0EEEvSQ_
                                        ; -- End function
	.set _ZN7rocprim17ROCPRIM_400000_NS6detail17trampoline_kernelINS0_14default_configENS1_22reduce_config_selectorIiEEZNS1_11reduce_implILb1ES3_PiS7_iN6hipcub16HIPCUB_304000_NS6detail34convert_binary_result_type_wrapperINS9_3SumENS9_22TransformInputIteratorIbN2at6native12_GLOBAL__N_19NonZeroOpIiEEPKilEEiEEEE10hipError_tPvRmT1_T2_T3_mT4_P12ihipStream_tbEUlT_E1_NS1_11comp_targetILNS1_3genE3ELNS1_11target_archE908ELNS1_3gpuE7ELNS1_3repE0EEENS1_30default_config_static_selectorELNS0_4arch9wavefront6targetE0EEEvSQ_.num_vgpr, 0
	.set _ZN7rocprim17ROCPRIM_400000_NS6detail17trampoline_kernelINS0_14default_configENS1_22reduce_config_selectorIiEEZNS1_11reduce_implILb1ES3_PiS7_iN6hipcub16HIPCUB_304000_NS6detail34convert_binary_result_type_wrapperINS9_3SumENS9_22TransformInputIteratorIbN2at6native12_GLOBAL__N_19NonZeroOpIiEEPKilEEiEEEE10hipError_tPvRmT1_T2_T3_mT4_P12ihipStream_tbEUlT_E1_NS1_11comp_targetILNS1_3genE3ELNS1_11target_archE908ELNS1_3gpuE7ELNS1_3repE0EEENS1_30default_config_static_selectorELNS0_4arch9wavefront6targetE0EEEvSQ_.num_agpr, 0
	.set _ZN7rocprim17ROCPRIM_400000_NS6detail17trampoline_kernelINS0_14default_configENS1_22reduce_config_selectorIiEEZNS1_11reduce_implILb1ES3_PiS7_iN6hipcub16HIPCUB_304000_NS6detail34convert_binary_result_type_wrapperINS9_3SumENS9_22TransformInputIteratorIbN2at6native12_GLOBAL__N_19NonZeroOpIiEEPKilEEiEEEE10hipError_tPvRmT1_T2_T3_mT4_P12ihipStream_tbEUlT_E1_NS1_11comp_targetILNS1_3genE3ELNS1_11target_archE908ELNS1_3gpuE7ELNS1_3repE0EEENS1_30default_config_static_selectorELNS0_4arch9wavefront6targetE0EEEvSQ_.numbered_sgpr, 0
	.set _ZN7rocprim17ROCPRIM_400000_NS6detail17trampoline_kernelINS0_14default_configENS1_22reduce_config_selectorIiEEZNS1_11reduce_implILb1ES3_PiS7_iN6hipcub16HIPCUB_304000_NS6detail34convert_binary_result_type_wrapperINS9_3SumENS9_22TransformInputIteratorIbN2at6native12_GLOBAL__N_19NonZeroOpIiEEPKilEEiEEEE10hipError_tPvRmT1_T2_T3_mT4_P12ihipStream_tbEUlT_E1_NS1_11comp_targetILNS1_3genE3ELNS1_11target_archE908ELNS1_3gpuE7ELNS1_3repE0EEENS1_30default_config_static_selectorELNS0_4arch9wavefront6targetE0EEEvSQ_.num_named_barrier, 0
	.set _ZN7rocprim17ROCPRIM_400000_NS6detail17trampoline_kernelINS0_14default_configENS1_22reduce_config_selectorIiEEZNS1_11reduce_implILb1ES3_PiS7_iN6hipcub16HIPCUB_304000_NS6detail34convert_binary_result_type_wrapperINS9_3SumENS9_22TransformInputIteratorIbN2at6native12_GLOBAL__N_19NonZeroOpIiEEPKilEEiEEEE10hipError_tPvRmT1_T2_T3_mT4_P12ihipStream_tbEUlT_E1_NS1_11comp_targetILNS1_3genE3ELNS1_11target_archE908ELNS1_3gpuE7ELNS1_3repE0EEENS1_30default_config_static_selectorELNS0_4arch9wavefront6targetE0EEEvSQ_.private_seg_size, 0
	.set _ZN7rocprim17ROCPRIM_400000_NS6detail17trampoline_kernelINS0_14default_configENS1_22reduce_config_selectorIiEEZNS1_11reduce_implILb1ES3_PiS7_iN6hipcub16HIPCUB_304000_NS6detail34convert_binary_result_type_wrapperINS9_3SumENS9_22TransformInputIteratorIbN2at6native12_GLOBAL__N_19NonZeroOpIiEEPKilEEiEEEE10hipError_tPvRmT1_T2_T3_mT4_P12ihipStream_tbEUlT_E1_NS1_11comp_targetILNS1_3genE3ELNS1_11target_archE908ELNS1_3gpuE7ELNS1_3repE0EEENS1_30default_config_static_selectorELNS0_4arch9wavefront6targetE0EEEvSQ_.uses_vcc, 0
	.set _ZN7rocprim17ROCPRIM_400000_NS6detail17trampoline_kernelINS0_14default_configENS1_22reduce_config_selectorIiEEZNS1_11reduce_implILb1ES3_PiS7_iN6hipcub16HIPCUB_304000_NS6detail34convert_binary_result_type_wrapperINS9_3SumENS9_22TransformInputIteratorIbN2at6native12_GLOBAL__N_19NonZeroOpIiEEPKilEEiEEEE10hipError_tPvRmT1_T2_T3_mT4_P12ihipStream_tbEUlT_E1_NS1_11comp_targetILNS1_3genE3ELNS1_11target_archE908ELNS1_3gpuE7ELNS1_3repE0EEENS1_30default_config_static_selectorELNS0_4arch9wavefront6targetE0EEEvSQ_.uses_flat_scratch, 0
	.set _ZN7rocprim17ROCPRIM_400000_NS6detail17trampoline_kernelINS0_14default_configENS1_22reduce_config_selectorIiEEZNS1_11reduce_implILb1ES3_PiS7_iN6hipcub16HIPCUB_304000_NS6detail34convert_binary_result_type_wrapperINS9_3SumENS9_22TransformInputIteratorIbN2at6native12_GLOBAL__N_19NonZeroOpIiEEPKilEEiEEEE10hipError_tPvRmT1_T2_T3_mT4_P12ihipStream_tbEUlT_E1_NS1_11comp_targetILNS1_3genE3ELNS1_11target_archE908ELNS1_3gpuE7ELNS1_3repE0EEENS1_30default_config_static_selectorELNS0_4arch9wavefront6targetE0EEEvSQ_.has_dyn_sized_stack, 0
	.set _ZN7rocprim17ROCPRIM_400000_NS6detail17trampoline_kernelINS0_14default_configENS1_22reduce_config_selectorIiEEZNS1_11reduce_implILb1ES3_PiS7_iN6hipcub16HIPCUB_304000_NS6detail34convert_binary_result_type_wrapperINS9_3SumENS9_22TransformInputIteratorIbN2at6native12_GLOBAL__N_19NonZeroOpIiEEPKilEEiEEEE10hipError_tPvRmT1_T2_T3_mT4_P12ihipStream_tbEUlT_E1_NS1_11comp_targetILNS1_3genE3ELNS1_11target_archE908ELNS1_3gpuE7ELNS1_3repE0EEENS1_30default_config_static_selectorELNS0_4arch9wavefront6targetE0EEEvSQ_.has_recursion, 0
	.set _ZN7rocprim17ROCPRIM_400000_NS6detail17trampoline_kernelINS0_14default_configENS1_22reduce_config_selectorIiEEZNS1_11reduce_implILb1ES3_PiS7_iN6hipcub16HIPCUB_304000_NS6detail34convert_binary_result_type_wrapperINS9_3SumENS9_22TransformInputIteratorIbN2at6native12_GLOBAL__N_19NonZeroOpIiEEPKilEEiEEEE10hipError_tPvRmT1_T2_T3_mT4_P12ihipStream_tbEUlT_E1_NS1_11comp_targetILNS1_3genE3ELNS1_11target_archE908ELNS1_3gpuE7ELNS1_3repE0EEENS1_30default_config_static_selectorELNS0_4arch9wavefront6targetE0EEEvSQ_.has_indirect_call, 0
	.section	.AMDGPU.csdata,"",@progbits
; Kernel info:
; codeLenInByte = 0
; TotalNumSgprs: 0
; NumVgprs: 0
; ScratchSize: 0
; MemoryBound: 0
; FloatMode: 240
; IeeeMode: 1
; LDSByteSize: 0 bytes/workgroup (compile time only)
; SGPRBlocks: 0
; VGPRBlocks: 0
; NumSGPRsForWavesPerEU: 1
; NumVGPRsForWavesPerEU: 1
; Occupancy: 16
; WaveLimiterHint : 0
; COMPUTE_PGM_RSRC2:SCRATCH_EN: 0
; COMPUTE_PGM_RSRC2:USER_SGPR: 2
; COMPUTE_PGM_RSRC2:TRAP_HANDLER: 0
; COMPUTE_PGM_RSRC2:TGID_X_EN: 1
; COMPUTE_PGM_RSRC2:TGID_Y_EN: 0
; COMPUTE_PGM_RSRC2:TGID_Z_EN: 0
; COMPUTE_PGM_RSRC2:TIDIG_COMP_CNT: 0
	.section	.text._ZN7rocprim17ROCPRIM_400000_NS6detail17trampoline_kernelINS0_14default_configENS1_22reduce_config_selectorIiEEZNS1_11reduce_implILb1ES3_PiS7_iN6hipcub16HIPCUB_304000_NS6detail34convert_binary_result_type_wrapperINS9_3SumENS9_22TransformInputIteratorIbN2at6native12_GLOBAL__N_19NonZeroOpIiEEPKilEEiEEEE10hipError_tPvRmT1_T2_T3_mT4_P12ihipStream_tbEUlT_E1_NS1_11comp_targetILNS1_3genE2ELNS1_11target_archE906ELNS1_3gpuE6ELNS1_3repE0EEENS1_30default_config_static_selectorELNS0_4arch9wavefront6targetE0EEEvSQ_,"axG",@progbits,_ZN7rocprim17ROCPRIM_400000_NS6detail17trampoline_kernelINS0_14default_configENS1_22reduce_config_selectorIiEEZNS1_11reduce_implILb1ES3_PiS7_iN6hipcub16HIPCUB_304000_NS6detail34convert_binary_result_type_wrapperINS9_3SumENS9_22TransformInputIteratorIbN2at6native12_GLOBAL__N_19NonZeroOpIiEEPKilEEiEEEE10hipError_tPvRmT1_T2_T3_mT4_P12ihipStream_tbEUlT_E1_NS1_11comp_targetILNS1_3genE2ELNS1_11target_archE906ELNS1_3gpuE6ELNS1_3repE0EEENS1_30default_config_static_selectorELNS0_4arch9wavefront6targetE0EEEvSQ_,comdat
	.globl	_ZN7rocprim17ROCPRIM_400000_NS6detail17trampoline_kernelINS0_14default_configENS1_22reduce_config_selectorIiEEZNS1_11reduce_implILb1ES3_PiS7_iN6hipcub16HIPCUB_304000_NS6detail34convert_binary_result_type_wrapperINS9_3SumENS9_22TransformInputIteratorIbN2at6native12_GLOBAL__N_19NonZeroOpIiEEPKilEEiEEEE10hipError_tPvRmT1_T2_T3_mT4_P12ihipStream_tbEUlT_E1_NS1_11comp_targetILNS1_3genE2ELNS1_11target_archE906ELNS1_3gpuE6ELNS1_3repE0EEENS1_30default_config_static_selectorELNS0_4arch9wavefront6targetE0EEEvSQ_ ; -- Begin function _ZN7rocprim17ROCPRIM_400000_NS6detail17trampoline_kernelINS0_14default_configENS1_22reduce_config_selectorIiEEZNS1_11reduce_implILb1ES3_PiS7_iN6hipcub16HIPCUB_304000_NS6detail34convert_binary_result_type_wrapperINS9_3SumENS9_22TransformInputIteratorIbN2at6native12_GLOBAL__N_19NonZeroOpIiEEPKilEEiEEEE10hipError_tPvRmT1_T2_T3_mT4_P12ihipStream_tbEUlT_E1_NS1_11comp_targetILNS1_3genE2ELNS1_11target_archE906ELNS1_3gpuE6ELNS1_3repE0EEENS1_30default_config_static_selectorELNS0_4arch9wavefront6targetE0EEEvSQ_
	.p2align	8
	.type	_ZN7rocprim17ROCPRIM_400000_NS6detail17trampoline_kernelINS0_14default_configENS1_22reduce_config_selectorIiEEZNS1_11reduce_implILb1ES3_PiS7_iN6hipcub16HIPCUB_304000_NS6detail34convert_binary_result_type_wrapperINS9_3SumENS9_22TransformInputIteratorIbN2at6native12_GLOBAL__N_19NonZeroOpIiEEPKilEEiEEEE10hipError_tPvRmT1_T2_T3_mT4_P12ihipStream_tbEUlT_E1_NS1_11comp_targetILNS1_3genE2ELNS1_11target_archE906ELNS1_3gpuE6ELNS1_3repE0EEENS1_30default_config_static_selectorELNS0_4arch9wavefront6targetE0EEEvSQ_,@function
_ZN7rocprim17ROCPRIM_400000_NS6detail17trampoline_kernelINS0_14default_configENS1_22reduce_config_selectorIiEEZNS1_11reduce_implILb1ES3_PiS7_iN6hipcub16HIPCUB_304000_NS6detail34convert_binary_result_type_wrapperINS9_3SumENS9_22TransformInputIteratorIbN2at6native12_GLOBAL__N_19NonZeroOpIiEEPKilEEiEEEE10hipError_tPvRmT1_T2_T3_mT4_P12ihipStream_tbEUlT_E1_NS1_11comp_targetILNS1_3genE2ELNS1_11target_archE906ELNS1_3gpuE6ELNS1_3repE0EEENS1_30default_config_static_selectorELNS0_4arch9wavefront6targetE0EEEvSQ_: ; @_ZN7rocprim17ROCPRIM_400000_NS6detail17trampoline_kernelINS0_14default_configENS1_22reduce_config_selectorIiEEZNS1_11reduce_implILb1ES3_PiS7_iN6hipcub16HIPCUB_304000_NS6detail34convert_binary_result_type_wrapperINS9_3SumENS9_22TransformInputIteratorIbN2at6native12_GLOBAL__N_19NonZeroOpIiEEPKilEEiEEEE10hipError_tPvRmT1_T2_T3_mT4_P12ihipStream_tbEUlT_E1_NS1_11comp_targetILNS1_3genE2ELNS1_11target_archE906ELNS1_3gpuE6ELNS1_3repE0EEENS1_30default_config_static_selectorELNS0_4arch9wavefront6targetE0EEEvSQ_
; %bb.0:
	.section	.rodata,"a",@progbits
	.p2align	6, 0x0
	.amdhsa_kernel _ZN7rocprim17ROCPRIM_400000_NS6detail17trampoline_kernelINS0_14default_configENS1_22reduce_config_selectorIiEEZNS1_11reduce_implILb1ES3_PiS7_iN6hipcub16HIPCUB_304000_NS6detail34convert_binary_result_type_wrapperINS9_3SumENS9_22TransformInputIteratorIbN2at6native12_GLOBAL__N_19NonZeroOpIiEEPKilEEiEEEE10hipError_tPvRmT1_T2_T3_mT4_P12ihipStream_tbEUlT_E1_NS1_11comp_targetILNS1_3genE2ELNS1_11target_archE906ELNS1_3gpuE6ELNS1_3repE0EEENS1_30default_config_static_selectorELNS0_4arch9wavefront6targetE0EEEvSQ_
		.amdhsa_group_segment_fixed_size 0
		.amdhsa_private_segment_fixed_size 0
		.amdhsa_kernarg_size 40
		.amdhsa_user_sgpr_count 2
		.amdhsa_user_sgpr_dispatch_ptr 0
		.amdhsa_user_sgpr_queue_ptr 0
		.amdhsa_user_sgpr_kernarg_segment_ptr 1
		.amdhsa_user_sgpr_dispatch_id 0
		.amdhsa_user_sgpr_private_segment_size 0
		.amdhsa_wavefront_size32 1
		.amdhsa_uses_dynamic_stack 0
		.amdhsa_enable_private_segment 0
		.amdhsa_system_sgpr_workgroup_id_x 1
		.amdhsa_system_sgpr_workgroup_id_y 0
		.amdhsa_system_sgpr_workgroup_id_z 0
		.amdhsa_system_sgpr_workgroup_info 0
		.amdhsa_system_vgpr_workitem_id 0
		.amdhsa_next_free_vgpr 1
		.amdhsa_next_free_sgpr 1
		.amdhsa_reserve_vcc 0
		.amdhsa_float_round_mode_32 0
		.amdhsa_float_round_mode_16_64 0
		.amdhsa_float_denorm_mode_32 3
		.amdhsa_float_denorm_mode_16_64 3
		.amdhsa_fp16_overflow 0
		.amdhsa_workgroup_processor_mode 1
		.amdhsa_memory_ordered 1
		.amdhsa_forward_progress 1
		.amdhsa_inst_pref_size 0
		.amdhsa_round_robin_scheduling 0
		.amdhsa_exception_fp_ieee_invalid_op 0
		.amdhsa_exception_fp_denorm_src 0
		.amdhsa_exception_fp_ieee_div_zero 0
		.amdhsa_exception_fp_ieee_overflow 0
		.amdhsa_exception_fp_ieee_underflow 0
		.amdhsa_exception_fp_ieee_inexact 0
		.amdhsa_exception_int_div_zero 0
	.end_amdhsa_kernel
	.section	.text._ZN7rocprim17ROCPRIM_400000_NS6detail17trampoline_kernelINS0_14default_configENS1_22reduce_config_selectorIiEEZNS1_11reduce_implILb1ES3_PiS7_iN6hipcub16HIPCUB_304000_NS6detail34convert_binary_result_type_wrapperINS9_3SumENS9_22TransformInputIteratorIbN2at6native12_GLOBAL__N_19NonZeroOpIiEEPKilEEiEEEE10hipError_tPvRmT1_T2_T3_mT4_P12ihipStream_tbEUlT_E1_NS1_11comp_targetILNS1_3genE2ELNS1_11target_archE906ELNS1_3gpuE6ELNS1_3repE0EEENS1_30default_config_static_selectorELNS0_4arch9wavefront6targetE0EEEvSQ_,"axG",@progbits,_ZN7rocprim17ROCPRIM_400000_NS6detail17trampoline_kernelINS0_14default_configENS1_22reduce_config_selectorIiEEZNS1_11reduce_implILb1ES3_PiS7_iN6hipcub16HIPCUB_304000_NS6detail34convert_binary_result_type_wrapperINS9_3SumENS9_22TransformInputIteratorIbN2at6native12_GLOBAL__N_19NonZeroOpIiEEPKilEEiEEEE10hipError_tPvRmT1_T2_T3_mT4_P12ihipStream_tbEUlT_E1_NS1_11comp_targetILNS1_3genE2ELNS1_11target_archE906ELNS1_3gpuE6ELNS1_3repE0EEENS1_30default_config_static_selectorELNS0_4arch9wavefront6targetE0EEEvSQ_,comdat
.Lfunc_end163:
	.size	_ZN7rocprim17ROCPRIM_400000_NS6detail17trampoline_kernelINS0_14default_configENS1_22reduce_config_selectorIiEEZNS1_11reduce_implILb1ES3_PiS7_iN6hipcub16HIPCUB_304000_NS6detail34convert_binary_result_type_wrapperINS9_3SumENS9_22TransformInputIteratorIbN2at6native12_GLOBAL__N_19NonZeroOpIiEEPKilEEiEEEE10hipError_tPvRmT1_T2_T3_mT4_P12ihipStream_tbEUlT_E1_NS1_11comp_targetILNS1_3genE2ELNS1_11target_archE906ELNS1_3gpuE6ELNS1_3repE0EEENS1_30default_config_static_selectorELNS0_4arch9wavefront6targetE0EEEvSQ_, .Lfunc_end163-_ZN7rocprim17ROCPRIM_400000_NS6detail17trampoline_kernelINS0_14default_configENS1_22reduce_config_selectorIiEEZNS1_11reduce_implILb1ES3_PiS7_iN6hipcub16HIPCUB_304000_NS6detail34convert_binary_result_type_wrapperINS9_3SumENS9_22TransformInputIteratorIbN2at6native12_GLOBAL__N_19NonZeroOpIiEEPKilEEiEEEE10hipError_tPvRmT1_T2_T3_mT4_P12ihipStream_tbEUlT_E1_NS1_11comp_targetILNS1_3genE2ELNS1_11target_archE906ELNS1_3gpuE6ELNS1_3repE0EEENS1_30default_config_static_selectorELNS0_4arch9wavefront6targetE0EEEvSQ_
                                        ; -- End function
	.set _ZN7rocprim17ROCPRIM_400000_NS6detail17trampoline_kernelINS0_14default_configENS1_22reduce_config_selectorIiEEZNS1_11reduce_implILb1ES3_PiS7_iN6hipcub16HIPCUB_304000_NS6detail34convert_binary_result_type_wrapperINS9_3SumENS9_22TransformInputIteratorIbN2at6native12_GLOBAL__N_19NonZeroOpIiEEPKilEEiEEEE10hipError_tPvRmT1_T2_T3_mT4_P12ihipStream_tbEUlT_E1_NS1_11comp_targetILNS1_3genE2ELNS1_11target_archE906ELNS1_3gpuE6ELNS1_3repE0EEENS1_30default_config_static_selectorELNS0_4arch9wavefront6targetE0EEEvSQ_.num_vgpr, 0
	.set _ZN7rocprim17ROCPRIM_400000_NS6detail17trampoline_kernelINS0_14default_configENS1_22reduce_config_selectorIiEEZNS1_11reduce_implILb1ES3_PiS7_iN6hipcub16HIPCUB_304000_NS6detail34convert_binary_result_type_wrapperINS9_3SumENS9_22TransformInputIteratorIbN2at6native12_GLOBAL__N_19NonZeroOpIiEEPKilEEiEEEE10hipError_tPvRmT1_T2_T3_mT4_P12ihipStream_tbEUlT_E1_NS1_11comp_targetILNS1_3genE2ELNS1_11target_archE906ELNS1_3gpuE6ELNS1_3repE0EEENS1_30default_config_static_selectorELNS0_4arch9wavefront6targetE0EEEvSQ_.num_agpr, 0
	.set _ZN7rocprim17ROCPRIM_400000_NS6detail17trampoline_kernelINS0_14default_configENS1_22reduce_config_selectorIiEEZNS1_11reduce_implILb1ES3_PiS7_iN6hipcub16HIPCUB_304000_NS6detail34convert_binary_result_type_wrapperINS9_3SumENS9_22TransformInputIteratorIbN2at6native12_GLOBAL__N_19NonZeroOpIiEEPKilEEiEEEE10hipError_tPvRmT1_T2_T3_mT4_P12ihipStream_tbEUlT_E1_NS1_11comp_targetILNS1_3genE2ELNS1_11target_archE906ELNS1_3gpuE6ELNS1_3repE0EEENS1_30default_config_static_selectorELNS0_4arch9wavefront6targetE0EEEvSQ_.numbered_sgpr, 0
	.set _ZN7rocprim17ROCPRIM_400000_NS6detail17trampoline_kernelINS0_14default_configENS1_22reduce_config_selectorIiEEZNS1_11reduce_implILb1ES3_PiS7_iN6hipcub16HIPCUB_304000_NS6detail34convert_binary_result_type_wrapperINS9_3SumENS9_22TransformInputIteratorIbN2at6native12_GLOBAL__N_19NonZeroOpIiEEPKilEEiEEEE10hipError_tPvRmT1_T2_T3_mT4_P12ihipStream_tbEUlT_E1_NS1_11comp_targetILNS1_3genE2ELNS1_11target_archE906ELNS1_3gpuE6ELNS1_3repE0EEENS1_30default_config_static_selectorELNS0_4arch9wavefront6targetE0EEEvSQ_.num_named_barrier, 0
	.set _ZN7rocprim17ROCPRIM_400000_NS6detail17trampoline_kernelINS0_14default_configENS1_22reduce_config_selectorIiEEZNS1_11reduce_implILb1ES3_PiS7_iN6hipcub16HIPCUB_304000_NS6detail34convert_binary_result_type_wrapperINS9_3SumENS9_22TransformInputIteratorIbN2at6native12_GLOBAL__N_19NonZeroOpIiEEPKilEEiEEEE10hipError_tPvRmT1_T2_T3_mT4_P12ihipStream_tbEUlT_E1_NS1_11comp_targetILNS1_3genE2ELNS1_11target_archE906ELNS1_3gpuE6ELNS1_3repE0EEENS1_30default_config_static_selectorELNS0_4arch9wavefront6targetE0EEEvSQ_.private_seg_size, 0
	.set _ZN7rocprim17ROCPRIM_400000_NS6detail17trampoline_kernelINS0_14default_configENS1_22reduce_config_selectorIiEEZNS1_11reduce_implILb1ES3_PiS7_iN6hipcub16HIPCUB_304000_NS6detail34convert_binary_result_type_wrapperINS9_3SumENS9_22TransformInputIteratorIbN2at6native12_GLOBAL__N_19NonZeroOpIiEEPKilEEiEEEE10hipError_tPvRmT1_T2_T3_mT4_P12ihipStream_tbEUlT_E1_NS1_11comp_targetILNS1_3genE2ELNS1_11target_archE906ELNS1_3gpuE6ELNS1_3repE0EEENS1_30default_config_static_selectorELNS0_4arch9wavefront6targetE0EEEvSQ_.uses_vcc, 0
	.set _ZN7rocprim17ROCPRIM_400000_NS6detail17trampoline_kernelINS0_14default_configENS1_22reduce_config_selectorIiEEZNS1_11reduce_implILb1ES3_PiS7_iN6hipcub16HIPCUB_304000_NS6detail34convert_binary_result_type_wrapperINS9_3SumENS9_22TransformInputIteratorIbN2at6native12_GLOBAL__N_19NonZeroOpIiEEPKilEEiEEEE10hipError_tPvRmT1_T2_T3_mT4_P12ihipStream_tbEUlT_E1_NS1_11comp_targetILNS1_3genE2ELNS1_11target_archE906ELNS1_3gpuE6ELNS1_3repE0EEENS1_30default_config_static_selectorELNS0_4arch9wavefront6targetE0EEEvSQ_.uses_flat_scratch, 0
	.set _ZN7rocprim17ROCPRIM_400000_NS6detail17trampoline_kernelINS0_14default_configENS1_22reduce_config_selectorIiEEZNS1_11reduce_implILb1ES3_PiS7_iN6hipcub16HIPCUB_304000_NS6detail34convert_binary_result_type_wrapperINS9_3SumENS9_22TransformInputIteratorIbN2at6native12_GLOBAL__N_19NonZeroOpIiEEPKilEEiEEEE10hipError_tPvRmT1_T2_T3_mT4_P12ihipStream_tbEUlT_E1_NS1_11comp_targetILNS1_3genE2ELNS1_11target_archE906ELNS1_3gpuE6ELNS1_3repE0EEENS1_30default_config_static_selectorELNS0_4arch9wavefront6targetE0EEEvSQ_.has_dyn_sized_stack, 0
	.set _ZN7rocprim17ROCPRIM_400000_NS6detail17trampoline_kernelINS0_14default_configENS1_22reduce_config_selectorIiEEZNS1_11reduce_implILb1ES3_PiS7_iN6hipcub16HIPCUB_304000_NS6detail34convert_binary_result_type_wrapperINS9_3SumENS9_22TransformInputIteratorIbN2at6native12_GLOBAL__N_19NonZeroOpIiEEPKilEEiEEEE10hipError_tPvRmT1_T2_T3_mT4_P12ihipStream_tbEUlT_E1_NS1_11comp_targetILNS1_3genE2ELNS1_11target_archE906ELNS1_3gpuE6ELNS1_3repE0EEENS1_30default_config_static_selectorELNS0_4arch9wavefront6targetE0EEEvSQ_.has_recursion, 0
	.set _ZN7rocprim17ROCPRIM_400000_NS6detail17trampoline_kernelINS0_14default_configENS1_22reduce_config_selectorIiEEZNS1_11reduce_implILb1ES3_PiS7_iN6hipcub16HIPCUB_304000_NS6detail34convert_binary_result_type_wrapperINS9_3SumENS9_22TransformInputIteratorIbN2at6native12_GLOBAL__N_19NonZeroOpIiEEPKilEEiEEEE10hipError_tPvRmT1_T2_T3_mT4_P12ihipStream_tbEUlT_E1_NS1_11comp_targetILNS1_3genE2ELNS1_11target_archE906ELNS1_3gpuE6ELNS1_3repE0EEENS1_30default_config_static_selectorELNS0_4arch9wavefront6targetE0EEEvSQ_.has_indirect_call, 0
	.section	.AMDGPU.csdata,"",@progbits
; Kernel info:
; codeLenInByte = 0
; TotalNumSgprs: 0
; NumVgprs: 0
; ScratchSize: 0
; MemoryBound: 0
; FloatMode: 240
; IeeeMode: 1
; LDSByteSize: 0 bytes/workgroup (compile time only)
; SGPRBlocks: 0
; VGPRBlocks: 0
; NumSGPRsForWavesPerEU: 1
; NumVGPRsForWavesPerEU: 1
; Occupancy: 16
; WaveLimiterHint : 0
; COMPUTE_PGM_RSRC2:SCRATCH_EN: 0
; COMPUTE_PGM_RSRC2:USER_SGPR: 2
; COMPUTE_PGM_RSRC2:TRAP_HANDLER: 0
; COMPUTE_PGM_RSRC2:TGID_X_EN: 1
; COMPUTE_PGM_RSRC2:TGID_Y_EN: 0
; COMPUTE_PGM_RSRC2:TGID_Z_EN: 0
; COMPUTE_PGM_RSRC2:TIDIG_COMP_CNT: 0
	.section	.text._ZN7rocprim17ROCPRIM_400000_NS6detail17trampoline_kernelINS0_14default_configENS1_22reduce_config_selectorIiEEZNS1_11reduce_implILb1ES3_PiS7_iN6hipcub16HIPCUB_304000_NS6detail34convert_binary_result_type_wrapperINS9_3SumENS9_22TransformInputIteratorIbN2at6native12_GLOBAL__N_19NonZeroOpIiEEPKilEEiEEEE10hipError_tPvRmT1_T2_T3_mT4_P12ihipStream_tbEUlT_E1_NS1_11comp_targetILNS1_3genE10ELNS1_11target_archE1201ELNS1_3gpuE5ELNS1_3repE0EEENS1_30default_config_static_selectorELNS0_4arch9wavefront6targetE0EEEvSQ_,"axG",@progbits,_ZN7rocprim17ROCPRIM_400000_NS6detail17trampoline_kernelINS0_14default_configENS1_22reduce_config_selectorIiEEZNS1_11reduce_implILb1ES3_PiS7_iN6hipcub16HIPCUB_304000_NS6detail34convert_binary_result_type_wrapperINS9_3SumENS9_22TransformInputIteratorIbN2at6native12_GLOBAL__N_19NonZeroOpIiEEPKilEEiEEEE10hipError_tPvRmT1_T2_T3_mT4_P12ihipStream_tbEUlT_E1_NS1_11comp_targetILNS1_3genE10ELNS1_11target_archE1201ELNS1_3gpuE5ELNS1_3repE0EEENS1_30default_config_static_selectorELNS0_4arch9wavefront6targetE0EEEvSQ_,comdat
	.globl	_ZN7rocprim17ROCPRIM_400000_NS6detail17trampoline_kernelINS0_14default_configENS1_22reduce_config_selectorIiEEZNS1_11reduce_implILb1ES3_PiS7_iN6hipcub16HIPCUB_304000_NS6detail34convert_binary_result_type_wrapperINS9_3SumENS9_22TransformInputIteratorIbN2at6native12_GLOBAL__N_19NonZeroOpIiEEPKilEEiEEEE10hipError_tPvRmT1_T2_T3_mT4_P12ihipStream_tbEUlT_E1_NS1_11comp_targetILNS1_3genE10ELNS1_11target_archE1201ELNS1_3gpuE5ELNS1_3repE0EEENS1_30default_config_static_selectorELNS0_4arch9wavefront6targetE0EEEvSQ_ ; -- Begin function _ZN7rocprim17ROCPRIM_400000_NS6detail17trampoline_kernelINS0_14default_configENS1_22reduce_config_selectorIiEEZNS1_11reduce_implILb1ES3_PiS7_iN6hipcub16HIPCUB_304000_NS6detail34convert_binary_result_type_wrapperINS9_3SumENS9_22TransformInputIteratorIbN2at6native12_GLOBAL__N_19NonZeroOpIiEEPKilEEiEEEE10hipError_tPvRmT1_T2_T3_mT4_P12ihipStream_tbEUlT_E1_NS1_11comp_targetILNS1_3genE10ELNS1_11target_archE1201ELNS1_3gpuE5ELNS1_3repE0EEENS1_30default_config_static_selectorELNS0_4arch9wavefront6targetE0EEEvSQ_
	.p2align	8
	.type	_ZN7rocprim17ROCPRIM_400000_NS6detail17trampoline_kernelINS0_14default_configENS1_22reduce_config_selectorIiEEZNS1_11reduce_implILb1ES3_PiS7_iN6hipcub16HIPCUB_304000_NS6detail34convert_binary_result_type_wrapperINS9_3SumENS9_22TransformInputIteratorIbN2at6native12_GLOBAL__N_19NonZeroOpIiEEPKilEEiEEEE10hipError_tPvRmT1_T2_T3_mT4_P12ihipStream_tbEUlT_E1_NS1_11comp_targetILNS1_3genE10ELNS1_11target_archE1201ELNS1_3gpuE5ELNS1_3repE0EEENS1_30default_config_static_selectorELNS0_4arch9wavefront6targetE0EEEvSQ_,@function
_ZN7rocprim17ROCPRIM_400000_NS6detail17trampoline_kernelINS0_14default_configENS1_22reduce_config_selectorIiEEZNS1_11reduce_implILb1ES3_PiS7_iN6hipcub16HIPCUB_304000_NS6detail34convert_binary_result_type_wrapperINS9_3SumENS9_22TransformInputIteratorIbN2at6native12_GLOBAL__N_19NonZeroOpIiEEPKilEEiEEEE10hipError_tPvRmT1_T2_T3_mT4_P12ihipStream_tbEUlT_E1_NS1_11comp_targetILNS1_3genE10ELNS1_11target_archE1201ELNS1_3gpuE5ELNS1_3repE0EEENS1_30default_config_static_selectorELNS0_4arch9wavefront6targetE0EEEvSQ_: ; @_ZN7rocprim17ROCPRIM_400000_NS6detail17trampoline_kernelINS0_14default_configENS1_22reduce_config_selectorIiEEZNS1_11reduce_implILb1ES3_PiS7_iN6hipcub16HIPCUB_304000_NS6detail34convert_binary_result_type_wrapperINS9_3SumENS9_22TransformInputIteratorIbN2at6native12_GLOBAL__N_19NonZeroOpIiEEPKilEEiEEEE10hipError_tPvRmT1_T2_T3_mT4_P12ihipStream_tbEUlT_E1_NS1_11comp_targetILNS1_3genE10ELNS1_11target_archE1201ELNS1_3gpuE5ELNS1_3repE0EEENS1_30default_config_static_selectorELNS0_4arch9wavefront6targetE0EEEvSQ_
; %bb.0:
	s_clause 0x1
	s_load_b32 s33, s[0:1], 0x4
	s_load_b128 s[36:39], s[0:1], 0x8
	s_mov_b32 s34, ttmp9
	s_wait_kmcnt 0x0
	s_cmp_lt_i32 s33, 8
	s_cbranch_scc1 .LBB164_11
; %bb.1:
	s_cmp_gt_i32 s33, 15
	s_cbranch_scc0 .LBB164_12
; %bb.2:
	s_cmp_gt_i32 s33, 31
	s_cbranch_scc0 .LBB164_13
; %bb.3:
	s_cmp_eq_u32 s33, 32
	s_mov_b32 s42, 0
	s_cbranch_scc0 .LBB164_14
; %bb.4:
	s_mov_b32 s35, 0
	s_lshl_b32 s2, s34, 13
	s_mov_b32 s3, s35
	s_lshr_b64 s[4:5], s[38:39], 13
	s_lshl_b64 s[6:7], s[2:3], 2
	s_cmp_lg_u64 s[4:5], s[34:35]
	s_add_nc_u64 s[40:41], s[36:37], s[6:7]
	s_cbranch_scc0 .LBB164_23
; %bb.5:
	v_lshlrev_b32_e32 v1, 2, v0
	s_mov_b32 s3, exec_lo
	s_clause 0x1f
	global_load_b32 v2, v1, s[40:41]
	global_load_b32 v3, v1, s[40:41] offset:1024
	global_load_b32 v4, v1, s[40:41] offset:2048
	global_load_b32 v5, v1, s[40:41] offset:3072
	global_load_b32 v6, v1, s[40:41] offset:4096
	global_load_b32 v7, v1, s[40:41] offset:5120
	global_load_b32 v8, v1, s[40:41] offset:6144
	global_load_b32 v9, v1, s[40:41] offset:7168
	global_load_b32 v10, v1, s[40:41] offset:8192
	global_load_b32 v11, v1, s[40:41] offset:9216
	global_load_b32 v12, v1, s[40:41] offset:10240
	global_load_b32 v13, v1, s[40:41] offset:11264
	global_load_b32 v14, v1, s[40:41] offset:12288
	global_load_b32 v15, v1, s[40:41] offset:13312
	global_load_b32 v16, v1, s[40:41] offset:14336
	global_load_b32 v17, v1, s[40:41] offset:15360
	global_load_b32 v18, v1, s[40:41] offset:16384
	global_load_b32 v19, v1, s[40:41] offset:17408
	global_load_b32 v20, v1, s[40:41] offset:18432
	global_load_b32 v21, v1, s[40:41] offset:19456
	global_load_b32 v22, v1, s[40:41] offset:20480
	global_load_b32 v23, v1, s[40:41] offset:21504
	global_load_b32 v24, v1, s[40:41] offset:22528
	global_load_b32 v25, v1, s[40:41] offset:23552
	global_load_b32 v26, v1, s[40:41] offset:24576
	global_load_b32 v27, v1, s[40:41] offset:25600
	global_load_b32 v28, v1, s[40:41] offset:26624
	global_load_b32 v29, v1, s[40:41] offset:27648
	global_load_b32 v30, v1, s[40:41] offset:28672
	global_load_b32 v31, v1, s[40:41] offset:29696
	global_load_b32 v32, v1, s[40:41] offset:30720
	global_load_b32 v1, v1, s[40:41] offset:31744
	s_wait_loadcnt 0x1e
	v_add_nc_u32_e32 v2, v3, v2
	s_wait_loadcnt 0x1c
	s_delay_alu instid0(VALU_DEP_1) | instskip(SKIP_1) | instid1(VALU_DEP_1)
	v_add3_u32 v2, v2, v4, v5
	s_wait_loadcnt 0x1a
	v_add3_u32 v2, v2, v6, v7
	s_wait_loadcnt 0x18
	s_delay_alu instid0(VALU_DEP_1) | instskip(SKIP_1) | instid1(VALU_DEP_1)
	v_add3_u32 v2, v2, v8, v9
	s_wait_loadcnt 0x16
	v_add3_u32 v2, v2, v10, v11
	;; [unrolled: 5-line block ×7, first 2 shown]
	s_wait_loadcnt 0x0
	s_delay_alu instid0(VALU_DEP_1) | instskip(NEXT) | instid1(VALU_DEP_1)
	v_add3_u32 v1, v2, v32, v1
	v_mov_b32_dpp v2, v1 quad_perm:[1,0,3,2] row_mask:0xf bank_mask:0xf
	s_delay_alu instid0(VALU_DEP_1) | instskip(NEXT) | instid1(VALU_DEP_1)
	v_add_nc_u32_e32 v1, v2, v1
	v_mov_b32_dpp v2, v1 quad_perm:[2,3,0,1] row_mask:0xf bank_mask:0xf
	s_delay_alu instid0(VALU_DEP_1) | instskip(NEXT) | instid1(VALU_DEP_1)
	v_add_nc_u32_e32 v1, v1, v2
	v_mov_b32_dpp v2, v1 row_ror:4 row_mask:0xf bank_mask:0xf
	s_delay_alu instid0(VALU_DEP_1) | instskip(NEXT) | instid1(VALU_DEP_1)
	v_add_nc_u32_e32 v1, v1, v2
	v_mov_b32_dpp v2, v1 row_ror:8 row_mask:0xf bank_mask:0xf
	s_delay_alu instid0(VALU_DEP_1)
	v_add_nc_u32_e32 v1, v1, v2
	ds_swizzle_b32 v2, v1 offset:swizzle(BROADCAST,32,15)
	s_wait_dscnt 0x0
	v_dual_mov_b32 v2, 0 :: v_dual_add_nc_u32 v1, v1, v2
	ds_bpermute_b32 v1, v2, v1 offset:124
	v_mbcnt_lo_u32_b32 v2, -1, 0
	s_delay_alu instid0(VALU_DEP_1)
	v_cmpx_eq_u32_e32 0, v2
	s_cbranch_execz .LBB164_7
; %bb.6:
	v_lshrrev_b32_e32 v3, 3, v0
	s_delay_alu instid0(VALU_DEP_1)
	v_and_b32_e32 v3, 28, v3
	s_wait_dscnt 0x0
	ds_store_b32 v3, v1 offset:96
.LBB164_7:
	s_or_b32 exec_lo, exec_lo, s3
	s_delay_alu instid0(SALU_CYCLE_1)
	s_mov_b32 s3, exec_lo
	s_wait_dscnt 0x0
	s_barrier_signal -1
	s_barrier_wait -1
	global_inv scope:SCOPE_SE
	v_cmpx_gt_u32_e32 32, v0
	s_cbranch_execz .LBB164_9
; %bb.8:
	v_lshl_or_b32 v1, v2, 2, 0x60
	v_and_b32_e32 v3, 7, v2
	ds_load_b32 v1, v1
	v_cmp_ne_u32_e32 vcc_lo, 7, v3
	v_add_co_ci_u32_e64 v4, null, 0, v2, vcc_lo
	v_cmp_gt_u32_e32 vcc_lo, 6, v3
	s_delay_alu instid0(VALU_DEP_2) | instskip(SKIP_2) | instid1(VALU_DEP_1)
	v_lshlrev_b32_e32 v4, 2, v4
	s_wait_alu 0xfffd
	v_cndmask_b32_e64 v3, 0, 2, vcc_lo
	v_add_lshl_u32 v3, v3, v2, 2
	v_lshlrev_b32_e32 v2, 2, v2
	s_wait_dscnt 0x0
	ds_bpermute_b32 v4, v4, v1
	v_or_b32_e32 v2, 16, v2
	s_wait_dscnt 0x0
	v_add_nc_u32_e32 v1, v4, v1
	ds_bpermute_b32 v3, v3, v1
	s_wait_dscnt 0x0
	v_add_nc_u32_e32 v1, v3, v1
	ds_bpermute_b32 v2, v2, v1
	s_wait_dscnt 0x0
	v_add_nc_u32_e32 v1, v2, v1
.LBB164_9:
	s_or_b32 exec_lo, exec_lo, s3
.LBB164_10:
	v_cmp_eq_u32_e64 s2, 0, v0
	s_and_b32 vcc_lo, exec_lo, s42
	s_wait_alu 0xfffe
	s_cbranch_vccnz .LBB164_15
	s_branch .LBB164_93
.LBB164_11:
	s_mov_b32 s2, 0
                                        ; implicit-def: $vgpr1
	s_cbranch_execnz .LBB164_166
	s_branch .LBB164_224
.LBB164_12:
	s_mov_b32 s2, 0
                                        ; implicit-def: $vgpr1
	s_cbranch_execnz .LBB164_134
	s_branch .LBB164_142
.LBB164_13:
	s_mov_b32 s42, -1
.LBB164_14:
	s_mov_b32 s2, 0
                                        ; implicit-def: $vgpr1
	s_and_b32 vcc_lo, exec_lo, s42
	s_cbranch_vccz .LBB164_93
.LBB164_15:
	s_cmp_eq_u32 s33, 16
	s_cbranch_scc0 .LBB164_22
; %bb.16:
	s_mov_b32 s35, 0
	s_lshl_b32 s2, s34, 12
	s_mov_b32 s3, s35
	s_lshr_b64 s[4:5], s[38:39], 12
	s_wait_alu 0xfffe
	s_lshl_b64 s[6:7], s[2:3], 2
	s_cmp_lg_u64 s[4:5], s[34:35]
	s_wait_alu 0xfffe
	s_add_nc_u64 s[16:17], s[36:37], s[6:7]
	s_cbranch_scc0 .LBB164_94
; %bb.17:
	v_lshlrev_b32_e32 v1, 2, v0
	s_mov_b32 s3, exec_lo
	s_clause 0xf
	global_load_b32 v2, v1, s[16:17]
	global_load_b32 v3, v1, s[16:17] offset:1024
	global_load_b32 v4, v1, s[16:17] offset:2048
	;; [unrolled: 1-line block ×15, first 2 shown]
	s_wait_loadcnt 0xe
	v_add_nc_u32_e32 v2, v3, v2
	s_wait_loadcnt 0xc
	s_delay_alu instid0(VALU_DEP_1) | instskip(SKIP_1) | instid1(VALU_DEP_1)
	v_add3_u32 v2, v2, v4, v5
	s_wait_loadcnt 0xa
	v_add3_u32 v2, v2, v6, v7
	s_wait_loadcnt 0x8
	s_delay_alu instid0(VALU_DEP_1) | instskip(SKIP_1) | instid1(VALU_DEP_1)
	v_add3_u32 v2, v2, v8, v9
	s_wait_loadcnt 0x6
	v_add3_u32 v2, v2, v10, v11
	s_wait_loadcnt 0x4
	s_delay_alu instid0(VALU_DEP_1) | instskip(SKIP_1) | instid1(VALU_DEP_1)
	v_add3_u32 v2, v2, v12, v13
	s_wait_loadcnt 0x2
	v_add3_u32 v2, v2, v14, v15
	s_wait_loadcnt 0x0
	s_delay_alu instid0(VALU_DEP_1) | instskip(NEXT) | instid1(VALU_DEP_1)
	v_add3_u32 v1, v2, v16, v1
	v_mov_b32_dpp v2, v1 quad_perm:[1,0,3,2] row_mask:0xf bank_mask:0xf
	s_delay_alu instid0(VALU_DEP_1) | instskip(NEXT) | instid1(VALU_DEP_1)
	v_add_nc_u32_e32 v1, v2, v1
	v_mov_b32_dpp v2, v1 quad_perm:[2,3,0,1] row_mask:0xf bank_mask:0xf
	s_delay_alu instid0(VALU_DEP_1) | instskip(NEXT) | instid1(VALU_DEP_1)
	v_add_nc_u32_e32 v1, v1, v2
	v_mov_b32_dpp v2, v1 row_ror:4 row_mask:0xf bank_mask:0xf
	s_delay_alu instid0(VALU_DEP_1) | instskip(NEXT) | instid1(VALU_DEP_1)
	v_add_nc_u32_e32 v1, v1, v2
	v_mov_b32_dpp v2, v1 row_ror:8 row_mask:0xf bank_mask:0xf
	s_delay_alu instid0(VALU_DEP_1)
	v_add_nc_u32_e32 v1, v1, v2
	ds_swizzle_b32 v2, v1 offset:swizzle(BROADCAST,32,15)
	s_wait_dscnt 0x0
	v_dual_mov_b32 v2, 0 :: v_dual_add_nc_u32 v1, v1, v2
	ds_bpermute_b32 v1, v2, v1 offset:124
	v_mbcnt_lo_u32_b32 v2, -1, 0
	s_delay_alu instid0(VALU_DEP_1)
	v_cmpx_eq_u32_e32 0, v2
	s_cbranch_execz .LBB164_19
; %bb.18:
	v_lshrrev_b32_e32 v3, 3, v0
	s_delay_alu instid0(VALU_DEP_1)
	v_and_b32_e32 v3, 28, v3
	s_wait_dscnt 0x0
	ds_store_b32 v3, v1
.LBB164_19:
	s_wait_alu 0xfffe
	s_or_b32 exec_lo, exec_lo, s3
	s_delay_alu instid0(SALU_CYCLE_1)
	s_mov_b32 s3, exec_lo
	s_wait_dscnt 0x0
	s_barrier_signal -1
	s_barrier_wait -1
	global_inv scope:SCOPE_SE
	v_cmpx_gt_u32_e32 32, v0
	s_cbranch_execz .LBB164_21
; %bb.20:
	v_and_b32_e32 v1, 7, v2
	s_delay_alu instid0(VALU_DEP_1)
	v_lshlrev_b32_e32 v3, 2, v1
	v_cmp_ne_u32_e32 vcc_lo, 7, v1
	ds_load_b32 v3, v3
	s_wait_alu 0xfffd
	v_add_co_ci_u32_e64 v4, null, 0, v2, vcc_lo
	v_cmp_gt_u32_e32 vcc_lo, 6, v1
	s_delay_alu instid0(VALU_DEP_2) | instskip(SKIP_2) | instid1(VALU_DEP_1)
	v_lshlrev_b32_e32 v4, 2, v4
	s_wait_alu 0xfffd
	v_cndmask_b32_e64 v1, 0, 2, vcc_lo
	v_add_lshl_u32 v1, v1, v2, 2
	v_lshlrev_b32_e32 v2, 2, v2
	s_delay_alu instid0(VALU_DEP_1)
	v_or_b32_e32 v2, 16, v2
	s_wait_dscnt 0x0
	ds_bpermute_b32 v4, v4, v3
	s_wait_dscnt 0x0
	v_add_nc_u32_e32 v3, v4, v3
	ds_bpermute_b32 v1, v1, v3
	s_wait_dscnt 0x0
	v_add_nc_u32_e32 v1, v1, v3
	;; [unrolled: 3-line block ×3, first 2 shown]
.LBB164_21:
	s_wait_alu 0xfffe
	s_or_b32 exec_lo, exec_lo, s3
	s_mov_b32 s3, 0
	s_branch .LBB164_95
.LBB164_22:
                                        ; implicit-def: $vgpr1
	s_branch .LBB164_142
.LBB164_23:
                                        ; implicit-def: $vgpr1
	s_cbranch_execz .LBB164_10
; %bb.24:
	v_mov_b32_e32 v1, 0
	s_sub_co_i32 s43, s38, s2
	s_delay_alu instid0(SALU_CYCLE_1) | instskip(NEXT) | instid1(VALU_DEP_2)
	v_cmp_gt_u32_e32 vcc_lo, s43, v0
	v_dual_mov_b32 v2, v1 :: v_dual_mov_b32 v3, v1
	v_dual_mov_b32 v4, v1 :: v_dual_mov_b32 v5, v1
	v_dual_mov_b32 v6, v1 :: v_dual_mov_b32 v7, v1
	v_dual_mov_b32 v8, v1 :: v_dual_mov_b32 v9, v1
	v_dual_mov_b32 v10, v1 :: v_dual_mov_b32 v11, v1
	v_dual_mov_b32 v12, v1 :: v_dual_mov_b32 v13, v1
	v_dual_mov_b32 v14, v1 :: v_dual_mov_b32 v15, v1
	v_dual_mov_b32 v16, v1 :: v_dual_mov_b32 v17, v1
	v_dual_mov_b32 v18, v1 :: v_dual_mov_b32 v19, v1
	v_dual_mov_b32 v20, v1 :: v_dual_mov_b32 v21, v1
	v_dual_mov_b32 v22, v1 :: v_dual_mov_b32 v23, v1
	v_dual_mov_b32 v24, v1 :: v_dual_mov_b32 v25, v1
	v_dual_mov_b32 v26, v1 :: v_dual_mov_b32 v27, v1
	v_dual_mov_b32 v28, v1 :: v_dual_mov_b32 v29, v1
	v_dual_mov_b32 v30, v1 :: v_dual_mov_b32 v31, v1
	v_mov_b32_e32 v32, v1
	s_and_saveexec_b32 s2, vcc_lo
	s_cbranch_execz .LBB164_26
; %bb.25:
	v_dual_mov_b32 v3, v1 :: v_dual_lshlrev_b32 v2, 2, v0
	v_dual_mov_b32 v32, v1 :: v_dual_mov_b32 v33, v1
	v_dual_mov_b32 v4, v1 :: v_dual_mov_b32 v5, v1
	global_load_b32 v2, v2, s[40:41]
	v_dual_mov_b32 v6, v1 :: v_dual_mov_b32 v7, v1
	v_dual_mov_b32 v8, v1 :: v_dual_mov_b32 v9, v1
	;; [unrolled: 1-line block ×13, first 2 shown]
	s_wait_loadcnt 0x0
	v_mov_b32_e32 v1, v2
	v_mov_b32_e32 v2, v3
	;; [unrolled: 1-line block ×32, first 2 shown]
.LBB164_26:
	s_or_b32 exec_lo, exec_lo, s2
	v_or_b32_e32 v33, 0x100, v0
	s_delay_alu instid0(VALU_DEP_1)
	v_cmp_gt_u32_e32 vcc_lo, s43, v33
	s_and_saveexec_b32 s2, vcc_lo
	s_cbranch_execz .LBB164_28
; %bb.27:
	v_lshlrev_b32_e32 v2, 2, v0
	global_load_b32 v2, v2, s[40:41] offset:1024
.LBB164_28:
	s_or_b32 exec_lo, exec_lo, s2
	v_or_b32_e32 v33, 0x200, v0
	s_delay_alu instid0(VALU_DEP_1)
	v_cmp_gt_u32_e64 s2, s43, v33
	s_and_saveexec_b32 s3, s2
	s_cbranch_execz .LBB164_30
; %bb.29:
	v_lshlrev_b32_e32 v3, 2, v0
	global_load_b32 v3, v3, s[40:41] offset:2048
.LBB164_30:
	s_or_b32 exec_lo, exec_lo, s3
	v_or_b32_e32 v33, 0x300, v0
	s_delay_alu instid0(VALU_DEP_1)
	v_cmp_gt_u32_e64 s3, s43, v33
	s_and_saveexec_b32 s4, s3
	;; [unrolled: 10-line block ×30, first 2 shown]
	s_cbranch_execz .LBB164_88
; %bb.87:
	v_lshlrev_b32_e32 v32, 2, v0
	global_load_b32 v32, v32, s[40:41] offset:31744
.LBB164_88:
	s_or_b32 exec_lo, exec_lo, s44
	s_wait_loadcnt 0x0
	v_cndmask_b32_e32 v2, 0, v2, vcc_lo
	v_cndmask_b32_e64 v3, 0, v3, s2
	v_cndmask_b32_e64 v4, 0, v4, s3
	s_min_u32 s2, s43, 0x100
	s_mov_b32 s3, exec_lo
	v_add_nc_u32_e32 v1, v2, v1
	v_cndmask_b32_e64 v2, 0, v5, s4
	v_cndmask_b32_e64 v5, 0, v6, s5
	;; [unrolled: 1-line block ×3, first 2 shown]
	s_delay_alu instid0(VALU_DEP_4) | instskip(SKIP_3) | instid1(VALU_DEP_4)
	v_add3_u32 v1, v1, v3, v4
	v_cndmask_b32_e64 v3, 0, v7, s6
	v_cndmask_b32_e64 v4, 0, v8, s7
	v_cndmask_b32_e64 v7, 0, v31, s30
	v_add3_u32 v1, v1, v2, v5
	v_cndmask_b32_e64 v2, 0, v9, s8
	v_cndmask_b32_e64 v5, 0, v10, s9
	s_delay_alu instid0(VALU_DEP_3) | instskip(SKIP_2) | instid1(VALU_DEP_3)
	v_add3_u32 v1, v1, v3, v4
	v_cndmask_b32_e64 v3, 0, v11, s10
	v_cndmask_b32_e64 v4, 0, v12, s11
	v_add3_u32 v1, v1, v2, v5
	v_cndmask_b32_e64 v2, 0, v13, s12
	v_cndmask_b32_e64 v5, 0, v14, s13
	s_delay_alu instid0(VALU_DEP_3) | instskip(SKIP_2) | instid1(VALU_DEP_3)
	v_add3_u32 v1, v1, v3, v4
	v_cndmask_b32_e64 v3, 0, v15, s14
	v_cndmask_b32_e64 v4, 0, v16, s15
	;; [unrolled: 7-line block ×5, first 2 shown]
	v_add3_u32 v1, v1, v2, v5
	v_mbcnt_lo_u32_b32 v2, -1, 0
	v_cndmask_b32_e64 v5, 0, v29, s28
	s_delay_alu instid0(VALU_DEP_3) | instskip(NEXT) | instid1(VALU_DEP_3)
	v_add3_u32 v1, v1, v3, v4
	v_cmp_ne_u32_e32 vcc_lo, 31, v2
	v_cndmask_b32_e64 v3, 0, v32, s31
	s_delay_alu instid0(VALU_DEP_3)
	v_add3_u32 v1, v1, v5, v6
	s_wait_alu 0xfffd
	v_add_co_ci_u32_e64 v4, null, 0, v2, vcc_lo
	v_add_nc_u32_e32 v5, 1, v2
	v_cmp_gt_u32_e32 vcc_lo, 30, v2
	v_add3_u32 v1, v1, v7, v3
	s_delay_alu instid0(VALU_DEP_4)
	v_lshlrev_b32_e32 v4, 2, v4
	s_wait_alu 0xfffd
	v_cndmask_b32_e64 v6, 0, 2, vcc_lo
	ds_bpermute_b32 v3, v4, v1
	v_and_b32_e32 v4, 0xe0, v0
	s_wait_alu 0xfffe
	s_delay_alu instid0(VALU_DEP_1) | instskip(NEXT) | instid1(VALU_DEP_1)
	v_sub_nc_u32_e64 v4, s2, v4 clamp
	v_cmp_lt_u32_e32 vcc_lo, v5, v4
	v_add_lshl_u32 v5, v6, v2, 2
	s_wait_dscnt 0x0
	s_wait_alu 0xfffd
	v_cndmask_b32_e32 v3, 0, v3, vcc_lo
	v_cmp_gt_u32_e32 vcc_lo, 28, v2
	s_delay_alu instid0(VALU_DEP_2) | instskip(SKIP_4) | instid1(VALU_DEP_1)
	v_add_nc_u32_e32 v1, v1, v3
	s_wait_alu 0xfffd
	v_cndmask_b32_e64 v6, 0, 4, vcc_lo
	ds_bpermute_b32 v3, v5, v1
	v_add_nc_u32_e32 v5, 2, v2
	v_cmp_lt_u32_e32 vcc_lo, v5, v4
	v_add_lshl_u32 v5, v6, v2, 2
	s_wait_dscnt 0x0
	s_wait_alu 0xfffd
	v_cndmask_b32_e32 v3, 0, v3, vcc_lo
	v_cmp_gt_u32_e32 vcc_lo, 24, v2
	s_delay_alu instid0(VALU_DEP_2) | instskip(SKIP_4) | instid1(VALU_DEP_1)
	v_add_nc_u32_e32 v1, v1, v3
	s_wait_alu 0xfffd
	v_cndmask_b32_e64 v6, 0, 8, vcc_lo
	ds_bpermute_b32 v3, v5, v1
	v_add_nc_u32_e32 v5, 4, v2
	v_cmp_lt_u32_e32 vcc_lo, v5, v4
	v_add_lshl_u32 v5, v6, v2, 2
	s_wait_dscnt 0x0
	s_wait_alu 0xfffd
	v_cndmask_b32_e32 v3, 0, v3, vcc_lo
	s_delay_alu instid0(VALU_DEP_1) | instskip(SKIP_3) | instid1(VALU_DEP_1)
	v_add_nc_u32_e32 v1, v1, v3
	v_lshlrev_b32_e32 v3, 2, v2
	ds_bpermute_b32 v5, v5, v1
	v_add_nc_u32_e32 v6, 8, v2
	v_cmp_lt_u32_e32 vcc_lo, v6, v4
	v_or_b32_e32 v6, 64, v3
	s_wait_dscnt 0x0
	s_wait_alu 0xfffd
	v_cndmask_b32_e32 v5, 0, v5, vcc_lo
	s_delay_alu instid0(VALU_DEP_1) | instskip(SKIP_2) | instid1(VALU_DEP_1)
	v_add_nc_u32_e32 v1, v1, v5
	ds_bpermute_b32 v5, v6, v1
	v_add_nc_u32_e32 v6, 16, v2
	v_cmp_lt_u32_e32 vcc_lo, v6, v4
	s_wait_dscnt 0x0
	s_wait_alu 0xfffd
	v_cndmask_b32_e32 v4, 0, v5, vcc_lo
	s_delay_alu instid0(VALU_DEP_1)
	v_add_nc_u32_e32 v1, v1, v4
	v_cmpx_eq_u32_e32 0, v2
; %bb.89:
	v_lshrrev_b32_e32 v4, 3, v0
	s_delay_alu instid0(VALU_DEP_1)
	v_and_b32_e32 v4, 28, v4
	ds_store_b32 v4, v1 offset:192
; %bb.90:
	s_or_b32 exec_lo, exec_lo, s3
	s_delay_alu instid0(SALU_CYCLE_1)
	s_mov_b32 s3, exec_lo
	s_wait_dscnt 0x0
	s_barrier_signal -1
	s_barrier_wait -1
	global_inv scope:SCOPE_SE
	v_cmpx_gt_u32_e32 8, v0
	s_cbranch_execz .LBB164_92
; %bb.91:
	ds_load_b32 v1, v3 offset:192
	v_and_b32_e32 v4, 7, v2
	s_add_co_i32 s2, s2, 31
	s_wait_alu 0xfffe
	s_lshr_b32 s2, s2, 5
	s_delay_alu instid0(VALU_DEP_1) | instskip(SKIP_4) | instid1(VALU_DEP_2)
	v_cmp_ne_u32_e32 vcc_lo, 7, v4
	v_add_nc_u32_e32 v6, 1, v4
	s_wait_alu 0xfffd
	v_add_co_ci_u32_e64 v5, null, 0, v2, vcc_lo
	v_cmp_gt_u32_e32 vcc_lo, 6, v4
	v_lshlrev_b32_e32 v5, 2, v5
	s_wait_alu 0xfffd
	v_cndmask_b32_e64 v7, 0, 2, vcc_lo
	s_wait_alu 0xfffe
	v_cmp_gt_u32_e32 vcc_lo, s2, v6
	s_wait_dscnt 0x0
	ds_bpermute_b32 v5, v5, v1
	v_add_lshl_u32 v2, v7, v2, 2
	s_wait_dscnt 0x0
	s_wait_alu 0xfffd
	v_cndmask_b32_e32 v5, 0, v5, vcc_lo
	s_delay_alu instid0(VALU_DEP_1)
	v_add_nc_u32_e32 v1, v5, v1
	v_add_nc_u32_e32 v5, 2, v4
	ds_bpermute_b32 v2, v2, v1
	v_cmp_gt_u32_e32 vcc_lo, s2, v5
	s_wait_dscnt 0x0
	s_wait_alu 0xfffd
	v_cndmask_b32_e32 v2, 0, v2, vcc_lo
	s_delay_alu instid0(VALU_DEP_1)
	v_add_nc_u32_e32 v1, v1, v2
	v_or_b32_e32 v2, 16, v3
	v_add_nc_u32_e32 v3, 4, v4
	ds_bpermute_b32 v2, v2, v1
	v_cmp_gt_u32_e32 vcc_lo, s2, v3
	s_wait_dscnt 0x0
	s_wait_alu 0xfffd
	v_cndmask_b32_e32 v2, 0, v2, vcc_lo
	s_delay_alu instid0(VALU_DEP_1)
	v_add_nc_u32_e32 v1, v1, v2
.LBB164_92:
	s_wait_alu 0xfffe
	s_or_b32 exec_lo, exec_lo, s3
	v_cmp_eq_u32_e64 s2, 0, v0
	s_and_b32 vcc_lo, exec_lo, s42
	s_wait_alu 0xfffe
	s_cbranch_vccnz .LBB164_15
.LBB164_93:
	s_branch .LBB164_142
.LBB164_94:
	s_mov_b32 s3, -1
                                        ; implicit-def: $vgpr1
.LBB164_95:
	s_wait_alu 0xfffe
	s_and_b32 vcc_lo, exec_lo, s3
	s_wait_alu 0xfffe
	s_cbranch_vccz .LBB164_133
; %bb.96:
	v_mov_b32_e32 v1, 0
	s_sub_co_i32 s18, s38, s2
	s_mov_b32 s2, exec_lo
	s_delay_alu instid0(VALU_DEP_1)
	v_dual_mov_b32 v2, v1 :: v_dual_mov_b32 v3, v1
	v_dual_mov_b32 v4, v1 :: v_dual_mov_b32 v5, v1
	v_dual_mov_b32 v6, v1 :: v_dual_mov_b32 v7, v1
	v_dual_mov_b32 v8, v1 :: v_dual_mov_b32 v9, v1
	v_dual_mov_b32 v10, v1 :: v_dual_mov_b32 v11, v1
	v_dual_mov_b32 v12, v1 :: v_dual_mov_b32 v13, v1
	v_dual_mov_b32 v14, v1 :: v_dual_mov_b32 v15, v1
	v_mov_b32_e32 v16, v1
	s_wait_alu 0xfffe
	v_cmpx_gt_u32_e64 s18, v0
	s_cbranch_execz .LBB164_98
; %bb.97:
	v_dual_mov_b32 v3, v1 :: v_dual_lshlrev_b32 v2, 2, v0
	v_dual_mov_b32 v16, v1 :: v_dual_mov_b32 v17, v1
	v_dual_mov_b32 v4, v1 :: v_dual_mov_b32 v5, v1
	global_load_b32 v2, v2, s[16:17]
	v_dual_mov_b32 v6, v1 :: v_dual_mov_b32 v7, v1
	v_dual_mov_b32 v8, v1 :: v_dual_mov_b32 v9, v1
	;; [unrolled: 1-line block ×5, first 2 shown]
	s_wait_loadcnt 0x0
	v_mov_b32_e32 v1, v2
	v_mov_b32_e32 v2, v3
	;; [unrolled: 1-line block ×16, first 2 shown]
.LBB164_98:
	s_or_b32 exec_lo, exec_lo, s2
	v_or_b32_e32 v17, 0x100, v0
	s_delay_alu instid0(VALU_DEP_1)
	v_cmp_gt_u32_e32 vcc_lo, s18, v17
	s_and_saveexec_b32 s2, vcc_lo
	s_cbranch_execz .LBB164_100
; %bb.99:
	v_lshlrev_b32_e32 v2, 2, v0
	global_load_b32 v2, v2, s[16:17] offset:1024
.LBB164_100:
	s_wait_alu 0xfffe
	s_or_b32 exec_lo, exec_lo, s2
	v_or_b32_e32 v17, 0x200, v0
	s_delay_alu instid0(VALU_DEP_1)
	v_cmp_gt_u32_e64 s2, s18, v17
	s_and_saveexec_b32 s3, s2
	s_cbranch_execz .LBB164_102
; %bb.101:
	v_lshlrev_b32_e32 v3, 2, v0
	global_load_b32 v3, v3, s[16:17] offset:2048
.LBB164_102:
	s_wait_alu 0xfffe
	s_or_b32 exec_lo, exec_lo, s3
	v_or_b32_e32 v17, 0x300, v0
	s_delay_alu instid0(VALU_DEP_1)
	v_cmp_gt_u32_e64 s3, s18, v17
	s_and_saveexec_b32 s4, s3
	s_cbranch_execz .LBB164_104
; %bb.103:
	v_lshlrev_b32_e32 v4, 2, v0
	global_load_b32 v4, v4, s[16:17] offset:3072
.LBB164_104:
	s_wait_alu 0xfffe
	s_or_b32 exec_lo, exec_lo, s4
	v_or_b32_e32 v17, 0x400, v0
	s_delay_alu instid0(VALU_DEP_1)
	v_cmp_gt_u32_e64 s4, s18, v17
	s_and_saveexec_b32 s5, s4
	s_cbranch_execz .LBB164_106
; %bb.105:
	v_lshlrev_b32_e32 v5, 2, v0
	global_load_b32 v5, v5, s[16:17] offset:4096
.LBB164_106:
	s_wait_alu 0xfffe
	s_or_b32 exec_lo, exec_lo, s5
	v_or_b32_e32 v17, 0x500, v0
	s_delay_alu instid0(VALU_DEP_1)
	v_cmp_gt_u32_e64 s5, s18, v17
	s_and_saveexec_b32 s6, s5
	s_cbranch_execz .LBB164_108
; %bb.107:
	v_lshlrev_b32_e32 v6, 2, v0
	global_load_b32 v6, v6, s[16:17] offset:5120
.LBB164_108:
	s_wait_alu 0xfffe
	s_or_b32 exec_lo, exec_lo, s6
	v_or_b32_e32 v17, 0x600, v0
	s_delay_alu instid0(VALU_DEP_1)
	v_cmp_gt_u32_e64 s6, s18, v17
	s_and_saveexec_b32 s7, s6
	s_cbranch_execz .LBB164_110
; %bb.109:
	v_lshlrev_b32_e32 v7, 2, v0
	global_load_b32 v7, v7, s[16:17] offset:6144
.LBB164_110:
	s_wait_alu 0xfffe
	s_or_b32 exec_lo, exec_lo, s7
	v_or_b32_e32 v17, 0x700, v0
	s_delay_alu instid0(VALU_DEP_1)
	v_cmp_gt_u32_e64 s7, s18, v17
	s_and_saveexec_b32 s8, s7
	s_cbranch_execz .LBB164_112
; %bb.111:
	v_lshlrev_b32_e32 v8, 2, v0
	global_load_b32 v8, v8, s[16:17] offset:7168
.LBB164_112:
	s_wait_alu 0xfffe
	s_or_b32 exec_lo, exec_lo, s8
	v_or_b32_e32 v17, 0x800, v0
	s_delay_alu instid0(VALU_DEP_1)
	v_cmp_gt_u32_e64 s8, s18, v17
	s_and_saveexec_b32 s9, s8
	s_cbranch_execz .LBB164_114
; %bb.113:
	v_lshlrev_b32_e32 v9, 2, v0
	global_load_b32 v9, v9, s[16:17] offset:8192
.LBB164_114:
	s_wait_alu 0xfffe
	s_or_b32 exec_lo, exec_lo, s9
	v_or_b32_e32 v17, 0x900, v0
	s_delay_alu instid0(VALU_DEP_1)
	v_cmp_gt_u32_e64 s9, s18, v17
	s_and_saveexec_b32 s10, s9
	s_cbranch_execz .LBB164_116
; %bb.115:
	v_lshlrev_b32_e32 v10, 2, v0
	global_load_b32 v10, v10, s[16:17] offset:9216
.LBB164_116:
	s_wait_alu 0xfffe
	s_or_b32 exec_lo, exec_lo, s10
	v_or_b32_e32 v17, 0xa00, v0
	s_delay_alu instid0(VALU_DEP_1)
	v_cmp_gt_u32_e64 s10, s18, v17
	s_and_saveexec_b32 s11, s10
	s_cbranch_execz .LBB164_118
; %bb.117:
	v_lshlrev_b32_e32 v11, 2, v0
	global_load_b32 v11, v11, s[16:17] offset:10240
.LBB164_118:
	s_wait_alu 0xfffe
	s_or_b32 exec_lo, exec_lo, s11
	v_or_b32_e32 v17, 0xb00, v0
	s_delay_alu instid0(VALU_DEP_1)
	v_cmp_gt_u32_e64 s11, s18, v17
	s_and_saveexec_b32 s12, s11
	s_cbranch_execz .LBB164_120
; %bb.119:
	v_lshlrev_b32_e32 v12, 2, v0
	global_load_b32 v12, v12, s[16:17] offset:11264
.LBB164_120:
	s_wait_alu 0xfffe
	s_or_b32 exec_lo, exec_lo, s12
	v_or_b32_e32 v17, 0xc00, v0
	s_delay_alu instid0(VALU_DEP_1)
	v_cmp_gt_u32_e64 s12, s18, v17
	s_and_saveexec_b32 s13, s12
	s_cbranch_execz .LBB164_122
; %bb.121:
	v_lshlrev_b32_e32 v13, 2, v0
	global_load_b32 v13, v13, s[16:17] offset:12288
.LBB164_122:
	s_wait_alu 0xfffe
	s_or_b32 exec_lo, exec_lo, s13
	v_or_b32_e32 v17, 0xd00, v0
	s_delay_alu instid0(VALU_DEP_1)
	v_cmp_gt_u32_e64 s13, s18, v17
	s_and_saveexec_b32 s14, s13
	s_cbranch_execz .LBB164_124
; %bb.123:
	v_lshlrev_b32_e32 v14, 2, v0
	global_load_b32 v14, v14, s[16:17] offset:13312
.LBB164_124:
	s_wait_alu 0xfffe
	s_or_b32 exec_lo, exec_lo, s14
	v_or_b32_e32 v17, 0xe00, v0
	s_delay_alu instid0(VALU_DEP_1)
	v_cmp_gt_u32_e64 s14, s18, v17
	s_and_saveexec_b32 s15, s14
	s_cbranch_execz .LBB164_126
; %bb.125:
	v_lshlrev_b32_e32 v15, 2, v0
	global_load_b32 v15, v15, s[16:17] offset:14336
.LBB164_126:
	s_wait_alu 0xfffe
	s_or_b32 exec_lo, exec_lo, s15
	v_or_b32_e32 v17, 0xf00, v0
	s_delay_alu instid0(VALU_DEP_1)
	v_cmp_gt_u32_e64 s15, s18, v17
	s_and_saveexec_b32 s19, s15
	s_cbranch_execz .LBB164_128
; %bb.127:
	v_lshlrev_b32_e32 v16, 2, v0
	global_load_b32 v16, v16, s[16:17] offset:15360
.LBB164_128:
	s_wait_alu 0xfffe
	s_or_b32 exec_lo, exec_lo, s19
	s_wait_loadcnt 0x0
	v_cndmask_b32_e32 v2, 0, v2, vcc_lo
	v_cndmask_b32_e64 v3, 0, v3, s2
	v_cndmask_b32_e64 v4, 0, v4, s3
	s_min_u32 s2, s18, 0x100
	s_mov_b32 s3, exec_lo
	v_add_nc_u32_e32 v1, v2, v1
	v_cndmask_b32_e64 v2, 0, v5, s4
	v_cndmask_b32_e64 v5, 0, v6, s5
	;; [unrolled: 1-line block ×3, first 2 shown]
	s_delay_alu instid0(VALU_DEP_4) | instskip(SKIP_3) | instid1(VALU_DEP_4)
	v_add3_u32 v1, v1, v3, v4
	v_cndmask_b32_e64 v3, 0, v7, s6
	v_cndmask_b32_e64 v4, 0, v8, s7
	;; [unrolled: 1-line block ×3, first 2 shown]
	v_add3_u32 v1, v1, v2, v5
	v_cndmask_b32_e64 v2, 0, v9, s8
	v_cndmask_b32_e64 v5, 0, v10, s9
	s_delay_alu instid0(VALU_DEP_3) | instskip(SKIP_2) | instid1(VALU_DEP_3)
	v_add3_u32 v1, v1, v3, v4
	v_cndmask_b32_e64 v3, 0, v11, s10
	v_cndmask_b32_e64 v4, 0, v12, s11
	v_add3_u32 v1, v1, v2, v5
	v_mbcnt_lo_u32_b32 v2, -1, 0
	v_cndmask_b32_e64 v5, 0, v13, s12
	s_delay_alu instid0(VALU_DEP_3) | instskip(NEXT) | instid1(VALU_DEP_3)
	v_add3_u32 v1, v1, v3, v4
	v_cmp_ne_u32_e32 vcc_lo, 31, v2
	v_cndmask_b32_e64 v3, 0, v16, s15
	s_delay_alu instid0(VALU_DEP_3)
	v_add3_u32 v1, v1, v5, v6
	s_wait_alu 0xfffd
	v_add_co_ci_u32_e64 v4, null, 0, v2, vcc_lo
	v_add_nc_u32_e32 v5, 1, v2
	v_cmp_gt_u32_e32 vcc_lo, 30, v2
	v_add3_u32 v1, v1, v7, v3
	s_delay_alu instid0(VALU_DEP_4)
	v_lshlrev_b32_e32 v4, 2, v4
	s_wait_alu 0xfffd
	v_cndmask_b32_e64 v6, 0, 2, vcc_lo
	ds_bpermute_b32 v3, v4, v1
	v_and_b32_e32 v4, 0xe0, v0
	s_wait_alu 0xfffe
	s_delay_alu instid0(VALU_DEP_1) | instskip(NEXT) | instid1(VALU_DEP_1)
	v_sub_nc_u32_e64 v4, s2, v4 clamp
	v_cmp_lt_u32_e32 vcc_lo, v5, v4
	v_add_lshl_u32 v5, v6, v2, 2
	s_wait_dscnt 0x0
	s_wait_alu 0xfffd
	v_cndmask_b32_e32 v3, 0, v3, vcc_lo
	v_cmp_gt_u32_e32 vcc_lo, 28, v2
	s_delay_alu instid0(VALU_DEP_2) | instskip(SKIP_4) | instid1(VALU_DEP_1)
	v_add_nc_u32_e32 v1, v1, v3
	s_wait_alu 0xfffd
	v_cndmask_b32_e64 v6, 0, 4, vcc_lo
	ds_bpermute_b32 v3, v5, v1
	v_add_nc_u32_e32 v5, 2, v2
	v_cmp_lt_u32_e32 vcc_lo, v5, v4
	v_add_lshl_u32 v5, v6, v2, 2
	s_wait_dscnt 0x0
	s_wait_alu 0xfffd
	v_cndmask_b32_e32 v3, 0, v3, vcc_lo
	v_cmp_gt_u32_e32 vcc_lo, 24, v2
	s_delay_alu instid0(VALU_DEP_2) | instskip(SKIP_4) | instid1(VALU_DEP_1)
	v_add_nc_u32_e32 v1, v1, v3
	s_wait_alu 0xfffd
	v_cndmask_b32_e64 v6, 0, 8, vcc_lo
	ds_bpermute_b32 v3, v5, v1
	v_add_nc_u32_e32 v5, 4, v2
	v_cmp_lt_u32_e32 vcc_lo, v5, v4
	v_add_lshl_u32 v5, v6, v2, 2
	s_wait_dscnt 0x0
	s_wait_alu 0xfffd
	v_cndmask_b32_e32 v3, 0, v3, vcc_lo
	s_delay_alu instid0(VALU_DEP_1) | instskip(SKIP_3) | instid1(VALU_DEP_1)
	v_add_nc_u32_e32 v1, v1, v3
	v_lshlrev_b32_e32 v3, 2, v2
	ds_bpermute_b32 v5, v5, v1
	v_add_nc_u32_e32 v6, 8, v2
	v_cmp_lt_u32_e32 vcc_lo, v6, v4
	v_or_b32_e32 v6, 64, v3
	s_wait_dscnt 0x0
	s_wait_alu 0xfffd
	v_cndmask_b32_e32 v5, 0, v5, vcc_lo
	s_delay_alu instid0(VALU_DEP_1) | instskip(SKIP_2) | instid1(VALU_DEP_1)
	v_add_nc_u32_e32 v1, v1, v5
	ds_bpermute_b32 v5, v6, v1
	v_add_nc_u32_e32 v6, 16, v2
	v_cmp_lt_u32_e32 vcc_lo, v6, v4
	s_wait_dscnt 0x0
	s_wait_alu 0xfffd
	v_cndmask_b32_e32 v4, 0, v5, vcc_lo
	s_delay_alu instid0(VALU_DEP_1)
	v_add_nc_u32_e32 v1, v1, v4
	v_cmpx_eq_u32_e32 0, v2
; %bb.129:
	v_lshrrev_b32_e32 v4, 3, v0
	s_delay_alu instid0(VALU_DEP_1)
	v_and_b32_e32 v4, 28, v4
	ds_store_b32 v4, v1 offset:192
; %bb.130:
	s_or_b32 exec_lo, exec_lo, s3
	s_delay_alu instid0(SALU_CYCLE_1)
	s_mov_b32 s3, exec_lo
	s_wait_dscnt 0x0
	s_barrier_signal -1
	s_barrier_wait -1
	global_inv scope:SCOPE_SE
	v_cmpx_gt_u32_e32 8, v0
	s_cbranch_execz .LBB164_132
; %bb.131:
	ds_load_b32 v1, v3 offset:192
	v_and_b32_e32 v4, 7, v2
	s_add_co_i32 s2, s2, 31
	s_wait_alu 0xfffe
	s_lshr_b32 s2, s2, 5
	s_delay_alu instid0(VALU_DEP_1) | instskip(SKIP_4) | instid1(VALU_DEP_2)
	v_cmp_ne_u32_e32 vcc_lo, 7, v4
	v_add_nc_u32_e32 v6, 1, v4
	s_wait_alu 0xfffd
	v_add_co_ci_u32_e64 v5, null, 0, v2, vcc_lo
	v_cmp_gt_u32_e32 vcc_lo, 6, v4
	v_lshlrev_b32_e32 v5, 2, v5
	s_wait_alu 0xfffd
	v_cndmask_b32_e64 v7, 0, 2, vcc_lo
	s_wait_alu 0xfffe
	v_cmp_gt_u32_e32 vcc_lo, s2, v6
	s_wait_dscnt 0x0
	ds_bpermute_b32 v5, v5, v1
	v_add_lshl_u32 v2, v7, v2, 2
	s_wait_dscnt 0x0
	s_wait_alu 0xfffd
	v_cndmask_b32_e32 v5, 0, v5, vcc_lo
	s_delay_alu instid0(VALU_DEP_1)
	v_add_nc_u32_e32 v1, v5, v1
	v_add_nc_u32_e32 v5, 2, v4
	ds_bpermute_b32 v2, v2, v1
	v_cmp_gt_u32_e32 vcc_lo, s2, v5
	s_wait_dscnt 0x0
	s_wait_alu 0xfffd
	v_cndmask_b32_e32 v2, 0, v2, vcc_lo
	s_delay_alu instid0(VALU_DEP_1)
	v_add_nc_u32_e32 v1, v1, v2
	v_or_b32_e32 v2, 16, v3
	v_add_nc_u32_e32 v3, 4, v4
	ds_bpermute_b32 v2, v2, v1
	v_cmp_gt_u32_e32 vcc_lo, s2, v3
	s_wait_dscnt 0x0
	s_wait_alu 0xfffd
	v_cndmask_b32_e32 v2, 0, v2, vcc_lo
	s_delay_alu instid0(VALU_DEP_1)
	v_add_nc_u32_e32 v1, v1, v2
.LBB164_132:
	s_wait_alu 0xfffe
	s_or_b32 exec_lo, exec_lo, s3
.LBB164_133:
	v_cmp_eq_u32_e64 s2, 0, v0
	s_branch .LBB164_142
.LBB164_134:
	s_cmp_eq_u32 s33, 8
	s_cbranch_scc0 .LBB164_141
; %bb.135:
	s_mov_b32 s35, 0
	s_lshl_b32 s2, s34, 11
	s_mov_b32 s3, s35
	s_lshr_b64 s[4:5], s[38:39], 11
	s_lshl_b64 s[6:7], s[2:3], 2
	s_cmp_lg_u64 s[4:5], s[34:35]
	s_add_nc_u64 s[8:9], s[36:37], s[6:7]
	s_cbranch_scc0 .LBB164_143
; %bb.136:
	v_lshlrev_b32_e32 v1, 2, v0
	s_mov_b32 s3, exec_lo
	s_clause 0x7
	global_load_b32 v2, v1, s[8:9]
	global_load_b32 v3, v1, s[8:9] offset:1024
	global_load_b32 v4, v1, s[8:9] offset:2048
	;; [unrolled: 1-line block ×7, first 2 shown]
	s_wait_loadcnt 0x6
	v_add_nc_u32_e32 v2, v3, v2
	s_wait_loadcnt 0x4
	s_delay_alu instid0(VALU_DEP_1) | instskip(SKIP_1) | instid1(VALU_DEP_1)
	v_add3_u32 v2, v2, v4, v5
	s_wait_loadcnt 0x2
	v_add3_u32 v2, v2, v6, v7
	s_wait_loadcnt 0x0
	s_delay_alu instid0(VALU_DEP_1) | instskip(NEXT) | instid1(VALU_DEP_1)
	v_add3_u32 v1, v2, v8, v1
	v_mov_b32_dpp v2, v1 quad_perm:[1,0,3,2] row_mask:0xf bank_mask:0xf
	s_delay_alu instid0(VALU_DEP_1) | instskip(NEXT) | instid1(VALU_DEP_1)
	v_add_nc_u32_e32 v1, v2, v1
	v_mov_b32_dpp v2, v1 quad_perm:[2,3,0,1] row_mask:0xf bank_mask:0xf
	s_delay_alu instid0(VALU_DEP_1) | instskip(NEXT) | instid1(VALU_DEP_1)
	v_add_nc_u32_e32 v1, v1, v2
	v_mov_b32_dpp v2, v1 row_ror:4 row_mask:0xf bank_mask:0xf
	s_delay_alu instid0(VALU_DEP_1) | instskip(NEXT) | instid1(VALU_DEP_1)
	v_add_nc_u32_e32 v1, v1, v2
	v_mov_b32_dpp v2, v1 row_ror:8 row_mask:0xf bank_mask:0xf
	s_delay_alu instid0(VALU_DEP_1)
	v_add_nc_u32_e32 v1, v1, v2
	ds_swizzle_b32 v2, v1 offset:swizzle(BROADCAST,32,15)
	s_wait_dscnt 0x0
	v_dual_mov_b32 v2, 0 :: v_dual_add_nc_u32 v1, v1, v2
	ds_bpermute_b32 v1, v2, v1 offset:124
	v_mbcnt_lo_u32_b32 v2, -1, 0
	s_delay_alu instid0(VALU_DEP_1)
	v_cmpx_eq_u32_e32 0, v2
	s_cbranch_execz .LBB164_138
; %bb.137:
	v_lshrrev_b32_e32 v3, 3, v0
	s_delay_alu instid0(VALU_DEP_1)
	v_and_b32_e32 v3, 28, v3
	s_wait_dscnt 0x0
	ds_store_b32 v3, v1 offset:160
.LBB164_138:
	s_or_b32 exec_lo, exec_lo, s3
	s_delay_alu instid0(SALU_CYCLE_1)
	s_mov_b32 s3, exec_lo
	s_wait_dscnt 0x0
	s_barrier_signal -1
	s_barrier_wait -1
	global_inv scope:SCOPE_SE
	v_cmpx_gt_u32_e32 32, v0
	s_cbranch_execz .LBB164_140
; %bb.139:
	v_and_b32_e32 v1, 7, v2
	s_delay_alu instid0(VALU_DEP_1) | instskip(SKIP_4) | instid1(VALU_DEP_2)
	v_lshlrev_b32_e32 v3, 2, v1
	v_cmp_ne_u32_e32 vcc_lo, 7, v1
	ds_load_b32 v3, v3 offset:160
	v_add_co_ci_u32_e64 v4, null, 0, v2, vcc_lo
	v_cmp_gt_u32_e32 vcc_lo, 6, v1
	v_lshlrev_b32_e32 v4, 2, v4
	s_wait_alu 0xfffd
	v_cndmask_b32_e64 v1, 0, 2, vcc_lo
	s_delay_alu instid0(VALU_DEP_1) | instskip(SKIP_1) | instid1(VALU_DEP_1)
	v_add_lshl_u32 v1, v1, v2, 2
	v_lshlrev_b32_e32 v2, 2, v2
	v_or_b32_e32 v2, 16, v2
	s_wait_dscnt 0x0
	ds_bpermute_b32 v4, v4, v3
	s_wait_dscnt 0x0
	v_add_nc_u32_e32 v3, v4, v3
	ds_bpermute_b32 v1, v1, v3
	s_wait_dscnt 0x0
	v_add_nc_u32_e32 v1, v1, v3
	;; [unrolled: 3-line block ×3, first 2 shown]
.LBB164_140:
	s_or_b32 exec_lo, exec_lo, s3
	s_branch .LBB164_165
.LBB164_141:
                                        ; implicit-def: $vgpr1
.LBB164_142:
	s_branch .LBB164_224
.LBB164_143:
                                        ; implicit-def: $vgpr1
	s_cbranch_execz .LBB164_165
; %bb.144:
	v_mov_b32_e32 v1, 0
	s_sub_co_i32 s10, s38, s2
	s_mov_b32 s2, exec_lo
	s_delay_alu instid0(VALU_DEP_1)
	v_dual_mov_b32 v2, v1 :: v_dual_mov_b32 v3, v1
	v_dual_mov_b32 v4, v1 :: v_dual_mov_b32 v5, v1
	;; [unrolled: 1-line block ×3, first 2 shown]
	v_mov_b32_e32 v8, v1
	v_cmpx_gt_u32_e64 s10, v0
	s_cbranch_execz .LBB164_146
; %bb.145:
	v_dual_mov_b32 v3, v1 :: v_dual_lshlrev_b32 v2, 2, v0
	v_dual_mov_b32 v8, v1 :: v_dual_mov_b32 v9, v1
	v_dual_mov_b32 v4, v1 :: v_dual_mov_b32 v5, v1
	global_load_b32 v2, v2, s[8:9]
	v_dual_mov_b32 v6, v1 :: v_dual_mov_b32 v7, v1
	s_wait_loadcnt 0x0
	v_mov_b32_e32 v1, v2
	v_mov_b32_e32 v2, v3
	;; [unrolled: 1-line block ×8, first 2 shown]
.LBB164_146:
	s_or_b32 exec_lo, exec_lo, s2
	v_or_b32_e32 v9, 0x100, v0
	s_delay_alu instid0(VALU_DEP_1)
	v_cmp_gt_u32_e32 vcc_lo, s10, v9
	s_and_saveexec_b32 s2, vcc_lo
	s_cbranch_execz .LBB164_148
; %bb.147:
	v_lshlrev_b32_e32 v2, 2, v0
	global_load_b32 v2, v2, s[8:9] offset:1024
.LBB164_148:
	s_or_b32 exec_lo, exec_lo, s2
	v_or_b32_e32 v9, 0x200, v0
	s_delay_alu instid0(VALU_DEP_1)
	v_cmp_gt_u32_e64 s2, s10, v9
	s_and_saveexec_b32 s3, s2
	s_cbranch_execz .LBB164_150
; %bb.149:
	v_lshlrev_b32_e32 v3, 2, v0
	global_load_b32 v3, v3, s[8:9] offset:2048
.LBB164_150:
	s_or_b32 exec_lo, exec_lo, s3
	v_or_b32_e32 v9, 0x300, v0
	s_delay_alu instid0(VALU_DEP_1)
	v_cmp_gt_u32_e64 s3, s10, v9
	s_and_saveexec_b32 s4, s3
	;; [unrolled: 10-line block ×6, first 2 shown]
	s_cbranch_execz .LBB164_160
; %bb.159:
	v_lshlrev_b32_e32 v8, 2, v0
	global_load_b32 v8, v8, s[8:9] offset:7168
.LBB164_160:
	s_wait_alu 0xfffe
	s_or_b32 exec_lo, exec_lo, s11
	s_wait_loadcnt 0x0
	v_cndmask_b32_e32 v2, 0, v2, vcc_lo
	v_cndmask_b32_e64 v3, 0, v3, s2
	v_cndmask_b32_e64 v4, 0, v4, s3
	;; [unrolled: 1-line block ×4, first 2 shown]
	v_add_nc_u32_e32 v1, v2, v1
	v_mbcnt_lo_u32_b32 v2, -1, 0
	v_cndmask_b32_e64 v7, 0, v7, s6
	s_min_u32 s2, s10, 0x100
	s_mov_b32 s3, exec_lo
	v_add3_u32 v1, v1, v3, v4
	v_cmp_ne_u32_e32 vcc_lo, 31, v2
	v_cndmask_b32_e64 v3, 0, v8, s7
	s_delay_alu instid0(VALU_DEP_3)
	v_add3_u32 v1, v1, v5, v6
	s_wait_alu 0xfffd
	v_add_co_ci_u32_e64 v4, null, 0, v2, vcc_lo
	v_add_nc_u32_e32 v5, 1, v2
	v_cmp_gt_u32_e32 vcc_lo, 30, v2
	v_add3_u32 v1, v1, v7, v3
	s_delay_alu instid0(VALU_DEP_4)
	v_lshlrev_b32_e32 v4, 2, v4
	s_wait_alu 0xfffd
	v_cndmask_b32_e64 v6, 0, 2, vcc_lo
	ds_bpermute_b32 v3, v4, v1
	v_and_b32_e32 v4, 0xe0, v0
	s_wait_alu 0xfffe
	s_delay_alu instid0(VALU_DEP_1) | instskip(NEXT) | instid1(VALU_DEP_1)
	v_sub_nc_u32_e64 v4, s2, v4 clamp
	v_cmp_lt_u32_e32 vcc_lo, v5, v4
	v_add_lshl_u32 v5, v6, v2, 2
	s_wait_dscnt 0x0
	s_wait_alu 0xfffd
	v_cndmask_b32_e32 v3, 0, v3, vcc_lo
	v_cmp_gt_u32_e32 vcc_lo, 28, v2
	s_delay_alu instid0(VALU_DEP_2) | instskip(SKIP_4) | instid1(VALU_DEP_1)
	v_add_nc_u32_e32 v1, v1, v3
	s_wait_alu 0xfffd
	v_cndmask_b32_e64 v6, 0, 4, vcc_lo
	ds_bpermute_b32 v3, v5, v1
	v_add_nc_u32_e32 v5, 2, v2
	v_cmp_lt_u32_e32 vcc_lo, v5, v4
	v_add_lshl_u32 v5, v6, v2, 2
	s_wait_dscnt 0x0
	s_wait_alu 0xfffd
	v_cndmask_b32_e32 v3, 0, v3, vcc_lo
	v_cmp_gt_u32_e32 vcc_lo, 24, v2
	s_delay_alu instid0(VALU_DEP_2) | instskip(SKIP_4) | instid1(VALU_DEP_1)
	v_add_nc_u32_e32 v1, v1, v3
	s_wait_alu 0xfffd
	v_cndmask_b32_e64 v6, 0, 8, vcc_lo
	ds_bpermute_b32 v3, v5, v1
	v_add_nc_u32_e32 v5, 4, v2
	v_cmp_lt_u32_e32 vcc_lo, v5, v4
	v_add_lshl_u32 v5, v6, v2, 2
	s_wait_dscnt 0x0
	s_wait_alu 0xfffd
	v_cndmask_b32_e32 v3, 0, v3, vcc_lo
	s_delay_alu instid0(VALU_DEP_1) | instskip(SKIP_3) | instid1(VALU_DEP_1)
	v_add_nc_u32_e32 v1, v1, v3
	v_lshlrev_b32_e32 v3, 2, v2
	ds_bpermute_b32 v5, v5, v1
	v_add_nc_u32_e32 v6, 8, v2
	v_cmp_lt_u32_e32 vcc_lo, v6, v4
	v_or_b32_e32 v6, 64, v3
	s_wait_dscnt 0x0
	s_wait_alu 0xfffd
	v_cndmask_b32_e32 v5, 0, v5, vcc_lo
	s_delay_alu instid0(VALU_DEP_1) | instskip(SKIP_2) | instid1(VALU_DEP_1)
	v_add_nc_u32_e32 v1, v1, v5
	ds_bpermute_b32 v5, v6, v1
	v_add_nc_u32_e32 v6, 16, v2
	v_cmp_lt_u32_e32 vcc_lo, v6, v4
	s_wait_dscnt 0x0
	s_wait_alu 0xfffd
	v_cndmask_b32_e32 v4, 0, v5, vcc_lo
	s_delay_alu instid0(VALU_DEP_1)
	v_add_nc_u32_e32 v1, v1, v4
	v_cmpx_eq_u32_e32 0, v2
; %bb.161:
	v_lshrrev_b32_e32 v4, 3, v0
	s_delay_alu instid0(VALU_DEP_1)
	v_and_b32_e32 v4, 28, v4
	ds_store_b32 v4, v1 offset:192
; %bb.162:
	s_or_b32 exec_lo, exec_lo, s3
	s_delay_alu instid0(SALU_CYCLE_1)
	s_mov_b32 s3, exec_lo
	s_wait_dscnt 0x0
	s_barrier_signal -1
	s_barrier_wait -1
	global_inv scope:SCOPE_SE
	v_cmpx_gt_u32_e32 8, v0
	s_cbranch_execz .LBB164_164
; %bb.163:
	ds_load_b32 v1, v3 offset:192
	v_and_b32_e32 v4, 7, v2
	s_add_co_i32 s2, s2, 31
	s_wait_alu 0xfffe
	s_lshr_b32 s2, s2, 5
	s_delay_alu instid0(VALU_DEP_1) | instskip(SKIP_4) | instid1(VALU_DEP_2)
	v_cmp_ne_u32_e32 vcc_lo, 7, v4
	v_add_nc_u32_e32 v6, 1, v4
	s_wait_alu 0xfffd
	v_add_co_ci_u32_e64 v5, null, 0, v2, vcc_lo
	v_cmp_gt_u32_e32 vcc_lo, 6, v4
	v_lshlrev_b32_e32 v5, 2, v5
	s_wait_alu 0xfffd
	v_cndmask_b32_e64 v7, 0, 2, vcc_lo
	s_wait_alu 0xfffe
	v_cmp_gt_u32_e32 vcc_lo, s2, v6
	s_wait_dscnt 0x0
	ds_bpermute_b32 v5, v5, v1
	v_add_lshl_u32 v2, v7, v2, 2
	s_wait_dscnt 0x0
	s_wait_alu 0xfffd
	v_cndmask_b32_e32 v5, 0, v5, vcc_lo
	s_delay_alu instid0(VALU_DEP_1)
	v_add_nc_u32_e32 v1, v5, v1
	v_add_nc_u32_e32 v5, 2, v4
	ds_bpermute_b32 v2, v2, v1
	v_cmp_gt_u32_e32 vcc_lo, s2, v5
	s_wait_dscnt 0x0
	s_wait_alu 0xfffd
	v_cndmask_b32_e32 v2, 0, v2, vcc_lo
	s_delay_alu instid0(VALU_DEP_1)
	v_add_nc_u32_e32 v1, v1, v2
	v_or_b32_e32 v2, 16, v3
	v_add_nc_u32_e32 v3, 4, v4
	ds_bpermute_b32 v2, v2, v1
	v_cmp_gt_u32_e32 vcc_lo, s2, v3
	s_wait_dscnt 0x0
	s_wait_alu 0xfffd
	v_cndmask_b32_e32 v2, 0, v2, vcc_lo
	s_delay_alu instid0(VALU_DEP_1)
	v_add_nc_u32_e32 v1, v1, v2
.LBB164_164:
	s_wait_alu 0xfffe
	s_or_b32 exec_lo, exec_lo, s3
.LBB164_165:
	v_cmp_eq_u32_e64 s2, 0, v0
	s_branch .LBB164_224
.LBB164_166:
	s_cmp_gt_i32 s33, 1
	s_cbranch_scc0 .LBB164_175
; %bb.167:
	s_cmp_gt_i32 s33, 3
	s_cbranch_scc0 .LBB164_176
; %bb.168:
	s_cmp_eq_u32 s33, 4
	s_cbranch_scc0 .LBB164_177
; %bb.169:
	s_mov_b32 s35, 0
	s_lshl_b32 s2, s34, 10
	s_mov_b32 s3, s35
	s_lshr_b64 s[4:5], s[38:39], 10
	s_lshl_b64 s[6:7], s[2:3], 2
	s_cmp_lg_u64 s[4:5], s[34:35]
	s_add_nc_u64 s[4:5], s[36:37], s[6:7]
	s_cbranch_scc0 .LBB164_179
; %bb.170:
	v_lshlrev_b32_e32 v1, 2, v0
	s_mov_b32 s3, exec_lo
	s_clause 0x3
	global_load_b32 v2, v1, s[4:5]
	global_load_b32 v3, v1, s[4:5] offset:1024
	global_load_b32 v4, v1, s[4:5] offset:2048
	global_load_b32 v1, v1, s[4:5] offset:3072
	s_wait_loadcnt 0x2
	v_add_nc_u32_e32 v2, v3, v2
	s_wait_loadcnt 0x0
	s_delay_alu instid0(VALU_DEP_1) | instskip(NEXT) | instid1(VALU_DEP_1)
	v_add3_u32 v1, v2, v4, v1
	v_mov_b32_dpp v2, v1 quad_perm:[1,0,3,2] row_mask:0xf bank_mask:0xf
	s_delay_alu instid0(VALU_DEP_1) | instskip(NEXT) | instid1(VALU_DEP_1)
	v_add_nc_u32_e32 v1, v2, v1
	v_mov_b32_dpp v2, v1 quad_perm:[2,3,0,1] row_mask:0xf bank_mask:0xf
	s_delay_alu instid0(VALU_DEP_1) | instskip(NEXT) | instid1(VALU_DEP_1)
	v_add_nc_u32_e32 v1, v1, v2
	v_mov_b32_dpp v2, v1 row_ror:4 row_mask:0xf bank_mask:0xf
	s_delay_alu instid0(VALU_DEP_1) | instskip(NEXT) | instid1(VALU_DEP_1)
	v_add_nc_u32_e32 v1, v1, v2
	v_mov_b32_dpp v2, v1 row_ror:8 row_mask:0xf bank_mask:0xf
	s_delay_alu instid0(VALU_DEP_1)
	v_add_nc_u32_e32 v1, v1, v2
	ds_swizzle_b32 v2, v1 offset:swizzle(BROADCAST,32,15)
	s_wait_dscnt 0x0
	v_dual_mov_b32 v2, 0 :: v_dual_add_nc_u32 v1, v1, v2
	ds_bpermute_b32 v1, v2, v1 offset:124
	v_mbcnt_lo_u32_b32 v2, -1, 0
	s_delay_alu instid0(VALU_DEP_1)
	v_cmpx_eq_u32_e32 0, v2
	s_cbranch_execz .LBB164_172
; %bb.171:
	v_lshrrev_b32_e32 v3, 3, v0
	s_delay_alu instid0(VALU_DEP_1)
	v_and_b32_e32 v3, 28, v3
	s_wait_dscnt 0x0
	ds_store_b32 v3, v1 offset:128
.LBB164_172:
	s_or_b32 exec_lo, exec_lo, s3
	s_delay_alu instid0(SALU_CYCLE_1)
	s_mov_b32 s3, exec_lo
	s_wait_dscnt 0x0
	s_barrier_signal -1
	s_barrier_wait -1
	global_inv scope:SCOPE_SE
	v_cmpx_gt_u32_e32 32, v0
	s_cbranch_execz .LBB164_174
; %bb.173:
	v_and_b32_e32 v1, 7, v2
	s_delay_alu instid0(VALU_DEP_1) | instskip(SKIP_4) | instid1(VALU_DEP_2)
	v_lshlrev_b32_e32 v3, 2, v1
	v_cmp_ne_u32_e32 vcc_lo, 7, v1
	ds_load_b32 v3, v3 offset:128
	v_add_co_ci_u32_e64 v4, null, 0, v2, vcc_lo
	v_cmp_gt_u32_e32 vcc_lo, 6, v1
	v_lshlrev_b32_e32 v4, 2, v4
	s_wait_alu 0xfffd
	v_cndmask_b32_e64 v1, 0, 2, vcc_lo
	s_delay_alu instid0(VALU_DEP_1) | instskip(SKIP_1) | instid1(VALU_DEP_1)
	v_add_lshl_u32 v1, v1, v2, 2
	v_lshlrev_b32_e32 v2, 2, v2
	v_or_b32_e32 v2, 16, v2
	s_wait_dscnt 0x0
	ds_bpermute_b32 v4, v4, v3
	s_wait_dscnt 0x0
	v_add_nc_u32_e32 v3, v4, v3
	ds_bpermute_b32 v1, v1, v3
	s_wait_dscnt 0x0
	v_add_nc_u32_e32 v1, v1, v3
	;; [unrolled: 3-line block ×3, first 2 shown]
.LBB164_174:
	s_or_b32 exec_lo, exec_lo, s3
	s_mov_b32 s3, 0
	s_branch .LBB164_180
.LBB164_175:
                                        ; implicit-def: $vgpr1
	s_cbranch_execnz .LBB164_215
	s_branch .LBB164_224
.LBB164_176:
                                        ; implicit-def: $vgpr1
	s_cbranch_execz .LBB164_178
	s_branch .LBB164_195
.LBB164_177:
                                        ; implicit-def: $vgpr1
.LBB164_178:
	s_branch .LBB164_224
.LBB164_179:
	s_mov_b32 s3, -1
                                        ; implicit-def: $vgpr1
.LBB164_180:
	s_delay_alu instid0(SALU_CYCLE_1)
	s_and_b32 vcc_lo, exec_lo, s3
	s_wait_alu 0xfffe
	s_cbranch_vccz .LBB164_194
; %bb.181:
	v_mov_b32_e32 v1, 0
	s_sub_co_i32 s6, s38, s2
	s_mov_b32 s2, exec_lo
	s_delay_alu instid0(VALU_DEP_1)
	v_dual_mov_b32 v2, v1 :: v_dual_mov_b32 v3, v1
	v_mov_b32_e32 v4, v1
	v_cmpx_gt_u32_e64 s6, v0
	s_cbranch_execz .LBB164_183
; %bb.182:
	v_dual_mov_b32 v3, v1 :: v_dual_lshlrev_b32 v2, 2, v0
	v_dual_mov_b32 v4, v1 :: v_dual_mov_b32 v5, v1
	global_load_b32 v2, v2, s[4:5]
	s_wait_loadcnt 0x0
	v_mov_b32_e32 v1, v2
	v_mov_b32_e32 v2, v3
	;; [unrolled: 1-line block ×4, first 2 shown]
.LBB164_183:
	s_or_b32 exec_lo, exec_lo, s2
	v_or_b32_e32 v5, 0x100, v0
	s_delay_alu instid0(VALU_DEP_1)
	v_cmp_gt_u32_e32 vcc_lo, s6, v5
	s_and_saveexec_b32 s2, vcc_lo
	s_cbranch_execz .LBB164_185
; %bb.184:
	v_lshlrev_b32_e32 v2, 2, v0
	global_load_b32 v2, v2, s[4:5] offset:1024
.LBB164_185:
	s_or_b32 exec_lo, exec_lo, s2
	v_or_b32_e32 v5, 0x200, v0
	s_delay_alu instid0(VALU_DEP_1)
	v_cmp_gt_u32_e64 s2, s6, v5
	s_and_saveexec_b32 s3, s2
	s_cbranch_execz .LBB164_187
; %bb.186:
	v_lshlrev_b32_e32 v3, 2, v0
	global_load_b32 v3, v3, s[4:5] offset:2048
.LBB164_187:
	s_or_b32 exec_lo, exec_lo, s3
	v_or_b32_e32 v5, 0x300, v0
	s_delay_alu instid0(VALU_DEP_1)
	v_cmp_gt_u32_e64 s3, s6, v5
	s_and_saveexec_b32 s7, s3
	s_cbranch_execz .LBB164_189
; %bb.188:
	v_lshlrev_b32_e32 v4, 2, v0
	global_load_b32 v4, v4, s[4:5] offset:3072
.LBB164_189:
	s_wait_alu 0xfffe
	s_or_b32 exec_lo, exec_lo, s7
	s_wait_loadcnt 0x0
	v_cndmask_b32_e32 v5, 0, v2, vcc_lo
	v_mbcnt_lo_u32_b32 v2, -1, 0
	v_cndmask_b32_e64 v3, 0, v3, s2
	v_cndmask_b32_e64 v4, 0, v4, s3
	s_min_u32 s2, s6, 0x100
	v_add_nc_u32_e32 v1, v5, v1
	v_cmp_ne_u32_e32 vcc_lo, 31, v2
	s_mov_b32 s3, exec_lo
	s_delay_alu instid0(VALU_DEP_2) | instskip(SKIP_4) | instid1(VALU_DEP_3)
	v_add3_u32 v1, v1, v3, v4
	s_wait_alu 0xfffd
	v_add_co_ci_u32_e64 v5, null, 0, v2, vcc_lo
	v_and_b32_e32 v4, 0xe0, v0
	v_cmp_gt_u32_e32 vcc_lo, 30, v2
	v_lshlrev_b32_e32 v3, 2, v5
	v_add_nc_u32_e32 v5, 1, v2
	s_wait_alu 0xfffe
	v_sub_nc_u32_e64 v4, s2, v4 clamp
	s_wait_alu 0xfffd
	v_cndmask_b32_e64 v6, 0, 2, vcc_lo
	ds_bpermute_b32 v3, v3, v1
	v_cmp_lt_u32_e32 vcc_lo, v5, v4
	v_add_lshl_u32 v5, v6, v2, 2
	s_wait_dscnt 0x0
	s_wait_alu 0xfffd
	v_cndmask_b32_e32 v3, 0, v3, vcc_lo
	v_cmp_gt_u32_e32 vcc_lo, 28, v2
	s_delay_alu instid0(VALU_DEP_2) | instskip(SKIP_4) | instid1(VALU_DEP_1)
	v_add_nc_u32_e32 v1, v3, v1
	s_wait_alu 0xfffd
	v_cndmask_b32_e64 v6, 0, 4, vcc_lo
	ds_bpermute_b32 v3, v5, v1
	v_add_nc_u32_e32 v5, 2, v2
	v_cmp_lt_u32_e32 vcc_lo, v5, v4
	v_add_lshl_u32 v5, v6, v2, 2
	s_wait_dscnt 0x0
	s_wait_alu 0xfffd
	v_cndmask_b32_e32 v3, 0, v3, vcc_lo
	v_cmp_gt_u32_e32 vcc_lo, 24, v2
	s_delay_alu instid0(VALU_DEP_2) | instskip(SKIP_4) | instid1(VALU_DEP_1)
	v_add_nc_u32_e32 v1, v1, v3
	s_wait_alu 0xfffd
	v_cndmask_b32_e64 v6, 0, 8, vcc_lo
	ds_bpermute_b32 v3, v5, v1
	v_add_nc_u32_e32 v5, 4, v2
	v_cmp_lt_u32_e32 vcc_lo, v5, v4
	v_add_lshl_u32 v5, v6, v2, 2
	s_wait_dscnt 0x0
	s_wait_alu 0xfffd
	v_dual_cndmask_b32 v3, 0, v3 :: v_dual_add_nc_u32 v6, 8, v2
	s_delay_alu instid0(VALU_DEP_1) | instskip(NEXT) | instid1(VALU_DEP_2)
	v_cmp_lt_u32_e32 vcc_lo, v6, v4
	v_add_nc_u32_e32 v1, v1, v3
	v_lshlrev_b32_e32 v3, 2, v2
	ds_bpermute_b32 v5, v5, v1
	v_or_b32_e32 v6, 64, v3
	s_wait_dscnt 0x0
	s_wait_alu 0xfffd
	v_cndmask_b32_e32 v5, 0, v5, vcc_lo
	s_delay_alu instid0(VALU_DEP_1) | instskip(SKIP_2) | instid1(VALU_DEP_1)
	v_add_nc_u32_e32 v1, v1, v5
	ds_bpermute_b32 v5, v6, v1
	v_add_nc_u32_e32 v6, 16, v2
	v_cmp_lt_u32_e32 vcc_lo, v6, v4
	s_wait_dscnt 0x0
	s_wait_alu 0xfffd
	v_cndmask_b32_e32 v4, 0, v5, vcc_lo
	s_delay_alu instid0(VALU_DEP_1)
	v_add_nc_u32_e32 v1, v1, v4
	v_cmpx_eq_u32_e32 0, v2
; %bb.190:
	v_lshrrev_b32_e32 v4, 3, v0
	s_delay_alu instid0(VALU_DEP_1)
	v_and_b32_e32 v4, 28, v4
	ds_store_b32 v4, v1 offset:192
; %bb.191:
	s_or_b32 exec_lo, exec_lo, s3
	s_delay_alu instid0(SALU_CYCLE_1)
	s_mov_b32 s3, exec_lo
	s_wait_dscnt 0x0
	s_barrier_signal -1
	s_barrier_wait -1
	global_inv scope:SCOPE_SE
	v_cmpx_gt_u32_e32 8, v0
	s_cbranch_execz .LBB164_193
; %bb.192:
	ds_load_b32 v1, v3 offset:192
	v_and_b32_e32 v4, 7, v2
	s_add_co_i32 s2, s2, 31
	s_wait_alu 0xfffe
	s_lshr_b32 s2, s2, 5
	s_delay_alu instid0(VALU_DEP_1) | instskip(SKIP_4) | instid1(VALU_DEP_2)
	v_cmp_ne_u32_e32 vcc_lo, 7, v4
	v_add_nc_u32_e32 v6, 1, v4
	s_wait_alu 0xfffd
	v_add_co_ci_u32_e64 v5, null, 0, v2, vcc_lo
	v_cmp_gt_u32_e32 vcc_lo, 6, v4
	v_lshlrev_b32_e32 v5, 2, v5
	s_wait_alu 0xfffd
	v_cndmask_b32_e64 v7, 0, 2, vcc_lo
	s_wait_alu 0xfffe
	v_cmp_gt_u32_e32 vcc_lo, s2, v6
	s_wait_dscnt 0x0
	ds_bpermute_b32 v5, v5, v1
	v_add_lshl_u32 v2, v7, v2, 2
	s_wait_dscnt 0x0
	s_wait_alu 0xfffd
	v_cndmask_b32_e32 v5, 0, v5, vcc_lo
	s_delay_alu instid0(VALU_DEP_1)
	v_add_nc_u32_e32 v1, v5, v1
	v_add_nc_u32_e32 v5, 2, v4
	ds_bpermute_b32 v2, v2, v1
	v_cmp_gt_u32_e32 vcc_lo, s2, v5
	s_wait_dscnt 0x0
	s_wait_alu 0xfffd
	v_cndmask_b32_e32 v2, 0, v2, vcc_lo
	s_delay_alu instid0(VALU_DEP_1)
	v_add_nc_u32_e32 v1, v1, v2
	v_or_b32_e32 v2, 16, v3
	v_add_nc_u32_e32 v3, 4, v4
	ds_bpermute_b32 v2, v2, v1
	v_cmp_gt_u32_e32 vcc_lo, s2, v3
	s_wait_dscnt 0x0
	s_wait_alu 0xfffd
	v_cndmask_b32_e32 v2, 0, v2, vcc_lo
	s_delay_alu instid0(VALU_DEP_1)
	v_add_nc_u32_e32 v1, v1, v2
.LBB164_193:
	s_wait_alu 0xfffe
	s_or_b32 exec_lo, exec_lo, s3
.LBB164_194:
	v_cmp_eq_u32_e64 s2, 0, v0
	s_branch .LBB164_178
.LBB164_195:
	s_cmp_eq_u32 s33, 2
	s_cbranch_scc0 .LBB164_202
; %bb.196:
	s_mov_b32 s35, 0
	s_lshl_b32 s4, s34, 9
	s_mov_b32 s5, s35
	s_lshr_b64 s[2:3], s[38:39], 9
	s_lshl_b64 s[6:7], s[4:5], 2
	s_cmp_lg_u64 s[2:3], s[34:35]
	s_add_nc_u64 s[2:3], s[36:37], s[6:7]
	s_cbranch_scc0 .LBB164_203
; %bb.197:
	v_lshlrev_b32_e32 v1, 2, v0
	s_mov_b32 s5, exec_lo
	s_clause 0x1
	global_load_b32 v2, v1, s[2:3]
	global_load_b32 v1, v1, s[2:3] offset:1024
	s_wait_loadcnt 0x0
	v_add_nc_u32_e32 v1, v1, v2
	s_delay_alu instid0(VALU_DEP_1) | instskip(NEXT) | instid1(VALU_DEP_1)
	v_mov_b32_dpp v2, v1 quad_perm:[1,0,3,2] row_mask:0xf bank_mask:0xf
	v_add_nc_u32_e32 v1, v2, v1
	s_delay_alu instid0(VALU_DEP_1) | instskip(NEXT) | instid1(VALU_DEP_1)
	v_mov_b32_dpp v2, v1 quad_perm:[2,3,0,1] row_mask:0xf bank_mask:0xf
	v_add_nc_u32_e32 v1, v1, v2
	s_delay_alu instid0(VALU_DEP_1) | instskip(NEXT) | instid1(VALU_DEP_1)
	v_mov_b32_dpp v2, v1 row_ror:4 row_mask:0xf bank_mask:0xf
	v_add_nc_u32_e32 v1, v1, v2
	s_delay_alu instid0(VALU_DEP_1) | instskip(NEXT) | instid1(VALU_DEP_1)
	v_mov_b32_dpp v2, v1 row_ror:8 row_mask:0xf bank_mask:0xf
	v_add_nc_u32_e32 v1, v1, v2
	ds_swizzle_b32 v2, v1 offset:swizzle(BROADCAST,32,15)
	s_wait_dscnt 0x0
	v_dual_mov_b32 v2, 0 :: v_dual_add_nc_u32 v1, v1, v2
	ds_bpermute_b32 v1, v2, v1 offset:124
	v_mbcnt_lo_u32_b32 v2, -1, 0
	s_delay_alu instid0(VALU_DEP_1)
	v_cmpx_eq_u32_e32 0, v2
	s_cbranch_execz .LBB164_199
; %bb.198:
	v_lshrrev_b32_e32 v3, 3, v0
	s_delay_alu instid0(VALU_DEP_1)
	v_and_b32_e32 v3, 28, v3
	s_wait_dscnt 0x0
	ds_store_b32 v3, v1 offset:64
.LBB164_199:
	s_or_b32 exec_lo, exec_lo, s5
	s_delay_alu instid0(SALU_CYCLE_1)
	s_mov_b32 s5, exec_lo
	s_wait_dscnt 0x0
	s_barrier_signal -1
	s_barrier_wait -1
	global_inv scope:SCOPE_SE
	v_cmpx_gt_u32_e32 32, v0
	s_cbranch_execz .LBB164_201
; %bb.200:
	v_and_b32_e32 v1, 7, v2
	s_delay_alu instid0(VALU_DEP_1) | instskip(SKIP_4) | instid1(VALU_DEP_2)
	v_lshlrev_b32_e32 v3, 2, v1
	v_cmp_ne_u32_e32 vcc_lo, 7, v1
	ds_load_b32 v3, v3 offset:64
	v_add_co_ci_u32_e64 v4, null, 0, v2, vcc_lo
	v_cmp_gt_u32_e32 vcc_lo, 6, v1
	v_lshlrev_b32_e32 v4, 2, v4
	s_wait_alu 0xfffd
	v_cndmask_b32_e64 v1, 0, 2, vcc_lo
	s_delay_alu instid0(VALU_DEP_1) | instskip(SKIP_1) | instid1(VALU_DEP_1)
	v_add_lshl_u32 v1, v1, v2, 2
	v_lshlrev_b32_e32 v2, 2, v2
	v_or_b32_e32 v2, 16, v2
	s_wait_dscnt 0x0
	ds_bpermute_b32 v4, v4, v3
	s_wait_dscnt 0x0
	v_add_nc_u32_e32 v3, v4, v3
	ds_bpermute_b32 v1, v1, v3
	s_wait_dscnt 0x0
	v_add_nc_u32_e32 v1, v1, v3
	;; [unrolled: 3-line block ×3, first 2 shown]
.LBB164_201:
	s_or_b32 exec_lo, exec_lo, s5
	s_mov_b32 s5, 0
	s_branch .LBB164_204
.LBB164_202:
                                        ; implicit-def: $vgpr1
	s_branch .LBB164_224
.LBB164_203:
	s_mov_b32 s5, -1
                                        ; implicit-def: $vgpr1
.LBB164_204:
	s_delay_alu instid0(SALU_CYCLE_1)
	s_and_b32 vcc_lo, exec_lo, s5
	s_wait_alu 0xfffe
	s_cbranch_vccz .LBB164_214
; %bb.205:
	v_mov_b32_e32 v1, 0
	s_sub_co_i32 s4, s38, s4
	s_mov_b32 s5, exec_lo
	s_delay_alu instid0(VALU_DEP_1)
	v_mov_b32_e32 v2, v1
	v_cmpx_gt_u32_e64 s4, v0
	s_cbranch_execz .LBB164_207
; %bb.206:
	v_dual_mov_b32 v3, v1 :: v_dual_lshlrev_b32 v2, 2, v0
	global_load_b32 v2, v2, s[2:3]
	s_wait_loadcnt 0x0
	v_mov_b32_e32 v1, v2
	v_mov_b32_e32 v2, v3
.LBB164_207:
	s_or_b32 exec_lo, exec_lo, s5
	v_or_b32_e32 v3, 0x100, v0
	s_delay_alu instid0(VALU_DEP_1)
	v_cmp_gt_u32_e32 vcc_lo, s4, v3
	s_and_saveexec_b32 s5, vcc_lo
	s_cbranch_execz .LBB164_209
; %bb.208:
	v_lshlrev_b32_e32 v2, 2, v0
	global_load_b32 v2, v2, s[2:3] offset:1024
.LBB164_209:
	s_wait_alu 0xfffe
	s_or_b32 exec_lo, exec_lo, s5
	v_mbcnt_lo_u32_b32 v3, -1, 0
	s_wait_loadcnt 0x0
	v_cndmask_b32_e32 v2, 0, v2, vcc_lo
	s_min_u32 s2, s4, 0x100
	s_mov_b32 s3, exec_lo
	v_cmp_ne_u32_e32 vcc_lo, 31, v3
	v_add_nc_u32_e32 v5, 1, v3
	v_add_nc_u32_e32 v1, v2, v1
	s_wait_alu 0xfffd
	v_add_co_ci_u32_e64 v4, null, 0, v3, vcc_lo
	v_cmp_gt_u32_e32 vcc_lo, 30, v3
	s_delay_alu instid0(VALU_DEP_2)
	v_lshlrev_b32_e32 v2, 2, v4
	v_and_b32_e32 v4, 0xe0, v0
	s_wait_alu 0xfffd
	v_cndmask_b32_e64 v6, 0, 2, vcc_lo
	ds_bpermute_b32 v2, v2, v1
	v_sub_nc_u32_e64 v4, s2, v4 clamp
	s_delay_alu instid0(VALU_DEP_1)
	v_cmp_lt_u32_e32 vcc_lo, v5, v4
	v_add_lshl_u32 v5, v6, v3, 2
	s_wait_dscnt 0x0
	s_wait_alu 0xfffd
	v_cndmask_b32_e32 v2, 0, v2, vcc_lo
	v_cmp_gt_u32_e32 vcc_lo, 28, v3
	s_delay_alu instid0(VALU_DEP_2) | instskip(SKIP_4) | instid1(VALU_DEP_1)
	v_add_nc_u32_e32 v1, v2, v1
	s_wait_alu 0xfffd
	v_cndmask_b32_e64 v6, 0, 4, vcc_lo
	ds_bpermute_b32 v2, v5, v1
	v_add_nc_u32_e32 v5, 2, v3
	v_cmp_lt_u32_e32 vcc_lo, v5, v4
	v_add_lshl_u32 v5, v6, v3, 2
	s_wait_dscnt 0x0
	s_wait_alu 0xfffd
	v_cndmask_b32_e32 v2, 0, v2, vcc_lo
	v_cmp_gt_u32_e32 vcc_lo, 24, v3
	s_delay_alu instid0(VALU_DEP_2) | instskip(SKIP_4) | instid1(VALU_DEP_1)
	v_add_nc_u32_e32 v1, v1, v2
	s_wait_alu 0xfffd
	v_cndmask_b32_e64 v6, 0, 8, vcc_lo
	ds_bpermute_b32 v2, v5, v1
	v_add_nc_u32_e32 v5, 4, v3
	v_cmp_lt_u32_e32 vcc_lo, v5, v4
	v_add_lshl_u32 v5, v6, v3, 2
	v_add_nc_u32_e32 v6, 8, v3
	s_wait_dscnt 0x0
	s_wait_alu 0xfffd
	v_cndmask_b32_e32 v2, 0, v2, vcc_lo
	s_delay_alu instid0(VALU_DEP_2) | instskip(NEXT) | instid1(VALU_DEP_2)
	v_cmp_lt_u32_e32 vcc_lo, v6, v4
	v_add_nc_u32_e32 v1, v1, v2
	v_lshlrev_b32_e32 v2, 2, v3
	ds_bpermute_b32 v5, v5, v1
	v_or_b32_e32 v6, 64, v2
	s_wait_dscnt 0x0
	s_wait_alu 0xfffd
	v_cndmask_b32_e32 v5, 0, v5, vcc_lo
	s_delay_alu instid0(VALU_DEP_1) | instskip(SKIP_2) | instid1(VALU_DEP_1)
	v_add_nc_u32_e32 v1, v1, v5
	ds_bpermute_b32 v5, v6, v1
	v_add_nc_u32_e32 v6, 16, v3
	v_cmp_lt_u32_e32 vcc_lo, v6, v4
	s_wait_dscnt 0x0
	s_wait_alu 0xfffd
	v_cndmask_b32_e32 v4, 0, v5, vcc_lo
	s_delay_alu instid0(VALU_DEP_1)
	v_add_nc_u32_e32 v1, v1, v4
	v_cmpx_eq_u32_e32 0, v3
; %bb.210:
	v_lshrrev_b32_e32 v4, 3, v0
	s_delay_alu instid0(VALU_DEP_1)
	v_and_b32_e32 v4, 28, v4
	ds_store_b32 v4, v1 offset:192
; %bb.211:
	s_or_b32 exec_lo, exec_lo, s3
	s_delay_alu instid0(SALU_CYCLE_1)
	s_mov_b32 s3, exec_lo
	s_wait_dscnt 0x0
	s_barrier_signal -1
	s_barrier_wait -1
	global_inv scope:SCOPE_SE
	v_cmpx_gt_u32_e32 8, v0
	s_cbranch_execz .LBB164_213
; %bb.212:
	ds_load_b32 v1, v2 offset:192
	v_and_b32_e32 v4, 7, v3
	s_add_co_i32 s2, s2, 31
	v_or_b32_e32 v2, 16, v2
	s_wait_alu 0xfffe
	s_lshr_b32 s2, s2, 5
	v_cmp_ne_u32_e32 vcc_lo, 7, v4
	v_add_nc_u32_e32 v6, 1, v4
	s_wait_alu 0xfffd
	v_add_co_ci_u32_e64 v5, null, 0, v3, vcc_lo
	v_cmp_gt_u32_e32 vcc_lo, 6, v4
	s_delay_alu instid0(VALU_DEP_2)
	v_lshlrev_b32_e32 v5, 2, v5
	s_wait_alu 0xfffd
	v_cndmask_b32_e64 v7, 0, 2, vcc_lo
	s_wait_alu 0xfffe
	v_cmp_gt_u32_e32 vcc_lo, s2, v6
	s_wait_dscnt 0x0
	ds_bpermute_b32 v5, v5, v1
	v_add_lshl_u32 v3, v7, v3, 2
	s_wait_dscnt 0x0
	s_wait_alu 0xfffd
	v_cndmask_b32_e32 v5, 0, v5, vcc_lo
	s_delay_alu instid0(VALU_DEP_1)
	v_add_nc_u32_e32 v1, v5, v1
	v_add_nc_u32_e32 v5, 2, v4
	ds_bpermute_b32 v3, v3, v1
	v_cmp_gt_u32_e32 vcc_lo, s2, v5
	s_wait_dscnt 0x0
	s_wait_alu 0xfffd
	v_cndmask_b32_e32 v3, 0, v3, vcc_lo
	s_delay_alu instid0(VALU_DEP_1)
	v_add_nc_u32_e32 v1, v1, v3
	v_add_nc_u32_e32 v3, 4, v4
	ds_bpermute_b32 v2, v2, v1
	v_cmp_gt_u32_e32 vcc_lo, s2, v3
	s_wait_dscnt 0x0
	s_wait_alu 0xfffd
	v_cndmask_b32_e32 v2, 0, v2, vcc_lo
	s_delay_alu instid0(VALU_DEP_1)
	v_add_nc_u32_e32 v1, v1, v2
.LBB164_213:
	s_wait_alu 0xfffe
	s_or_b32 exec_lo, exec_lo, s3
.LBB164_214:
	v_cmp_eq_u32_e64 s2, 0, v0
	s_branch .LBB164_224
.LBB164_215:
	s_cmp_eq_u32 s33, 1
	s_cbranch_scc0 .LBB164_223
; %bb.216:
	s_mov_b32 s3, 0
	v_mbcnt_lo_u32_b32 v2, -1, 0
	s_lshr_b64 s[4:5], s[38:39], 8
	s_mov_b32 s35, s3
	s_lshl_b32 s2, s34, 8
	s_cmp_lg_u64 s[4:5], s[34:35]
	s_cbranch_scc0 .LBB164_227
; %bb.217:
	v_lshlrev_b32_e32 v1, 2, v0
	s_lshl_b64 s[4:5], s[2:3], 2
	s_delay_alu instid0(SALU_CYCLE_1) | instskip(SKIP_4) | instid1(VALU_DEP_1)
	s_add_nc_u64 s[4:5], s[36:37], s[4:5]
	global_load_b32 v1, v1, s[4:5]
	s_mov_b32 s4, exec_lo
	s_wait_loadcnt 0x0
	v_mov_b32_dpp v3, v1 quad_perm:[1,0,3,2] row_mask:0xf bank_mask:0xf
	v_add_nc_u32_e32 v1, v3, v1
	s_delay_alu instid0(VALU_DEP_1) | instskip(NEXT) | instid1(VALU_DEP_1)
	v_mov_b32_dpp v3, v1 quad_perm:[2,3,0,1] row_mask:0xf bank_mask:0xf
	v_add_nc_u32_e32 v1, v1, v3
	s_delay_alu instid0(VALU_DEP_1) | instskip(NEXT) | instid1(VALU_DEP_1)
	v_mov_b32_dpp v3, v1 row_ror:4 row_mask:0xf bank_mask:0xf
	v_add_nc_u32_e32 v1, v1, v3
	s_delay_alu instid0(VALU_DEP_1) | instskip(NEXT) | instid1(VALU_DEP_1)
	v_mov_b32_dpp v3, v1 row_ror:8 row_mask:0xf bank_mask:0xf
	v_add_nc_u32_e32 v1, v1, v3
	ds_swizzle_b32 v3, v1 offset:swizzle(BROADCAST,32,15)
	s_wait_dscnt 0x0
	v_add_nc_u32_e32 v1, v1, v3
	v_mov_b32_e32 v3, 0
	ds_bpermute_b32 v1, v3, v1 offset:124
	v_cmpx_eq_u32_e32 0, v2
	s_cbranch_execz .LBB164_219
; %bb.218:
	v_lshrrev_b32_e32 v3, 3, v0
	s_delay_alu instid0(VALU_DEP_1)
	v_and_b32_e32 v3, 28, v3
	s_wait_dscnt 0x0
	ds_store_b32 v3, v1 offset:32
.LBB164_219:
	s_or_b32 exec_lo, exec_lo, s4
	s_delay_alu instid0(SALU_CYCLE_1)
	s_mov_b32 s4, exec_lo
	s_wait_dscnt 0x0
	s_barrier_signal -1
	s_barrier_wait -1
	global_inv scope:SCOPE_SE
	v_cmpx_gt_u32_e32 32, v0
	s_cbranch_execz .LBB164_221
; %bb.220:
	v_and_b32_e32 v1, 7, v2
	s_delay_alu instid0(VALU_DEP_1) | instskip(SKIP_4) | instid1(VALU_DEP_2)
	v_lshlrev_b32_e32 v3, 2, v1
	v_cmp_ne_u32_e32 vcc_lo, 7, v1
	ds_load_b32 v3, v3 offset:32
	v_add_co_ci_u32_e64 v4, null, 0, v2, vcc_lo
	v_cmp_gt_u32_e32 vcc_lo, 6, v1
	v_lshlrev_b32_e32 v4, 2, v4
	s_wait_alu 0xfffd
	v_cndmask_b32_e64 v1, 0, 2, vcc_lo
	s_delay_alu instid0(VALU_DEP_1)
	v_add_lshl_u32 v1, v1, v2, 2
	s_wait_dscnt 0x0
	ds_bpermute_b32 v4, v4, v3
	s_wait_dscnt 0x0
	v_add_nc_u32_e32 v3, v4, v3
	v_lshlrev_b32_e32 v4, 2, v2
	ds_bpermute_b32 v1, v1, v3
	s_wait_dscnt 0x0
	v_add_nc_u32_e32 v1, v1, v3
	v_or_b32_e32 v3, 16, v4
	ds_bpermute_b32 v3, v3, v1
	s_wait_dscnt 0x0
	v_add_nc_u32_e32 v1, v3, v1
.LBB164_221:
	s_or_b32 exec_lo, exec_lo, s4
.LBB164_222:
	v_cmp_eq_u32_e64 s2, 0, v0
	s_and_saveexec_b32 s3, s2
	s_cbranch_execnz .LBB164_225
	s_branch .LBB164_226
.LBB164_223:
                                        ; implicit-def: $vgpr1
                                        ; implicit-def: $sgpr34_sgpr35
.LBB164_224:
	s_delay_alu instid0(VALU_DEP_1)
	s_and_saveexec_b32 s3, s2
	s_cbranch_execz .LBB164_226
.LBB164_225:
	s_load_b96 s[0:2], s[0:1], 0x18
	s_lshl_b64 s[4:5], s[34:35], 2
	s_cmp_lg_u64 s[38:39], 0
	s_cselect_b32 vcc_lo, -1, 0
	s_wait_alu 0xfffe
	v_dual_cndmask_b32 v0, 0, v1 :: v_dual_mov_b32 v1, 0
	s_wait_kmcnt 0x0
	s_delay_alu instid0(VALU_DEP_1)
	v_add_nc_u32_e32 v0, s2, v0
	s_add_nc_u64 s[0:1], s[0:1], s[4:5]
	global_store_b32 v1, v0, s[0:1]
.LBB164_226:
	s_endpgm
.LBB164_227:
                                        ; implicit-def: $vgpr1
	s_cbranch_execz .LBB164_222
; %bb.228:
	s_sub_co_i32 s4, s38, s2
	s_mov_b32 s5, exec_lo
                                        ; implicit-def: $vgpr1
	v_cmpx_gt_u32_e64 s4, v0
	s_cbranch_execz .LBB164_230
; %bb.229:
	v_lshlrev_b32_e32 v1, 2, v0
	s_lshl_b64 s[2:3], s[2:3], 2
	s_delay_alu instid0(SALU_CYCLE_1)
	s_add_nc_u64 s[2:3], s[36:37], s[2:3]
	global_load_b32 v1, v1, s[2:3]
.LBB164_230:
	s_or_b32 exec_lo, exec_lo, s5
	v_cmp_ne_u32_e32 vcc_lo, 31, v2
	s_min_u32 s2, s4, 0x100
	v_add_nc_u32_e32 v5, 1, v2
	s_mov_b32 s3, exec_lo
	v_add_co_ci_u32_e64 v3, null, 0, v2, vcc_lo
	v_cmp_gt_u32_e32 vcc_lo, 30, v2
	s_delay_alu instid0(VALU_DEP_2)
	v_lshlrev_b32_e32 v3, 2, v3
	s_wait_alu 0xfffd
	v_cndmask_b32_e64 v6, 0, 2, vcc_lo
	s_wait_loadcnt 0x0
	ds_bpermute_b32 v3, v3, v1
	v_and_b32_e32 v4, 0xe0, v0
	s_delay_alu instid0(VALU_DEP_1) | instskip(NEXT) | instid1(VALU_DEP_1)
	v_sub_nc_u32_e64 v4, s2, v4 clamp
	v_cmp_lt_u32_e32 vcc_lo, v5, v4
	v_add_lshl_u32 v5, v6, v2, 2
	s_wait_dscnt 0x0
	s_wait_alu 0xfffd
	v_cndmask_b32_e32 v3, 0, v3, vcc_lo
	v_cmp_gt_u32_e32 vcc_lo, 28, v2
	s_delay_alu instid0(VALU_DEP_2) | instskip(SKIP_4) | instid1(VALU_DEP_1)
	v_add_nc_u32_e32 v1, v3, v1
	s_wait_alu 0xfffd
	v_cndmask_b32_e64 v6, 0, 4, vcc_lo
	ds_bpermute_b32 v3, v5, v1
	v_add_nc_u32_e32 v5, 2, v2
	v_cmp_lt_u32_e32 vcc_lo, v5, v4
	v_add_lshl_u32 v5, v6, v2, 2
	s_wait_dscnt 0x0
	s_wait_alu 0xfffd
	v_cndmask_b32_e32 v3, 0, v3, vcc_lo
	v_cmp_gt_u32_e32 vcc_lo, 24, v2
	s_delay_alu instid0(VALU_DEP_2) | instskip(SKIP_4) | instid1(VALU_DEP_1)
	v_add_nc_u32_e32 v1, v1, v3
	s_wait_alu 0xfffd
	v_cndmask_b32_e64 v6, 0, 8, vcc_lo
	ds_bpermute_b32 v3, v5, v1
	v_add_nc_u32_e32 v5, 4, v2
	v_cmp_lt_u32_e32 vcc_lo, v5, v4
	v_add_lshl_u32 v5, v6, v2, 2
	s_wait_dscnt 0x0
	s_wait_alu 0xfffd
	v_dual_cndmask_b32 v3, 0, v3 :: v_dual_add_nc_u32 v6, 8, v2
	s_delay_alu instid0(VALU_DEP_1) | instskip(NEXT) | instid1(VALU_DEP_2)
	v_cmp_lt_u32_e32 vcc_lo, v6, v4
	v_add_nc_u32_e32 v1, v1, v3
	v_lshlrev_b32_e32 v3, 2, v2
	ds_bpermute_b32 v5, v5, v1
	v_or_b32_e32 v6, 64, v3
	s_wait_dscnt 0x0
	s_wait_alu 0xfffd
	v_cndmask_b32_e32 v5, 0, v5, vcc_lo
	s_delay_alu instid0(VALU_DEP_1) | instskip(SKIP_2) | instid1(VALU_DEP_1)
	v_add_nc_u32_e32 v1, v1, v5
	ds_bpermute_b32 v5, v6, v1
	v_add_nc_u32_e32 v6, 16, v2
	v_cmp_lt_u32_e32 vcc_lo, v6, v4
	s_wait_dscnt 0x0
	s_wait_alu 0xfffd
	v_cndmask_b32_e32 v4, 0, v5, vcc_lo
	s_delay_alu instid0(VALU_DEP_1)
	v_add_nc_u32_e32 v1, v1, v4
	v_cmpx_eq_u32_e32 0, v2
; %bb.231:
	v_lshrrev_b32_e32 v4, 3, v0
	s_delay_alu instid0(VALU_DEP_1)
	v_and_b32_e32 v4, 28, v4
	ds_store_b32 v4, v1 offset:192
; %bb.232:
	s_or_b32 exec_lo, exec_lo, s3
	s_delay_alu instid0(SALU_CYCLE_1)
	s_mov_b32 s3, exec_lo
	s_wait_dscnt 0x0
	s_barrier_signal -1
	s_barrier_wait -1
	global_inv scope:SCOPE_SE
	v_cmpx_gt_u32_e32 8, v0
	s_cbranch_execz .LBB164_234
; %bb.233:
	ds_load_b32 v1, v3 offset:192
	v_and_b32_e32 v4, 7, v2
	s_add_co_i32 s2, s2, 31
	s_wait_alu 0xfffe
	s_lshr_b32 s2, s2, 5
	s_delay_alu instid0(VALU_DEP_1) | instskip(SKIP_4) | instid1(VALU_DEP_2)
	v_cmp_ne_u32_e32 vcc_lo, 7, v4
	v_add_nc_u32_e32 v6, 1, v4
	s_wait_alu 0xfffd
	v_add_co_ci_u32_e64 v5, null, 0, v2, vcc_lo
	v_cmp_gt_u32_e32 vcc_lo, 6, v4
	v_lshlrev_b32_e32 v5, 2, v5
	s_wait_alu 0xfffd
	v_cndmask_b32_e64 v7, 0, 2, vcc_lo
	s_wait_alu 0xfffe
	v_cmp_gt_u32_e32 vcc_lo, s2, v6
	s_wait_dscnt 0x0
	ds_bpermute_b32 v5, v5, v1
	v_add_lshl_u32 v2, v7, v2, 2
	s_wait_dscnt 0x0
	s_wait_alu 0xfffd
	v_cndmask_b32_e32 v5, 0, v5, vcc_lo
	s_delay_alu instid0(VALU_DEP_1)
	v_add_nc_u32_e32 v1, v5, v1
	v_add_nc_u32_e32 v5, 2, v4
	ds_bpermute_b32 v2, v2, v1
	v_cmp_gt_u32_e32 vcc_lo, s2, v5
	s_wait_dscnt 0x0
	s_wait_alu 0xfffd
	v_cndmask_b32_e32 v2, 0, v2, vcc_lo
	s_delay_alu instid0(VALU_DEP_1)
	v_add_nc_u32_e32 v1, v1, v2
	v_or_b32_e32 v2, 16, v3
	v_add_nc_u32_e32 v3, 4, v4
	ds_bpermute_b32 v2, v2, v1
	v_cmp_gt_u32_e32 vcc_lo, s2, v3
	s_wait_dscnt 0x0
	s_wait_alu 0xfffd
	v_cndmask_b32_e32 v2, 0, v2, vcc_lo
	s_delay_alu instid0(VALU_DEP_1)
	v_add_nc_u32_e32 v1, v1, v2
.LBB164_234:
	s_wait_alu 0xfffe
	s_or_b32 exec_lo, exec_lo, s3
	v_cmp_eq_u32_e64 s2, 0, v0
	s_and_saveexec_b32 s3, s2
	s_cbranch_execnz .LBB164_225
	s_branch .LBB164_226
	.section	.rodata,"a",@progbits
	.p2align	6, 0x0
	.amdhsa_kernel _ZN7rocprim17ROCPRIM_400000_NS6detail17trampoline_kernelINS0_14default_configENS1_22reduce_config_selectorIiEEZNS1_11reduce_implILb1ES3_PiS7_iN6hipcub16HIPCUB_304000_NS6detail34convert_binary_result_type_wrapperINS9_3SumENS9_22TransformInputIteratorIbN2at6native12_GLOBAL__N_19NonZeroOpIiEEPKilEEiEEEE10hipError_tPvRmT1_T2_T3_mT4_P12ihipStream_tbEUlT_E1_NS1_11comp_targetILNS1_3genE10ELNS1_11target_archE1201ELNS1_3gpuE5ELNS1_3repE0EEENS1_30default_config_static_selectorELNS0_4arch9wavefront6targetE0EEEvSQ_
		.amdhsa_group_segment_fixed_size 224
		.amdhsa_private_segment_fixed_size 0
		.amdhsa_kernarg_size 40
		.amdhsa_user_sgpr_count 2
		.amdhsa_user_sgpr_dispatch_ptr 0
		.amdhsa_user_sgpr_queue_ptr 0
		.amdhsa_user_sgpr_kernarg_segment_ptr 1
		.amdhsa_user_sgpr_dispatch_id 0
		.amdhsa_user_sgpr_private_segment_size 0
		.amdhsa_wavefront_size32 1
		.amdhsa_uses_dynamic_stack 0
		.amdhsa_enable_private_segment 0
		.amdhsa_system_sgpr_workgroup_id_x 1
		.amdhsa_system_sgpr_workgroup_id_y 0
		.amdhsa_system_sgpr_workgroup_id_z 0
		.amdhsa_system_sgpr_workgroup_info 0
		.amdhsa_system_vgpr_workitem_id 0
		.amdhsa_next_free_vgpr 34
		.amdhsa_next_free_sgpr 45
		.amdhsa_reserve_vcc 1
		.amdhsa_float_round_mode_32 0
		.amdhsa_float_round_mode_16_64 0
		.amdhsa_float_denorm_mode_32 3
		.amdhsa_float_denorm_mode_16_64 3
		.amdhsa_fp16_overflow 0
		.amdhsa_workgroup_processor_mode 1
		.amdhsa_memory_ordered 1
		.amdhsa_forward_progress 1
		.amdhsa_inst_pref_size 93
		.amdhsa_round_robin_scheduling 0
		.amdhsa_exception_fp_ieee_invalid_op 0
		.amdhsa_exception_fp_denorm_src 0
		.amdhsa_exception_fp_ieee_div_zero 0
		.amdhsa_exception_fp_ieee_overflow 0
		.amdhsa_exception_fp_ieee_underflow 0
		.amdhsa_exception_fp_ieee_inexact 0
		.amdhsa_exception_int_div_zero 0
	.end_amdhsa_kernel
	.section	.text._ZN7rocprim17ROCPRIM_400000_NS6detail17trampoline_kernelINS0_14default_configENS1_22reduce_config_selectorIiEEZNS1_11reduce_implILb1ES3_PiS7_iN6hipcub16HIPCUB_304000_NS6detail34convert_binary_result_type_wrapperINS9_3SumENS9_22TransformInputIteratorIbN2at6native12_GLOBAL__N_19NonZeroOpIiEEPKilEEiEEEE10hipError_tPvRmT1_T2_T3_mT4_P12ihipStream_tbEUlT_E1_NS1_11comp_targetILNS1_3genE10ELNS1_11target_archE1201ELNS1_3gpuE5ELNS1_3repE0EEENS1_30default_config_static_selectorELNS0_4arch9wavefront6targetE0EEEvSQ_,"axG",@progbits,_ZN7rocprim17ROCPRIM_400000_NS6detail17trampoline_kernelINS0_14default_configENS1_22reduce_config_selectorIiEEZNS1_11reduce_implILb1ES3_PiS7_iN6hipcub16HIPCUB_304000_NS6detail34convert_binary_result_type_wrapperINS9_3SumENS9_22TransformInputIteratorIbN2at6native12_GLOBAL__N_19NonZeroOpIiEEPKilEEiEEEE10hipError_tPvRmT1_T2_T3_mT4_P12ihipStream_tbEUlT_E1_NS1_11comp_targetILNS1_3genE10ELNS1_11target_archE1201ELNS1_3gpuE5ELNS1_3repE0EEENS1_30default_config_static_selectorELNS0_4arch9wavefront6targetE0EEEvSQ_,comdat
.Lfunc_end164:
	.size	_ZN7rocprim17ROCPRIM_400000_NS6detail17trampoline_kernelINS0_14default_configENS1_22reduce_config_selectorIiEEZNS1_11reduce_implILb1ES3_PiS7_iN6hipcub16HIPCUB_304000_NS6detail34convert_binary_result_type_wrapperINS9_3SumENS9_22TransformInputIteratorIbN2at6native12_GLOBAL__N_19NonZeroOpIiEEPKilEEiEEEE10hipError_tPvRmT1_T2_T3_mT4_P12ihipStream_tbEUlT_E1_NS1_11comp_targetILNS1_3genE10ELNS1_11target_archE1201ELNS1_3gpuE5ELNS1_3repE0EEENS1_30default_config_static_selectorELNS0_4arch9wavefront6targetE0EEEvSQ_, .Lfunc_end164-_ZN7rocprim17ROCPRIM_400000_NS6detail17trampoline_kernelINS0_14default_configENS1_22reduce_config_selectorIiEEZNS1_11reduce_implILb1ES3_PiS7_iN6hipcub16HIPCUB_304000_NS6detail34convert_binary_result_type_wrapperINS9_3SumENS9_22TransformInputIteratorIbN2at6native12_GLOBAL__N_19NonZeroOpIiEEPKilEEiEEEE10hipError_tPvRmT1_T2_T3_mT4_P12ihipStream_tbEUlT_E1_NS1_11comp_targetILNS1_3genE10ELNS1_11target_archE1201ELNS1_3gpuE5ELNS1_3repE0EEENS1_30default_config_static_selectorELNS0_4arch9wavefront6targetE0EEEvSQ_
                                        ; -- End function
	.set _ZN7rocprim17ROCPRIM_400000_NS6detail17trampoline_kernelINS0_14default_configENS1_22reduce_config_selectorIiEEZNS1_11reduce_implILb1ES3_PiS7_iN6hipcub16HIPCUB_304000_NS6detail34convert_binary_result_type_wrapperINS9_3SumENS9_22TransformInputIteratorIbN2at6native12_GLOBAL__N_19NonZeroOpIiEEPKilEEiEEEE10hipError_tPvRmT1_T2_T3_mT4_P12ihipStream_tbEUlT_E1_NS1_11comp_targetILNS1_3genE10ELNS1_11target_archE1201ELNS1_3gpuE5ELNS1_3repE0EEENS1_30default_config_static_selectorELNS0_4arch9wavefront6targetE0EEEvSQ_.num_vgpr, 34
	.set _ZN7rocprim17ROCPRIM_400000_NS6detail17trampoline_kernelINS0_14default_configENS1_22reduce_config_selectorIiEEZNS1_11reduce_implILb1ES3_PiS7_iN6hipcub16HIPCUB_304000_NS6detail34convert_binary_result_type_wrapperINS9_3SumENS9_22TransformInputIteratorIbN2at6native12_GLOBAL__N_19NonZeroOpIiEEPKilEEiEEEE10hipError_tPvRmT1_T2_T3_mT4_P12ihipStream_tbEUlT_E1_NS1_11comp_targetILNS1_3genE10ELNS1_11target_archE1201ELNS1_3gpuE5ELNS1_3repE0EEENS1_30default_config_static_selectorELNS0_4arch9wavefront6targetE0EEEvSQ_.num_agpr, 0
	.set _ZN7rocprim17ROCPRIM_400000_NS6detail17trampoline_kernelINS0_14default_configENS1_22reduce_config_selectorIiEEZNS1_11reduce_implILb1ES3_PiS7_iN6hipcub16HIPCUB_304000_NS6detail34convert_binary_result_type_wrapperINS9_3SumENS9_22TransformInputIteratorIbN2at6native12_GLOBAL__N_19NonZeroOpIiEEPKilEEiEEEE10hipError_tPvRmT1_T2_T3_mT4_P12ihipStream_tbEUlT_E1_NS1_11comp_targetILNS1_3genE10ELNS1_11target_archE1201ELNS1_3gpuE5ELNS1_3repE0EEENS1_30default_config_static_selectorELNS0_4arch9wavefront6targetE0EEEvSQ_.numbered_sgpr, 45
	.set _ZN7rocprim17ROCPRIM_400000_NS6detail17trampoline_kernelINS0_14default_configENS1_22reduce_config_selectorIiEEZNS1_11reduce_implILb1ES3_PiS7_iN6hipcub16HIPCUB_304000_NS6detail34convert_binary_result_type_wrapperINS9_3SumENS9_22TransformInputIteratorIbN2at6native12_GLOBAL__N_19NonZeroOpIiEEPKilEEiEEEE10hipError_tPvRmT1_T2_T3_mT4_P12ihipStream_tbEUlT_E1_NS1_11comp_targetILNS1_3genE10ELNS1_11target_archE1201ELNS1_3gpuE5ELNS1_3repE0EEENS1_30default_config_static_selectorELNS0_4arch9wavefront6targetE0EEEvSQ_.num_named_barrier, 0
	.set _ZN7rocprim17ROCPRIM_400000_NS6detail17trampoline_kernelINS0_14default_configENS1_22reduce_config_selectorIiEEZNS1_11reduce_implILb1ES3_PiS7_iN6hipcub16HIPCUB_304000_NS6detail34convert_binary_result_type_wrapperINS9_3SumENS9_22TransformInputIteratorIbN2at6native12_GLOBAL__N_19NonZeroOpIiEEPKilEEiEEEE10hipError_tPvRmT1_T2_T3_mT4_P12ihipStream_tbEUlT_E1_NS1_11comp_targetILNS1_3genE10ELNS1_11target_archE1201ELNS1_3gpuE5ELNS1_3repE0EEENS1_30default_config_static_selectorELNS0_4arch9wavefront6targetE0EEEvSQ_.private_seg_size, 0
	.set _ZN7rocprim17ROCPRIM_400000_NS6detail17trampoline_kernelINS0_14default_configENS1_22reduce_config_selectorIiEEZNS1_11reduce_implILb1ES3_PiS7_iN6hipcub16HIPCUB_304000_NS6detail34convert_binary_result_type_wrapperINS9_3SumENS9_22TransformInputIteratorIbN2at6native12_GLOBAL__N_19NonZeroOpIiEEPKilEEiEEEE10hipError_tPvRmT1_T2_T3_mT4_P12ihipStream_tbEUlT_E1_NS1_11comp_targetILNS1_3genE10ELNS1_11target_archE1201ELNS1_3gpuE5ELNS1_3repE0EEENS1_30default_config_static_selectorELNS0_4arch9wavefront6targetE0EEEvSQ_.uses_vcc, 1
	.set _ZN7rocprim17ROCPRIM_400000_NS6detail17trampoline_kernelINS0_14default_configENS1_22reduce_config_selectorIiEEZNS1_11reduce_implILb1ES3_PiS7_iN6hipcub16HIPCUB_304000_NS6detail34convert_binary_result_type_wrapperINS9_3SumENS9_22TransformInputIteratorIbN2at6native12_GLOBAL__N_19NonZeroOpIiEEPKilEEiEEEE10hipError_tPvRmT1_T2_T3_mT4_P12ihipStream_tbEUlT_E1_NS1_11comp_targetILNS1_3genE10ELNS1_11target_archE1201ELNS1_3gpuE5ELNS1_3repE0EEENS1_30default_config_static_selectorELNS0_4arch9wavefront6targetE0EEEvSQ_.uses_flat_scratch, 0
	.set _ZN7rocprim17ROCPRIM_400000_NS6detail17trampoline_kernelINS0_14default_configENS1_22reduce_config_selectorIiEEZNS1_11reduce_implILb1ES3_PiS7_iN6hipcub16HIPCUB_304000_NS6detail34convert_binary_result_type_wrapperINS9_3SumENS9_22TransformInputIteratorIbN2at6native12_GLOBAL__N_19NonZeroOpIiEEPKilEEiEEEE10hipError_tPvRmT1_T2_T3_mT4_P12ihipStream_tbEUlT_E1_NS1_11comp_targetILNS1_3genE10ELNS1_11target_archE1201ELNS1_3gpuE5ELNS1_3repE0EEENS1_30default_config_static_selectorELNS0_4arch9wavefront6targetE0EEEvSQ_.has_dyn_sized_stack, 0
	.set _ZN7rocprim17ROCPRIM_400000_NS6detail17trampoline_kernelINS0_14default_configENS1_22reduce_config_selectorIiEEZNS1_11reduce_implILb1ES3_PiS7_iN6hipcub16HIPCUB_304000_NS6detail34convert_binary_result_type_wrapperINS9_3SumENS9_22TransformInputIteratorIbN2at6native12_GLOBAL__N_19NonZeroOpIiEEPKilEEiEEEE10hipError_tPvRmT1_T2_T3_mT4_P12ihipStream_tbEUlT_E1_NS1_11comp_targetILNS1_3genE10ELNS1_11target_archE1201ELNS1_3gpuE5ELNS1_3repE0EEENS1_30default_config_static_selectorELNS0_4arch9wavefront6targetE0EEEvSQ_.has_recursion, 0
	.set _ZN7rocprim17ROCPRIM_400000_NS6detail17trampoline_kernelINS0_14default_configENS1_22reduce_config_selectorIiEEZNS1_11reduce_implILb1ES3_PiS7_iN6hipcub16HIPCUB_304000_NS6detail34convert_binary_result_type_wrapperINS9_3SumENS9_22TransformInputIteratorIbN2at6native12_GLOBAL__N_19NonZeroOpIiEEPKilEEiEEEE10hipError_tPvRmT1_T2_T3_mT4_P12ihipStream_tbEUlT_E1_NS1_11comp_targetILNS1_3genE10ELNS1_11target_archE1201ELNS1_3gpuE5ELNS1_3repE0EEENS1_30default_config_static_selectorELNS0_4arch9wavefront6targetE0EEEvSQ_.has_indirect_call, 0
	.section	.AMDGPU.csdata,"",@progbits
; Kernel info:
; codeLenInByte = 11904
; TotalNumSgprs: 47
; NumVgprs: 34
; ScratchSize: 0
; MemoryBound: 0
; FloatMode: 240
; IeeeMode: 1
; LDSByteSize: 224 bytes/workgroup (compile time only)
; SGPRBlocks: 0
; VGPRBlocks: 4
; NumSGPRsForWavesPerEU: 47
; NumVGPRsForWavesPerEU: 34
; Occupancy: 16
; WaveLimiterHint : 1
; COMPUTE_PGM_RSRC2:SCRATCH_EN: 0
; COMPUTE_PGM_RSRC2:USER_SGPR: 2
; COMPUTE_PGM_RSRC2:TRAP_HANDLER: 0
; COMPUTE_PGM_RSRC2:TGID_X_EN: 1
; COMPUTE_PGM_RSRC2:TGID_Y_EN: 0
; COMPUTE_PGM_RSRC2:TGID_Z_EN: 0
; COMPUTE_PGM_RSRC2:TIDIG_COMP_CNT: 0
	.section	.text._ZN7rocprim17ROCPRIM_400000_NS6detail17trampoline_kernelINS0_14default_configENS1_22reduce_config_selectorIiEEZNS1_11reduce_implILb1ES3_PiS7_iN6hipcub16HIPCUB_304000_NS6detail34convert_binary_result_type_wrapperINS9_3SumENS9_22TransformInputIteratorIbN2at6native12_GLOBAL__N_19NonZeroOpIiEEPKilEEiEEEE10hipError_tPvRmT1_T2_T3_mT4_P12ihipStream_tbEUlT_E1_NS1_11comp_targetILNS1_3genE10ELNS1_11target_archE1200ELNS1_3gpuE4ELNS1_3repE0EEENS1_30default_config_static_selectorELNS0_4arch9wavefront6targetE0EEEvSQ_,"axG",@progbits,_ZN7rocprim17ROCPRIM_400000_NS6detail17trampoline_kernelINS0_14default_configENS1_22reduce_config_selectorIiEEZNS1_11reduce_implILb1ES3_PiS7_iN6hipcub16HIPCUB_304000_NS6detail34convert_binary_result_type_wrapperINS9_3SumENS9_22TransformInputIteratorIbN2at6native12_GLOBAL__N_19NonZeroOpIiEEPKilEEiEEEE10hipError_tPvRmT1_T2_T3_mT4_P12ihipStream_tbEUlT_E1_NS1_11comp_targetILNS1_3genE10ELNS1_11target_archE1200ELNS1_3gpuE4ELNS1_3repE0EEENS1_30default_config_static_selectorELNS0_4arch9wavefront6targetE0EEEvSQ_,comdat
	.globl	_ZN7rocprim17ROCPRIM_400000_NS6detail17trampoline_kernelINS0_14default_configENS1_22reduce_config_selectorIiEEZNS1_11reduce_implILb1ES3_PiS7_iN6hipcub16HIPCUB_304000_NS6detail34convert_binary_result_type_wrapperINS9_3SumENS9_22TransformInputIteratorIbN2at6native12_GLOBAL__N_19NonZeroOpIiEEPKilEEiEEEE10hipError_tPvRmT1_T2_T3_mT4_P12ihipStream_tbEUlT_E1_NS1_11comp_targetILNS1_3genE10ELNS1_11target_archE1200ELNS1_3gpuE4ELNS1_3repE0EEENS1_30default_config_static_selectorELNS0_4arch9wavefront6targetE0EEEvSQ_ ; -- Begin function _ZN7rocprim17ROCPRIM_400000_NS6detail17trampoline_kernelINS0_14default_configENS1_22reduce_config_selectorIiEEZNS1_11reduce_implILb1ES3_PiS7_iN6hipcub16HIPCUB_304000_NS6detail34convert_binary_result_type_wrapperINS9_3SumENS9_22TransformInputIteratorIbN2at6native12_GLOBAL__N_19NonZeroOpIiEEPKilEEiEEEE10hipError_tPvRmT1_T2_T3_mT4_P12ihipStream_tbEUlT_E1_NS1_11comp_targetILNS1_3genE10ELNS1_11target_archE1200ELNS1_3gpuE4ELNS1_3repE0EEENS1_30default_config_static_selectorELNS0_4arch9wavefront6targetE0EEEvSQ_
	.p2align	8
	.type	_ZN7rocprim17ROCPRIM_400000_NS6detail17trampoline_kernelINS0_14default_configENS1_22reduce_config_selectorIiEEZNS1_11reduce_implILb1ES3_PiS7_iN6hipcub16HIPCUB_304000_NS6detail34convert_binary_result_type_wrapperINS9_3SumENS9_22TransformInputIteratorIbN2at6native12_GLOBAL__N_19NonZeroOpIiEEPKilEEiEEEE10hipError_tPvRmT1_T2_T3_mT4_P12ihipStream_tbEUlT_E1_NS1_11comp_targetILNS1_3genE10ELNS1_11target_archE1200ELNS1_3gpuE4ELNS1_3repE0EEENS1_30default_config_static_selectorELNS0_4arch9wavefront6targetE0EEEvSQ_,@function
_ZN7rocprim17ROCPRIM_400000_NS6detail17trampoline_kernelINS0_14default_configENS1_22reduce_config_selectorIiEEZNS1_11reduce_implILb1ES3_PiS7_iN6hipcub16HIPCUB_304000_NS6detail34convert_binary_result_type_wrapperINS9_3SumENS9_22TransformInputIteratorIbN2at6native12_GLOBAL__N_19NonZeroOpIiEEPKilEEiEEEE10hipError_tPvRmT1_T2_T3_mT4_P12ihipStream_tbEUlT_E1_NS1_11comp_targetILNS1_3genE10ELNS1_11target_archE1200ELNS1_3gpuE4ELNS1_3repE0EEENS1_30default_config_static_selectorELNS0_4arch9wavefront6targetE0EEEvSQ_: ; @_ZN7rocprim17ROCPRIM_400000_NS6detail17trampoline_kernelINS0_14default_configENS1_22reduce_config_selectorIiEEZNS1_11reduce_implILb1ES3_PiS7_iN6hipcub16HIPCUB_304000_NS6detail34convert_binary_result_type_wrapperINS9_3SumENS9_22TransformInputIteratorIbN2at6native12_GLOBAL__N_19NonZeroOpIiEEPKilEEiEEEE10hipError_tPvRmT1_T2_T3_mT4_P12ihipStream_tbEUlT_E1_NS1_11comp_targetILNS1_3genE10ELNS1_11target_archE1200ELNS1_3gpuE4ELNS1_3repE0EEENS1_30default_config_static_selectorELNS0_4arch9wavefront6targetE0EEEvSQ_
; %bb.0:
	.section	.rodata,"a",@progbits
	.p2align	6, 0x0
	.amdhsa_kernel _ZN7rocprim17ROCPRIM_400000_NS6detail17trampoline_kernelINS0_14default_configENS1_22reduce_config_selectorIiEEZNS1_11reduce_implILb1ES3_PiS7_iN6hipcub16HIPCUB_304000_NS6detail34convert_binary_result_type_wrapperINS9_3SumENS9_22TransformInputIteratorIbN2at6native12_GLOBAL__N_19NonZeroOpIiEEPKilEEiEEEE10hipError_tPvRmT1_T2_T3_mT4_P12ihipStream_tbEUlT_E1_NS1_11comp_targetILNS1_3genE10ELNS1_11target_archE1200ELNS1_3gpuE4ELNS1_3repE0EEENS1_30default_config_static_selectorELNS0_4arch9wavefront6targetE0EEEvSQ_
		.amdhsa_group_segment_fixed_size 0
		.amdhsa_private_segment_fixed_size 0
		.amdhsa_kernarg_size 40
		.amdhsa_user_sgpr_count 2
		.amdhsa_user_sgpr_dispatch_ptr 0
		.amdhsa_user_sgpr_queue_ptr 0
		.amdhsa_user_sgpr_kernarg_segment_ptr 1
		.amdhsa_user_sgpr_dispatch_id 0
		.amdhsa_user_sgpr_private_segment_size 0
		.amdhsa_wavefront_size32 1
		.amdhsa_uses_dynamic_stack 0
		.amdhsa_enable_private_segment 0
		.amdhsa_system_sgpr_workgroup_id_x 1
		.amdhsa_system_sgpr_workgroup_id_y 0
		.amdhsa_system_sgpr_workgroup_id_z 0
		.amdhsa_system_sgpr_workgroup_info 0
		.amdhsa_system_vgpr_workitem_id 0
		.amdhsa_next_free_vgpr 1
		.amdhsa_next_free_sgpr 1
		.amdhsa_reserve_vcc 0
		.amdhsa_float_round_mode_32 0
		.amdhsa_float_round_mode_16_64 0
		.amdhsa_float_denorm_mode_32 3
		.amdhsa_float_denorm_mode_16_64 3
		.amdhsa_fp16_overflow 0
		.amdhsa_workgroup_processor_mode 1
		.amdhsa_memory_ordered 1
		.amdhsa_forward_progress 1
		.amdhsa_inst_pref_size 0
		.amdhsa_round_robin_scheduling 0
		.amdhsa_exception_fp_ieee_invalid_op 0
		.amdhsa_exception_fp_denorm_src 0
		.amdhsa_exception_fp_ieee_div_zero 0
		.amdhsa_exception_fp_ieee_overflow 0
		.amdhsa_exception_fp_ieee_underflow 0
		.amdhsa_exception_fp_ieee_inexact 0
		.amdhsa_exception_int_div_zero 0
	.end_amdhsa_kernel
	.section	.text._ZN7rocprim17ROCPRIM_400000_NS6detail17trampoline_kernelINS0_14default_configENS1_22reduce_config_selectorIiEEZNS1_11reduce_implILb1ES3_PiS7_iN6hipcub16HIPCUB_304000_NS6detail34convert_binary_result_type_wrapperINS9_3SumENS9_22TransformInputIteratorIbN2at6native12_GLOBAL__N_19NonZeroOpIiEEPKilEEiEEEE10hipError_tPvRmT1_T2_T3_mT4_P12ihipStream_tbEUlT_E1_NS1_11comp_targetILNS1_3genE10ELNS1_11target_archE1200ELNS1_3gpuE4ELNS1_3repE0EEENS1_30default_config_static_selectorELNS0_4arch9wavefront6targetE0EEEvSQ_,"axG",@progbits,_ZN7rocprim17ROCPRIM_400000_NS6detail17trampoline_kernelINS0_14default_configENS1_22reduce_config_selectorIiEEZNS1_11reduce_implILb1ES3_PiS7_iN6hipcub16HIPCUB_304000_NS6detail34convert_binary_result_type_wrapperINS9_3SumENS9_22TransformInputIteratorIbN2at6native12_GLOBAL__N_19NonZeroOpIiEEPKilEEiEEEE10hipError_tPvRmT1_T2_T3_mT4_P12ihipStream_tbEUlT_E1_NS1_11comp_targetILNS1_3genE10ELNS1_11target_archE1200ELNS1_3gpuE4ELNS1_3repE0EEENS1_30default_config_static_selectorELNS0_4arch9wavefront6targetE0EEEvSQ_,comdat
.Lfunc_end165:
	.size	_ZN7rocprim17ROCPRIM_400000_NS6detail17trampoline_kernelINS0_14default_configENS1_22reduce_config_selectorIiEEZNS1_11reduce_implILb1ES3_PiS7_iN6hipcub16HIPCUB_304000_NS6detail34convert_binary_result_type_wrapperINS9_3SumENS9_22TransformInputIteratorIbN2at6native12_GLOBAL__N_19NonZeroOpIiEEPKilEEiEEEE10hipError_tPvRmT1_T2_T3_mT4_P12ihipStream_tbEUlT_E1_NS1_11comp_targetILNS1_3genE10ELNS1_11target_archE1200ELNS1_3gpuE4ELNS1_3repE0EEENS1_30default_config_static_selectorELNS0_4arch9wavefront6targetE0EEEvSQ_, .Lfunc_end165-_ZN7rocprim17ROCPRIM_400000_NS6detail17trampoline_kernelINS0_14default_configENS1_22reduce_config_selectorIiEEZNS1_11reduce_implILb1ES3_PiS7_iN6hipcub16HIPCUB_304000_NS6detail34convert_binary_result_type_wrapperINS9_3SumENS9_22TransformInputIteratorIbN2at6native12_GLOBAL__N_19NonZeroOpIiEEPKilEEiEEEE10hipError_tPvRmT1_T2_T3_mT4_P12ihipStream_tbEUlT_E1_NS1_11comp_targetILNS1_3genE10ELNS1_11target_archE1200ELNS1_3gpuE4ELNS1_3repE0EEENS1_30default_config_static_selectorELNS0_4arch9wavefront6targetE0EEEvSQ_
                                        ; -- End function
	.set _ZN7rocprim17ROCPRIM_400000_NS6detail17trampoline_kernelINS0_14default_configENS1_22reduce_config_selectorIiEEZNS1_11reduce_implILb1ES3_PiS7_iN6hipcub16HIPCUB_304000_NS6detail34convert_binary_result_type_wrapperINS9_3SumENS9_22TransformInputIteratorIbN2at6native12_GLOBAL__N_19NonZeroOpIiEEPKilEEiEEEE10hipError_tPvRmT1_T2_T3_mT4_P12ihipStream_tbEUlT_E1_NS1_11comp_targetILNS1_3genE10ELNS1_11target_archE1200ELNS1_3gpuE4ELNS1_3repE0EEENS1_30default_config_static_selectorELNS0_4arch9wavefront6targetE0EEEvSQ_.num_vgpr, 0
	.set _ZN7rocprim17ROCPRIM_400000_NS6detail17trampoline_kernelINS0_14default_configENS1_22reduce_config_selectorIiEEZNS1_11reduce_implILb1ES3_PiS7_iN6hipcub16HIPCUB_304000_NS6detail34convert_binary_result_type_wrapperINS9_3SumENS9_22TransformInputIteratorIbN2at6native12_GLOBAL__N_19NonZeroOpIiEEPKilEEiEEEE10hipError_tPvRmT1_T2_T3_mT4_P12ihipStream_tbEUlT_E1_NS1_11comp_targetILNS1_3genE10ELNS1_11target_archE1200ELNS1_3gpuE4ELNS1_3repE0EEENS1_30default_config_static_selectorELNS0_4arch9wavefront6targetE0EEEvSQ_.num_agpr, 0
	.set _ZN7rocprim17ROCPRIM_400000_NS6detail17trampoline_kernelINS0_14default_configENS1_22reduce_config_selectorIiEEZNS1_11reduce_implILb1ES3_PiS7_iN6hipcub16HIPCUB_304000_NS6detail34convert_binary_result_type_wrapperINS9_3SumENS9_22TransformInputIteratorIbN2at6native12_GLOBAL__N_19NonZeroOpIiEEPKilEEiEEEE10hipError_tPvRmT1_T2_T3_mT4_P12ihipStream_tbEUlT_E1_NS1_11comp_targetILNS1_3genE10ELNS1_11target_archE1200ELNS1_3gpuE4ELNS1_3repE0EEENS1_30default_config_static_selectorELNS0_4arch9wavefront6targetE0EEEvSQ_.numbered_sgpr, 0
	.set _ZN7rocprim17ROCPRIM_400000_NS6detail17trampoline_kernelINS0_14default_configENS1_22reduce_config_selectorIiEEZNS1_11reduce_implILb1ES3_PiS7_iN6hipcub16HIPCUB_304000_NS6detail34convert_binary_result_type_wrapperINS9_3SumENS9_22TransformInputIteratorIbN2at6native12_GLOBAL__N_19NonZeroOpIiEEPKilEEiEEEE10hipError_tPvRmT1_T2_T3_mT4_P12ihipStream_tbEUlT_E1_NS1_11comp_targetILNS1_3genE10ELNS1_11target_archE1200ELNS1_3gpuE4ELNS1_3repE0EEENS1_30default_config_static_selectorELNS0_4arch9wavefront6targetE0EEEvSQ_.num_named_barrier, 0
	.set _ZN7rocprim17ROCPRIM_400000_NS6detail17trampoline_kernelINS0_14default_configENS1_22reduce_config_selectorIiEEZNS1_11reduce_implILb1ES3_PiS7_iN6hipcub16HIPCUB_304000_NS6detail34convert_binary_result_type_wrapperINS9_3SumENS9_22TransformInputIteratorIbN2at6native12_GLOBAL__N_19NonZeroOpIiEEPKilEEiEEEE10hipError_tPvRmT1_T2_T3_mT4_P12ihipStream_tbEUlT_E1_NS1_11comp_targetILNS1_3genE10ELNS1_11target_archE1200ELNS1_3gpuE4ELNS1_3repE0EEENS1_30default_config_static_selectorELNS0_4arch9wavefront6targetE0EEEvSQ_.private_seg_size, 0
	.set _ZN7rocprim17ROCPRIM_400000_NS6detail17trampoline_kernelINS0_14default_configENS1_22reduce_config_selectorIiEEZNS1_11reduce_implILb1ES3_PiS7_iN6hipcub16HIPCUB_304000_NS6detail34convert_binary_result_type_wrapperINS9_3SumENS9_22TransformInputIteratorIbN2at6native12_GLOBAL__N_19NonZeroOpIiEEPKilEEiEEEE10hipError_tPvRmT1_T2_T3_mT4_P12ihipStream_tbEUlT_E1_NS1_11comp_targetILNS1_3genE10ELNS1_11target_archE1200ELNS1_3gpuE4ELNS1_3repE0EEENS1_30default_config_static_selectorELNS0_4arch9wavefront6targetE0EEEvSQ_.uses_vcc, 0
	.set _ZN7rocprim17ROCPRIM_400000_NS6detail17trampoline_kernelINS0_14default_configENS1_22reduce_config_selectorIiEEZNS1_11reduce_implILb1ES3_PiS7_iN6hipcub16HIPCUB_304000_NS6detail34convert_binary_result_type_wrapperINS9_3SumENS9_22TransformInputIteratorIbN2at6native12_GLOBAL__N_19NonZeroOpIiEEPKilEEiEEEE10hipError_tPvRmT1_T2_T3_mT4_P12ihipStream_tbEUlT_E1_NS1_11comp_targetILNS1_3genE10ELNS1_11target_archE1200ELNS1_3gpuE4ELNS1_3repE0EEENS1_30default_config_static_selectorELNS0_4arch9wavefront6targetE0EEEvSQ_.uses_flat_scratch, 0
	.set _ZN7rocprim17ROCPRIM_400000_NS6detail17trampoline_kernelINS0_14default_configENS1_22reduce_config_selectorIiEEZNS1_11reduce_implILb1ES3_PiS7_iN6hipcub16HIPCUB_304000_NS6detail34convert_binary_result_type_wrapperINS9_3SumENS9_22TransformInputIteratorIbN2at6native12_GLOBAL__N_19NonZeroOpIiEEPKilEEiEEEE10hipError_tPvRmT1_T2_T3_mT4_P12ihipStream_tbEUlT_E1_NS1_11comp_targetILNS1_3genE10ELNS1_11target_archE1200ELNS1_3gpuE4ELNS1_3repE0EEENS1_30default_config_static_selectorELNS0_4arch9wavefront6targetE0EEEvSQ_.has_dyn_sized_stack, 0
	.set _ZN7rocprim17ROCPRIM_400000_NS6detail17trampoline_kernelINS0_14default_configENS1_22reduce_config_selectorIiEEZNS1_11reduce_implILb1ES3_PiS7_iN6hipcub16HIPCUB_304000_NS6detail34convert_binary_result_type_wrapperINS9_3SumENS9_22TransformInputIteratorIbN2at6native12_GLOBAL__N_19NonZeroOpIiEEPKilEEiEEEE10hipError_tPvRmT1_T2_T3_mT4_P12ihipStream_tbEUlT_E1_NS1_11comp_targetILNS1_3genE10ELNS1_11target_archE1200ELNS1_3gpuE4ELNS1_3repE0EEENS1_30default_config_static_selectorELNS0_4arch9wavefront6targetE0EEEvSQ_.has_recursion, 0
	.set _ZN7rocprim17ROCPRIM_400000_NS6detail17trampoline_kernelINS0_14default_configENS1_22reduce_config_selectorIiEEZNS1_11reduce_implILb1ES3_PiS7_iN6hipcub16HIPCUB_304000_NS6detail34convert_binary_result_type_wrapperINS9_3SumENS9_22TransformInputIteratorIbN2at6native12_GLOBAL__N_19NonZeroOpIiEEPKilEEiEEEE10hipError_tPvRmT1_T2_T3_mT4_P12ihipStream_tbEUlT_E1_NS1_11comp_targetILNS1_3genE10ELNS1_11target_archE1200ELNS1_3gpuE4ELNS1_3repE0EEENS1_30default_config_static_selectorELNS0_4arch9wavefront6targetE0EEEvSQ_.has_indirect_call, 0
	.section	.AMDGPU.csdata,"",@progbits
; Kernel info:
; codeLenInByte = 0
; TotalNumSgprs: 0
; NumVgprs: 0
; ScratchSize: 0
; MemoryBound: 0
; FloatMode: 240
; IeeeMode: 1
; LDSByteSize: 0 bytes/workgroup (compile time only)
; SGPRBlocks: 0
; VGPRBlocks: 0
; NumSGPRsForWavesPerEU: 1
; NumVGPRsForWavesPerEU: 1
; Occupancy: 16
; WaveLimiterHint : 0
; COMPUTE_PGM_RSRC2:SCRATCH_EN: 0
; COMPUTE_PGM_RSRC2:USER_SGPR: 2
; COMPUTE_PGM_RSRC2:TRAP_HANDLER: 0
; COMPUTE_PGM_RSRC2:TGID_X_EN: 1
; COMPUTE_PGM_RSRC2:TGID_Y_EN: 0
; COMPUTE_PGM_RSRC2:TGID_Z_EN: 0
; COMPUTE_PGM_RSRC2:TIDIG_COMP_CNT: 0
	.section	.text._ZN7rocprim17ROCPRIM_400000_NS6detail17trampoline_kernelINS0_14default_configENS1_22reduce_config_selectorIiEEZNS1_11reduce_implILb1ES3_PiS7_iN6hipcub16HIPCUB_304000_NS6detail34convert_binary_result_type_wrapperINS9_3SumENS9_22TransformInputIteratorIbN2at6native12_GLOBAL__N_19NonZeroOpIiEEPKilEEiEEEE10hipError_tPvRmT1_T2_T3_mT4_P12ihipStream_tbEUlT_E1_NS1_11comp_targetILNS1_3genE9ELNS1_11target_archE1100ELNS1_3gpuE3ELNS1_3repE0EEENS1_30default_config_static_selectorELNS0_4arch9wavefront6targetE0EEEvSQ_,"axG",@progbits,_ZN7rocprim17ROCPRIM_400000_NS6detail17trampoline_kernelINS0_14default_configENS1_22reduce_config_selectorIiEEZNS1_11reduce_implILb1ES3_PiS7_iN6hipcub16HIPCUB_304000_NS6detail34convert_binary_result_type_wrapperINS9_3SumENS9_22TransformInputIteratorIbN2at6native12_GLOBAL__N_19NonZeroOpIiEEPKilEEiEEEE10hipError_tPvRmT1_T2_T3_mT4_P12ihipStream_tbEUlT_E1_NS1_11comp_targetILNS1_3genE9ELNS1_11target_archE1100ELNS1_3gpuE3ELNS1_3repE0EEENS1_30default_config_static_selectorELNS0_4arch9wavefront6targetE0EEEvSQ_,comdat
	.globl	_ZN7rocprim17ROCPRIM_400000_NS6detail17trampoline_kernelINS0_14default_configENS1_22reduce_config_selectorIiEEZNS1_11reduce_implILb1ES3_PiS7_iN6hipcub16HIPCUB_304000_NS6detail34convert_binary_result_type_wrapperINS9_3SumENS9_22TransformInputIteratorIbN2at6native12_GLOBAL__N_19NonZeroOpIiEEPKilEEiEEEE10hipError_tPvRmT1_T2_T3_mT4_P12ihipStream_tbEUlT_E1_NS1_11comp_targetILNS1_3genE9ELNS1_11target_archE1100ELNS1_3gpuE3ELNS1_3repE0EEENS1_30default_config_static_selectorELNS0_4arch9wavefront6targetE0EEEvSQ_ ; -- Begin function _ZN7rocprim17ROCPRIM_400000_NS6detail17trampoline_kernelINS0_14default_configENS1_22reduce_config_selectorIiEEZNS1_11reduce_implILb1ES3_PiS7_iN6hipcub16HIPCUB_304000_NS6detail34convert_binary_result_type_wrapperINS9_3SumENS9_22TransformInputIteratorIbN2at6native12_GLOBAL__N_19NonZeroOpIiEEPKilEEiEEEE10hipError_tPvRmT1_T2_T3_mT4_P12ihipStream_tbEUlT_E1_NS1_11comp_targetILNS1_3genE9ELNS1_11target_archE1100ELNS1_3gpuE3ELNS1_3repE0EEENS1_30default_config_static_selectorELNS0_4arch9wavefront6targetE0EEEvSQ_
	.p2align	8
	.type	_ZN7rocprim17ROCPRIM_400000_NS6detail17trampoline_kernelINS0_14default_configENS1_22reduce_config_selectorIiEEZNS1_11reduce_implILb1ES3_PiS7_iN6hipcub16HIPCUB_304000_NS6detail34convert_binary_result_type_wrapperINS9_3SumENS9_22TransformInputIteratorIbN2at6native12_GLOBAL__N_19NonZeroOpIiEEPKilEEiEEEE10hipError_tPvRmT1_T2_T3_mT4_P12ihipStream_tbEUlT_E1_NS1_11comp_targetILNS1_3genE9ELNS1_11target_archE1100ELNS1_3gpuE3ELNS1_3repE0EEENS1_30default_config_static_selectorELNS0_4arch9wavefront6targetE0EEEvSQ_,@function
_ZN7rocprim17ROCPRIM_400000_NS6detail17trampoline_kernelINS0_14default_configENS1_22reduce_config_selectorIiEEZNS1_11reduce_implILb1ES3_PiS7_iN6hipcub16HIPCUB_304000_NS6detail34convert_binary_result_type_wrapperINS9_3SumENS9_22TransformInputIteratorIbN2at6native12_GLOBAL__N_19NonZeroOpIiEEPKilEEiEEEE10hipError_tPvRmT1_T2_T3_mT4_P12ihipStream_tbEUlT_E1_NS1_11comp_targetILNS1_3genE9ELNS1_11target_archE1100ELNS1_3gpuE3ELNS1_3repE0EEENS1_30default_config_static_selectorELNS0_4arch9wavefront6targetE0EEEvSQ_: ; @_ZN7rocprim17ROCPRIM_400000_NS6detail17trampoline_kernelINS0_14default_configENS1_22reduce_config_selectorIiEEZNS1_11reduce_implILb1ES3_PiS7_iN6hipcub16HIPCUB_304000_NS6detail34convert_binary_result_type_wrapperINS9_3SumENS9_22TransformInputIteratorIbN2at6native12_GLOBAL__N_19NonZeroOpIiEEPKilEEiEEEE10hipError_tPvRmT1_T2_T3_mT4_P12ihipStream_tbEUlT_E1_NS1_11comp_targetILNS1_3genE9ELNS1_11target_archE1100ELNS1_3gpuE3ELNS1_3repE0EEENS1_30default_config_static_selectorELNS0_4arch9wavefront6targetE0EEEvSQ_
; %bb.0:
	.section	.rodata,"a",@progbits
	.p2align	6, 0x0
	.amdhsa_kernel _ZN7rocprim17ROCPRIM_400000_NS6detail17trampoline_kernelINS0_14default_configENS1_22reduce_config_selectorIiEEZNS1_11reduce_implILb1ES3_PiS7_iN6hipcub16HIPCUB_304000_NS6detail34convert_binary_result_type_wrapperINS9_3SumENS9_22TransformInputIteratorIbN2at6native12_GLOBAL__N_19NonZeroOpIiEEPKilEEiEEEE10hipError_tPvRmT1_T2_T3_mT4_P12ihipStream_tbEUlT_E1_NS1_11comp_targetILNS1_3genE9ELNS1_11target_archE1100ELNS1_3gpuE3ELNS1_3repE0EEENS1_30default_config_static_selectorELNS0_4arch9wavefront6targetE0EEEvSQ_
		.amdhsa_group_segment_fixed_size 0
		.amdhsa_private_segment_fixed_size 0
		.amdhsa_kernarg_size 40
		.amdhsa_user_sgpr_count 2
		.amdhsa_user_sgpr_dispatch_ptr 0
		.amdhsa_user_sgpr_queue_ptr 0
		.amdhsa_user_sgpr_kernarg_segment_ptr 1
		.amdhsa_user_sgpr_dispatch_id 0
		.amdhsa_user_sgpr_private_segment_size 0
		.amdhsa_wavefront_size32 1
		.amdhsa_uses_dynamic_stack 0
		.amdhsa_enable_private_segment 0
		.amdhsa_system_sgpr_workgroup_id_x 1
		.amdhsa_system_sgpr_workgroup_id_y 0
		.amdhsa_system_sgpr_workgroup_id_z 0
		.amdhsa_system_sgpr_workgroup_info 0
		.amdhsa_system_vgpr_workitem_id 0
		.amdhsa_next_free_vgpr 1
		.amdhsa_next_free_sgpr 1
		.amdhsa_reserve_vcc 0
		.amdhsa_float_round_mode_32 0
		.amdhsa_float_round_mode_16_64 0
		.amdhsa_float_denorm_mode_32 3
		.amdhsa_float_denorm_mode_16_64 3
		.amdhsa_fp16_overflow 0
		.amdhsa_workgroup_processor_mode 1
		.amdhsa_memory_ordered 1
		.amdhsa_forward_progress 1
		.amdhsa_inst_pref_size 0
		.amdhsa_round_robin_scheduling 0
		.amdhsa_exception_fp_ieee_invalid_op 0
		.amdhsa_exception_fp_denorm_src 0
		.amdhsa_exception_fp_ieee_div_zero 0
		.amdhsa_exception_fp_ieee_overflow 0
		.amdhsa_exception_fp_ieee_underflow 0
		.amdhsa_exception_fp_ieee_inexact 0
		.amdhsa_exception_int_div_zero 0
	.end_amdhsa_kernel
	.section	.text._ZN7rocprim17ROCPRIM_400000_NS6detail17trampoline_kernelINS0_14default_configENS1_22reduce_config_selectorIiEEZNS1_11reduce_implILb1ES3_PiS7_iN6hipcub16HIPCUB_304000_NS6detail34convert_binary_result_type_wrapperINS9_3SumENS9_22TransformInputIteratorIbN2at6native12_GLOBAL__N_19NonZeroOpIiEEPKilEEiEEEE10hipError_tPvRmT1_T2_T3_mT4_P12ihipStream_tbEUlT_E1_NS1_11comp_targetILNS1_3genE9ELNS1_11target_archE1100ELNS1_3gpuE3ELNS1_3repE0EEENS1_30default_config_static_selectorELNS0_4arch9wavefront6targetE0EEEvSQ_,"axG",@progbits,_ZN7rocprim17ROCPRIM_400000_NS6detail17trampoline_kernelINS0_14default_configENS1_22reduce_config_selectorIiEEZNS1_11reduce_implILb1ES3_PiS7_iN6hipcub16HIPCUB_304000_NS6detail34convert_binary_result_type_wrapperINS9_3SumENS9_22TransformInputIteratorIbN2at6native12_GLOBAL__N_19NonZeroOpIiEEPKilEEiEEEE10hipError_tPvRmT1_T2_T3_mT4_P12ihipStream_tbEUlT_E1_NS1_11comp_targetILNS1_3genE9ELNS1_11target_archE1100ELNS1_3gpuE3ELNS1_3repE0EEENS1_30default_config_static_selectorELNS0_4arch9wavefront6targetE0EEEvSQ_,comdat
.Lfunc_end166:
	.size	_ZN7rocprim17ROCPRIM_400000_NS6detail17trampoline_kernelINS0_14default_configENS1_22reduce_config_selectorIiEEZNS1_11reduce_implILb1ES3_PiS7_iN6hipcub16HIPCUB_304000_NS6detail34convert_binary_result_type_wrapperINS9_3SumENS9_22TransformInputIteratorIbN2at6native12_GLOBAL__N_19NonZeroOpIiEEPKilEEiEEEE10hipError_tPvRmT1_T2_T3_mT4_P12ihipStream_tbEUlT_E1_NS1_11comp_targetILNS1_3genE9ELNS1_11target_archE1100ELNS1_3gpuE3ELNS1_3repE0EEENS1_30default_config_static_selectorELNS0_4arch9wavefront6targetE0EEEvSQ_, .Lfunc_end166-_ZN7rocprim17ROCPRIM_400000_NS6detail17trampoline_kernelINS0_14default_configENS1_22reduce_config_selectorIiEEZNS1_11reduce_implILb1ES3_PiS7_iN6hipcub16HIPCUB_304000_NS6detail34convert_binary_result_type_wrapperINS9_3SumENS9_22TransformInputIteratorIbN2at6native12_GLOBAL__N_19NonZeroOpIiEEPKilEEiEEEE10hipError_tPvRmT1_T2_T3_mT4_P12ihipStream_tbEUlT_E1_NS1_11comp_targetILNS1_3genE9ELNS1_11target_archE1100ELNS1_3gpuE3ELNS1_3repE0EEENS1_30default_config_static_selectorELNS0_4arch9wavefront6targetE0EEEvSQ_
                                        ; -- End function
	.set _ZN7rocprim17ROCPRIM_400000_NS6detail17trampoline_kernelINS0_14default_configENS1_22reduce_config_selectorIiEEZNS1_11reduce_implILb1ES3_PiS7_iN6hipcub16HIPCUB_304000_NS6detail34convert_binary_result_type_wrapperINS9_3SumENS9_22TransformInputIteratorIbN2at6native12_GLOBAL__N_19NonZeroOpIiEEPKilEEiEEEE10hipError_tPvRmT1_T2_T3_mT4_P12ihipStream_tbEUlT_E1_NS1_11comp_targetILNS1_3genE9ELNS1_11target_archE1100ELNS1_3gpuE3ELNS1_3repE0EEENS1_30default_config_static_selectorELNS0_4arch9wavefront6targetE0EEEvSQ_.num_vgpr, 0
	.set _ZN7rocprim17ROCPRIM_400000_NS6detail17trampoline_kernelINS0_14default_configENS1_22reduce_config_selectorIiEEZNS1_11reduce_implILb1ES3_PiS7_iN6hipcub16HIPCUB_304000_NS6detail34convert_binary_result_type_wrapperINS9_3SumENS9_22TransformInputIteratorIbN2at6native12_GLOBAL__N_19NonZeroOpIiEEPKilEEiEEEE10hipError_tPvRmT1_T2_T3_mT4_P12ihipStream_tbEUlT_E1_NS1_11comp_targetILNS1_3genE9ELNS1_11target_archE1100ELNS1_3gpuE3ELNS1_3repE0EEENS1_30default_config_static_selectorELNS0_4arch9wavefront6targetE0EEEvSQ_.num_agpr, 0
	.set _ZN7rocprim17ROCPRIM_400000_NS6detail17trampoline_kernelINS0_14default_configENS1_22reduce_config_selectorIiEEZNS1_11reduce_implILb1ES3_PiS7_iN6hipcub16HIPCUB_304000_NS6detail34convert_binary_result_type_wrapperINS9_3SumENS9_22TransformInputIteratorIbN2at6native12_GLOBAL__N_19NonZeroOpIiEEPKilEEiEEEE10hipError_tPvRmT1_T2_T3_mT4_P12ihipStream_tbEUlT_E1_NS1_11comp_targetILNS1_3genE9ELNS1_11target_archE1100ELNS1_3gpuE3ELNS1_3repE0EEENS1_30default_config_static_selectorELNS0_4arch9wavefront6targetE0EEEvSQ_.numbered_sgpr, 0
	.set _ZN7rocprim17ROCPRIM_400000_NS6detail17trampoline_kernelINS0_14default_configENS1_22reduce_config_selectorIiEEZNS1_11reduce_implILb1ES3_PiS7_iN6hipcub16HIPCUB_304000_NS6detail34convert_binary_result_type_wrapperINS9_3SumENS9_22TransformInputIteratorIbN2at6native12_GLOBAL__N_19NonZeroOpIiEEPKilEEiEEEE10hipError_tPvRmT1_T2_T3_mT4_P12ihipStream_tbEUlT_E1_NS1_11comp_targetILNS1_3genE9ELNS1_11target_archE1100ELNS1_3gpuE3ELNS1_3repE0EEENS1_30default_config_static_selectorELNS0_4arch9wavefront6targetE0EEEvSQ_.num_named_barrier, 0
	.set _ZN7rocprim17ROCPRIM_400000_NS6detail17trampoline_kernelINS0_14default_configENS1_22reduce_config_selectorIiEEZNS1_11reduce_implILb1ES3_PiS7_iN6hipcub16HIPCUB_304000_NS6detail34convert_binary_result_type_wrapperINS9_3SumENS9_22TransformInputIteratorIbN2at6native12_GLOBAL__N_19NonZeroOpIiEEPKilEEiEEEE10hipError_tPvRmT1_T2_T3_mT4_P12ihipStream_tbEUlT_E1_NS1_11comp_targetILNS1_3genE9ELNS1_11target_archE1100ELNS1_3gpuE3ELNS1_3repE0EEENS1_30default_config_static_selectorELNS0_4arch9wavefront6targetE0EEEvSQ_.private_seg_size, 0
	.set _ZN7rocprim17ROCPRIM_400000_NS6detail17trampoline_kernelINS0_14default_configENS1_22reduce_config_selectorIiEEZNS1_11reduce_implILb1ES3_PiS7_iN6hipcub16HIPCUB_304000_NS6detail34convert_binary_result_type_wrapperINS9_3SumENS9_22TransformInputIteratorIbN2at6native12_GLOBAL__N_19NonZeroOpIiEEPKilEEiEEEE10hipError_tPvRmT1_T2_T3_mT4_P12ihipStream_tbEUlT_E1_NS1_11comp_targetILNS1_3genE9ELNS1_11target_archE1100ELNS1_3gpuE3ELNS1_3repE0EEENS1_30default_config_static_selectorELNS0_4arch9wavefront6targetE0EEEvSQ_.uses_vcc, 0
	.set _ZN7rocprim17ROCPRIM_400000_NS6detail17trampoline_kernelINS0_14default_configENS1_22reduce_config_selectorIiEEZNS1_11reduce_implILb1ES3_PiS7_iN6hipcub16HIPCUB_304000_NS6detail34convert_binary_result_type_wrapperINS9_3SumENS9_22TransformInputIteratorIbN2at6native12_GLOBAL__N_19NonZeroOpIiEEPKilEEiEEEE10hipError_tPvRmT1_T2_T3_mT4_P12ihipStream_tbEUlT_E1_NS1_11comp_targetILNS1_3genE9ELNS1_11target_archE1100ELNS1_3gpuE3ELNS1_3repE0EEENS1_30default_config_static_selectorELNS0_4arch9wavefront6targetE0EEEvSQ_.uses_flat_scratch, 0
	.set _ZN7rocprim17ROCPRIM_400000_NS6detail17trampoline_kernelINS0_14default_configENS1_22reduce_config_selectorIiEEZNS1_11reduce_implILb1ES3_PiS7_iN6hipcub16HIPCUB_304000_NS6detail34convert_binary_result_type_wrapperINS9_3SumENS9_22TransformInputIteratorIbN2at6native12_GLOBAL__N_19NonZeroOpIiEEPKilEEiEEEE10hipError_tPvRmT1_T2_T3_mT4_P12ihipStream_tbEUlT_E1_NS1_11comp_targetILNS1_3genE9ELNS1_11target_archE1100ELNS1_3gpuE3ELNS1_3repE0EEENS1_30default_config_static_selectorELNS0_4arch9wavefront6targetE0EEEvSQ_.has_dyn_sized_stack, 0
	.set _ZN7rocprim17ROCPRIM_400000_NS6detail17trampoline_kernelINS0_14default_configENS1_22reduce_config_selectorIiEEZNS1_11reduce_implILb1ES3_PiS7_iN6hipcub16HIPCUB_304000_NS6detail34convert_binary_result_type_wrapperINS9_3SumENS9_22TransformInputIteratorIbN2at6native12_GLOBAL__N_19NonZeroOpIiEEPKilEEiEEEE10hipError_tPvRmT1_T2_T3_mT4_P12ihipStream_tbEUlT_E1_NS1_11comp_targetILNS1_3genE9ELNS1_11target_archE1100ELNS1_3gpuE3ELNS1_3repE0EEENS1_30default_config_static_selectorELNS0_4arch9wavefront6targetE0EEEvSQ_.has_recursion, 0
	.set _ZN7rocprim17ROCPRIM_400000_NS6detail17trampoline_kernelINS0_14default_configENS1_22reduce_config_selectorIiEEZNS1_11reduce_implILb1ES3_PiS7_iN6hipcub16HIPCUB_304000_NS6detail34convert_binary_result_type_wrapperINS9_3SumENS9_22TransformInputIteratorIbN2at6native12_GLOBAL__N_19NonZeroOpIiEEPKilEEiEEEE10hipError_tPvRmT1_T2_T3_mT4_P12ihipStream_tbEUlT_E1_NS1_11comp_targetILNS1_3genE9ELNS1_11target_archE1100ELNS1_3gpuE3ELNS1_3repE0EEENS1_30default_config_static_selectorELNS0_4arch9wavefront6targetE0EEEvSQ_.has_indirect_call, 0
	.section	.AMDGPU.csdata,"",@progbits
; Kernel info:
; codeLenInByte = 0
; TotalNumSgprs: 0
; NumVgprs: 0
; ScratchSize: 0
; MemoryBound: 0
; FloatMode: 240
; IeeeMode: 1
; LDSByteSize: 0 bytes/workgroup (compile time only)
; SGPRBlocks: 0
; VGPRBlocks: 0
; NumSGPRsForWavesPerEU: 1
; NumVGPRsForWavesPerEU: 1
; Occupancy: 16
; WaveLimiterHint : 0
; COMPUTE_PGM_RSRC2:SCRATCH_EN: 0
; COMPUTE_PGM_RSRC2:USER_SGPR: 2
; COMPUTE_PGM_RSRC2:TRAP_HANDLER: 0
; COMPUTE_PGM_RSRC2:TGID_X_EN: 1
; COMPUTE_PGM_RSRC2:TGID_Y_EN: 0
; COMPUTE_PGM_RSRC2:TGID_Z_EN: 0
; COMPUTE_PGM_RSRC2:TIDIG_COMP_CNT: 0
	.section	.text._ZN7rocprim17ROCPRIM_400000_NS6detail17trampoline_kernelINS0_14default_configENS1_22reduce_config_selectorIiEEZNS1_11reduce_implILb1ES3_PiS7_iN6hipcub16HIPCUB_304000_NS6detail34convert_binary_result_type_wrapperINS9_3SumENS9_22TransformInputIteratorIbN2at6native12_GLOBAL__N_19NonZeroOpIiEEPKilEEiEEEE10hipError_tPvRmT1_T2_T3_mT4_P12ihipStream_tbEUlT_E1_NS1_11comp_targetILNS1_3genE8ELNS1_11target_archE1030ELNS1_3gpuE2ELNS1_3repE0EEENS1_30default_config_static_selectorELNS0_4arch9wavefront6targetE0EEEvSQ_,"axG",@progbits,_ZN7rocprim17ROCPRIM_400000_NS6detail17trampoline_kernelINS0_14default_configENS1_22reduce_config_selectorIiEEZNS1_11reduce_implILb1ES3_PiS7_iN6hipcub16HIPCUB_304000_NS6detail34convert_binary_result_type_wrapperINS9_3SumENS9_22TransformInputIteratorIbN2at6native12_GLOBAL__N_19NonZeroOpIiEEPKilEEiEEEE10hipError_tPvRmT1_T2_T3_mT4_P12ihipStream_tbEUlT_E1_NS1_11comp_targetILNS1_3genE8ELNS1_11target_archE1030ELNS1_3gpuE2ELNS1_3repE0EEENS1_30default_config_static_selectorELNS0_4arch9wavefront6targetE0EEEvSQ_,comdat
	.globl	_ZN7rocprim17ROCPRIM_400000_NS6detail17trampoline_kernelINS0_14default_configENS1_22reduce_config_selectorIiEEZNS1_11reduce_implILb1ES3_PiS7_iN6hipcub16HIPCUB_304000_NS6detail34convert_binary_result_type_wrapperINS9_3SumENS9_22TransformInputIteratorIbN2at6native12_GLOBAL__N_19NonZeroOpIiEEPKilEEiEEEE10hipError_tPvRmT1_T2_T3_mT4_P12ihipStream_tbEUlT_E1_NS1_11comp_targetILNS1_3genE8ELNS1_11target_archE1030ELNS1_3gpuE2ELNS1_3repE0EEENS1_30default_config_static_selectorELNS0_4arch9wavefront6targetE0EEEvSQ_ ; -- Begin function _ZN7rocprim17ROCPRIM_400000_NS6detail17trampoline_kernelINS0_14default_configENS1_22reduce_config_selectorIiEEZNS1_11reduce_implILb1ES3_PiS7_iN6hipcub16HIPCUB_304000_NS6detail34convert_binary_result_type_wrapperINS9_3SumENS9_22TransformInputIteratorIbN2at6native12_GLOBAL__N_19NonZeroOpIiEEPKilEEiEEEE10hipError_tPvRmT1_T2_T3_mT4_P12ihipStream_tbEUlT_E1_NS1_11comp_targetILNS1_3genE8ELNS1_11target_archE1030ELNS1_3gpuE2ELNS1_3repE0EEENS1_30default_config_static_selectorELNS0_4arch9wavefront6targetE0EEEvSQ_
	.p2align	8
	.type	_ZN7rocprim17ROCPRIM_400000_NS6detail17trampoline_kernelINS0_14default_configENS1_22reduce_config_selectorIiEEZNS1_11reduce_implILb1ES3_PiS7_iN6hipcub16HIPCUB_304000_NS6detail34convert_binary_result_type_wrapperINS9_3SumENS9_22TransformInputIteratorIbN2at6native12_GLOBAL__N_19NonZeroOpIiEEPKilEEiEEEE10hipError_tPvRmT1_T2_T3_mT4_P12ihipStream_tbEUlT_E1_NS1_11comp_targetILNS1_3genE8ELNS1_11target_archE1030ELNS1_3gpuE2ELNS1_3repE0EEENS1_30default_config_static_selectorELNS0_4arch9wavefront6targetE0EEEvSQ_,@function
_ZN7rocprim17ROCPRIM_400000_NS6detail17trampoline_kernelINS0_14default_configENS1_22reduce_config_selectorIiEEZNS1_11reduce_implILb1ES3_PiS7_iN6hipcub16HIPCUB_304000_NS6detail34convert_binary_result_type_wrapperINS9_3SumENS9_22TransformInputIteratorIbN2at6native12_GLOBAL__N_19NonZeroOpIiEEPKilEEiEEEE10hipError_tPvRmT1_T2_T3_mT4_P12ihipStream_tbEUlT_E1_NS1_11comp_targetILNS1_3genE8ELNS1_11target_archE1030ELNS1_3gpuE2ELNS1_3repE0EEENS1_30default_config_static_selectorELNS0_4arch9wavefront6targetE0EEEvSQ_: ; @_ZN7rocprim17ROCPRIM_400000_NS6detail17trampoline_kernelINS0_14default_configENS1_22reduce_config_selectorIiEEZNS1_11reduce_implILb1ES3_PiS7_iN6hipcub16HIPCUB_304000_NS6detail34convert_binary_result_type_wrapperINS9_3SumENS9_22TransformInputIteratorIbN2at6native12_GLOBAL__N_19NonZeroOpIiEEPKilEEiEEEE10hipError_tPvRmT1_T2_T3_mT4_P12ihipStream_tbEUlT_E1_NS1_11comp_targetILNS1_3genE8ELNS1_11target_archE1030ELNS1_3gpuE2ELNS1_3repE0EEENS1_30default_config_static_selectorELNS0_4arch9wavefront6targetE0EEEvSQ_
; %bb.0:
	.section	.rodata,"a",@progbits
	.p2align	6, 0x0
	.amdhsa_kernel _ZN7rocprim17ROCPRIM_400000_NS6detail17trampoline_kernelINS0_14default_configENS1_22reduce_config_selectorIiEEZNS1_11reduce_implILb1ES3_PiS7_iN6hipcub16HIPCUB_304000_NS6detail34convert_binary_result_type_wrapperINS9_3SumENS9_22TransformInputIteratorIbN2at6native12_GLOBAL__N_19NonZeroOpIiEEPKilEEiEEEE10hipError_tPvRmT1_T2_T3_mT4_P12ihipStream_tbEUlT_E1_NS1_11comp_targetILNS1_3genE8ELNS1_11target_archE1030ELNS1_3gpuE2ELNS1_3repE0EEENS1_30default_config_static_selectorELNS0_4arch9wavefront6targetE0EEEvSQ_
		.amdhsa_group_segment_fixed_size 0
		.amdhsa_private_segment_fixed_size 0
		.amdhsa_kernarg_size 40
		.amdhsa_user_sgpr_count 2
		.amdhsa_user_sgpr_dispatch_ptr 0
		.amdhsa_user_sgpr_queue_ptr 0
		.amdhsa_user_sgpr_kernarg_segment_ptr 1
		.amdhsa_user_sgpr_dispatch_id 0
		.amdhsa_user_sgpr_private_segment_size 0
		.amdhsa_wavefront_size32 1
		.amdhsa_uses_dynamic_stack 0
		.amdhsa_enable_private_segment 0
		.amdhsa_system_sgpr_workgroup_id_x 1
		.amdhsa_system_sgpr_workgroup_id_y 0
		.amdhsa_system_sgpr_workgroup_id_z 0
		.amdhsa_system_sgpr_workgroup_info 0
		.amdhsa_system_vgpr_workitem_id 0
		.amdhsa_next_free_vgpr 1
		.amdhsa_next_free_sgpr 1
		.amdhsa_reserve_vcc 0
		.amdhsa_float_round_mode_32 0
		.amdhsa_float_round_mode_16_64 0
		.amdhsa_float_denorm_mode_32 3
		.amdhsa_float_denorm_mode_16_64 3
		.amdhsa_fp16_overflow 0
		.amdhsa_workgroup_processor_mode 1
		.amdhsa_memory_ordered 1
		.amdhsa_forward_progress 1
		.amdhsa_inst_pref_size 0
		.amdhsa_round_robin_scheduling 0
		.amdhsa_exception_fp_ieee_invalid_op 0
		.amdhsa_exception_fp_denorm_src 0
		.amdhsa_exception_fp_ieee_div_zero 0
		.amdhsa_exception_fp_ieee_overflow 0
		.amdhsa_exception_fp_ieee_underflow 0
		.amdhsa_exception_fp_ieee_inexact 0
		.amdhsa_exception_int_div_zero 0
	.end_amdhsa_kernel
	.section	.text._ZN7rocprim17ROCPRIM_400000_NS6detail17trampoline_kernelINS0_14default_configENS1_22reduce_config_selectorIiEEZNS1_11reduce_implILb1ES3_PiS7_iN6hipcub16HIPCUB_304000_NS6detail34convert_binary_result_type_wrapperINS9_3SumENS9_22TransformInputIteratorIbN2at6native12_GLOBAL__N_19NonZeroOpIiEEPKilEEiEEEE10hipError_tPvRmT1_T2_T3_mT4_P12ihipStream_tbEUlT_E1_NS1_11comp_targetILNS1_3genE8ELNS1_11target_archE1030ELNS1_3gpuE2ELNS1_3repE0EEENS1_30default_config_static_selectorELNS0_4arch9wavefront6targetE0EEEvSQ_,"axG",@progbits,_ZN7rocprim17ROCPRIM_400000_NS6detail17trampoline_kernelINS0_14default_configENS1_22reduce_config_selectorIiEEZNS1_11reduce_implILb1ES3_PiS7_iN6hipcub16HIPCUB_304000_NS6detail34convert_binary_result_type_wrapperINS9_3SumENS9_22TransformInputIteratorIbN2at6native12_GLOBAL__N_19NonZeroOpIiEEPKilEEiEEEE10hipError_tPvRmT1_T2_T3_mT4_P12ihipStream_tbEUlT_E1_NS1_11comp_targetILNS1_3genE8ELNS1_11target_archE1030ELNS1_3gpuE2ELNS1_3repE0EEENS1_30default_config_static_selectorELNS0_4arch9wavefront6targetE0EEEvSQ_,comdat
.Lfunc_end167:
	.size	_ZN7rocprim17ROCPRIM_400000_NS6detail17trampoline_kernelINS0_14default_configENS1_22reduce_config_selectorIiEEZNS1_11reduce_implILb1ES3_PiS7_iN6hipcub16HIPCUB_304000_NS6detail34convert_binary_result_type_wrapperINS9_3SumENS9_22TransformInputIteratorIbN2at6native12_GLOBAL__N_19NonZeroOpIiEEPKilEEiEEEE10hipError_tPvRmT1_T2_T3_mT4_P12ihipStream_tbEUlT_E1_NS1_11comp_targetILNS1_3genE8ELNS1_11target_archE1030ELNS1_3gpuE2ELNS1_3repE0EEENS1_30default_config_static_selectorELNS0_4arch9wavefront6targetE0EEEvSQ_, .Lfunc_end167-_ZN7rocprim17ROCPRIM_400000_NS6detail17trampoline_kernelINS0_14default_configENS1_22reduce_config_selectorIiEEZNS1_11reduce_implILb1ES3_PiS7_iN6hipcub16HIPCUB_304000_NS6detail34convert_binary_result_type_wrapperINS9_3SumENS9_22TransformInputIteratorIbN2at6native12_GLOBAL__N_19NonZeroOpIiEEPKilEEiEEEE10hipError_tPvRmT1_T2_T3_mT4_P12ihipStream_tbEUlT_E1_NS1_11comp_targetILNS1_3genE8ELNS1_11target_archE1030ELNS1_3gpuE2ELNS1_3repE0EEENS1_30default_config_static_selectorELNS0_4arch9wavefront6targetE0EEEvSQ_
                                        ; -- End function
	.set _ZN7rocprim17ROCPRIM_400000_NS6detail17trampoline_kernelINS0_14default_configENS1_22reduce_config_selectorIiEEZNS1_11reduce_implILb1ES3_PiS7_iN6hipcub16HIPCUB_304000_NS6detail34convert_binary_result_type_wrapperINS9_3SumENS9_22TransformInputIteratorIbN2at6native12_GLOBAL__N_19NonZeroOpIiEEPKilEEiEEEE10hipError_tPvRmT1_T2_T3_mT4_P12ihipStream_tbEUlT_E1_NS1_11comp_targetILNS1_3genE8ELNS1_11target_archE1030ELNS1_3gpuE2ELNS1_3repE0EEENS1_30default_config_static_selectorELNS0_4arch9wavefront6targetE0EEEvSQ_.num_vgpr, 0
	.set _ZN7rocprim17ROCPRIM_400000_NS6detail17trampoline_kernelINS0_14default_configENS1_22reduce_config_selectorIiEEZNS1_11reduce_implILb1ES3_PiS7_iN6hipcub16HIPCUB_304000_NS6detail34convert_binary_result_type_wrapperINS9_3SumENS9_22TransformInputIteratorIbN2at6native12_GLOBAL__N_19NonZeroOpIiEEPKilEEiEEEE10hipError_tPvRmT1_T2_T3_mT4_P12ihipStream_tbEUlT_E1_NS1_11comp_targetILNS1_3genE8ELNS1_11target_archE1030ELNS1_3gpuE2ELNS1_3repE0EEENS1_30default_config_static_selectorELNS0_4arch9wavefront6targetE0EEEvSQ_.num_agpr, 0
	.set _ZN7rocprim17ROCPRIM_400000_NS6detail17trampoline_kernelINS0_14default_configENS1_22reduce_config_selectorIiEEZNS1_11reduce_implILb1ES3_PiS7_iN6hipcub16HIPCUB_304000_NS6detail34convert_binary_result_type_wrapperINS9_3SumENS9_22TransformInputIteratorIbN2at6native12_GLOBAL__N_19NonZeroOpIiEEPKilEEiEEEE10hipError_tPvRmT1_T2_T3_mT4_P12ihipStream_tbEUlT_E1_NS1_11comp_targetILNS1_3genE8ELNS1_11target_archE1030ELNS1_3gpuE2ELNS1_3repE0EEENS1_30default_config_static_selectorELNS0_4arch9wavefront6targetE0EEEvSQ_.numbered_sgpr, 0
	.set _ZN7rocprim17ROCPRIM_400000_NS6detail17trampoline_kernelINS0_14default_configENS1_22reduce_config_selectorIiEEZNS1_11reduce_implILb1ES3_PiS7_iN6hipcub16HIPCUB_304000_NS6detail34convert_binary_result_type_wrapperINS9_3SumENS9_22TransformInputIteratorIbN2at6native12_GLOBAL__N_19NonZeroOpIiEEPKilEEiEEEE10hipError_tPvRmT1_T2_T3_mT4_P12ihipStream_tbEUlT_E1_NS1_11comp_targetILNS1_3genE8ELNS1_11target_archE1030ELNS1_3gpuE2ELNS1_3repE0EEENS1_30default_config_static_selectorELNS0_4arch9wavefront6targetE0EEEvSQ_.num_named_barrier, 0
	.set _ZN7rocprim17ROCPRIM_400000_NS6detail17trampoline_kernelINS0_14default_configENS1_22reduce_config_selectorIiEEZNS1_11reduce_implILb1ES3_PiS7_iN6hipcub16HIPCUB_304000_NS6detail34convert_binary_result_type_wrapperINS9_3SumENS9_22TransformInputIteratorIbN2at6native12_GLOBAL__N_19NonZeroOpIiEEPKilEEiEEEE10hipError_tPvRmT1_T2_T3_mT4_P12ihipStream_tbEUlT_E1_NS1_11comp_targetILNS1_3genE8ELNS1_11target_archE1030ELNS1_3gpuE2ELNS1_3repE0EEENS1_30default_config_static_selectorELNS0_4arch9wavefront6targetE0EEEvSQ_.private_seg_size, 0
	.set _ZN7rocprim17ROCPRIM_400000_NS6detail17trampoline_kernelINS0_14default_configENS1_22reduce_config_selectorIiEEZNS1_11reduce_implILb1ES3_PiS7_iN6hipcub16HIPCUB_304000_NS6detail34convert_binary_result_type_wrapperINS9_3SumENS9_22TransformInputIteratorIbN2at6native12_GLOBAL__N_19NonZeroOpIiEEPKilEEiEEEE10hipError_tPvRmT1_T2_T3_mT4_P12ihipStream_tbEUlT_E1_NS1_11comp_targetILNS1_3genE8ELNS1_11target_archE1030ELNS1_3gpuE2ELNS1_3repE0EEENS1_30default_config_static_selectorELNS0_4arch9wavefront6targetE0EEEvSQ_.uses_vcc, 0
	.set _ZN7rocprim17ROCPRIM_400000_NS6detail17trampoline_kernelINS0_14default_configENS1_22reduce_config_selectorIiEEZNS1_11reduce_implILb1ES3_PiS7_iN6hipcub16HIPCUB_304000_NS6detail34convert_binary_result_type_wrapperINS9_3SumENS9_22TransformInputIteratorIbN2at6native12_GLOBAL__N_19NonZeroOpIiEEPKilEEiEEEE10hipError_tPvRmT1_T2_T3_mT4_P12ihipStream_tbEUlT_E1_NS1_11comp_targetILNS1_3genE8ELNS1_11target_archE1030ELNS1_3gpuE2ELNS1_3repE0EEENS1_30default_config_static_selectorELNS0_4arch9wavefront6targetE0EEEvSQ_.uses_flat_scratch, 0
	.set _ZN7rocprim17ROCPRIM_400000_NS6detail17trampoline_kernelINS0_14default_configENS1_22reduce_config_selectorIiEEZNS1_11reduce_implILb1ES3_PiS7_iN6hipcub16HIPCUB_304000_NS6detail34convert_binary_result_type_wrapperINS9_3SumENS9_22TransformInputIteratorIbN2at6native12_GLOBAL__N_19NonZeroOpIiEEPKilEEiEEEE10hipError_tPvRmT1_T2_T3_mT4_P12ihipStream_tbEUlT_E1_NS1_11comp_targetILNS1_3genE8ELNS1_11target_archE1030ELNS1_3gpuE2ELNS1_3repE0EEENS1_30default_config_static_selectorELNS0_4arch9wavefront6targetE0EEEvSQ_.has_dyn_sized_stack, 0
	.set _ZN7rocprim17ROCPRIM_400000_NS6detail17trampoline_kernelINS0_14default_configENS1_22reduce_config_selectorIiEEZNS1_11reduce_implILb1ES3_PiS7_iN6hipcub16HIPCUB_304000_NS6detail34convert_binary_result_type_wrapperINS9_3SumENS9_22TransformInputIteratorIbN2at6native12_GLOBAL__N_19NonZeroOpIiEEPKilEEiEEEE10hipError_tPvRmT1_T2_T3_mT4_P12ihipStream_tbEUlT_E1_NS1_11comp_targetILNS1_3genE8ELNS1_11target_archE1030ELNS1_3gpuE2ELNS1_3repE0EEENS1_30default_config_static_selectorELNS0_4arch9wavefront6targetE0EEEvSQ_.has_recursion, 0
	.set _ZN7rocprim17ROCPRIM_400000_NS6detail17trampoline_kernelINS0_14default_configENS1_22reduce_config_selectorIiEEZNS1_11reduce_implILb1ES3_PiS7_iN6hipcub16HIPCUB_304000_NS6detail34convert_binary_result_type_wrapperINS9_3SumENS9_22TransformInputIteratorIbN2at6native12_GLOBAL__N_19NonZeroOpIiEEPKilEEiEEEE10hipError_tPvRmT1_T2_T3_mT4_P12ihipStream_tbEUlT_E1_NS1_11comp_targetILNS1_3genE8ELNS1_11target_archE1030ELNS1_3gpuE2ELNS1_3repE0EEENS1_30default_config_static_selectorELNS0_4arch9wavefront6targetE0EEEvSQ_.has_indirect_call, 0
	.section	.AMDGPU.csdata,"",@progbits
; Kernel info:
; codeLenInByte = 0
; TotalNumSgprs: 0
; NumVgprs: 0
; ScratchSize: 0
; MemoryBound: 0
; FloatMode: 240
; IeeeMode: 1
; LDSByteSize: 0 bytes/workgroup (compile time only)
; SGPRBlocks: 0
; VGPRBlocks: 0
; NumSGPRsForWavesPerEU: 1
; NumVGPRsForWavesPerEU: 1
; Occupancy: 16
; WaveLimiterHint : 0
; COMPUTE_PGM_RSRC2:SCRATCH_EN: 0
; COMPUTE_PGM_RSRC2:USER_SGPR: 2
; COMPUTE_PGM_RSRC2:TRAP_HANDLER: 0
; COMPUTE_PGM_RSRC2:TGID_X_EN: 1
; COMPUTE_PGM_RSRC2:TGID_Y_EN: 0
; COMPUTE_PGM_RSRC2:TGID_Z_EN: 0
; COMPUTE_PGM_RSRC2:TIDIG_COMP_CNT: 0
	.section	.text._ZN7rocprim17ROCPRIM_400000_NS6detail17trampoline_kernelINS0_14default_configENS1_22reduce_config_selectorIbEEZNS1_11reduce_implILb1ES3_N6hipcub16HIPCUB_304000_NS22TransformInputIteratorIbN2at6native12_GLOBAL__N_19NonZeroOpIiEEPKilEEPiiNS8_6detail34convert_binary_result_type_wrapperINS8_3SumESH_iEEEE10hipError_tPvRmT1_T2_T3_mT4_P12ihipStream_tbEUlT_E0_NS1_11comp_targetILNS1_3genE0ELNS1_11target_archE4294967295ELNS1_3gpuE0ELNS1_3repE0EEENS1_30default_config_static_selectorELNS0_4arch9wavefront6targetE0EEEvSQ_,"axG",@progbits,_ZN7rocprim17ROCPRIM_400000_NS6detail17trampoline_kernelINS0_14default_configENS1_22reduce_config_selectorIbEEZNS1_11reduce_implILb1ES3_N6hipcub16HIPCUB_304000_NS22TransformInputIteratorIbN2at6native12_GLOBAL__N_19NonZeroOpIiEEPKilEEPiiNS8_6detail34convert_binary_result_type_wrapperINS8_3SumESH_iEEEE10hipError_tPvRmT1_T2_T3_mT4_P12ihipStream_tbEUlT_E0_NS1_11comp_targetILNS1_3genE0ELNS1_11target_archE4294967295ELNS1_3gpuE0ELNS1_3repE0EEENS1_30default_config_static_selectorELNS0_4arch9wavefront6targetE0EEEvSQ_,comdat
	.globl	_ZN7rocprim17ROCPRIM_400000_NS6detail17trampoline_kernelINS0_14default_configENS1_22reduce_config_selectorIbEEZNS1_11reduce_implILb1ES3_N6hipcub16HIPCUB_304000_NS22TransformInputIteratorIbN2at6native12_GLOBAL__N_19NonZeroOpIiEEPKilEEPiiNS8_6detail34convert_binary_result_type_wrapperINS8_3SumESH_iEEEE10hipError_tPvRmT1_T2_T3_mT4_P12ihipStream_tbEUlT_E0_NS1_11comp_targetILNS1_3genE0ELNS1_11target_archE4294967295ELNS1_3gpuE0ELNS1_3repE0EEENS1_30default_config_static_selectorELNS0_4arch9wavefront6targetE0EEEvSQ_ ; -- Begin function _ZN7rocprim17ROCPRIM_400000_NS6detail17trampoline_kernelINS0_14default_configENS1_22reduce_config_selectorIbEEZNS1_11reduce_implILb1ES3_N6hipcub16HIPCUB_304000_NS22TransformInputIteratorIbN2at6native12_GLOBAL__N_19NonZeroOpIiEEPKilEEPiiNS8_6detail34convert_binary_result_type_wrapperINS8_3SumESH_iEEEE10hipError_tPvRmT1_T2_T3_mT4_P12ihipStream_tbEUlT_E0_NS1_11comp_targetILNS1_3genE0ELNS1_11target_archE4294967295ELNS1_3gpuE0ELNS1_3repE0EEENS1_30default_config_static_selectorELNS0_4arch9wavefront6targetE0EEEvSQ_
	.p2align	8
	.type	_ZN7rocprim17ROCPRIM_400000_NS6detail17trampoline_kernelINS0_14default_configENS1_22reduce_config_selectorIbEEZNS1_11reduce_implILb1ES3_N6hipcub16HIPCUB_304000_NS22TransformInputIteratorIbN2at6native12_GLOBAL__N_19NonZeroOpIiEEPKilEEPiiNS8_6detail34convert_binary_result_type_wrapperINS8_3SumESH_iEEEE10hipError_tPvRmT1_T2_T3_mT4_P12ihipStream_tbEUlT_E0_NS1_11comp_targetILNS1_3genE0ELNS1_11target_archE4294967295ELNS1_3gpuE0ELNS1_3repE0EEENS1_30default_config_static_selectorELNS0_4arch9wavefront6targetE0EEEvSQ_,@function
_ZN7rocprim17ROCPRIM_400000_NS6detail17trampoline_kernelINS0_14default_configENS1_22reduce_config_selectorIbEEZNS1_11reduce_implILb1ES3_N6hipcub16HIPCUB_304000_NS22TransformInputIteratorIbN2at6native12_GLOBAL__N_19NonZeroOpIiEEPKilEEPiiNS8_6detail34convert_binary_result_type_wrapperINS8_3SumESH_iEEEE10hipError_tPvRmT1_T2_T3_mT4_P12ihipStream_tbEUlT_E0_NS1_11comp_targetILNS1_3genE0ELNS1_11target_archE4294967295ELNS1_3gpuE0ELNS1_3repE0EEENS1_30default_config_static_selectorELNS0_4arch9wavefront6targetE0EEEvSQ_: ; @_ZN7rocprim17ROCPRIM_400000_NS6detail17trampoline_kernelINS0_14default_configENS1_22reduce_config_selectorIbEEZNS1_11reduce_implILb1ES3_N6hipcub16HIPCUB_304000_NS22TransformInputIteratorIbN2at6native12_GLOBAL__N_19NonZeroOpIiEEPKilEEPiiNS8_6detail34convert_binary_result_type_wrapperINS8_3SumESH_iEEEE10hipError_tPvRmT1_T2_T3_mT4_P12ihipStream_tbEUlT_E0_NS1_11comp_targetILNS1_3genE0ELNS1_11target_archE4294967295ELNS1_3gpuE0ELNS1_3repE0EEENS1_30default_config_static_selectorELNS0_4arch9wavefront6targetE0EEEvSQ_
; %bb.0:
	.section	.rodata,"a",@progbits
	.p2align	6, 0x0
	.amdhsa_kernel _ZN7rocprim17ROCPRIM_400000_NS6detail17trampoline_kernelINS0_14default_configENS1_22reduce_config_selectorIbEEZNS1_11reduce_implILb1ES3_N6hipcub16HIPCUB_304000_NS22TransformInputIteratorIbN2at6native12_GLOBAL__N_19NonZeroOpIiEEPKilEEPiiNS8_6detail34convert_binary_result_type_wrapperINS8_3SumESH_iEEEE10hipError_tPvRmT1_T2_T3_mT4_P12ihipStream_tbEUlT_E0_NS1_11comp_targetILNS1_3genE0ELNS1_11target_archE4294967295ELNS1_3gpuE0ELNS1_3repE0EEENS1_30default_config_static_selectorELNS0_4arch9wavefront6targetE0EEEvSQ_
		.amdhsa_group_segment_fixed_size 0
		.amdhsa_private_segment_fixed_size 0
		.amdhsa_kernarg_size 64
		.amdhsa_user_sgpr_count 2
		.amdhsa_user_sgpr_dispatch_ptr 0
		.amdhsa_user_sgpr_queue_ptr 0
		.amdhsa_user_sgpr_kernarg_segment_ptr 1
		.amdhsa_user_sgpr_dispatch_id 0
		.amdhsa_user_sgpr_private_segment_size 0
		.amdhsa_wavefront_size32 1
		.amdhsa_uses_dynamic_stack 0
		.amdhsa_enable_private_segment 0
		.amdhsa_system_sgpr_workgroup_id_x 1
		.amdhsa_system_sgpr_workgroup_id_y 0
		.amdhsa_system_sgpr_workgroup_id_z 0
		.amdhsa_system_sgpr_workgroup_info 0
		.amdhsa_system_vgpr_workitem_id 0
		.amdhsa_next_free_vgpr 1
		.amdhsa_next_free_sgpr 1
		.amdhsa_reserve_vcc 0
		.amdhsa_float_round_mode_32 0
		.amdhsa_float_round_mode_16_64 0
		.amdhsa_float_denorm_mode_32 3
		.amdhsa_float_denorm_mode_16_64 3
		.amdhsa_fp16_overflow 0
		.amdhsa_workgroup_processor_mode 1
		.amdhsa_memory_ordered 1
		.amdhsa_forward_progress 1
		.amdhsa_inst_pref_size 0
		.amdhsa_round_robin_scheduling 0
		.amdhsa_exception_fp_ieee_invalid_op 0
		.amdhsa_exception_fp_denorm_src 0
		.amdhsa_exception_fp_ieee_div_zero 0
		.amdhsa_exception_fp_ieee_overflow 0
		.amdhsa_exception_fp_ieee_underflow 0
		.amdhsa_exception_fp_ieee_inexact 0
		.amdhsa_exception_int_div_zero 0
	.end_amdhsa_kernel
	.section	.text._ZN7rocprim17ROCPRIM_400000_NS6detail17trampoline_kernelINS0_14default_configENS1_22reduce_config_selectorIbEEZNS1_11reduce_implILb1ES3_N6hipcub16HIPCUB_304000_NS22TransformInputIteratorIbN2at6native12_GLOBAL__N_19NonZeroOpIiEEPKilEEPiiNS8_6detail34convert_binary_result_type_wrapperINS8_3SumESH_iEEEE10hipError_tPvRmT1_T2_T3_mT4_P12ihipStream_tbEUlT_E0_NS1_11comp_targetILNS1_3genE0ELNS1_11target_archE4294967295ELNS1_3gpuE0ELNS1_3repE0EEENS1_30default_config_static_selectorELNS0_4arch9wavefront6targetE0EEEvSQ_,"axG",@progbits,_ZN7rocprim17ROCPRIM_400000_NS6detail17trampoline_kernelINS0_14default_configENS1_22reduce_config_selectorIbEEZNS1_11reduce_implILb1ES3_N6hipcub16HIPCUB_304000_NS22TransformInputIteratorIbN2at6native12_GLOBAL__N_19NonZeroOpIiEEPKilEEPiiNS8_6detail34convert_binary_result_type_wrapperINS8_3SumESH_iEEEE10hipError_tPvRmT1_T2_T3_mT4_P12ihipStream_tbEUlT_E0_NS1_11comp_targetILNS1_3genE0ELNS1_11target_archE4294967295ELNS1_3gpuE0ELNS1_3repE0EEENS1_30default_config_static_selectorELNS0_4arch9wavefront6targetE0EEEvSQ_,comdat
.Lfunc_end168:
	.size	_ZN7rocprim17ROCPRIM_400000_NS6detail17trampoline_kernelINS0_14default_configENS1_22reduce_config_selectorIbEEZNS1_11reduce_implILb1ES3_N6hipcub16HIPCUB_304000_NS22TransformInputIteratorIbN2at6native12_GLOBAL__N_19NonZeroOpIiEEPKilEEPiiNS8_6detail34convert_binary_result_type_wrapperINS8_3SumESH_iEEEE10hipError_tPvRmT1_T2_T3_mT4_P12ihipStream_tbEUlT_E0_NS1_11comp_targetILNS1_3genE0ELNS1_11target_archE4294967295ELNS1_3gpuE0ELNS1_3repE0EEENS1_30default_config_static_selectorELNS0_4arch9wavefront6targetE0EEEvSQ_, .Lfunc_end168-_ZN7rocprim17ROCPRIM_400000_NS6detail17trampoline_kernelINS0_14default_configENS1_22reduce_config_selectorIbEEZNS1_11reduce_implILb1ES3_N6hipcub16HIPCUB_304000_NS22TransformInputIteratorIbN2at6native12_GLOBAL__N_19NonZeroOpIiEEPKilEEPiiNS8_6detail34convert_binary_result_type_wrapperINS8_3SumESH_iEEEE10hipError_tPvRmT1_T2_T3_mT4_P12ihipStream_tbEUlT_E0_NS1_11comp_targetILNS1_3genE0ELNS1_11target_archE4294967295ELNS1_3gpuE0ELNS1_3repE0EEENS1_30default_config_static_selectorELNS0_4arch9wavefront6targetE0EEEvSQ_
                                        ; -- End function
	.set _ZN7rocprim17ROCPRIM_400000_NS6detail17trampoline_kernelINS0_14default_configENS1_22reduce_config_selectorIbEEZNS1_11reduce_implILb1ES3_N6hipcub16HIPCUB_304000_NS22TransformInputIteratorIbN2at6native12_GLOBAL__N_19NonZeroOpIiEEPKilEEPiiNS8_6detail34convert_binary_result_type_wrapperINS8_3SumESH_iEEEE10hipError_tPvRmT1_T2_T3_mT4_P12ihipStream_tbEUlT_E0_NS1_11comp_targetILNS1_3genE0ELNS1_11target_archE4294967295ELNS1_3gpuE0ELNS1_3repE0EEENS1_30default_config_static_selectorELNS0_4arch9wavefront6targetE0EEEvSQ_.num_vgpr, 0
	.set _ZN7rocprim17ROCPRIM_400000_NS6detail17trampoline_kernelINS0_14default_configENS1_22reduce_config_selectorIbEEZNS1_11reduce_implILb1ES3_N6hipcub16HIPCUB_304000_NS22TransformInputIteratorIbN2at6native12_GLOBAL__N_19NonZeroOpIiEEPKilEEPiiNS8_6detail34convert_binary_result_type_wrapperINS8_3SumESH_iEEEE10hipError_tPvRmT1_T2_T3_mT4_P12ihipStream_tbEUlT_E0_NS1_11comp_targetILNS1_3genE0ELNS1_11target_archE4294967295ELNS1_3gpuE0ELNS1_3repE0EEENS1_30default_config_static_selectorELNS0_4arch9wavefront6targetE0EEEvSQ_.num_agpr, 0
	.set _ZN7rocprim17ROCPRIM_400000_NS6detail17trampoline_kernelINS0_14default_configENS1_22reduce_config_selectorIbEEZNS1_11reduce_implILb1ES3_N6hipcub16HIPCUB_304000_NS22TransformInputIteratorIbN2at6native12_GLOBAL__N_19NonZeroOpIiEEPKilEEPiiNS8_6detail34convert_binary_result_type_wrapperINS8_3SumESH_iEEEE10hipError_tPvRmT1_T2_T3_mT4_P12ihipStream_tbEUlT_E0_NS1_11comp_targetILNS1_3genE0ELNS1_11target_archE4294967295ELNS1_3gpuE0ELNS1_3repE0EEENS1_30default_config_static_selectorELNS0_4arch9wavefront6targetE0EEEvSQ_.numbered_sgpr, 0
	.set _ZN7rocprim17ROCPRIM_400000_NS6detail17trampoline_kernelINS0_14default_configENS1_22reduce_config_selectorIbEEZNS1_11reduce_implILb1ES3_N6hipcub16HIPCUB_304000_NS22TransformInputIteratorIbN2at6native12_GLOBAL__N_19NonZeroOpIiEEPKilEEPiiNS8_6detail34convert_binary_result_type_wrapperINS8_3SumESH_iEEEE10hipError_tPvRmT1_T2_T3_mT4_P12ihipStream_tbEUlT_E0_NS1_11comp_targetILNS1_3genE0ELNS1_11target_archE4294967295ELNS1_3gpuE0ELNS1_3repE0EEENS1_30default_config_static_selectorELNS0_4arch9wavefront6targetE0EEEvSQ_.num_named_barrier, 0
	.set _ZN7rocprim17ROCPRIM_400000_NS6detail17trampoline_kernelINS0_14default_configENS1_22reduce_config_selectorIbEEZNS1_11reduce_implILb1ES3_N6hipcub16HIPCUB_304000_NS22TransformInputIteratorIbN2at6native12_GLOBAL__N_19NonZeroOpIiEEPKilEEPiiNS8_6detail34convert_binary_result_type_wrapperINS8_3SumESH_iEEEE10hipError_tPvRmT1_T2_T3_mT4_P12ihipStream_tbEUlT_E0_NS1_11comp_targetILNS1_3genE0ELNS1_11target_archE4294967295ELNS1_3gpuE0ELNS1_3repE0EEENS1_30default_config_static_selectorELNS0_4arch9wavefront6targetE0EEEvSQ_.private_seg_size, 0
	.set _ZN7rocprim17ROCPRIM_400000_NS6detail17trampoline_kernelINS0_14default_configENS1_22reduce_config_selectorIbEEZNS1_11reduce_implILb1ES3_N6hipcub16HIPCUB_304000_NS22TransformInputIteratorIbN2at6native12_GLOBAL__N_19NonZeroOpIiEEPKilEEPiiNS8_6detail34convert_binary_result_type_wrapperINS8_3SumESH_iEEEE10hipError_tPvRmT1_T2_T3_mT4_P12ihipStream_tbEUlT_E0_NS1_11comp_targetILNS1_3genE0ELNS1_11target_archE4294967295ELNS1_3gpuE0ELNS1_3repE0EEENS1_30default_config_static_selectorELNS0_4arch9wavefront6targetE0EEEvSQ_.uses_vcc, 0
	.set _ZN7rocprim17ROCPRIM_400000_NS6detail17trampoline_kernelINS0_14default_configENS1_22reduce_config_selectorIbEEZNS1_11reduce_implILb1ES3_N6hipcub16HIPCUB_304000_NS22TransformInputIteratorIbN2at6native12_GLOBAL__N_19NonZeroOpIiEEPKilEEPiiNS8_6detail34convert_binary_result_type_wrapperINS8_3SumESH_iEEEE10hipError_tPvRmT1_T2_T3_mT4_P12ihipStream_tbEUlT_E0_NS1_11comp_targetILNS1_3genE0ELNS1_11target_archE4294967295ELNS1_3gpuE0ELNS1_3repE0EEENS1_30default_config_static_selectorELNS0_4arch9wavefront6targetE0EEEvSQ_.uses_flat_scratch, 0
	.set _ZN7rocprim17ROCPRIM_400000_NS6detail17trampoline_kernelINS0_14default_configENS1_22reduce_config_selectorIbEEZNS1_11reduce_implILb1ES3_N6hipcub16HIPCUB_304000_NS22TransformInputIteratorIbN2at6native12_GLOBAL__N_19NonZeroOpIiEEPKilEEPiiNS8_6detail34convert_binary_result_type_wrapperINS8_3SumESH_iEEEE10hipError_tPvRmT1_T2_T3_mT4_P12ihipStream_tbEUlT_E0_NS1_11comp_targetILNS1_3genE0ELNS1_11target_archE4294967295ELNS1_3gpuE0ELNS1_3repE0EEENS1_30default_config_static_selectorELNS0_4arch9wavefront6targetE0EEEvSQ_.has_dyn_sized_stack, 0
	.set _ZN7rocprim17ROCPRIM_400000_NS6detail17trampoline_kernelINS0_14default_configENS1_22reduce_config_selectorIbEEZNS1_11reduce_implILb1ES3_N6hipcub16HIPCUB_304000_NS22TransformInputIteratorIbN2at6native12_GLOBAL__N_19NonZeroOpIiEEPKilEEPiiNS8_6detail34convert_binary_result_type_wrapperINS8_3SumESH_iEEEE10hipError_tPvRmT1_T2_T3_mT4_P12ihipStream_tbEUlT_E0_NS1_11comp_targetILNS1_3genE0ELNS1_11target_archE4294967295ELNS1_3gpuE0ELNS1_3repE0EEENS1_30default_config_static_selectorELNS0_4arch9wavefront6targetE0EEEvSQ_.has_recursion, 0
	.set _ZN7rocprim17ROCPRIM_400000_NS6detail17trampoline_kernelINS0_14default_configENS1_22reduce_config_selectorIbEEZNS1_11reduce_implILb1ES3_N6hipcub16HIPCUB_304000_NS22TransformInputIteratorIbN2at6native12_GLOBAL__N_19NonZeroOpIiEEPKilEEPiiNS8_6detail34convert_binary_result_type_wrapperINS8_3SumESH_iEEEE10hipError_tPvRmT1_T2_T3_mT4_P12ihipStream_tbEUlT_E0_NS1_11comp_targetILNS1_3genE0ELNS1_11target_archE4294967295ELNS1_3gpuE0ELNS1_3repE0EEENS1_30default_config_static_selectorELNS0_4arch9wavefront6targetE0EEEvSQ_.has_indirect_call, 0
	.section	.AMDGPU.csdata,"",@progbits
; Kernel info:
; codeLenInByte = 0
; TotalNumSgprs: 0
; NumVgprs: 0
; ScratchSize: 0
; MemoryBound: 0
; FloatMode: 240
; IeeeMode: 1
; LDSByteSize: 0 bytes/workgroup (compile time only)
; SGPRBlocks: 0
; VGPRBlocks: 0
; NumSGPRsForWavesPerEU: 1
; NumVGPRsForWavesPerEU: 1
; Occupancy: 16
; WaveLimiterHint : 0
; COMPUTE_PGM_RSRC2:SCRATCH_EN: 0
; COMPUTE_PGM_RSRC2:USER_SGPR: 2
; COMPUTE_PGM_RSRC2:TRAP_HANDLER: 0
; COMPUTE_PGM_RSRC2:TGID_X_EN: 1
; COMPUTE_PGM_RSRC2:TGID_Y_EN: 0
; COMPUTE_PGM_RSRC2:TGID_Z_EN: 0
; COMPUTE_PGM_RSRC2:TIDIG_COMP_CNT: 0
	.section	.text._ZN7rocprim17ROCPRIM_400000_NS6detail17trampoline_kernelINS0_14default_configENS1_22reduce_config_selectorIbEEZNS1_11reduce_implILb1ES3_N6hipcub16HIPCUB_304000_NS22TransformInputIteratorIbN2at6native12_GLOBAL__N_19NonZeroOpIiEEPKilEEPiiNS8_6detail34convert_binary_result_type_wrapperINS8_3SumESH_iEEEE10hipError_tPvRmT1_T2_T3_mT4_P12ihipStream_tbEUlT_E0_NS1_11comp_targetILNS1_3genE5ELNS1_11target_archE942ELNS1_3gpuE9ELNS1_3repE0EEENS1_30default_config_static_selectorELNS0_4arch9wavefront6targetE0EEEvSQ_,"axG",@progbits,_ZN7rocprim17ROCPRIM_400000_NS6detail17trampoline_kernelINS0_14default_configENS1_22reduce_config_selectorIbEEZNS1_11reduce_implILb1ES3_N6hipcub16HIPCUB_304000_NS22TransformInputIteratorIbN2at6native12_GLOBAL__N_19NonZeroOpIiEEPKilEEPiiNS8_6detail34convert_binary_result_type_wrapperINS8_3SumESH_iEEEE10hipError_tPvRmT1_T2_T3_mT4_P12ihipStream_tbEUlT_E0_NS1_11comp_targetILNS1_3genE5ELNS1_11target_archE942ELNS1_3gpuE9ELNS1_3repE0EEENS1_30default_config_static_selectorELNS0_4arch9wavefront6targetE0EEEvSQ_,comdat
	.globl	_ZN7rocprim17ROCPRIM_400000_NS6detail17trampoline_kernelINS0_14default_configENS1_22reduce_config_selectorIbEEZNS1_11reduce_implILb1ES3_N6hipcub16HIPCUB_304000_NS22TransformInputIteratorIbN2at6native12_GLOBAL__N_19NonZeroOpIiEEPKilEEPiiNS8_6detail34convert_binary_result_type_wrapperINS8_3SumESH_iEEEE10hipError_tPvRmT1_T2_T3_mT4_P12ihipStream_tbEUlT_E0_NS1_11comp_targetILNS1_3genE5ELNS1_11target_archE942ELNS1_3gpuE9ELNS1_3repE0EEENS1_30default_config_static_selectorELNS0_4arch9wavefront6targetE0EEEvSQ_ ; -- Begin function _ZN7rocprim17ROCPRIM_400000_NS6detail17trampoline_kernelINS0_14default_configENS1_22reduce_config_selectorIbEEZNS1_11reduce_implILb1ES3_N6hipcub16HIPCUB_304000_NS22TransformInputIteratorIbN2at6native12_GLOBAL__N_19NonZeroOpIiEEPKilEEPiiNS8_6detail34convert_binary_result_type_wrapperINS8_3SumESH_iEEEE10hipError_tPvRmT1_T2_T3_mT4_P12ihipStream_tbEUlT_E0_NS1_11comp_targetILNS1_3genE5ELNS1_11target_archE942ELNS1_3gpuE9ELNS1_3repE0EEENS1_30default_config_static_selectorELNS0_4arch9wavefront6targetE0EEEvSQ_
	.p2align	8
	.type	_ZN7rocprim17ROCPRIM_400000_NS6detail17trampoline_kernelINS0_14default_configENS1_22reduce_config_selectorIbEEZNS1_11reduce_implILb1ES3_N6hipcub16HIPCUB_304000_NS22TransformInputIteratorIbN2at6native12_GLOBAL__N_19NonZeroOpIiEEPKilEEPiiNS8_6detail34convert_binary_result_type_wrapperINS8_3SumESH_iEEEE10hipError_tPvRmT1_T2_T3_mT4_P12ihipStream_tbEUlT_E0_NS1_11comp_targetILNS1_3genE5ELNS1_11target_archE942ELNS1_3gpuE9ELNS1_3repE0EEENS1_30default_config_static_selectorELNS0_4arch9wavefront6targetE0EEEvSQ_,@function
_ZN7rocprim17ROCPRIM_400000_NS6detail17trampoline_kernelINS0_14default_configENS1_22reduce_config_selectorIbEEZNS1_11reduce_implILb1ES3_N6hipcub16HIPCUB_304000_NS22TransformInputIteratorIbN2at6native12_GLOBAL__N_19NonZeroOpIiEEPKilEEPiiNS8_6detail34convert_binary_result_type_wrapperINS8_3SumESH_iEEEE10hipError_tPvRmT1_T2_T3_mT4_P12ihipStream_tbEUlT_E0_NS1_11comp_targetILNS1_3genE5ELNS1_11target_archE942ELNS1_3gpuE9ELNS1_3repE0EEENS1_30default_config_static_selectorELNS0_4arch9wavefront6targetE0EEEvSQ_: ; @_ZN7rocprim17ROCPRIM_400000_NS6detail17trampoline_kernelINS0_14default_configENS1_22reduce_config_selectorIbEEZNS1_11reduce_implILb1ES3_N6hipcub16HIPCUB_304000_NS22TransformInputIteratorIbN2at6native12_GLOBAL__N_19NonZeroOpIiEEPKilEEPiiNS8_6detail34convert_binary_result_type_wrapperINS8_3SumESH_iEEEE10hipError_tPvRmT1_T2_T3_mT4_P12ihipStream_tbEUlT_E0_NS1_11comp_targetILNS1_3genE5ELNS1_11target_archE942ELNS1_3gpuE9ELNS1_3repE0EEENS1_30default_config_static_selectorELNS0_4arch9wavefront6targetE0EEEvSQ_
; %bb.0:
	.section	.rodata,"a",@progbits
	.p2align	6, 0x0
	.amdhsa_kernel _ZN7rocprim17ROCPRIM_400000_NS6detail17trampoline_kernelINS0_14default_configENS1_22reduce_config_selectorIbEEZNS1_11reduce_implILb1ES3_N6hipcub16HIPCUB_304000_NS22TransformInputIteratorIbN2at6native12_GLOBAL__N_19NonZeroOpIiEEPKilEEPiiNS8_6detail34convert_binary_result_type_wrapperINS8_3SumESH_iEEEE10hipError_tPvRmT1_T2_T3_mT4_P12ihipStream_tbEUlT_E0_NS1_11comp_targetILNS1_3genE5ELNS1_11target_archE942ELNS1_3gpuE9ELNS1_3repE0EEENS1_30default_config_static_selectorELNS0_4arch9wavefront6targetE0EEEvSQ_
		.amdhsa_group_segment_fixed_size 0
		.amdhsa_private_segment_fixed_size 0
		.amdhsa_kernarg_size 64
		.amdhsa_user_sgpr_count 2
		.amdhsa_user_sgpr_dispatch_ptr 0
		.amdhsa_user_sgpr_queue_ptr 0
		.amdhsa_user_sgpr_kernarg_segment_ptr 1
		.amdhsa_user_sgpr_dispatch_id 0
		.amdhsa_user_sgpr_private_segment_size 0
		.amdhsa_wavefront_size32 1
		.amdhsa_uses_dynamic_stack 0
		.amdhsa_enable_private_segment 0
		.amdhsa_system_sgpr_workgroup_id_x 1
		.amdhsa_system_sgpr_workgroup_id_y 0
		.amdhsa_system_sgpr_workgroup_id_z 0
		.amdhsa_system_sgpr_workgroup_info 0
		.amdhsa_system_vgpr_workitem_id 0
		.amdhsa_next_free_vgpr 1
		.amdhsa_next_free_sgpr 1
		.amdhsa_reserve_vcc 0
		.amdhsa_float_round_mode_32 0
		.amdhsa_float_round_mode_16_64 0
		.amdhsa_float_denorm_mode_32 3
		.amdhsa_float_denorm_mode_16_64 3
		.amdhsa_fp16_overflow 0
		.amdhsa_workgroup_processor_mode 1
		.amdhsa_memory_ordered 1
		.amdhsa_forward_progress 1
		.amdhsa_inst_pref_size 0
		.amdhsa_round_robin_scheduling 0
		.amdhsa_exception_fp_ieee_invalid_op 0
		.amdhsa_exception_fp_denorm_src 0
		.amdhsa_exception_fp_ieee_div_zero 0
		.amdhsa_exception_fp_ieee_overflow 0
		.amdhsa_exception_fp_ieee_underflow 0
		.amdhsa_exception_fp_ieee_inexact 0
		.amdhsa_exception_int_div_zero 0
	.end_amdhsa_kernel
	.section	.text._ZN7rocprim17ROCPRIM_400000_NS6detail17trampoline_kernelINS0_14default_configENS1_22reduce_config_selectorIbEEZNS1_11reduce_implILb1ES3_N6hipcub16HIPCUB_304000_NS22TransformInputIteratorIbN2at6native12_GLOBAL__N_19NonZeroOpIiEEPKilEEPiiNS8_6detail34convert_binary_result_type_wrapperINS8_3SumESH_iEEEE10hipError_tPvRmT1_T2_T3_mT4_P12ihipStream_tbEUlT_E0_NS1_11comp_targetILNS1_3genE5ELNS1_11target_archE942ELNS1_3gpuE9ELNS1_3repE0EEENS1_30default_config_static_selectorELNS0_4arch9wavefront6targetE0EEEvSQ_,"axG",@progbits,_ZN7rocprim17ROCPRIM_400000_NS6detail17trampoline_kernelINS0_14default_configENS1_22reduce_config_selectorIbEEZNS1_11reduce_implILb1ES3_N6hipcub16HIPCUB_304000_NS22TransformInputIteratorIbN2at6native12_GLOBAL__N_19NonZeroOpIiEEPKilEEPiiNS8_6detail34convert_binary_result_type_wrapperINS8_3SumESH_iEEEE10hipError_tPvRmT1_T2_T3_mT4_P12ihipStream_tbEUlT_E0_NS1_11comp_targetILNS1_3genE5ELNS1_11target_archE942ELNS1_3gpuE9ELNS1_3repE0EEENS1_30default_config_static_selectorELNS0_4arch9wavefront6targetE0EEEvSQ_,comdat
.Lfunc_end169:
	.size	_ZN7rocprim17ROCPRIM_400000_NS6detail17trampoline_kernelINS0_14default_configENS1_22reduce_config_selectorIbEEZNS1_11reduce_implILb1ES3_N6hipcub16HIPCUB_304000_NS22TransformInputIteratorIbN2at6native12_GLOBAL__N_19NonZeroOpIiEEPKilEEPiiNS8_6detail34convert_binary_result_type_wrapperINS8_3SumESH_iEEEE10hipError_tPvRmT1_T2_T3_mT4_P12ihipStream_tbEUlT_E0_NS1_11comp_targetILNS1_3genE5ELNS1_11target_archE942ELNS1_3gpuE9ELNS1_3repE0EEENS1_30default_config_static_selectorELNS0_4arch9wavefront6targetE0EEEvSQ_, .Lfunc_end169-_ZN7rocprim17ROCPRIM_400000_NS6detail17trampoline_kernelINS0_14default_configENS1_22reduce_config_selectorIbEEZNS1_11reduce_implILb1ES3_N6hipcub16HIPCUB_304000_NS22TransformInputIteratorIbN2at6native12_GLOBAL__N_19NonZeroOpIiEEPKilEEPiiNS8_6detail34convert_binary_result_type_wrapperINS8_3SumESH_iEEEE10hipError_tPvRmT1_T2_T3_mT4_P12ihipStream_tbEUlT_E0_NS1_11comp_targetILNS1_3genE5ELNS1_11target_archE942ELNS1_3gpuE9ELNS1_3repE0EEENS1_30default_config_static_selectorELNS0_4arch9wavefront6targetE0EEEvSQ_
                                        ; -- End function
	.set _ZN7rocprim17ROCPRIM_400000_NS6detail17trampoline_kernelINS0_14default_configENS1_22reduce_config_selectorIbEEZNS1_11reduce_implILb1ES3_N6hipcub16HIPCUB_304000_NS22TransformInputIteratorIbN2at6native12_GLOBAL__N_19NonZeroOpIiEEPKilEEPiiNS8_6detail34convert_binary_result_type_wrapperINS8_3SumESH_iEEEE10hipError_tPvRmT1_T2_T3_mT4_P12ihipStream_tbEUlT_E0_NS1_11comp_targetILNS1_3genE5ELNS1_11target_archE942ELNS1_3gpuE9ELNS1_3repE0EEENS1_30default_config_static_selectorELNS0_4arch9wavefront6targetE0EEEvSQ_.num_vgpr, 0
	.set _ZN7rocprim17ROCPRIM_400000_NS6detail17trampoline_kernelINS0_14default_configENS1_22reduce_config_selectorIbEEZNS1_11reduce_implILb1ES3_N6hipcub16HIPCUB_304000_NS22TransformInputIteratorIbN2at6native12_GLOBAL__N_19NonZeroOpIiEEPKilEEPiiNS8_6detail34convert_binary_result_type_wrapperINS8_3SumESH_iEEEE10hipError_tPvRmT1_T2_T3_mT4_P12ihipStream_tbEUlT_E0_NS1_11comp_targetILNS1_3genE5ELNS1_11target_archE942ELNS1_3gpuE9ELNS1_3repE0EEENS1_30default_config_static_selectorELNS0_4arch9wavefront6targetE0EEEvSQ_.num_agpr, 0
	.set _ZN7rocprim17ROCPRIM_400000_NS6detail17trampoline_kernelINS0_14default_configENS1_22reduce_config_selectorIbEEZNS1_11reduce_implILb1ES3_N6hipcub16HIPCUB_304000_NS22TransformInputIteratorIbN2at6native12_GLOBAL__N_19NonZeroOpIiEEPKilEEPiiNS8_6detail34convert_binary_result_type_wrapperINS8_3SumESH_iEEEE10hipError_tPvRmT1_T2_T3_mT4_P12ihipStream_tbEUlT_E0_NS1_11comp_targetILNS1_3genE5ELNS1_11target_archE942ELNS1_3gpuE9ELNS1_3repE0EEENS1_30default_config_static_selectorELNS0_4arch9wavefront6targetE0EEEvSQ_.numbered_sgpr, 0
	.set _ZN7rocprim17ROCPRIM_400000_NS6detail17trampoline_kernelINS0_14default_configENS1_22reduce_config_selectorIbEEZNS1_11reduce_implILb1ES3_N6hipcub16HIPCUB_304000_NS22TransformInputIteratorIbN2at6native12_GLOBAL__N_19NonZeroOpIiEEPKilEEPiiNS8_6detail34convert_binary_result_type_wrapperINS8_3SumESH_iEEEE10hipError_tPvRmT1_T2_T3_mT4_P12ihipStream_tbEUlT_E0_NS1_11comp_targetILNS1_3genE5ELNS1_11target_archE942ELNS1_3gpuE9ELNS1_3repE0EEENS1_30default_config_static_selectorELNS0_4arch9wavefront6targetE0EEEvSQ_.num_named_barrier, 0
	.set _ZN7rocprim17ROCPRIM_400000_NS6detail17trampoline_kernelINS0_14default_configENS1_22reduce_config_selectorIbEEZNS1_11reduce_implILb1ES3_N6hipcub16HIPCUB_304000_NS22TransformInputIteratorIbN2at6native12_GLOBAL__N_19NonZeroOpIiEEPKilEEPiiNS8_6detail34convert_binary_result_type_wrapperINS8_3SumESH_iEEEE10hipError_tPvRmT1_T2_T3_mT4_P12ihipStream_tbEUlT_E0_NS1_11comp_targetILNS1_3genE5ELNS1_11target_archE942ELNS1_3gpuE9ELNS1_3repE0EEENS1_30default_config_static_selectorELNS0_4arch9wavefront6targetE0EEEvSQ_.private_seg_size, 0
	.set _ZN7rocprim17ROCPRIM_400000_NS6detail17trampoline_kernelINS0_14default_configENS1_22reduce_config_selectorIbEEZNS1_11reduce_implILb1ES3_N6hipcub16HIPCUB_304000_NS22TransformInputIteratorIbN2at6native12_GLOBAL__N_19NonZeroOpIiEEPKilEEPiiNS8_6detail34convert_binary_result_type_wrapperINS8_3SumESH_iEEEE10hipError_tPvRmT1_T2_T3_mT4_P12ihipStream_tbEUlT_E0_NS1_11comp_targetILNS1_3genE5ELNS1_11target_archE942ELNS1_3gpuE9ELNS1_3repE0EEENS1_30default_config_static_selectorELNS0_4arch9wavefront6targetE0EEEvSQ_.uses_vcc, 0
	.set _ZN7rocprim17ROCPRIM_400000_NS6detail17trampoline_kernelINS0_14default_configENS1_22reduce_config_selectorIbEEZNS1_11reduce_implILb1ES3_N6hipcub16HIPCUB_304000_NS22TransformInputIteratorIbN2at6native12_GLOBAL__N_19NonZeroOpIiEEPKilEEPiiNS8_6detail34convert_binary_result_type_wrapperINS8_3SumESH_iEEEE10hipError_tPvRmT1_T2_T3_mT4_P12ihipStream_tbEUlT_E0_NS1_11comp_targetILNS1_3genE5ELNS1_11target_archE942ELNS1_3gpuE9ELNS1_3repE0EEENS1_30default_config_static_selectorELNS0_4arch9wavefront6targetE0EEEvSQ_.uses_flat_scratch, 0
	.set _ZN7rocprim17ROCPRIM_400000_NS6detail17trampoline_kernelINS0_14default_configENS1_22reduce_config_selectorIbEEZNS1_11reduce_implILb1ES3_N6hipcub16HIPCUB_304000_NS22TransformInputIteratorIbN2at6native12_GLOBAL__N_19NonZeroOpIiEEPKilEEPiiNS8_6detail34convert_binary_result_type_wrapperINS8_3SumESH_iEEEE10hipError_tPvRmT1_T2_T3_mT4_P12ihipStream_tbEUlT_E0_NS1_11comp_targetILNS1_3genE5ELNS1_11target_archE942ELNS1_3gpuE9ELNS1_3repE0EEENS1_30default_config_static_selectorELNS0_4arch9wavefront6targetE0EEEvSQ_.has_dyn_sized_stack, 0
	.set _ZN7rocprim17ROCPRIM_400000_NS6detail17trampoline_kernelINS0_14default_configENS1_22reduce_config_selectorIbEEZNS1_11reduce_implILb1ES3_N6hipcub16HIPCUB_304000_NS22TransformInputIteratorIbN2at6native12_GLOBAL__N_19NonZeroOpIiEEPKilEEPiiNS8_6detail34convert_binary_result_type_wrapperINS8_3SumESH_iEEEE10hipError_tPvRmT1_T2_T3_mT4_P12ihipStream_tbEUlT_E0_NS1_11comp_targetILNS1_3genE5ELNS1_11target_archE942ELNS1_3gpuE9ELNS1_3repE0EEENS1_30default_config_static_selectorELNS0_4arch9wavefront6targetE0EEEvSQ_.has_recursion, 0
	.set _ZN7rocprim17ROCPRIM_400000_NS6detail17trampoline_kernelINS0_14default_configENS1_22reduce_config_selectorIbEEZNS1_11reduce_implILb1ES3_N6hipcub16HIPCUB_304000_NS22TransformInputIteratorIbN2at6native12_GLOBAL__N_19NonZeroOpIiEEPKilEEPiiNS8_6detail34convert_binary_result_type_wrapperINS8_3SumESH_iEEEE10hipError_tPvRmT1_T2_T3_mT4_P12ihipStream_tbEUlT_E0_NS1_11comp_targetILNS1_3genE5ELNS1_11target_archE942ELNS1_3gpuE9ELNS1_3repE0EEENS1_30default_config_static_selectorELNS0_4arch9wavefront6targetE0EEEvSQ_.has_indirect_call, 0
	.section	.AMDGPU.csdata,"",@progbits
; Kernel info:
; codeLenInByte = 0
; TotalNumSgprs: 0
; NumVgprs: 0
; ScratchSize: 0
; MemoryBound: 0
; FloatMode: 240
; IeeeMode: 1
; LDSByteSize: 0 bytes/workgroup (compile time only)
; SGPRBlocks: 0
; VGPRBlocks: 0
; NumSGPRsForWavesPerEU: 1
; NumVGPRsForWavesPerEU: 1
; Occupancy: 16
; WaveLimiterHint : 0
; COMPUTE_PGM_RSRC2:SCRATCH_EN: 0
; COMPUTE_PGM_RSRC2:USER_SGPR: 2
; COMPUTE_PGM_RSRC2:TRAP_HANDLER: 0
; COMPUTE_PGM_RSRC2:TGID_X_EN: 1
; COMPUTE_PGM_RSRC2:TGID_Y_EN: 0
; COMPUTE_PGM_RSRC2:TGID_Z_EN: 0
; COMPUTE_PGM_RSRC2:TIDIG_COMP_CNT: 0
	.section	.text._ZN7rocprim17ROCPRIM_400000_NS6detail17trampoline_kernelINS0_14default_configENS1_22reduce_config_selectorIbEEZNS1_11reduce_implILb1ES3_N6hipcub16HIPCUB_304000_NS22TransformInputIteratorIbN2at6native12_GLOBAL__N_19NonZeroOpIiEEPKilEEPiiNS8_6detail34convert_binary_result_type_wrapperINS8_3SumESH_iEEEE10hipError_tPvRmT1_T2_T3_mT4_P12ihipStream_tbEUlT_E0_NS1_11comp_targetILNS1_3genE4ELNS1_11target_archE910ELNS1_3gpuE8ELNS1_3repE0EEENS1_30default_config_static_selectorELNS0_4arch9wavefront6targetE0EEEvSQ_,"axG",@progbits,_ZN7rocprim17ROCPRIM_400000_NS6detail17trampoline_kernelINS0_14default_configENS1_22reduce_config_selectorIbEEZNS1_11reduce_implILb1ES3_N6hipcub16HIPCUB_304000_NS22TransformInputIteratorIbN2at6native12_GLOBAL__N_19NonZeroOpIiEEPKilEEPiiNS8_6detail34convert_binary_result_type_wrapperINS8_3SumESH_iEEEE10hipError_tPvRmT1_T2_T3_mT4_P12ihipStream_tbEUlT_E0_NS1_11comp_targetILNS1_3genE4ELNS1_11target_archE910ELNS1_3gpuE8ELNS1_3repE0EEENS1_30default_config_static_selectorELNS0_4arch9wavefront6targetE0EEEvSQ_,comdat
	.globl	_ZN7rocprim17ROCPRIM_400000_NS6detail17trampoline_kernelINS0_14default_configENS1_22reduce_config_selectorIbEEZNS1_11reduce_implILb1ES3_N6hipcub16HIPCUB_304000_NS22TransformInputIteratorIbN2at6native12_GLOBAL__N_19NonZeroOpIiEEPKilEEPiiNS8_6detail34convert_binary_result_type_wrapperINS8_3SumESH_iEEEE10hipError_tPvRmT1_T2_T3_mT4_P12ihipStream_tbEUlT_E0_NS1_11comp_targetILNS1_3genE4ELNS1_11target_archE910ELNS1_3gpuE8ELNS1_3repE0EEENS1_30default_config_static_selectorELNS0_4arch9wavefront6targetE0EEEvSQ_ ; -- Begin function _ZN7rocprim17ROCPRIM_400000_NS6detail17trampoline_kernelINS0_14default_configENS1_22reduce_config_selectorIbEEZNS1_11reduce_implILb1ES3_N6hipcub16HIPCUB_304000_NS22TransformInputIteratorIbN2at6native12_GLOBAL__N_19NonZeroOpIiEEPKilEEPiiNS8_6detail34convert_binary_result_type_wrapperINS8_3SumESH_iEEEE10hipError_tPvRmT1_T2_T3_mT4_P12ihipStream_tbEUlT_E0_NS1_11comp_targetILNS1_3genE4ELNS1_11target_archE910ELNS1_3gpuE8ELNS1_3repE0EEENS1_30default_config_static_selectorELNS0_4arch9wavefront6targetE0EEEvSQ_
	.p2align	8
	.type	_ZN7rocprim17ROCPRIM_400000_NS6detail17trampoline_kernelINS0_14default_configENS1_22reduce_config_selectorIbEEZNS1_11reduce_implILb1ES3_N6hipcub16HIPCUB_304000_NS22TransformInputIteratorIbN2at6native12_GLOBAL__N_19NonZeroOpIiEEPKilEEPiiNS8_6detail34convert_binary_result_type_wrapperINS8_3SumESH_iEEEE10hipError_tPvRmT1_T2_T3_mT4_P12ihipStream_tbEUlT_E0_NS1_11comp_targetILNS1_3genE4ELNS1_11target_archE910ELNS1_3gpuE8ELNS1_3repE0EEENS1_30default_config_static_selectorELNS0_4arch9wavefront6targetE0EEEvSQ_,@function
_ZN7rocprim17ROCPRIM_400000_NS6detail17trampoline_kernelINS0_14default_configENS1_22reduce_config_selectorIbEEZNS1_11reduce_implILb1ES3_N6hipcub16HIPCUB_304000_NS22TransformInputIteratorIbN2at6native12_GLOBAL__N_19NonZeroOpIiEEPKilEEPiiNS8_6detail34convert_binary_result_type_wrapperINS8_3SumESH_iEEEE10hipError_tPvRmT1_T2_T3_mT4_P12ihipStream_tbEUlT_E0_NS1_11comp_targetILNS1_3genE4ELNS1_11target_archE910ELNS1_3gpuE8ELNS1_3repE0EEENS1_30default_config_static_selectorELNS0_4arch9wavefront6targetE0EEEvSQ_: ; @_ZN7rocprim17ROCPRIM_400000_NS6detail17trampoline_kernelINS0_14default_configENS1_22reduce_config_selectorIbEEZNS1_11reduce_implILb1ES3_N6hipcub16HIPCUB_304000_NS22TransformInputIteratorIbN2at6native12_GLOBAL__N_19NonZeroOpIiEEPKilEEPiiNS8_6detail34convert_binary_result_type_wrapperINS8_3SumESH_iEEEE10hipError_tPvRmT1_T2_T3_mT4_P12ihipStream_tbEUlT_E0_NS1_11comp_targetILNS1_3genE4ELNS1_11target_archE910ELNS1_3gpuE8ELNS1_3repE0EEENS1_30default_config_static_selectorELNS0_4arch9wavefront6targetE0EEEvSQ_
; %bb.0:
	.section	.rodata,"a",@progbits
	.p2align	6, 0x0
	.amdhsa_kernel _ZN7rocprim17ROCPRIM_400000_NS6detail17trampoline_kernelINS0_14default_configENS1_22reduce_config_selectorIbEEZNS1_11reduce_implILb1ES3_N6hipcub16HIPCUB_304000_NS22TransformInputIteratorIbN2at6native12_GLOBAL__N_19NonZeroOpIiEEPKilEEPiiNS8_6detail34convert_binary_result_type_wrapperINS8_3SumESH_iEEEE10hipError_tPvRmT1_T2_T3_mT4_P12ihipStream_tbEUlT_E0_NS1_11comp_targetILNS1_3genE4ELNS1_11target_archE910ELNS1_3gpuE8ELNS1_3repE0EEENS1_30default_config_static_selectorELNS0_4arch9wavefront6targetE0EEEvSQ_
		.amdhsa_group_segment_fixed_size 0
		.amdhsa_private_segment_fixed_size 0
		.amdhsa_kernarg_size 64
		.amdhsa_user_sgpr_count 2
		.amdhsa_user_sgpr_dispatch_ptr 0
		.amdhsa_user_sgpr_queue_ptr 0
		.amdhsa_user_sgpr_kernarg_segment_ptr 1
		.amdhsa_user_sgpr_dispatch_id 0
		.amdhsa_user_sgpr_private_segment_size 0
		.amdhsa_wavefront_size32 1
		.amdhsa_uses_dynamic_stack 0
		.amdhsa_enable_private_segment 0
		.amdhsa_system_sgpr_workgroup_id_x 1
		.amdhsa_system_sgpr_workgroup_id_y 0
		.amdhsa_system_sgpr_workgroup_id_z 0
		.amdhsa_system_sgpr_workgroup_info 0
		.amdhsa_system_vgpr_workitem_id 0
		.amdhsa_next_free_vgpr 1
		.amdhsa_next_free_sgpr 1
		.amdhsa_reserve_vcc 0
		.amdhsa_float_round_mode_32 0
		.amdhsa_float_round_mode_16_64 0
		.amdhsa_float_denorm_mode_32 3
		.amdhsa_float_denorm_mode_16_64 3
		.amdhsa_fp16_overflow 0
		.amdhsa_workgroup_processor_mode 1
		.amdhsa_memory_ordered 1
		.amdhsa_forward_progress 1
		.amdhsa_inst_pref_size 0
		.amdhsa_round_robin_scheduling 0
		.amdhsa_exception_fp_ieee_invalid_op 0
		.amdhsa_exception_fp_denorm_src 0
		.amdhsa_exception_fp_ieee_div_zero 0
		.amdhsa_exception_fp_ieee_overflow 0
		.amdhsa_exception_fp_ieee_underflow 0
		.amdhsa_exception_fp_ieee_inexact 0
		.amdhsa_exception_int_div_zero 0
	.end_amdhsa_kernel
	.section	.text._ZN7rocprim17ROCPRIM_400000_NS6detail17trampoline_kernelINS0_14default_configENS1_22reduce_config_selectorIbEEZNS1_11reduce_implILb1ES3_N6hipcub16HIPCUB_304000_NS22TransformInputIteratorIbN2at6native12_GLOBAL__N_19NonZeroOpIiEEPKilEEPiiNS8_6detail34convert_binary_result_type_wrapperINS8_3SumESH_iEEEE10hipError_tPvRmT1_T2_T3_mT4_P12ihipStream_tbEUlT_E0_NS1_11comp_targetILNS1_3genE4ELNS1_11target_archE910ELNS1_3gpuE8ELNS1_3repE0EEENS1_30default_config_static_selectorELNS0_4arch9wavefront6targetE0EEEvSQ_,"axG",@progbits,_ZN7rocprim17ROCPRIM_400000_NS6detail17trampoline_kernelINS0_14default_configENS1_22reduce_config_selectorIbEEZNS1_11reduce_implILb1ES3_N6hipcub16HIPCUB_304000_NS22TransformInputIteratorIbN2at6native12_GLOBAL__N_19NonZeroOpIiEEPKilEEPiiNS8_6detail34convert_binary_result_type_wrapperINS8_3SumESH_iEEEE10hipError_tPvRmT1_T2_T3_mT4_P12ihipStream_tbEUlT_E0_NS1_11comp_targetILNS1_3genE4ELNS1_11target_archE910ELNS1_3gpuE8ELNS1_3repE0EEENS1_30default_config_static_selectorELNS0_4arch9wavefront6targetE0EEEvSQ_,comdat
.Lfunc_end170:
	.size	_ZN7rocprim17ROCPRIM_400000_NS6detail17trampoline_kernelINS0_14default_configENS1_22reduce_config_selectorIbEEZNS1_11reduce_implILb1ES3_N6hipcub16HIPCUB_304000_NS22TransformInputIteratorIbN2at6native12_GLOBAL__N_19NonZeroOpIiEEPKilEEPiiNS8_6detail34convert_binary_result_type_wrapperINS8_3SumESH_iEEEE10hipError_tPvRmT1_T2_T3_mT4_P12ihipStream_tbEUlT_E0_NS1_11comp_targetILNS1_3genE4ELNS1_11target_archE910ELNS1_3gpuE8ELNS1_3repE0EEENS1_30default_config_static_selectorELNS0_4arch9wavefront6targetE0EEEvSQ_, .Lfunc_end170-_ZN7rocprim17ROCPRIM_400000_NS6detail17trampoline_kernelINS0_14default_configENS1_22reduce_config_selectorIbEEZNS1_11reduce_implILb1ES3_N6hipcub16HIPCUB_304000_NS22TransformInputIteratorIbN2at6native12_GLOBAL__N_19NonZeroOpIiEEPKilEEPiiNS8_6detail34convert_binary_result_type_wrapperINS8_3SumESH_iEEEE10hipError_tPvRmT1_T2_T3_mT4_P12ihipStream_tbEUlT_E0_NS1_11comp_targetILNS1_3genE4ELNS1_11target_archE910ELNS1_3gpuE8ELNS1_3repE0EEENS1_30default_config_static_selectorELNS0_4arch9wavefront6targetE0EEEvSQ_
                                        ; -- End function
	.set _ZN7rocprim17ROCPRIM_400000_NS6detail17trampoline_kernelINS0_14default_configENS1_22reduce_config_selectorIbEEZNS1_11reduce_implILb1ES3_N6hipcub16HIPCUB_304000_NS22TransformInputIteratorIbN2at6native12_GLOBAL__N_19NonZeroOpIiEEPKilEEPiiNS8_6detail34convert_binary_result_type_wrapperINS8_3SumESH_iEEEE10hipError_tPvRmT1_T2_T3_mT4_P12ihipStream_tbEUlT_E0_NS1_11comp_targetILNS1_3genE4ELNS1_11target_archE910ELNS1_3gpuE8ELNS1_3repE0EEENS1_30default_config_static_selectorELNS0_4arch9wavefront6targetE0EEEvSQ_.num_vgpr, 0
	.set _ZN7rocprim17ROCPRIM_400000_NS6detail17trampoline_kernelINS0_14default_configENS1_22reduce_config_selectorIbEEZNS1_11reduce_implILb1ES3_N6hipcub16HIPCUB_304000_NS22TransformInputIteratorIbN2at6native12_GLOBAL__N_19NonZeroOpIiEEPKilEEPiiNS8_6detail34convert_binary_result_type_wrapperINS8_3SumESH_iEEEE10hipError_tPvRmT1_T2_T3_mT4_P12ihipStream_tbEUlT_E0_NS1_11comp_targetILNS1_3genE4ELNS1_11target_archE910ELNS1_3gpuE8ELNS1_3repE0EEENS1_30default_config_static_selectorELNS0_4arch9wavefront6targetE0EEEvSQ_.num_agpr, 0
	.set _ZN7rocprim17ROCPRIM_400000_NS6detail17trampoline_kernelINS0_14default_configENS1_22reduce_config_selectorIbEEZNS1_11reduce_implILb1ES3_N6hipcub16HIPCUB_304000_NS22TransformInputIteratorIbN2at6native12_GLOBAL__N_19NonZeroOpIiEEPKilEEPiiNS8_6detail34convert_binary_result_type_wrapperINS8_3SumESH_iEEEE10hipError_tPvRmT1_T2_T3_mT4_P12ihipStream_tbEUlT_E0_NS1_11comp_targetILNS1_3genE4ELNS1_11target_archE910ELNS1_3gpuE8ELNS1_3repE0EEENS1_30default_config_static_selectorELNS0_4arch9wavefront6targetE0EEEvSQ_.numbered_sgpr, 0
	.set _ZN7rocprim17ROCPRIM_400000_NS6detail17trampoline_kernelINS0_14default_configENS1_22reduce_config_selectorIbEEZNS1_11reduce_implILb1ES3_N6hipcub16HIPCUB_304000_NS22TransformInputIteratorIbN2at6native12_GLOBAL__N_19NonZeroOpIiEEPKilEEPiiNS8_6detail34convert_binary_result_type_wrapperINS8_3SumESH_iEEEE10hipError_tPvRmT1_T2_T3_mT4_P12ihipStream_tbEUlT_E0_NS1_11comp_targetILNS1_3genE4ELNS1_11target_archE910ELNS1_3gpuE8ELNS1_3repE0EEENS1_30default_config_static_selectorELNS0_4arch9wavefront6targetE0EEEvSQ_.num_named_barrier, 0
	.set _ZN7rocprim17ROCPRIM_400000_NS6detail17trampoline_kernelINS0_14default_configENS1_22reduce_config_selectorIbEEZNS1_11reduce_implILb1ES3_N6hipcub16HIPCUB_304000_NS22TransformInputIteratorIbN2at6native12_GLOBAL__N_19NonZeroOpIiEEPKilEEPiiNS8_6detail34convert_binary_result_type_wrapperINS8_3SumESH_iEEEE10hipError_tPvRmT1_T2_T3_mT4_P12ihipStream_tbEUlT_E0_NS1_11comp_targetILNS1_3genE4ELNS1_11target_archE910ELNS1_3gpuE8ELNS1_3repE0EEENS1_30default_config_static_selectorELNS0_4arch9wavefront6targetE0EEEvSQ_.private_seg_size, 0
	.set _ZN7rocprim17ROCPRIM_400000_NS6detail17trampoline_kernelINS0_14default_configENS1_22reduce_config_selectorIbEEZNS1_11reduce_implILb1ES3_N6hipcub16HIPCUB_304000_NS22TransformInputIteratorIbN2at6native12_GLOBAL__N_19NonZeroOpIiEEPKilEEPiiNS8_6detail34convert_binary_result_type_wrapperINS8_3SumESH_iEEEE10hipError_tPvRmT1_T2_T3_mT4_P12ihipStream_tbEUlT_E0_NS1_11comp_targetILNS1_3genE4ELNS1_11target_archE910ELNS1_3gpuE8ELNS1_3repE0EEENS1_30default_config_static_selectorELNS0_4arch9wavefront6targetE0EEEvSQ_.uses_vcc, 0
	.set _ZN7rocprim17ROCPRIM_400000_NS6detail17trampoline_kernelINS0_14default_configENS1_22reduce_config_selectorIbEEZNS1_11reduce_implILb1ES3_N6hipcub16HIPCUB_304000_NS22TransformInputIteratorIbN2at6native12_GLOBAL__N_19NonZeroOpIiEEPKilEEPiiNS8_6detail34convert_binary_result_type_wrapperINS8_3SumESH_iEEEE10hipError_tPvRmT1_T2_T3_mT4_P12ihipStream_tbEUlT_E0_NS1_11comp_targetILNS1_3genE4ELNS1_11target_archE910ELNS1_3gpuE8ELNS1_3repE0EEENS1_30default_config_static_selectorELNS0_4arch9wavefront6targetE0EEEvSQ_.uses_flat_scratch, 0
	.set _ZN7rocprim17ROCPRIM_400000_NS6detail17trampoline_kernelINS0_14default_configENS1_22reduce_config_selectorIbEEZNS1_11reduce_implILb1ES3_N6hipcub16HIPCUB_304000_NS22TransformInputIteratorIbN2at6native12_GLOBAL__N_19NonZeroOpIiEEPKilEEPiiNS8_6detail34convert_binary_result_type_wrapperINS8_3SumESH_iEEEE10hipError_tPvRmT1_T2_T3_mT4_P12ihipStream_tbEUlT_E0_NS1_11comp_targetILNS1_3genE4ELNS1_11target_archE910ELNS1_3gpuE8ELNS1_3repE0EEENS1_30default_config_static_selectorELNS0_4arch9wavefront6targetE0EEEvSQ_.has_dyn_sized_stack, 0
	.set _ZN7rocprim17ROCPRIM_400000_NS6detail17trampoline_kernelINS0_14default_configENS1_22reduce_config_selectorIbEEZNS1_11reduce_implILb1ES3_N6hipcub16HIPCUB_304000_NS22TransformInputIteratorIbN2at6native12_GLOBAL__N_19NonZeroOpIiEEPKilEEPiiNS8_6detail34convert_binary_result_type_wrapperINS8_3SumESH_iEEEE10hipError_tPvRmT1_T2_T3_mT4_P12ihipStream_tbEUlT_E0_NS1_11comp_targetILNS1_3genE4ELNS1_11target_archE910ELNS1_3gpuE8ELNS1_3repE0EEENS1_30default_config_static_selectorELNS0_4arch9wavefront6targetE0EEEvSQ_.has_recursion, 0
	.set _ZN7rocprim17ROCPRIM_400000_NS6detail17trampoline_kernelINS0_14default_configENS1_22reduce_config_selectorIbEEZNS1_11reduce_implILb1ES3_N6hipcub16HIPCUB_304000_NS22TransformInputIteratorIbN2at6native12_GLOBAL__N_19NonZeroOpIiEEPKilEEPiiNS8_6detail34convert_binary_result_type_wrapperINS8_3SumESH_iEEEE10hipError_tPvRmT1_T2_T3_mT4_P12ihipStream_tbEUlT_E0_NS1_11comp_targetILNS1_3genE4ELNS1_11target_archE910ELNS1_3gpuE8ELNS1_3repE0EEENS1_30default_config_static_selectorELNS0_4arch9wavefront6targetE0EEEvSQ_.has_indirect_call, 0
	.section	.AMDGPU.csdata,"",@progbits
; Kernel info:
; codeLenInByte = 0
; TotalNumSgprs: 0
; NumVgprs: 0
; ScratchSize: 0
; MemoryBound: 0
; FloatMode: 240
; IeeeMode: 1
; LDSByteSize: 0 bytes/workgroup (compile time only)
; SGPRBlocks: 0
; VGPRBlocks: 0
; NumSGPRsForWavesPerEU: 1
; NumVGPRsForWavesPerEU: 1
; Occupancy: 16
; WaveLimiterHint : 0
; COMPUTE_PGM_RSRC2:SCRATCH_EN: 0
; COMPUTE_PGM_RSRC2:USER_SGPR: 2
; COMPUTE_PGM_RSRC2:TRAP_HANDLER: 0
; COMPUTE_PGM_RSRC2:TGID_X_EN: 1
; COMPUTE_PGM_RSRC2:TGID_Y_EN: 0
; COMPUTE_PGM_RSRC2:TGID_Z_EN: 0
; COMPUTE_PGM_RSRC2:TIDIG_COMP_CNT: 0
	.section	.text._ZN7rocprim17ROCPRIM_400000_NS6detail17trampoline_kernelINS0_14default_configENS1_22reduce_config_selectorIbEEZNS1_11reduce_implILb1ES3_N6hipcub16HIPCUB_304000_NS22TransformInputIteratorIbN2at6native12_GLOBAL__N_19NonZeroOpIiEEPKilEEPiiNS8_6detail34convert_binary_result_type_wrapperINS8_3SumESH_iEEEE10hipError_tPvRmT1_T2_T3_mT4_P12ihipStream_tbEUlT_E0_NS1_11comp_targetILNS1_3genE3ELNS1_11target_archE908ELNS1_3gpuE7ELNS1_3repE0EEENS1_30default_config_static_selectorELNS0_4arch9wavefront6targetE0EEEvSQ_,"axG",@progbits,_ZN7rocprim17ROCPRIM_400000_NS6detail17trampoline_kernelINS0_14default_configENS1_22reduce_config_selectorIbEEZNS1_11reduce_implILb1ES3_N6hipcub16HIPCUB_304000_NS22TransformInputIteratorIbN2at6native12_GLOBAL__N_19NonZeroOpIiEEPKilEEPiiNS8_6detail34convert_binary_result_type_wrapperINS8_3SumESH_iEEEE10hipError_tPvRmT1_T2_T3_mT4_P12ihipStream_tbEUlT_E0_NS1_11comp_targetILNS1_3genE3ELNS1_11target_archE908ELNS1_3gpuE7ELNS1_3repE0EEENS1_30default_config_static_selectorELNS0_4arch9wavefront6targetE0EEEvSQ_,comdat
	.globl	_ZN7rocprim17ROCPRIM_400000_NS6detail17trampoline_kernelINS0_14default_configENS1_22reduce_config_selectorIbEEZNS1_11reduce_implILb1ES3_N6hipcub16HIPCUB_304000_NS22TransformInputIteratorIbN2at6native12_GLOBAL__N_19NonZeroOpIiEEPKilEEPiiNS8_6detail34convert_binary_result_type_wrapperINS8_3SumESH_iEEEE10hipError_tPvRmT1_T2_T3_mT4_P12ihipStream_tbEUlT_E0_NS1_11comp_targetILNS1_3genE3ELNS1_11target_archE908ELNS1_3gpuE7ELNS1_3repE0EEENS1_30default_config_static_selectorELNS0_4arch9wavefront6targetE0EEEvSQ_ ; -- Begin function _ZN7rocprim17ROCPRIM_400000_NS6detail17trampoline_kernelINS0_14default_configENS1_22reduce_config_selectorIbEEZNS1_11reduce_implILb1ES3_N6hipcub16HIPCUB_304000_NS22TransformInputIteratorIbN2at6native12_GLOBAL__N_19NonZeroOpIiEEPKilEEPiiNS8_6detail34convert_binary_result_type_wrapperINS8_3SumESH_iEEEE10hipError_tPvRmT1_T2_T3_mT4_P12ihipStream_tbEUlT_E0_NS1_11comp_targetILNS1_3genE3ELNS1_11target_archE908ELNS1_3gpuE7ELNS1_3repE0EEENS1_30default_config_static_selectorELNS0_4arch9wavefront6targetE0EEEvSQ_
	.p2align	8
	.type	_ZN7rocprim17ROCPRIM_400000_NS6detail17trampoline_kernelINS0_14default_configENS1_22reduce_config_selectorIbEEZNS1_11reduce_implILb1ES3_N6hipcub16HIPCUB_304000_NS22TransformInputIteratorIbN2at6native12_GLOBAL__N_19NonZeroOpIiEEPKilEEPiiNS8_6detail34convert_binary_result_type_wrapperINS8_3SumESH_iEEEE10hipError_tPvRmT1_T2_T3_mT4_P12ihipStream_tbEUlT_E0_NS1_11comp_targetILNS1_3genE3ELNS1_11target_archE908ELNS1_3gpuE7ELNS1_3repE0EEENS1_30default_config_static_selectorELNS0_4arch9wavefront6targetE0EEEvSQ_,@function
_ZN7rocprim17ROCPRIM_400000_NS6detail17trampoline_kernelINS0_14default_configENS1_22reduce_config_selectorIbEEZNS1_11reduce_implILb1ES3_N6hipcub16HIPCUB_304000_NS22TransformInputIteratorIbN2at6native12_GLOBAL__N_19NonZeroOpIiEEPKilEEPiiNS8_6detail34convert_binary_result_type_wrapperINS8_3SumESH_iEEEE10hipError_tPvRmT1_T2_T3_mT4_P12ihipStream_tbEUlT_E0_NS1_11comp_targetILNS1_3genE3ELNS1_11target_archE908ELNS1_3gpuE7ELNS1_3repE0EEENS1_30default_config_static_selectorELNS0_4arch9wavefront6targetE0EEEvSQ_: ; @_ZN7rocprim17ROCPRIM_400000_NS6detail17trampoline_kernelINS0_14default_configENS1_22reduce_config_selectorIbEEZNS1_11reduce_implILb1ES3_N6hipcub16HIPCUB_304000_NS22TransformInputIteratorIbN2at6native12_GLOBAL__N_19NonZeroOpIiEEPKilEEPiiNS8_6detail34convert_binary_result_type_wrapperINS8_3SumESH_iEEEE10hipError_tPvRmT1_T2_T3_mT4_P12ihipStream_tbEUlT_E0_NS1_11comp_targetILNS1_3genE3ELNS1_11target_archE908ELNS1_3gpuE7ELNS1_3repE0EEENS1_30default_config_static_selectorELNS0_4arch9wavefront6targetE0EEEvSQ_
; %bb.0:
	.section	.rodata,"a",@progbits
	.p2align	6, 0x0
	.amdhsa_kernel _ZN7rocprim17ROCPRIM_400000_NS6detail17trampoline_kernelINS0_14default_configENS1_22reduce_config_selectorIbEEZNS1_11reduce_implILb1ES3_N6hipcub16HIPCUB_304000_NS22TransformInputIteratorIbN2at6native12_GLOBAL__N_19NonZeroOpIiEEPKilEEPiiNS8_6detail34convert_binary_result_type_wrapperINS8_3SumESH_iEEEE10hipError_tPvRmT1_T2_T3_mT4_P12ihipStream_tbEUlT_E0_NS1_11comp_targetILNS1_3genE3ELNS1_11target_archE908ELNS1_3gpuE7ELNS1_3repE0EEENS1_30default_config_static_selectorELNS0_4arch9wavefront6targetE0EEEvSQ_
		.amdhsa_group_segment_fixed_size 0
		.amdhsa_private_segment_fixed_size 0
		.amdhsa_kernarg_size 64
		.amdhsa_user_sgpr_count 2
		.amdhsa_user_sgpr_dispatch_ptr 0
		.amdhsa_user_sgpr_queue_ptr 0
		.amdhsa_user_sgpr_kernarg_segment_ptr 1
		.amdhsa_user_sgpr_dispatch_id 0
		.amdhsa_user_sgpr_private_segment_size 0
		.amdhsa_wavefront_size32 1
		.amdhsa_uses_dynamic_stack 0
		.amdhsa_enable_private_segment 0
		.amdhsa_system_sgpr_workgroup_id_x 1
		.amdhsa_system_sgpr_workgroup_id_y 0
		.amdhsa_system_sgpr_workgroup_id_z 0
		.amdhsa_system_sgpr_workgroup_info 0
		.amdhsa_system_vgpr_workitem_id 0
		.amdhsa_next_free_vgpr 1
		.amdhsa_next_free_sgpr 1
		.amdhsa_reserve_vcc 0
		.amdhsa_float_round_mode_32 0
		.amdhsa_float_round_mode_16_64 0
		.amdhsa_float_denorm_mode_32 3
		.amdhsa_float_denorm_mode_16_64 3
		.amdhsa_fp16_overflow 0
		.amdhsa_workgroup_processor_mode 1
		.amdhsa_memory_ordered 1
		.amdhsa_forward_progress 1
		.amdhsa_inst_pref_size 0
		.amdhsa_round_robin_scheduling 0
		.amdhsa_exception_fp_ieee_invalid_op 0
		.amdhsa_exception_fp_denorm_src 0
		.amdhsa_exception_fp_ieee_div_zero 0
		.amdhsa_exception_fp_ieee_overflow 0
		.amdhsa_exception_fp_ieee_underflow 0
		.amdhsa_exception_fp_ieee_inexact 0
		.amdhsa_exception_int_div_zero 0
	.end_amdhsa_kernel
	.section	.text._ZN7rocprim17ROCPRIM_400000_NS6detail17trampoline_kernelINS0_14default_configENS1_22reduce_config_selectorIbEEZNS1_11reduce_implILb1ES3_N6hipcub16HIPCUB_304000_NS22TransformInputIteratorIbN2at6native12_GLOBAL__N_19NonZeroOpIiEEPKilEEPiiNS8_6detail34convert_binary_result_type_wrapperINS8_3SumESH_iEEEE10hipError_tPvRmT1_T2_T3_mT4_P12ihipStream_tbEUlT_E0_NS1_11comp_targetILNS1_3genE3ELNS1_11target_archE908ELNS1_3gpuE7ELNS1_3repE0EEENS1_30default_config_static_selectorELNS0_4arch9wavefront6targetE0EEEvSQ_,"axG",@progbits,_ZN7rocprim17ROCPRIM_400000_NS6detail17trampoline_kernelINS0_14default_configENS1_22reduce_config_selectorIbEEZNS1_11reduce_implILb1ES3_N6hipcub16HIPCUB_304000_NS22TransformInputIteratorIbN2at6native12_GLOBAL__N_19NonZeroOpIiEEPKilEEPiiNS8_6detail34convert_binary_result_type_wrapperINS8_3SumESH_iEEEE10hipError_tPvRmT1_T2_T3_mT4_P12ihipStream_tbEUlT_E0_NS1_11comp_targetILNS1_3genE3ELNS1_11target_archE908ELNS1_3gpuE7ELNS1_3repE0EEENS1_30default_config_static_selectorELNS0_4arch9wavefront6targetE0EEEvSQ_,comdat
.Lfunc_end171:
	.size	_ZN7rocprim17ROCPRIM_400000_NS6detail17trampoline_kernelINS0_14default_configENS1_22reduce_config_selectorIbEEZNS1_11reduce_implILb1ES3_N6hipcub16HIPCUB_304000_NS22TransformInputIteratorIbN2at6native12_GLOBAL__N_19NonZeroOpIiEEPKilEEPiiNS8_6detail34convert_binary_result_type_wrapperINS8_3SumESH_iEEEE10hipError_tPvRmT1_T2_T3_mT4_P12ihipStream_tbEUlT_E0_NS1_11comp_targetILNS1_3genE3ELNS1_11target_archE908ELNS1_3gpuE7ELNS1_3repE0EEENS1_30default_config_static_selectorELNS0_4arch9wavefront6targetE0EEEvSQ_, .Lfunc_end171-_ZN7rocprim17ROCPRIM_400000_NS6detail17trampoline_kernelINS0_14default_configENS1_22reduce_config_selectorIbEEZNS1_11reduce_implILb1ES3_N6hipcub16HIPCUB_304000_NS22TransformInputIteratorIbN2at6native12_GLOBAL__N_19NonZeroOpIiEEPKilEEPiiNS8_6detail34convert_binary_result_type_wrapperINS8_3SumESH_iEEEE10hipError_tPvRmT1_T2_T3_mT4_P12ihipStream_tbEUlT_E0_NS1_11comp_targetILNS1_3genE3ELNS1_11target_archE908ELNS1_3gpuE7ELNS1_3repE0EEENS1_30default_config_static_selectorELNS0_4arch9wavefront6targetE0EEEvSQ_
                                        ; -- End function
	.set _ZN7rocprim17ROCPRIM_400000_NS6detail17trampoline_kernelINS0_14default_configENS1_22reduce_config_selectorIbEEZNS1_11reduce_implILb1ES3_N6hipcub16HIPCUB_304000_NS22TransformInputIteratorIbN2at6native12_GLOBAL__N_19NonZeroOpIiEEPKilEEPiiNS8_6detail34convert_binary_result_type_wrapperINS8_3SumESH_iEEEE10hipError_tPvRmT1_T2_T3_mT4_P12ihipStream_tbEUlT_E0_NS1_11comp_targetILNS1_3genE3ELNS1_11target_archE908ELNS1_3gpuE7ELNS1_3repE0EEENS1_30default_config_static_selectorELNS0_4arch9wavefront6targetE0EEEvSQ_.num_vgpr, 0
	.set _ZN7rocprim17ROCPRIM_400000_NS6detail17trampoline_kernelINS0_14default_configENS1_22reduce_config_selectorIbEEZNS1_11reduce_implILb1ES3_N6hipcub16HIPCUB_304000_NS22TransformInputIteratorIbN2at6native12_GLOBAL__N_19NonZeroOpIiEEPKilEEPiiNS8_6detail34convert_binary_result_type_wrapperINS8_3SumESH_iEEEE10hipError_tPvRmT1_T2_T3_mT4_P12ihipStream_tbEUlT_E0_NS1_11comp_targetILNS1_3genE3ELNS1_11target_archE908ELNS1_3gpuE7ELNS1_3repE0EEENS1_30default_config_static_selectorELNS0_4arch9wavefront6targetE0EEEvSQ_.num_agpr, 0
	.set _ZN7rocprim17ROCPRIM_400000_NS6detail17trampoline_kernelINS0_14default_configENS1_22reduce_config_selectorIbEEZNS1_11reduce_implILb1ES3_N6hipcub16HIPCUB_304000_NS22TransformInputIteratorIbN2at6native12_GLOBAL__N_19NonZeroOpIiEEPKilEEPiiNS8_6detail34convert_binary_result_type_wrapperINS8_3SumESH_iEEEE10hipError_tPvRmT1_T2_T3_mT4_P12ihipStream_tbEUlT_E0_NS1_11comp_targetILNS1_3genE3ELNS1_11target_archE908ELNS1_3gpuE7ELNS1_3repE0EEENS1_30default_config_static_selectorELNS0_4arch9wavefront6targetE0EEEvSQ_.numbered_sgpr, 0
	.set _ZN7rocprim17ROCPRIM_400000_NS6detail17trampoline_kernelINS0_14default_configENS1_22reduce_config_selectorIbEEZNS1_11reduce_implILb1ES3_N6hipcub16HIPCUB_304000_NS22TransformInputIteratorIbN2at6native12_GLOBAL__N_19NonZeroOpIiEEPKilEEPiiNS8_6detail34convert_binary_result_type_wrapperINS8_3SumESH_iEEEE10hipError_tPvRmT1_T2_T3_mT4_P12ihipStream_tbEUlT_E0_NS1_11comp_targetILNS1_3genE3ELNS1_11target_archE908ELNS1_3gpuE7ELNS1_3repE0EEENS1_30default_config_static_selectorELNS0_4arch9wavefront6targetE0EEEvSQ_.num_named_barrier, 0
	.set _ZN7rocprim17ROCPRIM_400000_NS6detail17trampoline_kernelINS0_14default_configENS1_22reduce_config_selectorIbEEZNS1_11reduce_implILb1ES3_N6hipcub16HIPCUB_304000_NS22TransformInputIteratorIbN2at6native12_GLOBAL__N_19NonZeroOpIiEEPKilEEPiiNS8_6detail34convert_binary_result_type_wrapperINS8_3SumESH_iEEEE10hipError_tPvRmT1_T2_T3_mT4_P12ihipStream_tbEUlT_E0_NS1_11comp_targetILNS1_3genE3ELNS1_11target_archE908ELNS1_3gpuE7ELNS1_3repE0EEENS1_30default_config_static_selectorELNS0_4arch9wavefront6targetE0EEEvSQ_.private_seg_size, 0
	.set _ZN7rocprim17ROCPRIM_400000_NS6detail17trampoline_kernelINS0_14default_configENS1_22reduce_config_selectorIbEEZNS1_11reduce_implILb1ES3_N6hipcub16HIPCUB_304000_NS22TransformInputIteratorIbN2at6native12_GLOBAL__N_19NonZeroOpIiEEPKilEEPiiNS8_6detail34convert_binary_result_type_wrapperINS8_3SumESH_iEEEE10hipError_tPvRmT1_T2_T3_mT4_P12ihipStream_tbEUlT_E0_NS1_11comp_targetILNS1_3genE3ELNS1_11target_archE908ELNS1_3gpuE7ELNS1_3repE0EEENS1_30default_config_static_selectorELNS0_4arch9wavefront6targetE0EEEvSQ_.uses_vcc, 0
	.set _ZN7rocprim17ROCPRIM_400000_NS6detail17trampoline_kernelINS0_14default_configENS1_22reduce_config_selectorIbEEZNS1_11reduce_implILb1ES3_N6hipcub16HIPCUB_304000_NS22TransformInputIteratorIbN2at6native12_GLOBAL__N_19NonZeroOpIiEEPKilEEPiiNS8_6detail34convert_binary_result_type_wrapperINS8_3SumESH_iEEEE10hipError_tPvRmT1_T2_T3_mT4_P12ihipStream_tbEUlT_E0_NS1_11comp_targetILNS1_3genE3ELNS1_11target_archE908ELNS1_3gpuE7ELNS1_3repE0EEENS1_30default_config_static_selectorELNS0_4arch9wavefront6targetE0EEEvSQ_.uses_flat_scratch, 0
	.set _ZN7rocprim17ROCPRIM_400000_NS6detail17trampoline_kernelINS0_14default_configENS1_22reduce_config_selectorIbEEZNS1_11reduce_implILb1ES3_N6hipcub16HIPCUB_304000_NS22TransformInputIteratorIbN2at6native12_GLOBAL__N_19NonZeroOpIiEEPKilEEPiiNS8_6detail34convert_binary_result_type_wrapperINS8_3SumESH_iEEEE10hipError_tPvRmT1_T2_T3_mT4_P12ihipStream_tbEUlT_E0_NS1_11comp_targetILNS1_3genE3ELNS1_11target_archE908ELNS1_3gpuE7ELNS1_3repE0EEENS1_30default_config_static_selectorELNS0_4arch9wavefront6targetE0EEEvSQ_.has_dyn_sized_stack, 0
	.set _ZN7rocprim17ROCPRIM_400000_NS6detail17trampoline_kernelINS0_14default_configENS1_22reduce_config_selectorIbEEZNS1_11reduce_implILb1ES3_N6hipcub16HIPCUB_304000_NS22TransformInputIteratorIbN2at6native12_GLOBAL__N_19NonZeroOpIiEEPKilEEPiiNS8_6detail34convert_binary_result_type_wrapperINS8_3SumESH_iEEEE10hipError_tPvRmT1_T2_T3_mT4_P12ihipStream_tbEUlT_E0_NS1_11comp_targetILNS1_3genE3ELNS1_11target_archE908ELNS1_3gpuE7ELNS1_3repE0EEENS1_30default_config_static_selectorELNS0_4arch9wavefront6targetE0EEEvSQ_.has_recursion, 0
	.set _ZN7rocprim17ROCPRIM_400000_NS6detail17trampoline_kernelINS0_14default_configENS1_22reduce_config_selectorIbEEZNS1_11reduce_implILb1ES3_N6hipcub16HIPCUB_304000_NS22TransformInputIteratorIbN2at6native12_GLOBAL__N_19NonZeroOpIiEEPKilEEPiiNS8_6detail34convert_binary_result_type_wrapperINS8_3SumESH_iEEEE10hipError_tPvRmT1_T2_T3_mT4_P12ihipStream_tbEUlT_E0_NS1_11comp_targetILNS1_3genE3ELNS1_11target_archE908ELNS1_3gpuE7ELNS1_3repE0EEENS1_30default_config_static_selectorELNS0_4arch9wavefront6targetE0EEEvSQ_.has_indirect_call, 0
	.section	.AMDGPU.csdata,"",@progbits
; Kernel info:
; codeLenInByte = 0
; TotalNumSgprs: 0
; NumVgprs: 0
; ScratchSize: 0
; MemoryBound: 0
; FloatMode: 240
; IeeeMode: 1
; LDSByteSize: 0 bytes/workgroup (compile time only)
; SGPRBlocks: 0
; VGPRBlocks: 0
; NumSGPRsForWavesPerEU: 1
; NumVGPRsForWavesPerEU: 1
; Occupancy: 16
; WaveLimiterHint : 0
; COMPUTE_PGM_RSRC2:SCRATCH_EN: 0
; COMPUTE_PGM_RSRC2:USER_SGPR: 2
; COMPUTE_PGM_RSRC2:TRAP_HANDLER: 0
; COMPUTE_PGM_RSRC2:TGID_X_EN: 1
; COMPUTE_PGM_RSRC2:TGID_Y_EN: 0
; COMPUTE_PGM_RSRC2:TGID_Z_EN: 0
; COMPUTE_PGM_RSRC2:TIDIG_COMP_CNT: 0
	.section	.text._ZN7rocprim17ROCPRIM_400000_NS6detail17trampoline_kernelINS0_14default_configENS1_22reduce_config_selectorIbEEZNS1_11reduce_implILb1ES3_N6hipcub16HIPCUB_304000_NS22TransformInputIteratorIbN2at6native12_GLOBAL__N_19NonZeroOpIiEEPKilEEPiiNS8_6detail34convert_binary_result_type_wrapperINS8_3SumESH_iEEEE10hipError_tPvRmT1_T2_T3_mT4_P12ihipStream_tbEUlT_E0_NS1_11comp_targetILNS1_3genE2ELNS1_11target_archE906ELNS1_3gpuE6ELNS1_3repE0EEENS1_30default_config_static_selectorELNS0_4arch9wavefront6targetE0EEEvSQ_,"axG",@progbits,_ZN7rocprim17ROCPRIM_400000_NS6detail17trampoline_kernelINS0_14default_configENS1_22reduce_config_selectorIbEEZNS1_11reduce_implILb1ES3_N6hipcub16HIPCUB_304000_NS22TransformInputIteratorIbN2at6native12_GLOBAL__N_19NonZeroOpIiEEPKilEEPiiNS8_6detail34convert_binary_result_type_wrapperINS8_3SumESH_iEEEE10hipError_tPvRmT1_T2_T3_mT4_P12ihipStream_tbEUlT_E0_NS1_11comp_targetILNS1_3genE2ELNS1_11target_archE906ELNS1_3gpuE6ELNS1_3repE0EEENS1_30default_config_static_selectorELNS0_4arch9wavefront6targetE0EEEvSQ_,comdat
	.globl	_ZN7rocprim17ROCPRIM_400000_NS6detail17trampoline_kernelINS0_14default_configENS1_22reduce_config_selectorIbEEZNS1_11reduce_implILb1ES3_N6hipcub16HIPCUB_304000_NS22TransformInputIteratorIbN2at6native12_GLOBAL__N_19NonZeroOpIiEEPKilEEPiiNS8_6detail34convert_binary_result_type_wrapperINS8_3SumESH_iEEEE10hipError_tPvRmT1_T2_T3_mT4_P12ihipStream_tbEUlT_E0_NS1_11comp_targetILNS1_3genE2ELNS1_11target_archE906ELNS1_3gpuE6ELNS1_3repE0EEENS1_30default_config_static_selectorELNS0_4arch9wavefront6targetE0EEEvSQ_ ; -- Begin function _ZN7rocprim17ROCPRIM_400000_NS6detail17trampoline_kernelINS0_14default_configENS1_22reduce_config_selectorIbEEZNS1_11reduce_implILb1ES3_N6hipcub16HIPCUB_304000_NS22TransformInputIteratorIbN2at6native12_GLOBAL__N_19NonZeroOpIiEEPKilEEPiiNS8_6detail34convert_binary_result_type_wrapperINS8_3SumESH_iEEEE10hipError_tPvRmT1_T2_T3_mT4_P12ihipStream_tbEUlT_E0_NS1_11comp_targetILNS1_3genE2ELNS1_11target_archE906ELNS1_3gpuE6ELNS1_3repE0EEENS1_30default_config_static_selectorELNS0_4arch9wavefront6targetE0EEEvSQ_
	.p2align	8
	.type	_ZN7rocprim17ROCPRIM_400000_NS6detail17trampoline_kernelINS0_14default_configENS1_22reduce_config_selectorIbEEZNS1_11reduce_implILb1ES3_N6hipcub16HIPCUB_304000_NS22TransformInputIteratorIbN2at6native12_GLOBAL__N_19NonZeroOpIiEEPKilEEPiiNS8_6detail34convert_binary_result_type_wrapperINS8_3SumESH_iEEEE10hipError_tPvRmT1_T2_T3_mT4_P12ihipStream_tbEUlT_E0_NS1_11comp_targetILNS1_3genE2ELNS1_11target_archE906ELNS1_3gpuE6ELNS1_3repE0EEENS1_30default_config_static_selectorELNS0_4arch9wavefront6targetE0EEEvSQ_,@function
_ZN7rocprim17ROCPRIM_400000_NS6detail17trampoline_kernelINS0_14default_configENS1_22reduce_config_selectorIbEEZNS1_11reduce_implILb1ES3_N6hipcub16HIPCUB_304000_NS22TransformInputIteratorIbN2at6native12_GLOBAL__N_19NonZeroOpIiEEPKilEEPiiNS8_6detail34convert_binary_result_type_wrapperINS8_3SumESH_iEEEE10hipError_tPvRmT1_T2_T3_mT4_P12ihipStream_tbEUlT_E0_NS1_11comp_targetILNS1_3genE2ELNS1_11target_archE906ELNS1_3gpuE6ELNS1_3repE0EEENS1_30default_config_static_selectorELNS0_4arch9wavefront6targetE0EEEvSQ_: ; @_ZN7rocprim17ROCPRIM_400000_NS6detail17trampoline_kernelINS0_14default_configENS1_22reduce_config_selectorIbEEZNS1_11reduce_implILb1ES3_N6hipcub16HIPCUB_304000_NS22TransformInputIteratorIbN2at6native12_GLOBAL__N_19NonZeroOpIiEEPKilEEPiiNS8_6detail34convert_binary_result_type_wrapperINS8_3SumESH_iEEEE10hipError_tPvRmT1_T2_T3_mT4_P12ihipStream_tbEUlT_E0_NS1_11comp_targetILNS1_3genE2ELNS1_11target_archE906ELNS1_3gpuE6ELNS1_3repE0EEENS1_30default_config_static_selectorELNS0_4arch9wavefront6targetE0EEEvSQ_
; %bb.0:
	.section	.rodata,"a",@progbits
	.p2align	6, 0x0
	.amdhsa_kernel _ZN7rocprim17ROCPRIM_400000_NS6detail17trampoline_kernelINS0_14default_configENS1_22reduce_config_selectorIbEEZNS1_11reduce_implILb1ES3_N6hipcub16HIPCUB_304000_NS22TransformInputIteratorIbN2at6native12_GLOBAL__N_19NonZeroOpIiEEPKilEEPiiNS8_6detail34convert_binary_result_type_wrapperINS8_3SumESH_iEEEE10hipError_tPvRmT1_T2_T3_mT4_P12ihipStream_tbEUlT_E0_NS1_11comp_targetILNS1_3genE2ELNS1_11target_archE906ELNS1_3gpuE6ELNS1_3repE0EEENS1_30default_config_static_selectorELNS0_4arch9wavefront6targetE0EEEvSQ_
		.amdhsa_group_segment_fixed_size 0
		.amdhsa_private_segment_fixed_size 0
		.amdhsa_kernarg_size 64
		.amdhsa_user_sgpr_count 2
		.amdhsa_user_sgpr_dispatch_ptr 0
		.amdhsa_user_sgpr_queue_ptr 0
		.amdhsa_user_sgpr_kernarg_segment_ptr 1
		.amdhsa_user_sgpr_dispatch_id 0
		.amdhsa_user_sgpr_private_segment_size 0
		.amdhsa_wavefront_size32 1
		.amdhsa_uses_dynamic_stack 0
		.amdhsa_enable_private_segment 0
		.amdhsa_system_sgpr_workgroup_id_x 1
		.amdhsa_system_sgpr_workgroup_id_y 0
		.amdhsa_system_sgpr_workgroup_id_z 0
		.amdhsa_system_sgpr_workgroup_info 0
		.amdhsa_system_vgpr_workitem_id 0
		.amdhsa_next_free_vgpr 1
		.amdhsa_next_free_sgpr 1
		.amdhsa_reserve_vcc 0
		.amdhsa_float_round_mode_32 0
		.amdhsa_float_round_mode_16_64 0
		.amdhsa_float_denorm_mode_32 3
		.amdhsa_float_denorm_mode_16_64 3
		.amdhsa_fp16_overflow 0
		.amdhsa_workgroup_processor_mode 1
		.amdhsa_memory_ordered 1
		.amdhsa_forward_progress 1
		.amdhsa_inst_pref_size 0
		.amdhsa_round_robin_scheduling 0
		.amdhsa_exception_fp_ieee_invalid_op 0
		.amdhsa_exception_fp_denorm_src 0
		.amdhsa_exception_fp_ieee_div_zero 0
		.amdhsa_exception_fp_ieee_overflow 0
		.amdhsa_exception_fp_ieee_underflow 0
		.amdhsa_exception_fp_ieee_inexact 0
		.amdhsa_exception_int_div_zero 0
	.end_amdhsa_kernel
	.section	.text._ZN7rocprim17ROCPRIM_400000_NS6detail17trampoline_kernelINS0_14default_configENS1_22reduce_config_selectorIbEEZNS1_11reduce_implILb1ES3_N6hipcub16HIPCUB_304000_NS22TransformInputIteratorIbN2at6native12_GLOBAL__N_19NonZeroOpIiEEPKilEEPiiNS8_6detail34convert_binary_result_type_wrapperINS8_3SumESH_iEEEE10hipError_tPvRmT1_T2_T3_mT4_P12ihipStream_tbEUlT_E0_NS1_11comp_targetILNS1_3genE2ELNS1_11target_archE906ELNS1_3gpuE6ELNS1_3repE0EEENS1_30default_config_static_selectorELNS0_4arch9wavefront6targetE0EEEvSQ_,"axG",@progbits,_ZN7rocprim17ROCPRIM_400000_NS6detail17trampoline_kernelINS0_14default_configENS1_22reduce_config_selectorIbEEZNS1_11reduce_implILb1ES3_N6hipcub16HIPCUB_304000_NS22TransformInputIteratorIbN2at6native12_GLOBAL__N_19NonZeroOpIiEEPKilEEPiiNS8_6detail34convert_binary_result_type_wrapperINS8_3SumESH_iEEEE10hipError_tPvRmT1_T2_T3_mT4_P12ihipStream_tbEUlT_E0_NS1_11comp_targetILNS1_3genE2ELNS1_11target_archE906ELNS1_3gpuE6ELNS1_3repE0EEENS1_30default_config_static_selectorELNS0_4arch9wavefront6targetE0EEEvSQ_,comdat
.Lfunc_end172:
	.size	_ZN7rocprim17ROCPRIM_400000_NS6detail17trampoline_kernelINS0_14default_configENS1_22reduce_config_selectorIbEEZNS1_11reduce_implILb1ES3_N6hipcub16HIPCUB_304000_NS22TransformInputIteratorIbN2at6native12_GLOBAL__N_19NonZeroOpIiEEPKilEEPiiNS8_6detail34convert_binary_result_type_wrapperINS8_3SumESH_iEEEE10hipError_tPvRmT1_T2_T3_mT4_P12ihipStream_tbEUlT_E0_NS1_11comp_targetILNS1_3genE2ELNS1_11target_archE906ELNS1_3gpuE6ELNS1_3repE0EEENS1_30default_config_static_selectorELNS0_4arch9wavefront6targetE0EEEvSQ_, .Lfunc_end172-_ZN7rocprim17ROCPRIM_400000_NS6detail17trampoline_kernelINS0_14default_configENS1_22reduce_config_selectorIbEEZNS1_11reduce_implILb1ES3_N6hipcub16HIPCUB_304000_NS22TransformInputIteratorIbN2at6native12_GLOBAL__N_19NonZeroOpIiEEPKilEEPiiNS8_6detail34convert_binary_result_type_wrapperINS8_3SumESH_iEEEE10hipError_tPvRmT1_T2_T3_mT4_P12ihipStream_tbEUlT_E0_NS1_11comp_targetILNS1_3genE2ELNS1_11target_archE906ELNS1_3gpuE6ELNS1_3repE0EEENS1_30default_config_static_selectorELNS0_4arch9wavefront6targetE0EEEvSQ_
                                        ; -- End function
	.set _ZN7rocprim17ROCPRIM_400000_NS6detail17trampoline_kernelINS0_14default_configENS1_22reduce_config_selectorIbEEZNS1_11reduce_implILb1ES3_N6hipcub16HIPCUB_304000_NS22TransformInputIteratorIbN2at6native12_GLOBAL__N_19NonZeroOpIiEEPKilEEPiiNS8_6detail34convert_binary_result_type_wrapperINS8_3SumESH_iEEEE10hipError_tPvRmT1_T2_T3_mT4_P12ihipStream_tbEUlT_E0_NS1_11comp_targetILNS1_3genE2ELNS1_11target_archE906ELNS1_3gpuE6ELNS1_3repE0EEENS1_30default_config_static_selectorELNS0_4arch9wavefront6targetE0EEEvSQ_.num_vgpr, 0
	.set _ZN7rocprim17ROCPRIM_400000_NS6detail17trampoline_kernelINS0_14default_configENS1_22reduce_config_selectorIbEEZNS1_11reduce_implILb1ES3_N6hipcub16HIPCUB_304000_NS22TransformInputIteratorIbN2at6native12_GLOBAL__N_19NonZeroOpIiEEPKilEEPiiNS8_6detail34convert_binary_result_type_wrapperINS8_3SumESH_iEEEE10hipError_tPvRmT1_T2_T3_mT4_P12ihipStream_tbEUlT_E0_NS1_11comp_targetILNS1_3genE2ELNS1_11target_archE906ELNS1_3gpuE6ELNS1_3repE0EEENS1_30default_config_static_selectorELNS0_4arch9wavefront6targetE0EEEvSQ_.num_agpr, 0
	.set _ZN7rocprim17ROCPRIM_400000_NS6detail17trampoline_kernelINS0_14default_configENS1_22reduce_config_selectorIbEEZNS1_11reduce_implILb1ES3_N6hipcub16HIPCUB_304000_NS22TransformInputIteratorIbN2at6native12_GLOBAL__N_19NonZeroOpIiEEPKilEEPiiNS8_6detail34convert_binary_result_type_wrapperINS8_3SumESH_iEEEE10hipError_tPvRmT1_T2_T3_mT4_P12ihipStream_tbEUlT_E0_NS1_11comp_targetILNS1_3genE2ELNS1_11target_archE906ELNS1_3gpuE6ELNS1_3repE0EEENS1_30default_config_static_selectorELNS0_4arch9wavefront6targetE0EEEvSQ_.numbered_sgpr, 0
	.set _ZN7rocprim17ROCPRIM_400000_NS6detail17trampoline_kernelINS0_14default_configENS1_22reduce_config_selectorIbEEZNS1_11reduce_implILb1ES3_N6hipcub16HIPCUB_304000_NS22TransformInputIteratorIbN2at6native12_GLOBAL__N_19NonZeroOpIiEEPKilEEPiiNS8_6detail34convert_binary_result_type_wrapperINS8_3SumESH_iEEEE10hipError_tPvRmT1_T2_T3_mT4_P12ihipStream_tbEUlT_E0_NS1_11comp_targetILNS1_3genE2ELNS1_11target_archE906ELNS1_3gpuE6ELNS1_3repE0EEENS1_30default_config_static_selectorELNS0_4arch9wavefront6targetE0EEEvSQ_.num_named_barrier, 0
	.set _ZN7rocprim17ROCPRIM_400000_NS6detail17trampoline_kernelINS0_14default_configENS1_22reduce_config_selectorIbEEZNS1_11reduce_implILb1ES3_N6hipcub16HIPCUB_304000_NS22TransformInputIteratorIbN2at6native12_GLOBAL__N_19NonZeroOpIiEEPKilEEPiiNS8_6detail34convert_binary_result_type_wrapperINS8_3SumESH_iEEEE10hipError_tPvRmT1_T2_T3_mT4_P12ihipStream_tbEUlT_E0_NS1_11comp_targetILNS1_3genE2ELNS1_11target_archE906ELNS1_3gpuE6ELNS1_3repE0EEENS1_30default_config_static_selectorELNS0_4arch9wavefront6targetE0EEEvSQ_.private_seg_size, 0
	.set _ZN7rocprim17ROCPRIM_400000_NS6detail17trampoline_kernelINS0_14default_configENS1_22reduce_config_selectorIbEEZNS1_11reduce_implILb1ES3_N6hipcub16HIPCUB_304000_NS22TransformInputIteratorIbN2at6native12_GLOBAL__N_19NonZeroOpIiEEPKilEEPiiNS8_6detail34convert_binary_result_type_wrapperINS8_3SumESH_iEEEE10hipError_tPvRmT1_T2_T3_mT4_P12ihipStream_tbEUlT_E0_NS1_11comp_targetILNS1_3genE2ELNS1_11target_archE906ELNS1_3gpuE6ELNS1_3repE0EEENS1_30default_config_static_selectorELNS0_4arch9wavefront6targetE0EEEvSQ_.uses_vcc, 0
	.set _ZN7rocprim17ROCPRIM_400000_NS6detail17trampoline_kernelINS0_14default_configENS1_22reduce_config_selectorIbEEZNS1_11reduce_implILb1ES3_N6hipcub16HIPCUB_304000_NS22TransformInputIteratorIbN2at6native12_GLOBAL__N_19NonZeroOpIiEEPKilEEPiiNS8_6detail34convert_binary_result_type_wrapperINS8_3SumESH_iEEEE10hipError_tPvRmT1_T2_T3_mT4_P12ihipStream_tbEUlT_E0_NS1_11comp_targetILNS1_3genE2ELNS1_11target_archE906ELNS1_3gpuE6ELNS1_3repE0EEENS1_30default_config_static_selectorELNS0_4arch9wavefront6targetE0EEEvSQ_.uses_flat_scratch, 0
	.set _ZN7rocprim17ROCPRIM_400000_NS6detail17trampoline_kernelINS0_14default_configENS1_22reduce_config_selectorIbEEZNS1_11reduce_implILb1ES3_N6hipcub16HIPCUB_304000_NS22TransformInputIteratorIbN2at6native12_GLOBAL__N_19NonZeroOpIiEEPKilEEPiiNS8_6detail34convert_binary_result_type_wrapperINS8_3SumESH_iEEEE10hipError_tPvRmT1_T2_T3_mT4_P12ihipStream_tbEUlT_E0_NS1_11comp_targetILNS1_3genE2ELNS1_11target_archE906ELNS1_3gpuE6ELNS1_3repE0EEENS1_30default_config_static_selectorELNS0_4arch9wavefront6targetE0EEEvSQ_.has_dyn_sized_stack, 0
	.set _ZN7rocprim17ROCPRIM_400000_NS6detail17trampoline_kernelINS0_14default_configENS1_22reduce_config_selectorIbEEZNS1_11reduce_implILb1ES3_N6hipcub16HIPCUB_304000_NS22TransformInputIteratorIbN2at6native12_GLOBAL__N_19NonZeroOpIiEEPKilEEPiiNS8_6detail34convert_binary_result_type_wrapperINS8_3SumESH_iEEEE10hipError_tPvRmT1_T2_T3_mT4_P12ihipStream_tbEUlT_E0_NS1_11comp_targetILNS1_3genE2ELNS1_11target_archE906ELNS1_3gpuE6ELNS1_3repE0EEENS1_30default_config_static_selectorELNS0_4arch9wavefront6targetE0EEEvSQ_.has_recursion, 0
	.set _ZN7rocprim17ROCPRIM_400000_NS6detail17trampoline_kernelINS0_14default_configENS1_22reduce_config_selectorIbEEZNS1_11reduce_implILb1ES3_N6hipcub16HIPCUB_304000_NS22TransformInputIteratorIbN2at6native12_GLOBAL__N_19NonZeroOpIiEEPKilEEPiiNS8_6detail34convert_binary_result_type_wrapperINS8_3SumESH_iEEEE10hipError_tPvRmT1_T2_T3_mT4_P12ihipStream_tbEUlT_E0_NS1_11comp_targetILNS1_3genE2ELNS1_11target_archE906ELNS1_3gpuE6ELNS1_3repE0EEENS1_30default_config_static_selectorELNS0_4arch9wavefront6targetE0EEEvSQ_.has_indirect_call, 0
	.section	.AMDGPU.csdata,"",@progbits
; Kernel info:
; codeLenInByte = 0
; TotalNumSgprs: 0
; NumVgprs: 0
; ScratchSize: 0
; MemoryBound: 0
; FloatMode: 240
; IeeeMode: 1
; LDSByteSize: 0 bytes/workgroup (compile time only)
; SGPRBlocks: 0
; VGPRBlocks: 0
; NumSGPRsForWavesPerEU: 1
; NumVGPRsForWavesPerEU: 1
; Occupancy: 16
; WaveLimiterHint : 0
; COMPUTE_PGM_RSRC2:SCRATCH_EN: 0
; COMPUTE_PGM_RSRC2:USER_SGPR: 2
; COMPUTE_PGM_RSRC2:TRAP_HANDLER: 0
; COMPUTE_PGM_RSRC2:TGID_X_EN: 1
; COMPUTE_PGM_RSRC2:TGID_Y_EN: 0
; COMPUTE_PGM_RSRC2:TGID_Z_EN: 0
; COMPUTE_PGM_RSRC2:TIDIG_COMP_CNT: 0
	.section	.text._ZN7rocprim17ROCPRIM_400000_NS6detail17trampoline_kernelINS0_14default_configENS1_22reduce_config_selectorIbEEZNS1_11reduce_implILb1ES3_N6hipcub16HIPCUB_304000_NS22TransformInputIteratorIbN2at6native12_GLOBAL__N_19NonZeroOpIiEEPKilEEPiiNS8_6detail34convert_binary_result_type_wrapperINS8_3SumESH_iEEEE10hipError_tPvRmT1_T2_T3_mT4_P12ihipStream_tbEUlT_E0_NS1_11comp_targetILNS1_3genE10ELNS1_11target_archE1201ELNS1_3gpuE5ELNS1_3repE0EEENS1_30default_config_static_selectorELNS0_4arch9wavefront6targetE0EEEvSQ_,"axG",@progbits,_ZN7rocprim17ROCPRIM_400000_NS6detail17trampoline_kernelINS0_14default_configENS1_22reduce_config_selectorIbEEZNS1_11reduce_implILb1ES3_N6hipcub16HIPCUB_304000_NS22TransformInputIteratorIbN2at6native12_GLOBAL__N_19NonZeroOpIiEEPKilEEPiiNS8_6detail34convert_binary_result_type_wrapperINS8_3SumESH_iEEEE10hipError_tPvRmT1_T2_T3_mT4_P12ihipStream_tbEUlT_E0_NS1_11comp_targetILNS1_3genE10ELNS1_11target_archE1201ELNS1_3gpuE5ELNS1_3repE0EEENS1_30default_config_static_selectorELNS0_4arch9wavefront6targetE0EEEvSQ_,comdat
	.globl	_ZN7rocprim17ROCPRIM_400000_NS6detail17trampoline_kernelINS0_14default_configENS1_22reduce_config_selectorIbEEZNS1_11reduce_implILb1ES3_N6hipcub16HIPCUB_304000_NS22TransformInputIteratorIbN2at6native12_GLOBAL__N_19NonZeroOpIiEEPKilEEPiiNS8_6detail34convert_binary_result_type_wrapperINS8_3SumESH_iEEEE10hipError_tPvRmT1_T2_T3_mT4_P12ihipStream_tbEUlT_E0_NS1_11comp_targetILNS1_3genE10ELNS1_11target_archE1201ELNS1_3gpuE5ELNS1_3repE0EEENS1_30default_config_static_selectorELNS0_4arch9wavefront6targetE0EEEvSQ_ ; -- Begin function _ZN7rocprim17ROCPRIM_400000_NS6detail17trampoline_kernelINS0_14default_configENS1_22reduce_config_selectorIbEEZNS1_11reduce_implILb1ES3_N6hipcub16HIPCUB_304000_NS22TransformInputIteratorIbN2at6native12_GLOBAL__N_19NonZeroOpIiEEPKilEEPiiNS8_6detail34convert_binary_result_type_wrapperINS8_3SumESH_iEEEE10hipError_tPvRmT1_T2_T3_mT4_P12ihipStream_tbEUlT_E0_NS1_11comp_targetILNS1_3genE10ELNS1_11target_archE1201ELNS1_3gpuE5ELNS1_3repE0EEENS1_30default_config_static_selectorELNS0_4arch9wavefront6targetE0EEEvSQ_
	.p2align	8
	.type	_ZN7rocprim17ROCPRIM_400000_NS6detail17trampoline_kernelINS0_14default_configENS1_22reduce_config_selectorIbEEZNS1_11reduce_implILb1ES3_N6hipcub16HIPCUB_304000_NS22TransformInputIteratorIbN2at6native12_GLOBAL__N_19NonZeroOpIiEEPKilEEPiiNS8_6detail34convert_binary_result_type_wrapperINS8_3SumESH_iEEEE10hipError_tPvRmT1_T2_T3_mT4_P12ihipStream_tbEUlT_E0_NS1_11comp_targetILNS1_3genE10ELNS1_11target_archE1201ELNS1_3gpuE5ELNS1_3repE0EEENS1_30default_config_static_selectorELNS0_4arch9wavefront6targetE0EEEvSQ_,@function
_ZN7rocprim17ROCPRIM_400000_NS6detail17trampoline_kernelINS0_14default_configENS1_22reduce_config_selectorIbEEZNS1_11reduce_implILb1ES3_N6hipcub16HIPCUB_304000_NS22TransformInputIteratorIbN2at6native12_GLOBAL__N_19NonZeroOpIiEEPKilEEPiiNS8_6detail34convert_binary_result_type_wrapperINS8_3SumESH_iEEEE10hipError_tPvRmT1_T2_T3_mT4_P12ihipStream_tbEUlT_E0_NS1_11comp_targetILNS1_3genE10ELNS1_11target_archE1201ELNS1_3gpuE5ELNS1_3repE0EEENS1_30default_config_static_selectorELNS0_4arch9wavefront6targetE0EEEvSQ_: ; @_ZN7rocprim17ROCPRIM_400000_NS6detail17trampoline_kernelINS0_14default_configENS1_22reduce_config_selectorIbEEZNS1_11reduce_implILb1ES3_N6hipcub16HIPCUB_304000_NS22TransformInputIteratorIbN2at6native12_GLOBAL__N_19NonZeroOpIiEEPKilEEPiiNS8_6detail34convert_binary_result_type_wrapperINS8_3SumESH_iEEEE10hipError_tPvRmT1_T2_T3_mT4_P12ihipStream_tbEUlT_E0_NS1_11comp_targetILNS1_3genE10ELNS1_11target_archE1201ELNS1_3gpuE5ELNS1_3repE0EEENS1_30default_config_static_selectorELNS0_4arch9wavefront6targetE0EEEvSQ_
; %bb.0:
	s_clause 0x2
	s_load_b256 s[16:23], s[0:1], 0x10
	s_load_b64 s[4:5], s[0:1], 0x0
	s_load_b64 s[26:27], s[0:1], 0x30
	s_lshl_b32 s2, ttmp9, 12
	s_mov_b32 s3, 0
	v_mbcnt_lo_u32_b32 v18, -1, 0
	v_lshlrev_b32_e32 v19, 2, v0
	s_mov_b32 s24, ttmp9
	s_mov_b32 s25, s3
	s_wait_kmcnt 0x0
	s_lshl_b64 s[6:7], s[16:17], 2
	s_lshr_b64 s[8:9], s[18:19], 12
	s_add_nc_u64 s[4:5], s[4:5], s[6:7]
	s_lshl_b64 s[6:7], s[2:3], 2
	s_cmp_lg_u64 s[8:9], s[24:25]
	s_add_nc_u64 s[16:17], s[4:5], s[6:7]
	s_cbranch_scc0 .LBB173_6
; %bb.1:
	s_clause 0xf
	global_load_b32 v1, v19, s[16:17]
	global_load_b32 v2, v19, s[16:17] offset:2048
	global_load_b32 v3, v19, s[16:17] offset:1024
	;; [unrolled: 1-line block ×15, first 2 shown]
	s_mov_b32 s3, exec_lo
	s_wait_loadcnt 0xf
	v_cmp_ne_u32_e32 vcc_lo, 0, v1
	v_cndmask_b32_e64 v1, 0, 1, vcc_lo
	s_wait_loadcnt 0xe
	v_cmp_ne_u32_e32 vcc_lo, 0, v2
	s_wait_alu 0xfffd
	v_cndmask_b32_e64 v2, 0, 1, vcc_lo
	s_wait_loadcnt 0xd
	v_cmp_ne_u32_e32 vcc_lo, 0, v3
	s_wait_alu 0xfffd
	v_add_co_ci_u32_e64 v1, null, 0, v1, vcc_lo
	s_wait_loadcnt 0xc
	v_cmp_ne_u32_e32 vcc_lo, 0, v4
	s_wait_alu 0xfffd
	v_cndmask_b32_e64 v3, 0, 1, vcc_lo
	s_wait_loadcnt 0xb
	v_cmp_ne_u32_e32 vcc_lo, 0, v5
	s_wait_alu 0xfffd
	v_add_co_ci_u32_e64 v1, null, v1, v2, vcc_lo
	;; [unrolled: 8-line block ×7, first 2 shown]
	s_wait_loadcnt 0x0
	v_cmp_ne_u32_e32 vcc_lo, 0, v16
	s_wait_alu 0xfffd
	s_delay_alu instid0(VALU_DEP_2) | instskip(NEXT) | instid1(VALU_DEP_1)
	v_add_co_ci_u32_e64 v1, null, v1, v2, vcc_lo
	v_mov_b32_dpp v2, v1 quad_perm:[1,0,3,2] row_mask:0xf bank_mask:0xf
	s_delay_alu instid0(VALU_DEP_1) | instskip(NEXT) | instid1(VALU_DEP_1)
	v_add_nc_u32_e32 v1, v1, v2
	v_mov_b32_dpp v2, v1 quad_perm:[2,3,0,1] row_mask:0xf bank_mask:0xf
	s_delay_alu instid0(VALU_DEP_1) | instskip(NEXT) | instid1(VALU_DEP_1)
	v_add_nc_u32_e32 v1, v1, v2
	v_mov_b32_dpp v2, v1 row_ror:4 row_mask:0xf bank_mask:0xf
	s_delay_alu instid0(VALU_DEP_1) | instskip(NEXT) | instid1(VALU_DEP_1)
	v_add_nc_u32_e32 v1, v1, v2
	v_mov_b32_dpp v2, v1 row_ror:8 row_mask:0xf bank_mask:0xf
	s_delay_alu instid0(VALU_DEP_1)
	v_add_nc_u32_e32 v1, v1, v2
	ds_swizzle_b32 v2, v1 offset:swizzle(BROADCAST,32,15)
	s_wait_dscnt 0x0
	v_dual_mov_b32 v2, 0 :: v_dual_add_nc_u32 v1, v1, v2
	ds_bpermute_b32 v1, v2, v1 offset:124
	v_cmpx_eq_u32_e32 0, v18
	s_cbranch_execz .LBB173_3
; %bb.2:
	v_lshrrev_b32_e32 v2, 3, v0
	s_delay_alu instid0(VALU_DEP_1)
	v_and_b32_e32 v2, 28, v2
	s_wait_dscnt 0x0
	ds_store_b32 v2, v1
.LBB173_3:
	s_or_b32 exec_lo, exec_lo, s3
	s_delay_alu instid0(SALU_CYCLE_1)
	s_mov_b32 s3, exec_lo
	s_wait_dscnt 0x0
	s_barrier_signal -1
	s_barrier_wait -1
	global_inv scope:SCOPE_SE
	v_cmpx_gt_u32_e32 32, v0
	s_cbranch_execz .LBB173_5
; %bb.4:
	v_and_b32_e32 v1, 7, v18
	s_delay_alu instid0(VALU_DEP_1)
	v_lshlrev_b32_e32 v2, 2, v1
	v_cmp_ne_u32_e32 vcc_lo, 7, v1
	ds_load_b32 v2, v2
	s_wait_alu 0xfffd
	v_add_co_ci_u32_e64 v3, null, 0, v18, vcc_lo
	v_cmp_gt_u32_e32 vcc_lo, 6, v1
	s_delay_alu instid0(VALU_DEP_2) | instskip(SKIP_2) | instid1(VALU_DEP_1)
	v_lshlrev_b32_e32 v3, 2, v3
	s_wait_alu 0xfffd
	v_cndmask_b32_e64 v1, 0, 2, vcc_lo
	v_add_lshl_u32 v1, v1, v18, 2
	s_wait_dscnt 0x0
	ds_bpermute_b32 v3, v3, v2
	s_wait_dscnt 0x0
	v_add_nc_u32_e32 v2, v3, v2
	v_lshlrev_b32_e32 v3, 2, v18
	ds_bpermute_b32 v1, v1, v2
	s_wait_dscnt 0x0
	v_add_nc_u32_e32 v1, v1, v2
	v_or_b32_e32 v2, 16, v3
	ds_bpermute_b32 v2, v2, v1
	s_wait_dscnt 0x0
	v_add_nc_u32_e32 v1, v2, v1
.LBB173_5:
	s_or_b32 exec_lo, exec_lo, s3
	s_branch .LBB173_44
.LBB173_6:
                                        ; implicit-def: $vgpr1
	s_cbranch_execz .LBB173_44
; %bb.7:
	v_mov_b32_e32 v1, 0
	s_sub_co_i32 s28, s18, s2
	s_mov_b32 s2, exec_lo
	s_delay_alu instid0(VALU_DEP_1)
	v_dual_mov_b32 v2, v1 :: v_dual_mov_b32 v3, v1
	v_dual_mov_b32 v4, v1 :: v_dual_mov_b32 v5, v1
	;; [unrolled: 1-line block ×7, first 2 shown]
	v_mov_b32_e32 v16, v1
	v_cmpx_gt_u32_e64 s28, v0
	s_cbranch_execz .LBB173_9
; %bb.8:
	global_load_b32 v2, v19, s[16:17]
	v_dual_mov_b32 v3, v1 :: v_dual_mov_b32 v4, v1
	v_dual_mov_b32 v5, v1 :: v_dual_mov_b32 v6, v1
	;; [unrolled: 1-line block ×7, first 2 shown]
	v_mov_b32_e32 v17, v1
	s_wait_loadcnt 0x0
	v_cmp_ne_u32_e32 vcc_lo, 0, v2
	v_cndmask_b32_e64 v2, 0, 1, vcc_lo
	s_delay_alu instid0(VALU_DEP_1) | instskip(NEXT) | instid1(VALU_DEP_1)
	v_and_b32_e32 v2, 0xffff, v2
	v_mov_b32_e32 v1, v2
	v_mov_b32_e32 v2, v3
	;; [unrolled: 1-line block ×16, first 2 shown]
.LBB173_9:
	s_or_b32 exec_lo, exec_lo, s2
	v_or_b32_e32 v17, 0x100, v0
	s_delay_alu instid0(VALU_DEP_1)
	v_cmp_gt_u32_e32 vcc_lo, s28, v17
	s_and_saveexec_b32 s3, vcc_lo
	s_cbranch_execz .LBB173_11
; %bb.10:
	global_load_b32 v2, v19, s[16:17] offset:1024
	s_wait_loadcnt 0x0
	v_cmp_ne_u32_e64 s2, 0, v2
	s_delay_alu instid0(VALU_DEP_1)
	v_cndmask_b32_e64 v2, 0, 1, s2
.LBB173_11:
	s_or_b32 exec_lo, exec_lo, s3
	v_or_b32_e32 v17, 0x200, v0
	s_delay_alu instid0(VALU_DEP_1)
	v_cmp_gt_u32_e64 s2, s28, v17
	s_and_saveexec_b32 s4, s2
	s_cbranch_execz .LBB173_13
; %bb.12:
	global_load_b32 v3, v19, s[16:17] offset:2048
	s_wait_loadcnt 0x0
	v_cmp_ne_u32_e64 s3, 0, v3
	s_wait_alu 0xf1ff
	s_delay_alu instid0(VALU_DEP_1)
	v_cndmask_b32_e64 v3, 0, 1, s3
.LBB173_13:
	s_or_b32 exec_lo, exec_lo, s4
	v_or_b32_e32 v17, 0x300, v0
	s_delay_alu instid0(VALU_DEP_1)
	v_cmp_gt_u32_e64 s3, s28, v17
	s_and_saveexec_b32 s5, s3
	s_cbranch_execz .LBB173_15
; %bb.14:
	global_load_b32 v4, v19, s[16:17] offset:3072
	s_wait_loadcnt 0x0
	v_cmp_ne_u32_e64 s4, 0, v4
	s_delay_alu instid0(VALU_DEP_1)
	v_cndmask_b32_e64 v4, 0, 1, s4
.LBB173_15:
	s_or_b32 exec_lo, exec_lo, s5
	v_or_b32_e32 v17, 0x400, v0
	s_delay_alu instid0(VALU_DEP_1)
	v_cmp_gt_u32_e64 s4, s28, v17
	s_and_saveexec_b32 s6, s4
	s_cbranch_execz .LBB173_17
; %bb.16:
	global_load_b32 v5, v19, s[16:17] offset:4096
	s_wait_loadcnt 0x0
	v_cmp_ne_u32_e64 s5, 0, v5
	s_wait_alu 0xf1ff
	s_delay_alu instid0(VALU_DEP_1)
	v_cndmask_b32_e64 v5, 0, 1, s5
.LBB173_17:
	s_or_b32 exec_lo, exec_lo, s6
	v_or_b32_e32 v17, 0x500, v0
	s_delay_alu instid0(VALU_DEP_1)
	v_cmp_gt_u32_e64 s5, s28, v17
	s_and_saveexec_b32 s7, s5
	;; [unrolled: 27-line block ×6, first 2 shown]
	s_cbranch_execz .LBB173_35
; %bb.34:
	global_load_b32 v14, v19, s[16:17] offset:13312
	s_wait_loadcnt 0x0
	v_cmp_ne_u32_e64 s14, 0, v14
	s_delay_alu instid0(VALU_DEP_1)
	v_cndmask_b32_e64 v14, 0, 1, s14
.LBB173_35:
	s_or_b32 exec_lo, exec_lo, s15
	v_or_b32_e32 v17, 0xe00, v0
	s_delay_alu instid0(VALU_DEP_1)
	v_cmp_gt_u32_e64 s14, s28, v17
	s_and_saveexec_b32 s29, s14
	s_cbranch_execz .LBB173_37
; %bb.36:
	global_load_b32 v15, v19, s[16:17] offset:14336
	s_wait_loadcnt 0x0
	v_cmp_ne_u32_e64 s15, 0, v15
	s_wait_alu 0xf1ff
	s_delay_alu instid0(VALU_DEP_1)
	v_cndmask_b32_e64 v15, 0, 1, s15
.LBB173_37:
	s_wait_alu 0xfffe
	s_or_b32 exec_lo, exec_lo, s29
	v_or_b32_e32 v17, 0xf00, v0
	s_delay_alu instid0(VALU_DEP_1)
	v_cmp_gt_u32_e64 s15, s28, v17
	s_and_saveexec_b32 s29, s15
	s_cbranch_execz .LBB173_39
; %bb.38:
	global_load_b32 v16, v19, s[16:17] offset:15360
	s_wait_loadcnt 0x0
	v_cmp_ne_u32_e64 s16, 0, v16
	s_delay_alu instid0(VALU_DEP_1)
	v_cndmask_b32_e64 v16, 0, 1, s16
.LBB173_39:
	s_wait_alu 0xfffe
	s_or_b32 exec_lo, exec_lo, s29
	v_cndmask_b32_e32 v2, 0, v2, vcc_lo
	v_cndmask_b32_e64 v3, 0, v3, s2
	v_cndmask_b32_e64 v4, 0, v4, s3
	v_cmp_ne_u32_e32 vcc_lo, 31, v18
	s_min_u32 s2, s28, 0x100
	v_add_nc_u32_e32 v1, v2, v1
	v_cndmask_b32_e64 v2, 0, v5, s4
	v_cndmask_b32_e64 v5, 0, v6, s5
	v_cndmask_b32_e64 v6, 0, v15, s14
	s_mov_b32 s3, exec_lo
	v_add3_u32 v1, v1, v3, v4
	v_cndmask_b32_e64 v3, 0, v7, s6
	v_cndmask_b32_e64 v4, 0, v8, s7
	s_delay_alu instid0(VALU_DEP_3) | instskip(SKIP_2) | instid1(VALU_DEP_3)
	v_add3_u32 v1, v1, v2, v5
	v_cndmask_b32_e64 v2, 0, v9, s8
	v_cndmask_b32_e64 v5, 0, v10, s9
	v_add3_u32 v1, v1, v3, v4
	v_cndmask_b32_e64 v3, 0, v11, s10
	v_cndmask_b32_e64 v4, 0, v12, s11
	s_delay_alu instid0(VALU_DEP_3) | instskip(SKIP_2) | instid1(VALU_DEP_3)
	v_add3_u32 v1, v1, v2, v5
	v_cndmask_b32_e64 v2, 0, v13, s12
	v_cndmask_b32_e64 v5, 0, v14, s13
	v_add3_u32 v1, v1, v3, v4
	v_cndmask_b32_e64 v3, 0, v16, s15
	s_wait_alu 0xfffd
	v_add_co_ci_u32_e64 v4, null, 0, v18, vcc_lo
	v_cmp_gt_u32_e32 vcc_lo, 30, v18
	v_add3_u32 v1, v1, v2, v5
	s_delay_alu instid0(VALU_DEP_3)
	v_lshlrev_b32_e32 v2, 2, v4
	v_add_nc_u32_e32 v4, 1, v18
	s_wait_alu 0xfffd
	v_cndmask_b32_e64 v5, 0, 2, vcc_lo
	v_add3_u32 v1, v1, v6, v3
	v_and_b32_e32 v3, 0xe0, v0
	ds_bpermute_b32 v2, v2, v1
	s_wait_alu 0xfffe
	v_sub_nc_u32_e64 v3, s2, v3 clamp
	s_delay_alu instid0(VALU_DEP_1)
	v_cmp_lt_u32_e32 vcc_lo, v4, v3
	v_add_lshl_u32 v4, v5, v18, 2
	s_wait_dscnt 0x0
	s_wait_alu 0xfffd
	v_cndmask_b32_e32 v2, 0, v2, vcc_lo
	v_cmp_gt_u32_e32 vcc_lo, 28, v18
	s_delay_alu instid0(VALU_DEP_2) | instskip(SKIP_4) | instid1(VALU_DEP_1)
	v_add_nc_u32_e32 v1, v1, v2
	s_wait_alu 0xfffd
	v_cndmask_b32_e64 v5, 0, 4, vcc_lo
	ds_bpermute_b32 v2, v4, v1
	v_add_nc_u32_e32 v4, 2, v18
	v_cmp_lt_u32_e32 vcc_lo, v4, v3
	v_add_lshl_u32 v4, v5, v18, 2
	s_wait_dscnt 0x0
	s_wait_alu 0xfffd
	v_cndmask_b32_e32 v2, 0, v2, vcc_lo
	v_cmp_gt_u32_e32 vcc_lo, 24, v18
	s_delay_alu instid0(VALU_DEP_2) | instskip(SKIP_4) | instid1(VALU_DEP_1)
	v_add_nc_u32_e32 v1, v1, v2
	s_wait_alu 0xfffd
	v_cndmask_b32_e64 v5, 0, 8, vcc_lo
	ds_bpermute_b32 v2, v4, v1
	v_add_nc_u32_e32 v4, 4, v18
	v_cmp_lt_u32_e32 vcc_lo, v4, v3
	v_add_lshl_u32 v4, v5, v18, 2
	v_add_nc_u32_e32 v5, 8, v18
	s_wait_dscnt 0x0
	s_wait_alu 0xfffd
	v_cndmask_b32_e32 v2, 0, v2, vcc_lo
	s_delay_alu instid0(VALU_DEP_2) | instskip(NEXT) | instid1(VALU_DEP_2)
	v_cmp_lt_u32_e32 vcc_lo, v5, v3
	v_add_nc_u32_e32 v1, v1, v2
	v_lshlrev_b32_e32 v2, 2, v18
	ds_bpermute_b32 v4, v4, v1
	v_or_b32_e32 v5, 64, v2
	s_wait_dscnt 0x0
	s_wait_alu 0xfffd
	v_cndmask_b32_e32 v4, 0, v4, vcc_lo
	s_delay_alu instid0(VALU_DEP_1) | instskip(SKIP_2) | instid1(VALU_DEP_1)
	v_add_nc_u32_e32 v1, v1, v4
	ds_bpermute_b32 v4, v5, v1
	v_add_nc_u32_e32 v5, 16, v18
	v_cmp_lt_u32_e32 vcc_lo, v5, v3
	s_wait_dscnt 0x0
	s_wait_alu 0xfffd
	v_cndmask_b32_e32 v3, 0, v4, vcc_lo
	s_delay_alu instid0(VALU_DEP_1)
	v_add_nc_u32_e32 v1, v1, v3
	v_cmpx_eq_u32_e32 0, v18
; %bb.40:
	v_lshrrev_b32_e32 v3, 3, v0
	s_delay_alu instid0(VALU_DEP_1)
	v_and_b32_e32 v3, 28, v3
	ds_store_b32 v3, v1 offset:32
; %bb.41:
	s_or_b32 exec_lo, exec_lo, s3
	s_delay_alu instid0(SALU_CYCLE_1)
	s_mov_b32 s3, exec_lo
	s_wait_loadcnt_dscnt 0x0
	s_barrier_signal -1
	s_barrier_wait -1
	global_inv scope:SCOPE_SE
	v_cmpx_gt_u32_e32 8, v0
	s_cbranch_execz .LBB173_43
; %bb.42:
	ds_load_b32 v1, v2 offset:32
	v_and_b32_e32 v3, 7, v18
	s_add_co_i32 s2, s2, 31
	v_or_b32_e32 v2, 16, v2
	s_wait_alu 0xfffe
	s_lshr_b32 s2, s2, 5
	v_cmp_ne_u32_e32 vcc_lo, 7, v3
	v_add_nc_u32_e32 v5, 1, v3
	s_wait_alu 0xfffd
	v_add_co_ci_u32_e64 v4, null, 0, v18, vcc_lo
	v_cmp_gt_u32_e32 vcc_lo, 6, v3
	s_delay_alu instid0(VALU_DEP_2)
	v_lshlrev_b32_e32 v4, 2, v4
	s_wait_alu 0xfffd
	v_cndmask_b32_e64 v6, 0, 2, vcc_lo
	s_wait_alu 0xfffe
	v_cmp_gt_u32_e32 vcc_lo, s2, v5
	s_wait_dscnt 0x0
	ds_bpermute_b32 v4, v4, v1
	v_add_lshl_u32 v5, v6, v18, 2
	s_wait_dscnt 0x0
	s_wait_alu 0xfffd
	v_cndmask_b32_e32 v4, 0, v4, vcc_lo
	s_delay_alu instid0(VALU_DEP_1) | instskip(SKIP_3) | instid1(VALU_DEP_2)
	v_add_nc_u32_e32 v1, v4, v1
	ds_bpermute_b32 v4, v5, v1
	v_add_nc_u32_e32 v5, 2, v3
	v_add_nc_u32_e32 v3, 4, v3
	v_cmp_gt_u32_e32 vcc_lo, s2, v5
	s_wait_dscnt 0x0
	s_wait_alu 0xfffd
	v_cndmask_b32_e32 v4, 0, v4, vcc_lo
	v_cmp_gt_u32_e32 vcc_lo, s2, v3
	s_delay_alu instid0(VALU_DEP_2) | instskip(SKIP_4) | instid1(VALU_DEP_1)
	v_add_nc_u32_e32 v1, v1, v4
	ds_bpermute_b32 v2, v2, v1
	s_wait_dscnt 0x0
	s_wait_alu 0xfffd
	v_cndmask_b32_e32 v2, 0, v2, vcc_lo
	v_add_nc_u32_e32 v1, v1, v2
.LBB173_43:
	s_wait_alu 0xfffe
	s_or_b32 exec_lo, exec_lo, s3
.LBB173_44:
	s_load_b32 s0, s[0:1], 0x38
	s_mov_b32 s1, exec_lo
	v_cmpx_eq_u32_e32 0, v0
	s_cbranch_execz .LBB173_46
; %bb.45:
	s_mul_u64 s[2:3], s[26:27], s[22:23]
	s_wait_alu 0xfffe
	s_lshl_b64 s[2:3], s[2:3], 2
	s_cmp_eq_u64 s[18:19], 0
	s_wait_alu 0xfffe
	s_add_nc_u64 s[2:3], s[20:21], s[2:3]
	s_cselect_b32 s1, -1, 0
	s_wait_kmcnt 0x0
	v_cndmask_b32_e64 v0, v1, s0, s1
	v_mov_b32_e32 v1, 0
	s_lshl_b64 s[0:1], s[24:25], 2
	s_wait_alu 0xfffe
	s_add_nc_u64 s[0:1], s[2:3], s[0:1]
	global_store_b32 v1, v0, s[0:1]
.LBB173_46:
	s_endpgm
	.section	.rodata,"a",@progbits
	.p2align	6, 0x0
	.amdhsa_kernel _ZN7rocprim17ROCPRIM_400000_NS6detail17trampoline_kernelINS0_14default_configENS1_22reduce_config_selectorIbEEZNS1_11reduce_implILb1ES3_N6hipcub16HIPCUB_304000_NS22TransformInputIteratorIbN2at6native12_GLOBAL__N_19NonZeroOpIiEEPKilEEPiiNS8_6detail34convert_binary_result_type_wrapperINS8_3SumESH_iEEEE10hipError_tPvRmT1_T2_T3_mT4_P12ihipStream_tbEUlT_E0_NS1_11comp_targetILNS1_3genE10ELNS1_11target_archE1201ELNS1_3gpuE5ELNS1_3repE0EEENS1_30default_config_static_selectorELNS0_4arch9wavefront6targetE0EEEvSQ_
		.amdhsa_group_segment_fixed_size 64
		.amdhsa_private_segment_fixed_size 0
		.amdhsa_kernarg_size 64
		.amdhsa_user_sgpr_count 2
		.amdhsa_user_sgpr_dispatch_ptr 0
		.amdhsa_user_sgpr_queue_ptr 0
		.amdhsa_user_sgpr_kernarg_segment_ptr 1
		.amdhsa_user_sgpr_dispatch_id 0
		.amdhsa_user_sgpr_private_segment_size 0
		.amdhsa_wavefront_size32 1
		.amdhsa_uses_dynamic_stack 0
		.amdhsa_enable_private_segment 0
		.amdhsa_system_sgpr_workgroup_id_x 1
		.amdhsa_system_sgpr_workgroup_id_y 0
		.amdhsa_system_sgpr_workgroup_id_z 0
		.amdhsa_system_sgpr_workgroup_info 0
		.amdhsa_system_vgpr_workitem_id 0
		.amdhsa_next_free_vgpr 20
		.amdhsa_next_free_sgpr 30
		.amdhsa_reserve_vcc 1
		.amdhsa_float_round_mode_32 0
		.amdhsa_float_round_mode_16_64 0
		.amdhsa_float_denorm_mode_32 3
		.amdhsa_float_denorm_mode_16_64 3
		.amdhsa_fp16_overflow 0
		.amdhsa_workgroup_processor_mode 1
		.amdhsa_memory_ordered 1
		.amdhsa_forward_progress 1
		.amdhsa_inst_pref_size 25
		.amdhsa_round_robin_scheduling 0
		.amdhsa_exception_fp_ieee_invalid_op 0
		.amdhsa_exception_fp_denorm_src 0
		.amdhsa_exception_fp_ieee_div_zero 0
		.amdhsa_exception_fp_ieee_overflow 0
		.amdhsa_exception_fp_ieee_underflow 0
		.amdhsa_exception_fp_ieee_inexact 0
		.amdhsa_exception_int_div_zero 0
	.end_amdhsa_kernel
	.section	.text._ZN7rocprim17ROCPRIM_400000_NS6detail17trampoline_kernelINS0_14default_configENS1_22reduce_config_selectorIbEEZNS1_11reduce_implILb1ES3_N6hipcub16HIPCUB_304000_NS22TransformInputIteratorIbN2at6native12_GLOBAL__N_19NonZeroOpIiEEPKilEEPiiNS8_6detail34convert_binary_result_type_wrapperINS8_3SumESH_iEEEE10hipError_tPvRmT1_T2_T3_mT4_P12ihipStream_tbEUlT_E0_NS1_11comp_targetILNS1_3genE10ELNS1_11target_archE1201ELNS1_3gpuE5ELNS1_3repE0EEENS1_30default_config_static_selectorELNS0_4arch9wavefront6targetE0EEEvSQ_,"axG",@progbits,_ZN7rocprim17ROCPRIM_400000_NS6detail17trampoline_kernelINS0_14default_configENS1_22reduce_config_selectorIbEEZNS1_11reduce_implILb1ES3_N6hipcub16HIPCUB_304000_NS22TransformInputIteratorIbN2at6native12_GLOBAL__N_19NonZeroOpIiEEPKilEEPiiNS8_6detail34convert_binary_result_type_wrapperINS8_3SumESH_iEEEE10hipError_tPvRmT1_T2_T3_mT4_P12ihipStream_tbEUlT_E0_NS1_11comp_targetILNS1_3genE10ELNS1_11target_archE1201ELNS1_3gpuE5ELNS1_3repE0EEENS1_30default_config_static_selectorELNS0_4arch9wavefront6targetE0EEEvSQ_,comdat
.Lfunc_end173:
	.size	_ZN7rocprim17ROCPRIM_400000_NS6detail17trampoline_kernelINS0_14default_configENS1_22reduce_config_selectorIbEEZNS1_11reduce_implILb1ES3_N6hipcub16HIPCUB_304000_NS22TransformInputIteratorIbN2at6native12_GLOBAL__N_19NonZeroOpIiEEPKilEEPiiNS8_6detail34convert_binary_result_type_wrapperINS8_3SumESH_iEEEE10hipError_tPvRmT1_T2_T3_mT4_P12ihipStream_tbEUlT_E0_NS1_11comp_targetILNS1_3genE10ELNS1_11target_archE1201ELNS1_3gpuE5ELNS1_3repE0EEENS1_30default_config_static_selectorELNS0_4arch9wavefront6targetE0EEEvSQ_, .Lfunc_end173-_ZN7rocprim17ROCPRIM_400000_NS6detail17trampoline_kernelINS0_14default_configENS1_22reduce_config_selectorIbEEZNS1_11reduce_implILb1ES3_N6hipcub16HIPCUB_304000_NS22TransformInputIteratorIbN2at6native12_GLOBAL__N_19NonZeroOpIiEEPKilEEPiiNS8_6detail34convert_binary_result_type_wrapperINS8_3SumESH_iEEEE10hipError_tPvRmT1_T2_T3_mT4_P12ihipStream_tbEUlT_E0_NS1_11comp_targetILNS1_3genE10ELNS1_11target_archE1201ELNS1_3gpuE5ELNS1_3repE0EEENS1_30default_config_static_selectorELNS0_4arch9wavefront6targetE0EEEvSQ_
                                        ; -- End function
	.set _ZN7rocprim17ROCPRIM_400000_NS6detail17trampoline_kernelINS0_14default_configENS1_22reduce_config_selectorIbEEZNS1_11reduce_implILb1ES3_N6hipcub16HIPCUB_304000_NS22TransformInputIteratorIbN2at6native12_GLOBAL__N_19NonZeroOpIiEEPKilEEPiiNS8_6detail34convert_binary_result_type_wrapperINS8_3SumESH_iEEEE10hipError_tPvRmT1_T2_T3_mT4_P12ihipStream_tbEUlT_E0_NS1_11comp_targetILNS1_3genE10ELNS1_11target_archE1201ELNS1_3gpuE5ELNS1_3repE0EEENS1_30default_config_static_selectorELNS0_4arch9wavefront6targetE0EEEvSQ_.num_vgpr, 20
	.set _ZN7rocprim17ROCPRIM_400000_NS6detail17trampoline_kernelINS0_14default_configENS1_22reduce_config_selectorIbEEZNS1_11reduce_implILb1ES3_N6hipcub16HIPCUB_304000_NS22TransformInputIteratorIbN2at6native12_GLOBAL__N_19NonZeroOpIiEEPKilEEPiiNS8_6detail34convert_binary_result_type_wrapperINS8_3SumESH_iEEEE10hipError_tPvRmT1_T2_T3_mT4_P12ihipStream_tbEUlT_E0_NS1_11comp_targetILNS1_3genE10ELNS1_11target_archE1201ELNS1_3gpuE5ELNS1_3repE0EEENS1_30default_config_static_selectorELNS0_4arch9wavefront6targetE0EEEvSQ_.num_agpr, 0
	.set _ZN7rocprim17ROCPRIM_400000_NS6detail17trampoline_kernelINS0_14default_configENS1_22reduce_config_selectorIbEEZNS1_11reduce_implILb1ES3_N6hipcub16HIPCUB_304000_NS22TransformInputIteratorIbN2at6native12_GLOBAL__N_19NonZeroOpIiEEPKilEEPiiNS8_6detail34convert_binary_result_type_wrapperINS8_3SumESH_iEEEE10hipError_tPvRmT1_T2_T3_mT4_P12ihipStream_tbEUlT_E0_NS1_11comp_targetILNS1_3genE10ELNS1_11target_archE1201ELNS1_3gpuE5ELNS1_3repE0EEENS1_30default_config_static_selectorELNS0_4arch9wavefront6targetE0EEEvSQ_.numbered_sgpr, 30
	.set _ZN7rocprim17ROCPRIM_400000_NS6detail17trampoline_kernelINS0_14default_configENS1_22reduce_config_selectorIbEEZNS1_11reduce_implILb1ES3_N6hipcub16HIPCUB_304000_NS22TransformInputIteratorIbN2at6native12_GLOBAL__N_19NonZeroOpIiEEPKilEEPiiNS8_6detail34convert_binary_result_type_wrapperINS8_3SumESH_iEEEE10hipError_tPvRmT1_T2_T3_mT4_P12ihipStream_tbEUlT_E0_NS1_11comp_targetILNS1_3genE10ELNS1_11target_archE1201ELNS1_3gpuE5ELNS1_3repE0EEENS1_30default_config_static_selectorELNS0_4arch9wavefront6targetE0EEEvSQ_.num_named_barrier, 0
	.set _ZN7rocprim17ROCPRIM_400000_NS6detail17trampoline_kernelINS0_14default_configENS1_22reduce_config_selectorIbEEZNS1_11reduce_implILb1ES3_N6hipcub16HIPCUB_304000_NS22TransformInputIteratorIbN2at6native12_GLOBAL__N_19NonZeroOpIiEEPKilEEPiiNS8_6detail34convert_binary_result_type_wrapperINS8_3SumESH_iEEEE10hipError_tPvRmT1_T2_T3_mT4_P12ihipStream_tbEUlT_E0_NS1_11comp_targetILNS1_3genE10ELNS1_11target_archE1201ELNS1_3gpuE5ELNS1_3repE0EEENS1_30default_config_static_selectorELNS0_4arch9wavefront6targetE0EEEvSQ_.private_seg_size, 0
	.set _ZN7rocprim17ROCPRIM_400000_NS6detail17trampoline_kernelINS0_14default_configENS1_22reduce_config_selectorIbEEZNS1_11reduce_implILb1ES3_N6hipcub16HIPCUB_304000_NS22TransformInputIteratorIbN2at6native12_GLOBAL__N_19NonZeroOpIiEEPKilEEPiiNS8_6detail34convert_binary_result_type_wrapperINS8_3SumESH_iEEEE10hipError_tPvRmT1_T2_T3_mT4_P12ihipStream_tbEUlT_E0_NS1_11comp_targetILNS1_3genE10ELNS1_11target_archE1201ELNS1_3gpuE5ELNS1_3repE0EEENS1_30default_config_static_selectorELNS0_4arch9wavefront6targetE0EEEvSQ_.uses_vcc, 1
	.set _ZN7rocprim17ROCPRIM_400000_NS6detail17trampoline_kernelINS0_14default_configENS1_22reduce_config_selectorIbEEZNS1_11reduce_implILb1ES3_N6hipcub16HIPCUB_304000_NS22TransformInputIteratorIbN2at6native12_GLOBAL__N_19NonZeroOpIiEEPKilEEPiiNS8_6detail34convert_binary_result_type_wrapperINS8_3SumESH_iEEEE10hipError_tPvRmT1_T2_T3_mT4_P12ihipStream_tbEUlT_E0_NS1_11comp_targetILNS1_3genE10ELNS1_11target_archE1201ELNS1_3gpuE5ELNS1_3repE0EEENS1_30default_config_static_selectorELNS0_4arch9wavefront6targetE0EEEvSQ_.uses_flat_scratch, 0
	.set _ZN7rocprim17ROCPRIM_400000_NS6detail17trampoline_kernelINS0_14default_configENS1_22reduce_config_selectorIbEEZNS1_11reduce_implILb1ES3_N6hipcub16HIPCUB_304000_NS22TransformInputIteratorIbN2at6native12_GLOBAL__N_19NonZeroOpIiEEPKilEEPiiNS8_6detail34convert_binary_result_type_wrapperINS8_3SumESH_iEEEE10hipError_tPvRmT1_T2_T3_mT4_P12ihipStream_tbEUlT_E0_NS1_11comp_targetILNS1_3genE10ELNS1_11target_archE1201ELNS1_3gpuE5ELNS1_3repE0EEENS1_30default_config_static_selectorELNS0_4arch9wavefront6targetE0EEEvSQ_.has_dyn_sized_stack, 0
	.set _ZN7rocprim17ROCPRIM_400000_NS6detail17trampoline_kernelINS0_14default_configENS1_22reduce_config_selectorIbEEZNS1_11reduce_implILb1ES3_N6hipcub16HIPCUB_304000_NS22TransformInputIteratorIbN2at6native12_GLOBAL__N_19NonZeroOpIiEEPKilEEPiiNS8_6detail34convert_binary_result_type_wrapperINS8_3SumESH_iEEEE10hipError_tPvRmT1_T2_T3_mT4_P12ihipStream_tbEUlT_E0_NS1_11comp_targetILNS1_3genE10ELNS1_11target_archE1201ELNS1_3gpuE5ELNS1_3repE0EEENS1_30default_config_static_selectorELNS0_4arch9wavefront6targetE0EEEvSQ_.has_recursion, 0
	.set _ZN7rocprim17ROCPRIM_400000_NS6detail17trampoline_kernelINS0_14default_configENS1_22reduce_config_selectorIbEEZNS1_11reduce_implILb1ES3_N6hipcub16HIPCUB_304000_NS22TransformInputIteratorIbN2at6native12_GLOBAL__N_19NonZeroOpIiEEPKilEEPiiNS8_6detail34convert_binary_result_type_wrapperINS8_3SumESH_iEEEE10hipError_tPvRmT1_T2_T3_mT4_P12ihipStream_tbEUlT_E0_NS1_11comp_targetILNS1_3genE10ELNS1_11target_archE1201ELNS1_3gpuE5ELNS1_3repE0EEENS1_30default_config_static_selectorELNS0_4arch9wavefront6targetE0EEEvSQ_.has_indirect_call, 0
	.section	.AMDGPU.csdata,"",@progbits
; Kernel info:
; codeLenInByte = 3084
; TotalNumSgprs: 32
; NumVgprs: 20
; ScratchSize: 0
; MemoryBound: 0
; FloatMode: 240
; IeeeMode: 1
; LDSByteSize: 64 bytes/workgroup (compile time only)
; SGPRBlocks: 0
; VGPRBlocks: 2
; NumSGPRsForWavesPerEU: 32
; NumVGPRsForWavesPerEU: 20
; Occupancy: 16
; WaveLimiterHint : 1
; COMPUTE_PGM_RSRC2:SCRATCH_EN: 0
; COMPUTE_PGM_RSRC2:USER_SGPR: 2
; COMPUTE_PGM_RSRC2:TRAP_HANDLER: 0
; COMPUTE_PGM_RSRC2:TGID_X_EN: 1
; COMPUTE_PGM_RSRC2:TGID_Y_EN: 0
; COMPUTE_PGM_RSRC2:TGID_Z_EN: 0
; COMPUTE_PGM_RSRC2:TIDIG_COMP_CNT: 0
	.section	.text._ZN7rocprim17ROCPRIM_400000_NS6detail17trampoline_kernelINS0_14default_configENS1_22reduce_config_selectorIbEEZNS1_11reduce_implILb1ES3_N6hipcub16HIPCUB_304000_NS22TransformInputIteratorIbN2at6native12_GLOBAL__N_19NonZeroOpIiEEPKilEEPiiNS8_6detail34convert_binary_result_type_wrapperINS8_3SumESH_iEEEE10hipError_tPvRmT1_T2_T3_mT4_P12ihipStream_tbEUlT_E0_NS1_11comp_targetILNS1_3genE10ELNS1_11target_archE1200ELNS1_3gpuE4ELNS1_3repE0EEENS1_30default_config_static_selectorELNS0_4arch9wavefront6targetE0EEEvSQ_,"axG",@progbits,_ZN7rocprim17ROCPRIM_400000_NS6detail17trampoline_kernelINS0_14default_configENS1_22reduce_config_selectorIbEEZNS1_11reduce_implILb1ES3_N6hipcub16HIPCUB_304000_NS22TransformInputIteratorIbN2at6native12_GLOBAL__N_19NonZeroOpIiEEPKilEEPiiNS8_6detail34convert_binary_result_type_wrapperINS8_3SumESH_iEEEE10hipError_tPvRmT1_T2_T3_mT4_P12ihipStream_tbEUlT_E0_NS1_11comp_targetILNS1_3genE10ELNS1_11target_archE1200ELNS1_3gpuE4ELNS1_3repE0EEENS1_30default_config_static_selectorELNS0_4arch9wavefront6targetE0EEEvSQ_,comdat
	.globl	_ZN7rocprim17ROCPRIM_400000_NS6detail17trampoline_kernelINS0_14default_configENS1_22reduce_config_selectorIbEEZNS1_11reduce_implILb1ES3_N6hipcub16HIPCUB_304000_NS22TransformInputIteratorIbN2at6native12_GLOBAL__N_19NonZeroOpIiEEPKilEEPiiNS8_6detail34convert_binary_result_type_wrapperINS8_3SumESH_iEEEE10hipError_tPvRmT1_T2_T3_mT4_P12ihipStream_tbEUlT_E0_NS1_11comp_targetILNS1_3genE10ELNS1_11target_archE1200ELNS1_3gpuE4ELNS1_3repE0EEENS1_30default_config_static_selectorELNS0_4arch9wavefront6targetE0EEEvSQ_ ; -- Begin function _ZN7rocprim17ROCPRIM_400000_NS6detail17trampoline_kernelINS0_14default_configENS1_22reduce_config_selectorIbEEZNS1_11reduce_implILb1ES3_N6hipcub16HIPCUB_304000_NS22TransformInputIteratorIbN2at6native12_GLOBAL__N_19NonZeroOpIiEEPKilEEPiiNS8_6detail34convert_binary_result_type_wrapperINS8_3SumESH_iEEEE10hipError_tPvRmT1_T2_T3_mT4_P12ihipStream_tbEUlT_E0_NS1_11comp_targetILNS1_3genE10ELNS1_11target_archE1200ELNS1_3gpuE4ELNS1_3repE0EEENS1_30default_config_static_selectorELNS0_4arch9wavefront6targetE0EEEvSQ_
	.p2align	8
	.type	_ZN7rocprim17ROCPRIM_400000_NS6detail17trampoline_kernelINS0_14default_configENS1_22reduce_config_selectorIbEEZNS1_11reduce_implILb1ES3_N6hipcub16HIPCUB_304000_NS22TransformInputIteratorIbN2at6native12_GLOBAL__N_19NonZeroOpIiEEPKilEEPiiNS8_6detail34convert_binary_result_type_wrapperINS8_3SumESH_iEEEE10hipError_tPvRmT1_T2_T3_mT4_P12ihipStream_tbEUlT_E0_NS1_11comp_targetILNS1_3genE10ELNS1_11target_archE1200ELNS1_3gpuE4ELNS1_3repE0EEENS1_30default_config_static_selectorELNS0_4arch9wavefront6targetE0EEEvSQ_,@function
_ZN7rocprim17ROCPRIM_400000_NS6detail17trampoline_kernelINS0_14default_configENS1_22reduce_config_selectorIbEEZNS1_11reduce_implILb1ES3_N6hipcub16HIPCUB_304000_NS22TransformInputIteratorIbN2at6native12_GLOBAL__N_19NonZeroOpIiEEPKilEEPiiNS8_6detail34convert_binary_result_type_wrapperINS8_3SumESH_iEEEE10hipError_tPvRmT1_T2_T3_mT4_P12ihipStream_tbEUlT_E0_NS1_11comp_targetILNS1_3genE10ELNS1_11target_archE1200ELNS1_3gpuE4ELNS1_3repE0EEENS1_30default_config_static_selectorELNS0_4arch9wavefront6targetE0EEEvSQ_: ; @_ZN7rocprim17ROCPRIM_400000_NS6detail17trampoline_kernelINS0_14default_configENS1_22reduce_config_selectorIbEEZNS1_11reduce_implILb1ES3_N6hipcub16HIPCUB_304000_NS22TransformInputIteratorIbN2at6native12_GLOBAL__N_19NonZeroOpIiEEPKilEEPiiNS8_6detail34convert_binary_result_type_wrapperINS8_3SumESH_iEEEE10hipError_tPvRmT1_T2_T3_mT4_P12ihipStream_tbEUlT_E0_NS1_11comp_targetILNS1_3genE10ELNS1_11target_archE1200ELNS1_3gpuE4ELNS1_3repE0EEENS1_30default_config_static_selectorELNS0_4arch9wavefront6targetE0EEEvSQ_
; %bb.0:
	.section	.rodata,"a",@progbits
	.p2align	6, 0x0
	.amdhsa_kernel _ZN7rocprim17ROCPRIM_400000_NS6detail17trampoline_kernelINS0_14default_configENS1_22reduce_config_selectorIbEEZNS1_11reduce_implILb1ES3_N6hipcub16HIPCUB_304000_NS22TransformInputIteratorIbN2at6native12_GLOBAL__N_19NonZeroOpIiEEPKilEEPiiNS8_6detail34convert_binary_result_type_wrapperINS8_3SumESH_iEEEE10hipError_tPvRmT1_T2_T3_mT4_P12ihipStream_tbEUlT_E0_NS1_11comp_targetILNS1_3genE10ELNS1_11target_archE1200ELNS1_3gpuE4ELNS1_3repE0EEENS1_30default_config_static_selectorELNS0_4arch9wavefront6targetE0EEEvSQ_
		.amdhsa_group_segment_fixed_size 0
		.amdhsa_private_segment_fixed_size 0
		.amdhsa_kernarg_size 64
		.amdhsa_user_sgpr_count 2
		.amdhsa_user_sgpr_dispatch_ptr 0
		.amdhsa_user_sgpr_queue_ptr 0
		.amdhsa_user_sgpr_kernarg_segment_ptr 1
		.amdhsa_user_sgpr_dispatch_id 0
		.amdhsa_user_sgpr_private_segment_size 0
		.amdhsa_wavefront_size32 1
		.amdhsa_uses_dynamic_stack 0
		.amdhsa_enable_private_segment 0
		.amdhsa_system_sgpr_workgroup_id_x 1
		.amdhsa_system_sgpr_workgroup_id_y 0
		.amdhsa_system_sgpr_workgroup_id_z 0
		.amdhsa_system_sgpr_workgroup_info 0
		.amdhsa_system_vgpr_workitem_id 0
		.amdhsa_next_free_vgpr 1
		.amdhsa_next_free_sgpr 1
		.amdhsa_reserve_vcc 0
		.amdhsa_float_round_mode_32 0
		.amdhsa_float_round_mode_16_64 0
		.amdhsa_float_denorm_mode_32 3
		.amdhsa_float_denorm_mode_16_64 3
		.amdhsa_fp16_overflow 0
		.amdhsa_workgroup_processor_mode 1
		.amdhsa_memory_ordered 1
		.amdhsa_forward_progress 1
		.amdhsa_inst_pref_size 0
		.amdhsa_round_robin_scheduling 0
		.amdhsa_exception_fp_ieee_invalid_op 0
		.amdhsa_exception_fp_denorm_src 0
		.amdhsa_exception_fp_ieee_div_zero 0
		.amdhsa_exception_fp_ieee_overflow 0
		.amdhsa_exception_fp_ieee_underflow 0
		.amdhsa_exception_fp_ieee_inexact 0
		.amdhsa_exception_int_div_zero 0
	.end_amdhsa_kernel
	.section	.text._ZN7rocprim17ROCPRIM_400000_NS6detail17trampoline_kernelINS0_14default_configENS1_22reduce_config_selectorIbEEZNS1_11reduce_implILb1ES3_N6hipcub16HIPCUB_304000_NS22TransformInputIteratorIbN2at6native12_GLOBAL__N_19NonZeroOpIiEEPKilEEPiiNS8_6detail34convert_binary_result_type_wrapperINS8_3SumESH_iEEEE10hipError_tPvRmT1_T2_T3_mT4_P12ihipStream_tbEUlT_E0_NS1_11comp_targetILNS1_3genE10ELNS1_11target_archE1200ELNS1_3gpuE4ELNS1_3repE0EEENS1_30default_config_static_selectorELNS0_4arch9wavefront6targetE0EEEvSQ_,"axG",@progbits,_ZN7rocprim17ROCPRIM_400000_NS6detail17trampoline_kernelINS0_14default_configENS1_22reduce_config_selectorIbEEZNS1_11reduce_implILb1ES3_N6hipcub16HIPCUB_304000_NS22TransformInputIteratorIbN2at6native12_GLOBAL__N_19NonZeroOpIiEEPKilEEPiiNS8_6detail34convert_binary_result_type_wrapperINS8_3SumESH_iEEEE10hipError_tPvRmT1_T2_T3_mT4_P12ihipStream_tbEUlT_E0_NS1_11comp_targetILNS1_3genE10ELNS1_11target_archE1200ELNS1_3gpuE4ELNS1_3repE0EEENS1_30default_config_static_selectorELNS0_4arch9wavefront6targetE0EEEvSQ_,comdat
.Lfunc_end174:
	.size	_ZN7rocprim17ROCPRIM_400000_NS6detail17trampoline_kernelINS0_14default_configENS1_22reduce_config_selectorIbEEZNS1_11reduce_implILb1ES3_N6hipcub16HIPCUB_304000_NS22TransformInputIteratorIbN2at6native12_GLOBAL__N_19NonZeroOpIiEEPKilEEPiiNS8_6detail34convert_binary_result_type_wrapperINS8_3SumESH_iEEEE10hipError_tPvRmT1_T2_T3_mT4_P12ihipStream_tbEUlT_E0_NS1_11comp_targetILNS1_3genE10ELNS1_11target_archE1200ELNS1_3gpuE4ELNS1_3repE0EEENS1_30default_config_static_selectorELNS0_4arch9wavefront6targetE0EEEvSQ_, .Lfunc_end174-_ZN7rocprim17ROCPRIM_400000_NS6detail17trampoline_kernelINS0_14default_configENS1_22reduce_config_selectorIbEEZNS1_11reduce_implILb1ES3_N6hipcub16HIPCUB_304000_NS22TransformInputIteratorIbN2at6native12_GLOBAL__N_19NonZeroOpIiEEPKilEEPiiNS8_6detail34convert_binary_result_type_wrapperINS8_3SumESH_iEEEE10hipError_tPvRmT1_T2_T3_mT4_P12ihipStream_tbEUlT_E0_NS1_11comp_targetILNS1_3genE10ELNS1_11target_archE1200ELNS1_3gpuE4ELNS1_3repE0EEENS1_30default_config_static_selectorELNS0_4arch9wavefront6targetE0EEEvSQ_
                                        ; -- End function
	.set _ZN7rocprim17ROCPRIM_400000_NS6detail17trampoline_kernelINS0_14default_configENS1_22reduce_config_selectorIbEEZNS1_11reduce_implILb1ES3_N6hipcub16HIPCUB_304000_NS22TransformInputIteratorIbN2at6native12_GLOBAL__N_19NonZeroOpIiEEPKilEEPiiNS8_6detail34convert_binary_result_type_wrapperINS8_3SumESH_iEEEE10hipError_tPvRmT1_T2_T3_mT4_P12ihipStream_tbEUlT_E0_NS1_11comp_targetILNS1_3genE10ELNS1_11target_archE1200ELNS1_3gpuE4ELNS1_3repE0EEENS1_30default_config_static_selectorELNS0_4arch9wavefront6targetE0EEEvSQ_.num_vgpr, 0
	.set _ZN7rocprim17ROCPRIM_400000_NS6detail17trampoline_kernelINS0_14default_configENS1_22reduce_config_selectorIbEEZNS1_11reduce_implILb1ES3_N6hipcub16HIPCUB_304000_NS22TransformInputIteratorIbN2at6native12_GLOBAL__N_19NonZeroOpIiEEPKilEEPiiNS8_6detail34convert_binary_result_type_wrapperINS8_3SumESH_iEEEE10hipError_tPvRmT1_T2_T3_mT4_P12ihipStream_tbEUlT_E0_NS1_11comp_targetILNS1_3genE10ELNS1_11target_archE1200ELNS1_3gpuE4ELNS1_3repE0EEENS1_30default_config_static_selectorELNS0_4arch9wavefront6targetE0EEEvSQ_.num_agpr, 0
	.set _ZN7rocprim17ROCPRIM_400000_NS6detail17trampoline_kernelINS0_14default_configENS1_22reduce_config_selectorIbEEZNS1_11reduce_implILb1ES3_N6hipcub16HIPCUB_304000_NS22TransformInputIteratorIbN2at6native12_GLOBAL__N_19NonZeroOpIiEEPKilEEPiiNS8_6detail34convert_binary_result_type_wrapperINS8_3SumESH_iEEEE10hipError_tPvRmT1_T2_T3_mT4_P12ihipStream_tbEUlT_E0_NS1_11comp_targetILNS1_3genE10ELNS1_11target_archE1200ELNS1_3gpuE4ELNS1_3repE0EEENS1_30default_config_static_selectorELNS0_4arch9wavefront6targetE0EEEvSQ_.numbered_sgpr, 0
	.set _ZN7rocprim17ROCPRIM_400000_NS6detail17trampoline_kernelINS0_14default_configENS1_22reduce_config_selectorIbEEZNS1_11reduce_implILb1ES3_N6hipcub16HIPCUB_304000_NS22TransformInputIteratorIbN2at6native12_GLOBAL__N_19NonZeroOpIiEEPKilEEPiiNS8_6detail34convert_binary_result_type_wrapperINS8_3SumESH_iEEEE10hipError_tPvRmT1_T2_T3_mT4_P12ihipStream_tbEUlT_E0_NS1_11comp_targetILNS1_3genE10ELNS1_11target_archE1200ELNS1_3gpuE4ELNS1_3repE0EEENS1_30default_config_static_selectorELNS0_4arch9wavefront6targetE0EEEvSQ_.num_named_barrier, 0
	.set _ZN7rocprim17ROCPRIM_400000_NS6detail17trampoline_kernelINS0_14default_configENS1_22reduce_config_selectorIbEEZNS1_11reduce_implILb1ES3_N6hipcub16HIPCUB_304000_NS22TransformInputIteratorIbN2at6native12_GLOBAL__N_19NonZeroOpIiEEPKilEEPiiNS8_6detail34convert_binary_result_type_wrapperINS8_3SumESH_iEEEE10hipError_tPvRmT1_T2_T3_mT4_P12ihipStream_tbEUlT_E0_NS1_11comp_targetILNS1_3genE10ELNS1_11target_archE1200ELNS1_3gpuE4ELNS1_3repE0EEENS1_30default_config_static_selectorELNS0_4arch9wavefront6targetE0EEEvSQ_.private_seg_size, 0
	.set _ZN7rocprim17ROCPRIM_400000_NS6detail17trampoline_kernelINS0_14default_configENS1_22reduce_config_selectorIbEEZNS1_11reduce_implILb1ES3_N6hipcub16HIPCUB_304000_NS22TransformInputIteratorIbN2at6native12_GLOBAL__N_19NonZeroOpIiEEPKilEEPiiNS8_6detail34convert_binary_result_type_wrapperINS8_3SumESH_iEEEE10hipError_tPvRmT1_T2_T3_mT4_P12ihipStream_tbEUlT_E0_NS1_11comp_targetILNS1_3genE10ELNS1_11target_archE1200ELNS1_3gpuE4ELNS1_3repE0EEENS1_30default_config_static_selectorELNS0_4arch9wavefront6targetE0EEEvSQ_.uses_vcc, 0
	.set _ZN7rocprim17ROCPRIM_400000_NS6detail17trampoline_kernelINS0_14default_configENS1_22reduce_config_selectorIbEEZNS1_11reduce_implILb1ES3_N6hipcub16HIPCUB_304000_NS22TransformInputIteratorIbN2at6native12_GLOBAL__N_19NonZeroOpIiEEPKilEEPiiNS8_6detail34convert_binary_result_type_wrapperINS8_3SumESH_iEEEE10hipError_tPvRmT1_T2_T3_mT4_P12ihipStream_tbEUlT_E0_NS1_11comp_targetILNS1_3genE10ELNS1_11target_archE1200ELNS1_3gpuE4ELNS1_3repE0EEENS1_30default_config_static_selectorELNS0_4arch9wavefront6targetE0EEEvSQ_.uses_flat_scratch, 0
	.set _ZN7rocprim17ROCPRIM_400000_NS6detail17trampoline_kernelINS0_14default_configENS1_22reduce_config_selectorIbEEZNS1_11reduce_implILb1ES3_N6hipcub16HIPCUB_304000_NS22TransformInputIteratorIbN2at6native12_GLOBAL__N_19NonZeroOpIiEEPKilEEPiiNS8_6detail34convert_binary_result_type_wrapperINS8_3SumESH_iEEEE10hipError_tPvRmT1_T2_T3_mT4_P12ihipStream_tbEUlT_E0_NS1_11comp_targetILNS1_3genE10ELNS1_11target_archE1200ELNS1_3gpuE4ELNS1_3repE0EEENS1_30default_config_static_selectorELNS0_4arch9wavefront6targetE0EEEvSQ_.has_dyn_sized_stack, 0
	.set _ZN7rocprim17ROCPRIM_400000_NS6detail17trampoline_kernelINS0_14default_configENS1_22reduce_config_selectorIbEEZNS1_11reduce_implILb1ES3_N6hipcub16HIPCUB_304000_NS22TransformInputIteratorIbN2at6native12_GLOBAL__N_19NonZeroOpIiEEPKilEEPiiNS8_6detail34convert_binary_result_type_wrapperINS8_3SumESH_iEEEE10hipError_tPvRmT1_T2_T3_mT4_P12ihipStream_tbEUlT_E0_NS1_11comp_targetILNS1_3genE10ELNS1_11target_archE1200ELNS1_3gpuE4ELNS1_3repE0EEENS1_30default_config_static_selectorELNS0_4arch9wavefront6targetE0EEEvSQ_.has_recursion, 0
	.set _ZN7rocprim17ROCPRIM_400000_NS6detail17trampoline_kernelINS0_14default_configENS1_22reduce_config_selectorIbEEZNS1_11reduce_implILb1ES3_N6hipcub16HIPCUB_304000_NS22TransformInputIteratorIbN2at6native12_GLOBAL__N_19NonZeroOpIiEEPKilEEPiiNS8_6detail34convert_binary_result_type_wrapperINS8_3SumESH_iEEEE10hipError_tPvRmT1_T2_T3_mT4_P12ihipStream_tbEUlT_E0_NS1_11comp_targetILNS1_3genE10ELNS1_11target_archE1200ELNS1_3gpuE4ELNS1_3repE0EEENS1_30default_config_static_selectorELNS0_4arch9wavefront6targetE0EEEvSQ_.has_indirect_call, 0
	.section	.AMDGPU.csdata,"",@progbits
; Kernel info:
; codeLenInByte = 0
; TotalNumSgprs: 0
; NumVgprs: 0
; ScratchSize: 0
; MemoryBound: 0
; FloatMode: 240
; IeeeMode: 1
; LDSByteSize: 0 bytes/workgroup (compile time only)
; SGPRBlocks: 0
; VGPRBlocks: 0
; NumSGPRsForWavesPerEU: 1
; NumVGPRsForWavesPerEU: 1
; Occupancy: 16
; WaveLimiterHint : 0
; COMPUTE_PGM_RSRC2:SCRATCH_EN: 0
; COMPUTE_PGM_RSRC2:USER_SGPR: 2
; COMPUTE_PGM_RSRC2:TRAP_HANDLER: 0
; COMPUTE_PGM_RSRC2:TGID_X_EN: 1
; COMPUTE_PGM_RSRC2:TGID_Y_EN: 0
; COMPUTE_PGM_RSRC2:TGID_Z_EN: 0
; COMPUTE_PGM_RSRC2:TIDIG_COMP_CNT: 0
	.section	.text._ZN7rocprim17ROCPRIM_400000_NS6detail17trampoline_kernelINS0_14default_configENS1_22reduce_config_selectorIbEEZNS1_11reduce_implILb1ES3_N6hipcub16HIPCUB_304000_NS22TransformInputIteratorIbN2at6native12_GLOBAL__N_19NonZeroOpIiEEPKilEEPiiNS8_6detail34convert_binary_result_type_wrapperINS8_3SumESH_iEEEE10hipError_tPvRmT1_T2_T3_mT4_P12ihipStream_tbEUlT_E0_NS1_11comp_targetILNS1_3genE9ELNS1_11target_archE1100ELNS1_3gpuE3ELNS1_3repE0EEENS1_30default_config_static_selectorELNS0_4arch9wavefront6targetE0EEEvSQ_,"axG",@progbits,_ZN7rocprim17ROCPRIM_400000_NS6detail17trampoline_kernelINS0_14default_configENS1_22reduce_config_selectorIbEEZNS1_11reduce_implILb1ES3_N6hipcub16HIPCUB_304000_NS22TransformInputIteratorIbN2at6native12_GLOBAL__N_19NonZeroOpIiEEPKilEEPiiNS8_6detail34convert_binary_result_type_wrapperINS8_3SumESH_iEEEE10hipError_tPvRmT1_T2_T3_mT4_P12ihipStream_tbEUlT_E0_NS1_11comp_targetILNS1_3genE9ELNS1_11target_archE1100ELNS1_3gpuE3ELNS1_3repE0EEENS1_30default_config_static_selectorELNS0_4arch9wavefront6targetE0EEEvSQ_,comdat
	.globl	_ZN7rocprim17ROCPRIM_400000_NS6detail17trampoline_kernelINS0_14default_configENS1_22reduce_config_selectorIbEEZNS1_11reduce_implILb1ES3_N6hipcub16HIPCUB_304000_NS22TransformInputIteratorIbN2at6native12_GLOBAL__N_19NonZeroOpIiEEPKilEEPiiNS8_6detail34convert_binary_result_type_wrapperINS8_3SumESH_iEEEE10hipError_tPvRmT1_T2_T3_mT4_P12ihipStream_tbEUlT_E0_NS1_11comp_targetILNS1_3genE9ELNS1_11target_archE1100ELNS1_3gpuE3ELNS1_3repE0EEENS1_30default_config_static_selectorELNS0_4arch9wavefront6targetE0EEEvSQ_ ; -- Begin function _ZN7rocprim17ROCPRIM_400000_NS6detail17trampoline_kernelINS0_14default_configENS1_22reduce_config_selectorIbEEZNS1_11reduce_implILb1ES3_N6hipcub16HIPCUB_304000_NS22TransformInputIteratorIbN2at6native12_GLOBAL__N_19NonZeroOpIiEEPKilEEPiiNS8_6detail34convert_binary_result_type_wrapperINS8_3SumESH_iEEEE10hipError_tPvRmT1_T2_T3_mT4_P12ihipStream_tbEUlT_E0_NS1_11comp_targetILNS1_3genE9ELNS1_11target_archE1100ELNS1_3gpuE3ELNS1_3repE0EEENS1_30default_config_static_selectorELNS0_4arch9wavefront6targetE0EEEvSQ_
	.p2align	8
	.type	_ZN7rocprim17ROCPRIM_400000_NS6detail17trampoline_kernelINS0_14default_configENS1_22reduce_config_selectorIbEEZNS1_11reduce_implILb1ES3_N6hipcub16HIPCUB_304000_NS22TransformInputIteratorIbN2at6native12_GLOBAL__N_19NonZeroOpIiEEPKilEEPiiNS8_6detail34convert_binary_result_type_wrapperINS8_3SumESH_iEEEE10hipError_tPvRmT1_T2_T3_mT4_P12ihipStream_tbEUlT_E0_NS1_11comp_targetILNS1_3genE9ELNS1_11target_archE1100ELNS1_3gpuE3ELNS1_3repE0EEENS1_30default_config_static_selectorELNS0_4arch9wavefront6targetE0EEEvSQ_,@function
_ZN7rocprim17ROCPRIM_400000_NS6detail17trampoline_kernelINS0_14default_configENS1_22reduce_config_selectorIbEEZNS1_11reduce_implILb1ES3_N6hipcub16HIPCUB_304000_NS22TransformInputIteratorIbN2at6native12_GLOBAL__N_19NonZeroOpIiEEPKilEEPiiNS8_6detail34convert_binary_result_type_wrapperINS8_3SumESH_iEEEE10hipError_tPvRmT1_T2_T3_mT4_P12ihipStream_tbEUlT_E0_NS1_11comp_targetILNS1_3genE9ELNS1_11target_archE1100ELNS1_3gpuE3ELNS1_3repE0EEENS1_30default_config_static_selectorELNS0_4arch9wavefront6targetE0EEEvSQ_: ; @_ZN7rocprim17ROCPRIM_400000_NS6detail17trampoline_kernelINS0_14default_configENS1_22reduce_config_selectorIbEEZNS1_11reduce_implILb1ES3_N6hipcub16HIPCUB_304000_NS22TransformInputIteratorIbN2at6native12_GLOBAL__N_19NonZeroOpIiEEPKilEEPiiNS8_6detail34convert_binary_result_type_wrapperINS8_3SumESH_iEEEE10hipError_tPvRmT1_T2_T3_mT4_P12ihipStream_tbEUlT_E0_NS1_11comp_targetILNS1_3genE9ELNS1_11target_archE1100ELNS1_3gpuE3ELNS1_3repE0EEENS1_30default_config_static_selectorELNS0_4arch9wavefront6targetE0EEEvSQ_
; %bb.0:
	.section	.rodata,"a",@progbits
	.p2align	6, 0x0
	.amdhsa_kernel _ZN7rocprim17ROCPRIM_400000_NS6detail17trampoline_kernelINS0_14default_configENS1_22reduce_config_selectorIbEEZNS1_11reduce_implILb1ES3_N6hipcub16HIPCUB_304000_NS22TransformInputIteratorIbN2at6native12_GLOBAL__N_19NonZeroOpIiEEPKilEEPiiNS8_6detail34convert_binary_result_type_wrapperINS8_3SumESH_iEEEE10hipError_tPvRmT1_T2_T3_mT4_P12ihipStream_tbEUlT_E0_NS1_11comp_targetILNS1_3genE9ELNS1_11target_archE1100ELNS1_3gpuE3ELNS1_3repE0EEENS1_30default_config_static_selectorELNS0_4arch9wavefront6targetE0EEEvSQ_
		.amdhsa_group_segment_fixed_size 0
		.amdhsa_private_segment_fixed_size 0
		.amdhsa_kernarg_size 64
		.amdhsa_user_sgpr_count 2
		.amdhsa_user_sgpr_dispatch_ptr 0
		.amdhsa_user_sgpr_queue_ptr 0
		.amdhsa_user_sgpr_kernarg_segment_ptr 1
		.amdhsa_user_sgpr_dispatch_id 0
		.amdhsa_user_sgpr_private_segment_size 0
		.amdhsa_wavefront_size32 1
		.amdhsa_uses_dynamic_stack 0
		.amdhsa_enable_private_segment 0
		.amdhsa_system_sgpr_workgroup_id_x 1
		.amdhsa_system_sgpr_workgroup_id_y 0
		.amdhsa_system_sgpr_workgroup_id_z 0
		.amdhsa_system_sgpr_workgroup_info 0
		.amdhsa_system_vgpr_workitem_id 0
		.amdhsa_next_free_vgpr 1
		.amdhsa_next_free_sgpr 1
		.amdhsa_reserve_vcc 0
		.amdhsa_float_round_mode_32 0
		.amdhsa_float_round_mode_16_64 0
		.amdhsa_float_denorm_mode_32 3
		.amdhsa_float_denorm_mode_16_64 3
		.amdhsa_fp16_overflow 0
		.amdhsa_workgroup_processor_mode 1
		.amdhsa_memory_ordered 1
		.amdhsa_forward_progress 1
		.amdhsa_inst_pref_size 0
		.amdhsa_round_robin_scheduling 0
		.amdhsa_exception_fp_ieee_invalid_op 0
		.amdhsa_exception_fp_denorm_src 0
		.amdhsa_exception_fp_ieee_div_zero 0
		.amdhsa_exception_fp_ieee_overflow 0
		.amdhsa_exception_fp_ieee_underflow 0
		.amdhsa_exception_fp_ieee_inexact 0
		.amdhsa_exception_int_div_zero 0
	.end_amdhsa_kernel
	.section	.text._ZN7rocprim17ROCPRIM_400000_NS6detail17trampoline_kernelINS0_14default_configENS1_22reduce_config_selectorIbEEZNS1_11reduce_implILb1ES3_N6hipcub16HIPCUB_304000_NS22TransformInputIteratorIbN2at6native12_GLOBAL__N_19NonZeroOpIiEEPKilEEPiiNS8_6detail34convert_binary_result_type_wrapperINS8_3SumESH_iEEEE10hipError_tPvRmT1_T2_T3_mT4_P12ihipStream_tbEUlT_E0_NS1_11comp_targetILNS1_3genE9ELNS1_11target_archE1100ELNS1_3gpuE3ELNS1_3repE0EEENS1_30default_config_static_selectorELNS0_4arch9wavefront6targetE0EEEvSQ_,"axG",@progbits,_ZN7rocprim17ROCPRIM_400000_NS6detail17trampoline_kernelINS0_14default_configENS1_22reduce_config_selectorIbEEZNS1_11reduce_implILb1ES3_N6hipcub16HIPCUB_304000_NS22TransformInputIteratorIbN2at6native12_GLOBAL__N_19NonZeroOpIiEEPKilEEPiiNS8_6detail34convert_binary_result_type_wrapperINS8_3SumESH_iEEEE10hipError_tPvRmT1_T2_T3_mT4_P12ihipStream_tbEUlT_E0_NS1_11comp_targetILNS1_3genE9ELNS1_11target_archE1100ELNS1_3gpuE3ELNS1_3repE0EEENS1_30default_config_static_selectorELNS0_4arch9wavefront6targetE0EEEvSQ_,comdat
.Lfunc_end175:
	.size	_ZN7rocprim17ROCPRIM_400000_NS6detail17trampoline_kernelINS0_14default_configENS1_22reduce_config_selectorIbEEZNS1_11reduce_implILb1ES3_N6hipcub16HIPCUB_304000_NS22TransformInputIteratorIbN2at6native12_GLOBAL__N_19NonZeroOpIiEEPKilEEPiiNS8_6detail34convert_binary_result_type_wrapperINS8_3SumESH_iEEEE10hipError_tPvRmT1_T2_T3_mT4_P12ihipStream_tbEUlT_E0_NS1_11comp_targetILNS1_3genE9ELNS1_11target_archE1100ELNS1_3gpuE3ELNS1_3repE0EEENS1_30default_config_static_selectorELNS0_4arch9wavefront6targetE0EEEvSQ_, .Lfunc_end175-_ZN7rocprim17ROCPRIM_400000_NS6detail17trampoline_kernelINS0_14default_configENS1_22reduce_config_selectorIbEEZNS1_11reduce_implILb1ES3_N6hipcub16HIPCUB_304000_NS22TransformInputIteratorIbN2at6native12_GLOBAL__N_19NonZeroOpIiEEPKilEEPiiNS8_6detail34convert_binary_result_type_wrapperINS8_3SumESH_iEEEE10hipError_tPvRmT1_T2_T3_mT4_P12ihipStream_tbEUlT_E0_NS1_11comp_targetILNS1_3genE9ELNS1_11target_archE1100ELNS1_3gpuE3ELNS1_3repE0EEENS1_30default_config_static_selectorELNS0_4arch9wavefront6targetE0EEEvSQ_
                                        ; -- End function
	.set _ZN7rocprim17ROCPRIM_400000_NS6detail17trampoline_kernelINS0_14default_configENS1_22reduce_config_selectorIbEEZNS1_11reduce_implILb1ES3_N6hipcub16HIPCUB_304000_NS22TransformInputIteratorIbN2at6native12_GLOBAL__N_19NonZeroOpIiEEPKilEEPiiNS8_6detail34convert_binary_result_type_wrapperINS8_3SumESH_iEEEE10hipError_tPvRmT1_T2_T3_mT4_P12ihipStream_tbEUlT_E0_NS1_11comp_targetILNS1_3genE9ELNS1_11target_archE1100ELNS1_3gpuE3ELNS1_3repE0EEENS1_30default_config_static_selectorELNS0_4arch9wavefront6targetE0EEEvSQ_.num_vgpr, 0
	.set _ZN7rocprim17ROCPRIM_400000_NS6detail17trampoline_kernelINS0_14default_configENS1_22reduce_config_selectorIbEEZNS1_11reduce_implILb1ES3_N6hipcub16HIPCUB_304000_NS22TransformInputIteratorIbN2at6native12_GLOBAL__N_19NonZeroOpIiEEPKilEEPiiNS8_6detail34convert_binary_result_type_wrapperINS8_3SumESH_iEEEE10hipError_tPvRmT1_T2_T3_mT4_P12ihipStream_tbEUlT_E0_NS1_11comp_targetILNS1_3genE9ELNS1_11target_archE1100ELNS1_3gpuE3ELNS1_3repE0EEENS1_30default_config_static_selectorELNS0_4arch9wavefront6targetE0EEEvSQ_.num_agpr, 0
	.set _ZN7rocprim17ROCPRIM_400000_NS6detail17trampoline_kernelINS0_14default_configENS1_22reduce_config_selectorIbEEZNS1_11reduce_implILb1ES3_N6hipcub16HIPCUB_304000_NS22TransformInputIteratorIbN2at6native12_GLOBAL__N_19NonZeroOpIiEEPKilEEPiiNS8_6detail34convert_binary_result_type_wrapperINS8_3SumESH_iEEEE10hipError_tPvRmT1_T2_T3_mT4_P12ihipStream_tbEUlT_E0_NS1_11comp_targetILNS1_3genE9ELNS1_11target_archE1100ELNS1_3gpuE3ELNS1_3repE0EEENS1_30default_config_static_selectorELNS0_4arch9wavefront6targetE0EEEvSQ_.numbered_sgpr, 0
	.set _ZN7rocprim17ROCPRIM_400000_NS6detail17trampoline_kernelINS0_14default_configENS1_22reduce_config_selectorIbEEZNS1_11reduce_implILb1ES3_N6hipcub16HIPCUB_304000_NS22TransformInputIteratorIbN2at6native12_GLOBAL__N_19NonZeroOpIiEEPKilEEPiiNS8_6detail34convert_binary_result_type_wrapperINS8_3SumESH_iEEEE10hipError_tPvRmT1_T2_T3_mT4_P12ihipStream_tbEUlT_E0_NS1_11comp_targetILNS1_3genE9ELNS1_11target_archE1100ELNS1_3gpuE3ELNS1_3repE0EEENS1_30default_config_static_selectorELNS0_4arch9wavefront6targetE0EEEvSQ_.num_named_barrier, 0
	.set _ZN7rocprim17ROCPRIM_400000_NS6detail17trampoline_kernelINS0_14default_configENS1_22reduce_config_selectorIbEEZNS1_11reduce_implILb1ES3_N6hipcub16HIPCUB_304000_NS22TransformInputIteratorIbN2at6native12_GLOBAL__N_19NonZeroOpIiEEPKilEEPiiNS8_6detail34convert_binary_result_type_wrapperINS8_3SumESH_iEEEE10hipError_tPvRmT1_T2_T3_mT4_P12ihipStream_tbEUlT_E0_NS1_11comp_targetILNS1_3genE9ELNS1_11target_archE1100ELNS1_3gpuE3ELNS1_3repE0EEENS1_30default_config_static_selectorELNS0_4arch9wavefront6targetE0EEEvSQ_.private_seg_size, 0
	.set _ZN7rocprim17ROCPRIM_400000_NS6detail17trampoline_kernelINS0_14default_configENS1_22reduce_config_selectorIbEEZNS1_11reduce_implILb1ES3_N6hipcub16HIPCUB_304000_NS22TransformInputIteratorIbN2at6native12_GLOBAL__N_19NonZeroOpIiEEPKilEEPiiNS8_6detail34convert_binary_result_type_wrapperINS8_3SumESH_iEEEE10hipError_tPvRmT1_T2_T3_mT4_P12ihipStream_tbEUlT_E0_NS1_11comp_targetILNS1_3genE9ELNS1_11target_archE1100ELNS1_3gpuE3ELNS1_3repE0EEENS1_30default_config_static_selectorELNS0_4arch9wavefront6targetE0EEEvSQ_.uses_vcc, 0
	.set _ZN7rocprim17ROCPRIM_400000_NS6detail17trampoline_kernelINS0_14default_configENS1_22reduce_config_selectorIbEEZNS1_11reduce_implILb1ES3_N6hipcub16HIPCUB_304000_NS22TransformInputIteratorIbN2at6native12_GLOBAL__N_19NonZeroOpIiEEPKilEEPiiNS8_6detail34convert_binary_result_type_wrapperINS8_3SumESH_iEEEE10hipError_tPvRmT1_T2_T3_mT4_P12ihipStream_tbEUlT_E0_NS1_11comp_targetILNS1_3genE9ELNS1_11target_archE1100ELNS1_3gpuE3ELNS1_3repE0EEENS1_30default_config_static_selectorELNS0_4arch9wavefront6targetE0EEEvSQ_.uses_flat_scratch, 0
	.set _ZN7rocprim17ROCPRIM_400000_NS6detail17trampoline_kernelINS0_14default_configENS1_22reduce_config_selectorIbEEZNS1_11reduce_implILb1ES3_N6hipcub16HIPCUB_304000_NS22TransformInputIteratorIbN2at6native12_GLOBAL__N_19NonZeroOpIiEEPKilEEPiiNS8_6detail34convert_binary_result_type_wrapperINS8_3SumESH_iEEEE10hipError_tPvRmT1_T2_T3_mT4_P12ihipStream_tbEUlT_E0_NS1_11comp_targetILNS1_3genE9ELNS1_11target_archE1100ELNS1_3gpuE3ELNS1_3repE0EEENS1_30default_config_static_selectorELNS0_4arch9wavefront6targetE0EEEvSQ_.has_dyn_sized_stack, 0
	.set _ZN7rocprim17ROCPRIM_400000_NS6detail17trampoline_kernelINS0_14default_configENS1_22reduce_config_selectorIbEEZNS1_11reduce_implILb1ES3_N6hipcub16HIPCUB_304000_NS22TransformInputIteratorIbN2at6native12_GLOBAL__N_19NonZeroOpIiEEPKilEEPiiNS8_6detail34convert_binary_result_type_wrapperINS8_3SumESH_iEEEE10hipError_tPvRmT1_T2_T3_mT4_P12ihipStream_tbEUlT_E0_NS1_11comp_targetILNS1_3genE9ELNS1_11target_archE1100ELNS1_3gpuE3ELNS1_3repE0EEENS1_30default_config_static_selectorELNS0_4arch9wavefront6targetE0EEEvSQ_.has_recursion, 0
	.set _ZN7rocprim17ROCPRIM_400000_NS6detail17trampoline_kernelINS0_14default_configENS1_22reduce_config_selectorIbEEZNS1_11reduce_implILb1ES3_N6hipcub16HIPCUB_304000_NS22TransformInputIteratorIbN2at6native12_GLOBAL__N_19NonZeroOpIiEEPKilEEPiiNS8_6detail34convert_binary_result_type_wrapperINS8_3SumESH_iEEEE10hipError_tPvRmT1_T2_T3_mT4_P12ihipStream_tbEUlT_E0_NS1_11comp_targetILNS1_3genE9ELNS1_11target_archE1100ELNS1_3gpuE3ELNS1_3repE0EEENS1_30default_config_static_selectorELNS0_4arch9wavefront6targetE0EEEvSQ_.has_indirect_call, 0
	.section	.AMDGPU.csdata,"",@progbits
; Kernel info:
; codeLenInByte = 0
; TotalNumSgprs: 0
; NumVgprs: 0
; ScratchSize: 0
; MemoryBound: 0
; FloatMode: 240
; IeeeMode: 1
; LDSByteSize: 0 bytes/workgroup (compile time only)
; SGPRBlocks: 0
; VGPRBlocks: 0
; NumSGPRsForWavesPerEU: 1
; NumVGPRsForWavesPerEU: 1
; Occupancy: 16
; WaveLimiterHint : 0
; COMPUTE_PGM_RSRC2:SCRATCH_EN: 0
; COMPUTE_PGM_RSRC2:USER_SGPR: 2
; COMPUTE_PGM_RSRC2:TRAP_HANDLER: 0
; COMPUTE_PGM_RSRC2:TGID_X_EN: 1
; COMPUTE_PGM_RSRC2:TGID_Y_EN: 0
; COMPUTE_PGM_RSRC2:TGID_Z_EN: 0
; COMPUTE_PGM_RSRC2:TIDIG_COMP_CNT: 0
	.section	.text._ZN7rocprim17ROCPRIM_400000_NS6detail17trampoline_kernelINS0_14default_configENS1_22reduce_config_selectorIbEEZNS1_11reduce_implILb1ES3_N6hipcub16HIPCUB_304000_NS22TransformInputIteratorIbN2at6native12_GLOBAL__N_19NonZeroOpIiEEPKilEEPiiNS8_6detail34convert_binary_result_type_wrapperINS8_3SumESH_iEEEE10hipError_tPvRmT1_T2_T3_mT4_P12ihipStream_tbEUlT_E0_NS1_11comp_targetILNS1_3genE8ELNS1_11target_archE1030ELNS1_3gpuE2ELNS1_3repE0EEENS1_30default_config_static_selectorELNS0_4arch9wavefront6targetE0EEEvSQ_,"axG",@progbits,_ZN7rocprim17ROCPRIM_400000_NS6detail17trampoline_kernelINS0_14default_configENS1_22reduce_config_selectorIbEEZNS1_11reduce_implILb1ES3_N6hipcub16HIPCUB_304000_NS22TransformInputIteratorIbN2at6native12_GLOBAL__N_19NonZeroOpIiEEPKilEEPiiNS8_6detail34convert_binary_result_type_wrapperINS8_3SumESH_iEEEE10hipError_tPvRmT1_T2_T3_mT4_P12ihipStream_tbEUlT_E0_NS1_11comp_targetILNS1_3genE8ELNS1_11target_archE1030ELNS1_3gpuE2ELNS1_3repE0EEENS1_30default_config_static_selectorELNS0_4arch9wavefront6targetE0EEEvSQ_,comdat
	.globl	_ZN7rocprim17ROCPRIM_400000_NS6detail17trampoline_kernelINS0_14default_configENS1_22reduce_config_selectorIbEEZNS1_11reduce_implILb1ES3_N6hipcub16HIPCUB_304000_NS22TransformInputIteratorIbN2at6native12_GLOBAL__N_19NonZeroOpIiEEPKilEEPiiNS8_6detail34convert_binary_result_type_wrapperINS8_3SumESH_iEEEE10hipError_tPvRmT1_T2_T3_mT4_P12ihipStream_tbEUlT_E0_NS1_11comp_targetILNS1_3genE8ELNS1_11target_archE1030ELNS1_3gpuE2ELNS1_3repE0EEENS1_30default_config_static_selectorELNS0_4arch9wavefront6targetE0EEEvSQ_ ; -- Begin function _ZN7rocprim17ROCPRIM_400000_NS6detail17trampoline_kernelINS0_14default_configENS1_22reduce_config_selectorIbEEZNS1_11reduce_implILb1ES3_N6hipcub16HIPCUB_304000_NS22TransformInputIteratorIbN2at6native12_GLOBAL__N_19NonZeroOpIiEEPKilEEPiiNS8_6detail34convert_binary_result_type_wrapperINS8_3SumESH_iEEEE10hipError_tPvRmT1_T2_T3_mT4_P12ihipStream_tbEUlT_E0_NS1_11comp_targetILNS1_3genE8ELNS1_11target_archE1030ELNS1_3gpuE2ELNS1_3repE0EEENS1_30default_config_static_selectorELNS0_4arch9wavefront6targetE0EEEvSQ_
	.p2align	8
	.type	_ZN7rocprim17ROCPRIM_400000_NS6detail17trampoline_kernelINS0_14default_configENS1_22reduce_config_selectorIbEEZNS1_11reduce_implILb1ES3_N6hipcub16HIPCUB_304000_NS22TransformInputIteratorIbN2at6native12_GLOBAL__N_19NonZeroOpIiEEPKilEEPiiNS8_6detail34convert_binary_result_type_wrapperINS8_3SumESH_iEEEE10hipError_tPvRmT1_T2_T3_mT4_P12ihipStream_tbEUlT_E0_NS1_11comp_targetILNS1_3genE8ELNS1_11target_archE1030ELNS1_3gpuE2ELNS1_3repE0EEENS1_30default_config_static_selectorELNS0_4arch9wavefront6targetE0EEEvSQ_,@function
_ZN7rocprim17ROCPRIM_400000_NS6detail17trampoline_kernelINS0_14default_configENS1_22reduce_config_selectorIbEEZNS1_11reduce_implILb1ES3_N6hipcub16HIPCUB_304000_NS22TransformInputIteratorIbN2at6native12_GLOBAL__N_19NonZeroOpIiEEPKilEEPiiNS8_6detail34convert_binary_result_type_wrapperINS8_3SumESH_iEEEE10hipError_tPvRmT1_T2_T3_mT4_P12ihipStream_tbEUlT_E0_NS1_11comp_targetILNS1_3genE8ELNS1_11target_archE1030ELNS1_3gpuE2ELNS1_3repE0EEENS1_30default_config_static_selectorELNS0_4arch9wavefront6targetE0EEEvSQ_: ; @_ZN7rocprim17ROCPRIM_400000_NS6detail17trampoline_kernelINS0_14default_configENS1_22reduce_config_selectorIbEEZNS1_11reduce_implILb1ES3_N6hipcub16HIPCUB_304000_NS22TransformInputIteratorIbN2at6native12_GLOBAL__N_19NonZeroOpIiEEPKilEEPiiNS8_6detail34convert_binary_result_type_wrapperINS8_3SumESH_iEEEE10hipError_tPvRmT1_T2_T3_mT4_P12ihipStream_tbEUlT_E0_NS1_11comp_targetILNS1_3genE8ELNS1_11target_archE1030ELNS1_3gpuE2ELNS1_3repE0EEENS1_30default_config_static_selectorELNS0_4arch9wavefront6targetE0EEEvSQ_
; %bb.0:
	.section	.rodata,"a",@progbits
	.p2align	6, 0x0
	.amdhsa_kernel _ZN7rocprim17ROCPRIM_400000_NS6detail17trampoline_kernelINS0_14default_configENS1_22reduce_config_selectorIbEEZNS1_11reduce_implILb1ES3_N6hipcub16HIPCUB_304000_NS22TransformInputIteratorIbN2at6native12_GLOBAL__N_19NonZeroOpIiEEPKilEEPiiNS8_6detail34convert_binary_result_type_wrapperINS8_3SumESH_iEEEE10hipError_tPvRmT1_T2_T3_mT4_P12ihipStream_tbEUlT_E0_NS1_11comp_targetILNS1_3genE8ELNS1_11target_archE1030ELNS1_3gpuE2ELNS1_3repE0EEENS1_30default_config_static_selectorELNS0_4arch9wavefront6targetE0EEEvSQ_
		.amdhsa_group_segment_fixed_size 0
		.amdhsa_private_segment_fixed_size 0
		.amdhsa_kernarg_size 64
		.amdhsa_user_sgpr_count 2
		.amdhsa_user_sgpr_dispatch_ptr 0
		.amdhsa_user_sgpr_queue_ptr 0
		.amdhsa_user_sgpr_kernarg_segment_ptr 1
		.amdhsa_user_sgpr_dispatch_id 0
		.amdhsa_user_sgpr_private_segment_size 0
		.amdhsa_wavefront_size32 1
		.amdhsa_uses_dynamic_stack 0
		.amdhsa_enable_private_segment 0
		.amdhsa_system_sgpr_workgroup_id_x 1
		.amdhsa_system_sgpr_workgroup_id_y 0
		.amdhsa_system_sgpr_workgroup_id_z 0
		.amdhsa_system_sgpr_workgroup_info 0
		.amdhsa_system_vgpr_workitem_id 0
		.amdhsa_next_free_vgpr 1
		.amdhsa_next_free_sgpr 1
		.amdhsa_reserve_vcc 0
		.amdhsa_float_round_mode_32 0
		.amdhsa_float_round_mode_16_64 0
		.amdhsa_float_denorm_mode_32 3
		.amdhsa_float_denorm_mode_16_64 3
		.amdhsa_fp16_overflow 0
		.amdhsa_workgroup_processor_mode 1
		.amdhsa_memory_ordered 1
		.amdhsa_forward_progress 1
		.amdhsa_inst_pref_size 0
		.amdhsa_round_robin_scheduling 0
		.amdhsa_exception_fp_ieee_invalid_op 0
		.amdhsa_exception_fp_denorm_src 0
		.amdhsa_exception_fp_ieee_div_zero 0
		.amdhsa_exception_fp_ieee_overflow 0
		.amdhsa_exception_fp_ieee_underflow 0
		.amdhsa_exception_fp_ieee_inexact 0
		.amdhsa_exception_int_div_zero 0
	.end_amdhsa_kernel
	.section	.text._ZN7rocprim17ROCPRIM_400000_NS6detail17trampoline_kernelINS0_14default_configENS1_22reduce_config_selectorIbEEZNS1_11reduce_implILb1ES3_N6hipcub16HIPCUB_304000_NS22TransformInputIteratorIbN2at6native12_GLOBAL__N_19NonZeroOpIiEEPKilEEPiiNS8_6detail34convert_binary_result_type_wrapperINS8_3SumESH_iEEEE10hipError_tPvRmT1_T2_T3_mT4_P12ihipStream_tbEUlT_E0_NS1_11comp_targetILNS1_3genE8ELNS1_11target_archE1030ELNS1_3gpuE2ELNS1_3repE0EEENS1_30default_config_static_selectorELNS0_4arch9wavefront6targetE0EEEvSQ_,"axG",@progbits,_ZN7rocprim17ROCPRIM_400000_NS6detail17trampoline_kernelINS0_14default_configENS1_22reduce_config_selectorIbEEZNS1_11reduce_implILb1ES3_N6hipcub16HIPCUB_304000_NS22TransformInputIteratorIbN2at6native12_GLOBAL__N_19NonZeroOpIiEEPKilEEPiiNS8_6detail34convert_binary_result_type_wrapperINS8_3SumESH_iEEEE10hipError_tPvRmT1_T2_T3_mT4_P12ihipStream_tbEUlT_E0_NS1_11comp_targetILNS1_3genE8ELNS1_11target_archE1030ELNS1_3gpuE2ELNS1_3repE0EEENS1_30default_config_static_selectorELNS0_4arch9wavefront6targetE0EEEvSQ_,comdat
.Lfunc_end176:
	.size	_ZN7rocprim17ROCPRIM_400000_NS6detail17trampoline_kernelINS0_14default_configENS1_22reduce_config_selectorIbEEZNS1_11reduce_implILb1ES3_N6hipcub16HIPCUB_304000_NS22TransformInputIteratorIbN2at6native12_GLOBAL__N_19NonZeroOpIiEEPKilEEPiiNS8_6detail34convert_binary_result_type_wrapperINS8_3SumESH_iEEEE10hipError_tPvRmT1_T2_T3_mT4_P12ihipStream_tbEUlT_E0_NS1_11comp_targetILNS1_3genE8ELNS1_11target_archE1030ELNS1_3gpuE2ELNS1_3repE0EEENS1_30default_config_static_selectorELNS0_4arch9wavefront6targetE0EEEvSQ_, .Lfunc_end176-_ZN7rocprim17ROCPRIM_400000_NS6detail17trampoline_kernelINS0_14default_configENS1_22reduce_config_selectorIbEEZNS1_11reduce_implILb1ES3_N6hipcub16HIPCUB_304000_NS22TransformInputIteratorIbN2at6native12_GLOBAL__N_19NonZeroOpIiEEPKilEEPiiNS8_6detail34convert_binary_result_type_wrapperINS8_3SumESH_iEEEE10hipError_tPvRmT1_T2_T3_mT4_P12ihipStream_tbEUlT_E0_NS1_11comp_targetILNS1_3genE8ELNS1_11target_archE1030ELNS1_3gpuE2ELNS1_3repE0EEENS1_30default_config_static_selectorELNS0_4arch9wavefront6targetE0EEEvSQ_
                                        ; -- End function
	.set _ZN7rocprim17ROCPRIM_400000_NS6detail17trampoline_kernelINS0_14default_configENS1_22reduce_config_selectorIbEEZNS1_11reduce_implILb1ES3_N6hipcub16HIPCUB_304000_NS22TransformInputIteratorIbN2at6native12_GLOBAL__N_19NonZeroOpIiEEPKilEEPiiNS8_6detail34convert_binary_result_type_wrapperINS8_3SumESH_iEEEE10hipError_tPvRmT1_T2_T3_mT4_P12ihipStream_tbEUlT_E0_NS1_11comp_targetILNS1_3genE8ELNS1_11target_archE1030ELNS1_3gpuE2ELNS1_3repE0EEENS1_30default_config_static_selectorELNS0_4arch9wavefront6targetE0EEEvSQ_.num_vgpr, 0
	.set _ZN7rocprim17ROCPRIM_400000_NS6detail17trampoline_kernelINS0_14default_configENS1_22reduce_config_selectorIbEEZNS1_11reduce_implILb1ES3_N6hipcub16HIPCUB_304000_NS22TransformInputIteratorIbN2at6native12_GLOBAL__N_19NonZeroOpIiEEPKilEEPiiNS8_6detail34convert_binary_result_type_wrapperINS8_3SumESH_iEEEE10hipError_tPvRmT1_T2_T3_mT4_P12ihipStream_tbEUlT_E0_NS1_11comp_targetILNS1_3genE8ELNS1_11target_archE1030ELNS1_3gpuE2ELNS1_3repE0EEENS1_30default_config_static_selectorELNS0_4arch9wavefront6targetE0EEEvSQ_.num_agpr, 0
	.set _ZN7rocprim17ROCPRIM_400000_NS6detail17trampoline_kernelINS0_14default_configENS1_22reduce_config_selectorIbEEZNS1_11reduce_implILb1ES3_N6hipcub16HIPCUB_304000_NS22TransformInputIteratorIbN2at6native12_GLOBAL__N_19NonZeroOpIiEEPKilEEPiiNS8_6detail34convert_binary_result_type_wrapperINS8_3SumESH_iEEEE10hipError_tPvRmT1_T2_T3_mT4_P12ihipStream_tbEUlT_E0_NS1_11comp_targetILNS1_3genE8ELNS1_11target_archE1030ELNS1_3gpuE2ELNS1_3repE0EEENS1_30default_config_static_selectorELNS0_4arch9wavefront6targetE0EEEvSQ_.numbered_sgpr, 0
	.set _ZN7rocprim17ROCPRIM_400000_NS6detail17trampoline_kernelINS0_14default_configENS1_22reduce_config_selectorIbEEZNS1_11reduce_implILb1ES3_N6hipcub16HIPCUB_304000_NS22TransformInputIteratorIbN2at6native12_GLOBAL__N_19NonZeroOpIiEEPKilEEPiiNS8_6detail34convert_binary_result_type_wrapperINS8_3SumESH_iEEEE10hipError_tPvRmT1_T2_T3_mT4_P12ihipStream_tbEUlT_E0_NS1_11comp_targetILNS1_3genE8ELNS1_11target_archE1030ELNS1_3gpuE2ELNS1_3repE0EEENS1_30default_config_static_selectorELNS0_4arch9wavefront6targetE0EEEvSQ_.num_named_barrier, 0
	.set _ZN7rocprim17ROCPRIM_400000_NS6detail17trampoline_kernelINS0_14default_configENS1_22reduce_config_selectorIbEEZNS1_11reduce_implILb1ES3_N6hipcub16HIPCUB_304000_NS22TransformInputIteratorIbN2at6native12_GLOBAL__N_19NonZeroOpIiEEPKilEEPiiNS8_6detail34convert_binary_result_type_wrapperINS8_3SumESH_iEEEE10hipError_tPvRmT1_T2_T3_mT4_P12ihipStream_tbEUlT_E0_NS1_11comp_targetILNS1_3genE8ELNS1_11target_archE1030ELNS1_3gpuE2ELNS1_3repE0EEENS1_30default_config_static_selectorELNS0_4arch9wavefront6targetE0EEEvSQ_.private_seg_size, 0
	.set _ZN7rocprim17ROCPRIM_400000_NS6detail17trampoline_kernelINS0_14default_configENS1_22reduce_config_selectorIbEEZNS1_11reduce_implILb1ES3_N6hipcub16HIPCUB_304000_NS22TransformInputIteratorIbN2at6native12_GLOBAL__N_19NonZeroOpIiEEPKilEEPiiNS8_6detail34convert_binary_result_type_wrapperINS8_3SumESH_iEEEE10hipError_tPvRmT1_T2_T3_mT4_P12ihipStream_tbEUlT_E0_NS1_11comp_targetILNS1_3genE8ELNS1_11target_archE1030ELNS1_3gpuE2ELNS1_3repE0EEENS1_30default_config_static_selectorELNS0_4arch9wavefront6targetE0EEEvSQ_.uses_vcc, 0
	.set _ZN7rocprim17ROCPRIM_400000_NS6detail17trampoline_kernelINS0_14default_configENS1_22reduce_config_selectorIbEEZNS1_11reduce_implILb1ES3_N6hipcub16HIPCUB_304000_NS22TransformInputIteratorIbN2at6native12_GLOBAL__N_19NonZeroOpIiEEPKilEEPiiNS8_6detail34convert_binary_result_type_wrapperINS8_3SumESH_iEEEE10hipError_tPvRmT1_T2_T3_mT4_P12ihipStream_tbEUlT_E0_NS1_11comp_targetILNS1_3genE8ELNS1_11target_archE1030ELNS1_3gpuE2ELNS1_3repE0EEENS1_30default_config_static_selectorELNS0_4arch9wavefront6targetE0EEEvSQ_.uses_flat_scratch, 0
	.set _ZN7rocprim17ROCPRIM_400000_NS6detail17trampoline_kernelINS0_14default_configENS1_22reduce_config_selectorIbEEZNS1_11reduce_implILb1ES3_N6hipcub16HIPCUB_304000_NS22TransformInputIteratorIbN2at6native12_GLOBAL__N_19NonZeroOpIiEEPKilEEPiiNS8_6detail34convert_binary_result_type_wrapperINS8_3SumESH_iEEEE10hipError_tPvRmT1_T2_T3_mT4_P12ihipStream_tbEUlT_E0_NS1_11comp_targetILNS1_3genE8ELNS1_11target_archE1030ELNS1_3gpuE2ELNS1_3repE0EEENS1_30default_config_static_selectorELNS0_4arch9wavefront6targetE0EEEvSQ_.has_dyn_sized_stack, 0
	.set _ZN7rocprim17ROCPRIM_400000_NS6detail17trampoline_kernelINS0_14default_configENS1_22reduce_config_selectorIbEEZNS1_11reduce_implILb1ES3_N6hipcub16HIPCUB_304000_NS22TransformInputIteratorIbN2at6native12_GLOBAL__N_19NonZeroOpIiEEPKilEEPiiNS8_6detail34convert_binary_result_type_wrapperINS8_3SumESH_iEEEE10hipError_tPvRmT1_T2_T3_mT4_P12ihipStream_tbEUlT_E0_NS1_11comp_targetILNS1_3genE8ELNS1_11target_archE1030ELNS1_3gpuE2ELNS1_3repE0EEENS1_30default_config_static_selectorELNS0_4arch9wavefront6targetE0EEEvSQ_.has_recursion, 0
	.set _ZN7rocprim17ROCPRIM_400000_NS6detail17trampoline_kernelINS0_14default_configENS1_22reduce_config_selectorIbEEZNS1_11reduce_implILb1ES3_N6hipcub16HIPCUB_304000_NS22TransformInputIteratorIbN2at6native12_GLOBAL__N_19NonZeroOpIiEEPKilEEPiiNS8_6detail34convert_binary_result_type_wrapperINS8_3SumESH_iEEEE10hipError_tPvRmT1_T2_T3_mT4_P12ihipStream_tbEUlT_E0_NS1_11comp_targetILNS1_3genE8ELNS1_11target_archE1030ELNS1_3gpuE2ELNS1_3repE0EEENS1_30default_config_static_selectorELNS0_4arch9wavefront6targetE0EEEvSQ_.has_indirect_call, 0
	.section	.AMDGPU.csdata,"",@progbits
; Kernel info:
; codeLenInByte = 0
; TotalNumSgprs: 0
; NumVgprs: 0
; ScratchSize: 0
; MemoryBound: 0
; FloatMode: 240
; IeeeMode: 1
; LDSByteSize: 0 bytes/workgroup (compile time only)
; SGPRBlocks: 0
; VGPRBlocks: 0
; NumSGPRsForWavesPerEU: 1
; NumVGPRsForWavesPerEU: 1
; Occupancy: 16
; WaveLimiterHint : 0
; COMPUTE_PGM_RSRC2:SCRATCH_EN: 0
; COMPUTE_PGM_RSRC2:USER_SGPR: 2
; COMPUTE_PGM_RSRC2:TRAP_HANDLER: 0
; COMPUTE_PGM_RSRC2:TGID_X_EN: 1
; COMPUTE_PGM_RSRC2:TGID_Y_EN: 0
; COMPUTE_PGM_RSRC2:TGID_Z_EN: 0
; COMPUTE_PGM_RSRC2:TIDIG_COMP_CNT: 0
	.section	.text._ZN7rocprim17ROCPRIM_400000_NS6detail17trampoline_kernelINS0_14default_configENS1_22reduce_config_selectorIbEEZNS1_11reduce_implILb1ES3_N6hipcub16HIPCUB_304000_NS22TransformInputIteratorIbN2at6native12_GLOBAL__N_19NonZeroOpIiEEPKilEEPiiNS8_6detail34convert_binary_result_type_wrapperINS8_3SumESH_iEEEE10hipError_tPvRmT1_T2_T3_mT4_P12ihipStream_tbEUlT_E1_NS1_11comp_targetILNS1_3genE0ELNS1_11target_archE4294967295ELNS1_3gpuE0ELNS1_3repE0EEENS1_30default_config_static_selectorELNS0_4arch9wavefront6targetE0EEEvSQ_,"axG",@progbits,_ZN7rocprim17ROCPRIM_400000_NS6detail17trampoline_kernelINS0_14default_configENS1_22reduce_config_selectorIbEEZNS1_11reduce_implILb1ES3_N6hipcub16HIPCUB_304000_NS22TransformInputIteratorIbN2at6native12_GLOBAL__N_19NonZeroOpIiEEPKilEEPiiNS8_6detail34convert_binary_result_type_wrapperINS8_3SumESH_iEEEE10hipError_tPvRmT1_T2_T3_mT4_P12ihipStream_tbEUlT_E1_NS1_11comp_targetILNS1_3genE0ELNS1_11target_archE4294967295ELNS1_3gpuE0ELNS1_3repE0EEENS1_30default_config_static_selectorELNS0_4arch9wavefront6targetE0EEEvSQ_,comdat
	.globl	_ZN7rocprim17ROCPRIM_400000_NS6detail17trampoline_kernelINS0_14default_configENS1_22reduce_config_selectorIbEEZNS1_11reduce_implILb1ES3_N6hipcub16HIPCUB_304000_NS22TransformInputIteratorIbN2at6native12_GLOBAL__N_19NonZeroOpIiEEPKilEEPiiNS8_6detail34convert_binary_result_type_wrapperINS8_3SumESH_iEEEE10hipError_tPvRmT1_T2_T3_mT4_P12ihipStream_tbEUlT_E1_NS1_11comp_targetILNS1_3genE0ELNS1_11target_archE4294967295ELNS1_3gpuE0ELNS1_3repE0EEENS1_30default_config_static_selectorELNS0_4arch9wavefront6targetE0EEEvSQ_ ; -- Begin function _ZN7rocprim17ROCPRIM_400000_NS6detail17trampoline_kernelINS0_14default_configENS1_22reduce_config_selectorIbEEZNS1_11reduce_implILb1ES3_N6hipcub16HIPCUB_304000_NS22TransformInputIteratorIbN2at6native12_GLOBAL__N_19NonZeroOpIiEEPKilEEPiiNS8_6detail34convert_binary_result_type_wrapperINS8_3SumESH_iEEEE10hipError_tPvRmT1_T2_T3_mT4_P12ihipStream_tbEUlT_E1_NS1_11comp_targetILNS1_3genE0ELNS1_11target_archE4294967295ELNS1_3gpuE0ELNS1_3repE0EEENS1_30default_config_static_selectorELNS0_4arch9wavefront6targetE0EEEvSQ_
	.p2align	8
	.type	_ZN7rocprim17ROCPRIM_400000_NS6detail17trampoline_kernelINS0_14default_configENS1_22reduce_config_selectorIbEEZNS1_11reduce_implILb1ES3_N6hipcub16HIPCUB_304000_NS22TransformInputIteratorIbN2at6native12_GLOBAL__N_19NonZeroOpIiEEPKilEEPiiNS8_6detail34convert_binary_result_type_wrapperINS8_3SumESH_iEEEE10hipError_tPvRmT1_T2_T3_mT4_P12ihipStream_tbEUlT_E1_NS1_11comp_targetILNS1_3genE0ELNS1_11target_archE4294967295ELNS1_3gpuE0ELNS1_3repE0EEENS1_30default_config_static_selectorELNS0_4arch9wavefront6targetE0EEEvSQ_,@function
_ZN7rocprim17ROCPRIM_400000_NS6detail17trampoline_kernelINS0_14default_configENS1_22reduce_config_selectorIbEEZNS1_11reduce_implILb1ES3_N6hipcub16HIPCUB_304000_NS22TransformInputIteratorIbN2at6native12_GLOBAL__N_19NonZeroOpIiEEPKilEEPiiNS8_6detail34convert_binary_result_type_wrapperINS8_3SumESH_iEEEE10hipError_tPvRmT1_T2_T3_mT4_P12ihipStream_tbEUlT_E1_NS1_11comp_targetILNS1_3genE0ELNS1_11target_archE4294967295ELNS1_3gpuE0ELNS1_3repE0EEENS1_30default_config_static_selectorELNS0_4arch9wavefront6targetE0EEEvSQ_: ; @_ZN7rocprim17ROCPRIM_400000_NS6detail17trampoline_kernelINS0_14default_configENS1_22reduce_config_selectorIbEEZNS1_11reduce_implILb1ES3_N6hipcub16HIPCUB_304000_NS22TransformInputIteratorIbN2at6native12_GLOBAL__N_19NonZeroOpIiEEPKilEEPiiNS8_6detail34convert_binary_result_type_wrapperINS8_3SumESH_iEEEE10hipError_tPvRmT1_T2_T3_mT4_P12ihipStream_tbEUlT_E1_NS1_11comp_targetILNS1_3genE0ELNS1_11target_archE4294967295ELNS1_3gpuE0ELNS1_3repE0EEENS1_30default_config_static_selectorELNS0_4arch9wavefront6targetE0EEEvSQ_
; %bb.0:
	.section	.rodata,"a",@progbits
	.p2align	6, 0x0
	.amdhsa_kernel _ZN7rocprim17ROCPRIM_400000_NS6detail17trampoline_kernelINS0_14default_configENS1_22reduce_config_selectorIbEEZNS1_11reduce_implILb1ES3_N6hipcub16HIPCUB_304000_NS22TransformInputIteratorIbN2at6native12_GLOBAL__N_19NonZeroOpIiEEPKilEEPiiNS8_6detail34convert_binary_result_type_wrapperINS8_3SumESH_iEEEE10hipError_tPvRmT1_T2_T3_mT4_P12ihipStream_tbEUlT_E1_NS1_11comp_targetILNS1_3genE0ELNS1_11target_archE4294967295ELNS1_3gpuE0ELNS1_3repE0EEENS1_30default_config_static_selectorELNS0_4arch9wavefront6targetE0EEEvSQ_
		.amdhsa_group_segment_fixed_size 0
		.amdhsa_private_segment_fixed_size 0
		.amdhsa_kernarg_size 48
		.amdhsa_user_sgpr_count 2
		.amdhsa_user_sgpr_dispatch_ptr 0
		.amdhsa_user_sgpr_queue_ptr 0
		.amdhsa_user_sgpr_kernarg_segment_ptr 1
		.amdhsa_user_sgpr_dispatch_id 0
		.amdhsa_user_sgpr_private_segment_size 0
		.amdhsa_wavefront_size32 1
		.amdhsa_uses_dynamic_stack 0
		.amdhsa_enable_private_segment 0
		.amdhsa_system_sgpr_workgroup_id_x 1
		.amdhsa_system_sgpr_workgroup_id_y 0
		.amdhsa_system_sgpr_workgroup_id_z 0
		.amdhsa_system_sgpr_workgroup_info 0
		.amdhsa_system_vgpr_workitem_id 0
		.amdhsa_next_free_vgpr 1
		.amdhsa_next_free_sgpr 1
		.amdhsa_reserve_vcc 0
		.amdhsa_float_round_mode_32 0
		.amdhsa_float_round_mode_16_64 0
		.amdhsa_float_denorm_mode_32 3
		.amdhsa_float_denorm_mode_16_64 3
		.amdhsa_fp16_overflow 0
		.amdhsa_workgroup_processor_mode 1
		.amdhsa_memory_ordered 1
		.amdhsa_forward_progress 1
		.amdhsa_inst_pref_size 0
		.amdhsa_round_robin_scheduling 0
		.amdhsa_exception_fp_ieee_invalid_op 0
		.amdhsa_exception_fp_denorm_src 0
		.amdhsa_exception_fp_ieee_div_zero 0
		.amdhsa_exception_fp_ieee_overflow 0
		.amdhsa_exception_fp_ieee_underflow 0
		.amdhsa_exception_fp_ieee_inexact 0
		.amdhsa_exception_int_div_zero 0
	.end_amdhsa_kernel
	.section	.text._ZN7rocprim17ROCPRIM_400000_NS6detail17trampoline_kernelINS0_14default_configENS1_22reduce_config_selectorIbEEZNS1_11reduce_implILb1ES3_N6hipcub16HIPCUB_304000_NS22TransformInputIteratorIbN2at6native12_GLOBAL__N_19NonZeroOpIiEEPKilEEPiiNS8_6detail34convert_binary_result_type_wrapperINS8_3SumESH_iEEEE10hipError_tPvRmT1_T2_T3_mT4_P12ihipStream_tbEUlT_E1_NS1_11comp_targetILNS1_3genE0ELNS1_11target_archE4294967295ELNS1_3gpuE0ELNS1_3repE0EEENS1_30default_config_static_selectorELNS0_4arch9wavefront6targetE0EEEvSQ_,"axG",@progbits,_ZN7rocprim17ROCPRIM_400000_NS6detail17trampoline_kernelINS0_14default_configENS1_22reduce_config_selectorIbEEZNS1_11reduce_implILb1ES3_N6hipcub16HIPCUB_304000_NS22TransformInputIteratorIbN2at6native12_GLOBAL__N_19NonZeroOpIiEEPKilEEPiiNS8_6detail34convert_binary_result_type_wrapperINS8_3SumESH_iEEEE10hipError_tPvRmT1_T2_T3_mT4_P12ihipStream_tbEUlT_E1_NS1_11comp_targetILNS1_3genE0ELNS1_11target_archE4294967295ELNS1_3gpuE0ELNS1_3repE0EEENS1_30default_config_static_selectorELNS0_4arch9wavefront6targetE0EEEvSQ_,comdat
.Lfunc_end177:
	.size	_ZN7rocprim17ROCPRIM_400000_NS6detail17trampoline_kernelINS0_14default_configENS1_22reduce_config_selectorIbEEZNS1_11reduce_implILb1ES3_N6hipcub16HIPCUB_304000_NS22TransformInputIteratorIbN2at6native12_GLOBAL__N_19NonZeroOpIiEEPKilEEPiiNS8_6detail34convert_binary_result_type_wrapperINS8_3SumESH_iEEEE10hipError_tPvRmT1_T2_T3_mT4_P12ihipStream_tbEUlT_E1_NS1_11comp_targetILNS1_3genE0ELNS1_11target_archE4294967295ELNS1_3gpuE0ELNS1_3repE0EEENS1_30default_config_static_selectorELNS0_4arch9wavefront6targetE0EEEvSQ_, .Lfunc_end177-_ZN7rocprim17ROCPRIM_400000_NS6detail17trampoline_kernelINS0_14default_configENS1_22reduce_config_selectorIbEEZNS1_11reduce_implILb1ES3_N6hipcub16HIPCUB_304000_NS22TransformInputIteratorIbN2at6native12_GLOBAL__N_19NonZeroOpIiEEPKilEEPiiNS8_6detail34convert_binary_result_type_wrapperINS8_3SumESH_iEEEE10hipError_tPvRmT1_T2_T3_mT4_P12ihipStream_tbEUlT_E1_NS1_11comp_targetILNS1_3genE0ELNS1_11target_archE4294967295ELNS1_3gpuE0ELNS1_3repE0EEENS1_30default_config_static_selectorELNS0_4arch9wavefront6targetE0EEEvSQ_
                                        ; -- End function
	.set _ZN7rocprim17ROCPRIM_400000_NS6detail17trampoline_kernelINS0_14default_configENS1_22reduce_config_selectorIbEEZNS1_11reduce_implILb1ES3_N6hipcub16HIPCUB_304000_NS22TransformInputIteratorIbN2at6native12_GLOBAL__N_19NonZeroOpIiEEPKilEEPiiNS8_6detail34convert_binary_result_type_wrapperINS8_3SumESH_iEEEE10hipError_tPvRmT1_T2_T3_mT4_P12ihipStream_tbEUlT_E1_NS1_11comp_targetILNS1_3genE0ELNS1_11target_archE4294967295ELNS1_3gpuE0ELNS1_3repE0EEENS1_30default_config_static_selectorELNS0_4arch9wavefront6targetE0EEEvSQ_.num_vgpr, 0
	.set _ZN7rocprim17ROCPRIM_400000_NS6detail17trampoline_kernelINS0_14default_configENS1_22reduce_config_selectorIbEEZNS1_11reduce_implILb1ES3_N6hipcub16HIPCUB_304000_NS22TransformInputIteratorIbN2at6native12_GLOBAL__N_19NonZeroOpIiEEPKilEEPiiNS8_6detail34convert_binary_result_type_wrapperINS8_3SumESH_iEEEE10hipError_tPvRmT1_T2_T3_mT4_P12ihipStream_tbEUlT_E1_NS1_11comp_targetILNS1_3genE0ELNS1_11target_archE4294967295ELNS1_3gpuE0ELNS1_3repE0EEENS1_30default_config_static_selectorELNS0_4arch9wavefront6targetE0EEEvSQ_.num_agpr, 0
	.set _ZN7rocprim17ROCPRIM_400000_NS6detail17trampoline_kernelINS0_14default_configENS1_22reduce_config_selectorIbEEZNS1_11reduce_implILb1ES3_N6hipcub16HIPCUB_304000_NS22TransformInputIteratorIbN2at6native12_GLOBAL__N_19NonZeroOpIiEEPKilEEPiiNS8_6detail34convert_binary_result_type_wrapperINS8_3SumESH_iEEEE10hipError_tPvRmT1_T2_T3_mT4_P12ihipStream_tbEUlT_E1_NS1_11comp_targetILNS1_3genE0ELNS1_11target_archE4294967295ELNS1_3gpuE0ELNS1_3repE0EEENS1_30default_config_static_selectorELNS0_4arch9wavefront6targetE0EEEvSQ_.numbered_sgpr, 0
	.set _ZN7rocprim17ROCPRIM_400000_NS6detail17trampoline_kernelINS0_14default_configENS1_22reduce_config_selectorIbEEZNS1_11reduce_implILb1ES3_N6hipcub16HIPCUB_304000_NS22TransformInputIteratorIbN2at6native12_GLOBAL__N_19NonZeroOpIiEEPKilEEPiiNS8_6detail34convert_binary_result_type_wrapperINS8_3SumESH_iEEEE10hipError_tPvRmT1_T2_T3_mT4_P12ihipStream_tbEUlT_E1_NS1_11comp_targetILNS1_3genE0ELNS1_11target_archE4294967295ELNS1_3gpuE0ELNS1_3repE0EEENS1_30default_config_static_selectorELNS0_4arch9wavefront6targetE0EEEvSQ_.num_named_barrier, 0
	.set _ZN7rocprim17ROCPRIM_400000_NS6detail17trampoline_kernelINS0_14default_configENS1_22reduce_config_selectorIbEEZNS1_11reduce_implILb1ES3_N6hipcub16HIPCUB_304000_NS22TransformInputIteratorIbN2at6native12_GLOBAL__N_19NonZeroOpIiEEPKilEEPiiNS8_6detail34convert_binary_result_type_wrapperINS8_3SumESH_iEEEE10hipError_tPvRmT1_T2_T3_mT4_P12ihipStream_tbEUlT_E1_NS1_11comp_targetILNS1_3genE0ELNS1_11target_archE4294967295ELNS1_3gpuE0ELNS1_3repE0EEENS1_30default_config_static_selectorELNS0_4arch9wavefront6targetE0EEEvSQ_.private_seg_size, 0
	.set _ZN7rocprim17ROCPRIM_400000_NS6detail17trampoline_kernelINS0_14default_configENS1_22reduce_config_selectorIbEEZNS1_11reduce_implILb1ES3_N6hipcub16HIPCUB_304000_NS22TransformInputIteratorIbN2at6native12_GLOBAL__N_19NonZeroOpIiEEPKilEEPiiNS8_6detail34convert_binary_result_type_wrapperINS8_3SumESH_iEEEE10hipError_tPvRmT1_T2_T3_mT4_P12ihipStream_tbEUlT_E1_NS1_11comp_targetILNS1_3genE0ELNS1_11target_archE4294967295ELNS1_3gpuE0ELNS1_3repE0EEENS1_30default_config_static_selectorELNS0_4arch9wavefront6targetE0EEEvSQ_.uses_vcc, 0
	.set _ZN7rocprim17ROCPRIM_400000_NS6detail17trampoline_kernelINS0_14default_configENS1_22reduce_config_selectorIbEEZNS1_11reduce_implILb1ES3_N6hipcub16HIPCUB_304000_NS22TransformInputIteratorIbN2at6native12_GLOBAL__N_19NonZeroOpIiEEPKilEEPiiNS8_6detail34convert_binary_result_type_wrapperINS8_3SumESH_iEEEE10hipError_tPvRmT1_T2_T3_mT4_P12ihipStream_tbEUlT_E1_NS1_11comp_targetILNS1_3genE0ELNS1_11target_archE4294967295ELNS1_3gpuE0ELNS1_3repE0EEENS1_30default_config_static_selectorELNS0_4arch9wavefront6targetE0EEEvSQ_.uses_flat_scratch, 0
	.set _ZN7rocprim17ROCPRIM_400000_NS6detail17trampoline_kernelINS0_14default_configENS1_22reduce_config_selectorIbEEZNS1_11reduce_implILb1ES3_N6hipcub16HIPCUB_304000_NS22TransformInputIteratorIbN2at6native12_GLOBAL__N_19NonZeroOpIiEEPKilEEPiiNS8_6detail34convert_binary_result_type_wrapperINS8_3SumESH_iEEEE10hipError_tPvRmT1_T2_T3_mT4_P12ihipStream_tbEUlT_E1_NS1_11comp_targetILNS1_3genE0ELNS1_11target_archE4294967295ELNS1_3gpuE0ELNS1_3repE0EEENS1_30default_config_static_selectorELNS0_4arch9wavefront6targetE0EEEvSQ_.has_dyn_sized_stack, 0
	.set _ZN7rocprim17ROCPRIM_400000_NS6detail17trampoline_kernelINS0_14default_configENS1_22reduce_config_selectorIbEEZNS1_11reduce_implILb1ES3_N6hipcub16HIPCUB_304000_NS22TransformInputIteratorIbN2at6native12_GLOBAL__N_19NonZeroOpIiEEPKilEEPiiNS8_6detail34convert_binary_result_type_wrapperINS8_3SumESH_iEEEE10hipError_tPvRmT1_T2_T3_mT4_P12ihipStream_tbEUlT_E1_NS1_11comp_targetILNS1_3genE0ELNS1_11target_archE4294967295ELNS1_3gpuE0ELNS1_3repE0EEENS1_30default_config_static_selectorELNS0_4arch9wavefront6targetE0EEEvSQ_.has_recursion, 0
	.set _ZN7rocprim17ROCPRIM_400000_NS6detail17trampoline_kernelINS0_14default_configENS1_22reduce_config_selectorIbEEZNS1_11reduce_implILb1ES3_N6hipcub16HIPCUB_304000_NS22TransformInputIteratorIbN2at6native12_GLOBAL__N_19NonZeroOpIiEEPKilEEPiiNS8_6detail34convert_binary_result_type_wrapperINS8_3SumESH_iEEEE10hipError_tPvRmT1_T2_T3_mT4_P12ihipStream_tbEUlT_E1_NS1_11comp_targetILNS1_3genE0ELNS1_11target_archE4294967295ELNS1_3gpuE0ELNS1_3repE0EEENS1_30default_config_static_selectorELNS0_4arch9wavefront6targetE0EEEvSQ_.has_indirect_call, 0
	.section	.AMDGPU.csdata,"",@progbits
; Kernel info:
; codeLenInByte = 0
; TotalNumSgprs: 0
; NumVgprs: 0
; ScratchSize: 0
; MemoryBound: 0
; FloatMode: 240
; IeeeMode: 1
; LDSByteSize: 0 bytes/workgroup (compile time only)
; SGPRBlocks: 0
; VGPRBlocks: 0
; NumSGPRsForWavesPerEU: 1
; NumVGPRsForWavesPerEU: 1
; Occupancy: 16
; WaveLimiterHint : 0
; COMPUTE_PGM_RSRC2:SCRATCH_EN: 0
; COMPUTE_PGM_RSRC2:USER_SGPR: 2
; COMPUTE_PGM_RSRC2:TRAP_HANDLER: 0
; COMPUTE_PGM_RSRC2:TGID_X_EN: 1
; COMPUTE_PGM_RSRC2:TGID_Y_EN: 0
; COMPUTE_PGM_RSRC2:TGID_Z_EN: 0
; COMPUTE_PGM_RSRC2:TIDIG_COMP_CNT: 0
	.section	.text._ZN7rocprim17ROCPRIM_400000_NS6detail17trampoline_kernelINS0_14default_configENS1_22reduce_config_selectorIbEEZNS1_11reduce_implILb1ES3_N6hipcub16HIPCUB_304000_NS22TransformInputIteratorIbN2at6native12_GLOBAL__N_19NonZeroOpIiEEPKilEEPiiNS8_6detail34convert_binary_result_type_wrapperINS8_3SumESH_iEEEE10hipError_tPvRmT1_T2_T3_mT4_P12ihipStream_tbEUlT_E1_NS1_11comp_targetILNS1_3genE5ELNS1_11target_archE942ELNS1_3gpuE9ELNS1_3repE0EEENS1_30default_config_static_selectorELNS0_4arch9wavefront6targetE0EEEvSQ_,"axG",@progbits,_ZN7rocprim17ROCPRIM_400000_NS6detail17trampoline_kernelINS0_14default_configENS1_22reduce_config_selectorIbEEZNS1_11reduce_implILb1ES3_N6hipcub16HIPCUB_304000_NS22TransformInputIteratorIbN2at6native12_GLOBAL__N_19NonZeroOpIiEEPKilEEPiiNS8_6detail34convert_binary_result_type_wrapperINS8_3SumESH_iEEEE10hipError_tPvRmT1_T2_T3_mT4_P12ihipStream_tbEUlT_E1_NS1_11comp_targetILNS1_3genE5ELNS1_11target_archE942ELNS1_3gpuE9ELNS1_3repE0EEENS1_30default_config_static_selectorELNS0_4arch9wavefront6targetE0EEEvSQ_,comdat
	.globl	_ZN7rocprim17ROCPRIM_400000_NS6detail17trampoline_kernelINS0_14default_configENS1_22reduce_config_selectorIbEEZNS1_11reduce_implILb1ES3_N6hipcub16HIPCUB_304000_NS22TransformInputIteratorIbN2at6native12_GLOBAL__N_19NonZeroOpIiEEPKilEEPiiNS8_6detail34convert_binary_result_type_wrapperINS8_3SumESH_iEEEE10hipError_tPvRmT1_T2_T3_mT4_P12ihipStream_tbEUlT_E1_NS1_11comp_targetILNS1_3genE5ELNS1_11target_archE942ELNS1_3gpuE9ELNS1_3repE0EEENS1_30default_config_static_selectorELNS0_4arch9wavefront6targetE0EEEvSQ_ ; -- Begin function _ZN7rocprim17ROCPRIM_400000_NS6detail17trampoline_kernelINS0_14default_configENS1_22reduce_config_selectorIbEEZNS1_11reduce_implILb1ES3_N6hipcub16HIPCUB_304000_NS22TransformInputIteratorIbN2at6native12_GLOBAL__N_19NonZeroOpIiEEPKilEEPiiNS8_6detail34convert_binary_result_type_wrapperINS8_3SumESH_iEEEE10hipError_tPvRmT1_T2_T3_mT4_P12ihipStream_tbEUlT_E1_NS1_11comp_targetILNS1_3genE5ELNS1_11target_archE942ELNS1_3gpuE9ELNS1_3repE0EEENS1_30default_config_static_selectorELNS0_4arch9wavefront6targetE0EEEvSQ_
	.p2align	8
	.type	_ZN7rocprim17ROCPRIM_400000_NS6detail17trampoline_kernelINS0_14default_configENS1_22reduce_config_selectorIbEEZNS1_11reduce_implILb1ES3_N6hipcub16HIPCUB_304000_NS22TransformInputIteratorIbN2at6native12_GLOBAL__N_19NonZeroOpIiEEPKilEEPiiNS8_6detail34convert_binary_result_type_wrapperINS8_3SumESH_iEEEE10hipError_tPvRmT1_T2_T3_mT4_P12ihipStream_tbEUlT_E1_NS1_11comp_targetILNS1_3genE5ELNS1_11target_archE942ELNS1_3gpuE9ELNS1_3repE0EEENS1_30default_config_static_selectorELNS0_4arch9wavefront6targetE0EEEvSQ_,@function
_ZN7rocprim17ROCPRIM_400000_NS6detail17trampoline_kernelINS0_14default_configENS1_22reduce_config_selectorIbEEZNS1_11reduce_implILb1ES3_N6hipcub16HIPCUB_304000_NS22TransformInputIteratorIbN2at6native12_GLOBAL__N_19NonZeroOpIiEEPKilEEPiiNS8_6detail34convert_binary_result_type_wrapperINS8_3SumESH_iEEEE10hipError_tPvRmT1_T2_T3_mT4_P12ihipStream_tbEUlT_E1_NS1_11comp_targetILNS1_3genE5ELNS1_11target_archE942ELNS1_3gpuE9ELNS1_3repE0EEENS1_30default_config_static_selectorELNS0_4arch9wavefront6targetE0EEEvSQ_: ; @_ZN7rocprim17ROCPRIM_400000_NS6detail17trampoline_kernelINS0_14default_configENS1_22reduce_config_selectorIbEEZNS1_11reduce_implILb1ES3_N6hipcub16HIPCUB_304000_NS22TransformInputIteratorIbN2at6native12_GLOBAL__N_19NonZeroOpIiEEPKilEEPiiNS8_6detail34convert_binary_result_type_wrapperINS8_3SumESH_iEEEE10hipError_tPvRmT1_T2_T3_mT4_P12ihipStream_tbEUlT_E1_NS1_11comp_targetILNS1_3genE5ELNS1_11target_archE942ELNS1_3gpuE9ELNS1_3repE0EEENS1_30default_config_static_selectorELNS0_4arch9wavefront6targetE0EEEvSQ_
; %bb.0:
	.section	.rodata,"a",@progbits
	.p2align	6, 0x0
	.amdhsa_kernel _ZN7rocprim17ROCPRIM_400000_NS6detail17trampoline_kernelINS0_14default_configENS1_22reduce_config_selectorIbEEZNS1_11reduce_implILb1ES3_N6hipcub16HIPCUB_304000_NS22TransformInputIteratorIbN2at6native12_GLOBAL__N_19NonZeroOpIiEEPKilEEPiiNS8_6detail34convert_binary_result_type_wrapperINS8_3SumESH_iEEEE10hipError_tPvRmT1_T2_T3_mT4_P12ihipStream_tbEUlT_E1_NS1_11comp_targetILNS1_3genE5ELNS1_11target_archE942ELNS1_3gpuE9ELNS1_3repE0EEENS1_30default_config_static_selectorELNS0_4arch9wavefront6targetE0EEEvSQ_
		.amdhsa_group_segment_fixed_size 0
		.amdhsa_private_segment_fixed_size 0
		.amdhsa_kernarg_size 48
		.amdhsa_user_sgpr_count 2
		.amdhsa_user_sgpr_dispatch_ptr 0
		.amdhsa_user_sgpr_queue_ptr 0
		.amdhsa_user_sgpr_kernarg_segment_ptr 1
		.amdhsa_user_sgpr_dispatch_id 0
		.amdhsa_user_sgpr_private_segment_size 0
		.amdhsa_wavefront_size32 1
		.amdhsa_uses_dynamic_stack 0
		.amdhsa_enable_private_segment 0
		.amdhsa_system_sgpr_workgroup_id_x 1
		.amdhsa_system_sgpr_workgroup_id_y 0
		.amdhsa_system_sgpr_workgroup_id_z 0
		.amdhsa_system_sgpr_workgroup_info 0
		.amdhsa_system_vgpr_workitem_id 0
		.amdhsa_next_free_vgpr 1
		.amdhsa_next_free_sgpr 1
		.amdhsa_reserve_vcc 0
		.amdhsa_float_round_mode_32 0
		.amdhsa_float_round_mode_16_64 0
		.amdhsa_float_denorm_mode_32 3
		.amdhsa_float_denorm_mode_16_64 3
		.amdhsa_fp16_overflow 0
		.amdhsa_workgroup_processor_mode 1
		.amdhsa_memory_ordered 1
		.amdhsa_forward_progress 1
		.amdhsa_inst_pref_size 0
		.amdhsa_round_robin_scheduling 0
		.amdhsa_exception_fp_ieee_invalid_op 0
		.amdhsa_exception_fp_denorm_src 0
		.amdhsa_exception_fp_ieee_div_zero 0
		.amdhsa_exception_fp_ieee_overflow 0
		.amdhsa_exception_fp_ieee_underflow 0
		.amdhsa_exception_fp_ieee_inexact 0
		.amdhsa_exception_int_div_zero 0
	.end_amdhsa_kernel
	.section	.text._ZN7rocprim17ROCPRIM_400000_NS6detail17trampoline_kernelINS0_14default_configENS1_22reduce_config_selectorIbEEZNS1_11reduce_implILb1ES3_N6hipcub16HIPCUB_304000_NS22TransformInputIteratorIbN2at6native12_GLOBAL__N_19NonZeroOpIiEEPKilEEPiiNS8_6detail34convert_binary_result_type_wrapperINS8_3SumESH_iEEEE10hipError_tPvRmT1_T2_T3_mT4_P12ihipStream_tbEUlT_E1_NS1_11comp_targetILNS1_3genE5ELNS1_11target_archE942ELNS1_3gpuE9ELNS1_3repE0EEENS1_30default_config_static_selectorELNS0_4arch9wavefront6targetE0EEEvSQ_,"axG",@progbits,_ZN7rocprim17ROCPRIM_400000_NS6detail17trampoline_kernelINS0_14default_configENS1_22reduce_config_selectorIbEEZNS1_11reduce_implILb1ES3_N6hipcub16HIPCUB_304000_NS22TransformInputIteratorIbN2at6native12_GLOBAL__N_19NonZeroOpIiEEPKilEEPiiNS8_6detail34convert_binary_result_type_wrapperINS8_3SumESH_iEEEE10hipError_tPvRmT1_T2_T3_mT4_P12ihipStream_tbEUlT_E1_NS1_11comp_targetILNS1_3genE5ELNS1_11target_archE942ELNS1_3gpuE9ELNS1_3repE0EEENS1_30default_config_static_selectorELNS0_4arch9wavefront6targetE0EEEvSQ_,comdat
.Lfunc_end178:
	.size	_ZN7rocprim17ROCPRIM_400000_NS6detail17trampoline_kernelINS0_14default_configENS1_22reduce_config_selectorIbEEZNS1_11reduce_implILb1ES3_N6hipcub16HIPCUB_304000_NS22TransformInputIteratorIbN2at6native12_GLOBAL__N_19NonZeroOpIiEEPKilEEPiiNS8_6detail34convert_binary_result_type_wrapperINS8_3SumESH_iEEEE10hipError_tPvRmT1_T2_T3_mT4_P12ihipStream_tbEUlT_E1_NS1_11comp_targetILNS1_3genE5ELNS1_11target_archE942ELNS1_3gpuE9ELNS1_3repE0EEENS1_30default_config_static_selectorELNS0_4arch9wavefront6targetE0EEEvSQ_, .Lfunc_end178-_ZN7rocprim17ROCPRIM_400000_NS6detail17trampoline_kernelINS0_14default_configENS1_22reduce_config_selectorIbEEZNS1_11reduce_implILb1ES3_N6hipcub16HIPCUB_304000_NS22TransformInputIteratorIbN2at6native12_GLOBAL__N_19NonZeroOpIiEEPKilEEPiiNS8_6detail34convert_binary_result_type_wrapperINS8_3SumESH_iEEEE10hipError_tPvRmT1_T2_T3_mT4_P12ihipStream_tbEUlT_E1_NS1_11comp_targetILNS1_3genE5ELNS1_11target_archE942ELNS1_3gpuE9ELNS1_3repE0EEENS1_30default_config_static_selectorELNS0_4arch9wavefront6targetE0EEEvSQ_
                                        ; -- End function
	.set _ZN7rocprim17ROCPRIM_400000_NS6detail17trampoline_kernelINS0_14default_configENS1_22reduce_config_selectorIbEEZNS1_11reduce_implILb1ES3_N6hipcub16HIPCUB_304000_NS22TransformInputIteratorIbN2at6native12_GLOBAL__N_19NonZeroOpIiEEPKilEEPiiNS8_6detail34convert_binary_result_type_wrapperINS8_3SumESH_iEEEE10hipError_tPvRmT1_T2_T3_mT4_P12ihipStream_tbEUlT_E1_NS1_11comp_targetILNS1_3genE5ELNS1_11target_archE942ELNS1_3gpuE9ELNS1_3repE0EEENS1_30default_config_static_selectorELNS0_4arch9wavefront6targetE0EEEvSQ_.num_vgpr, 0
	.set _ZN7rocprim17ROCPRIM_400000_NS6detail17trampoline_kernelINS0_14default_configENS1_22reduce_config_selectorIbEEZNS1_11reduce_implILb1ES3_N6hipcub16HIPCUB_304000_NS22TransformInputIteratorIbN2at6native12_GLOBAL__N_19NonZeroOpIiEEPKilEEPiiNS8_6detail34convert_binary_result_type_wrapperINS8_3SumESH_iEEEE10hipError_tPvRmT1_T2_T3_mT4_P12ihipStream_tbEUlT_E1_NS1_11comp_targetILNS1_3genE5ELNS1_11target_archE942ELNS1_3gpuE9ELNS1_3repE0EEENS1_30default_config_static_selectorELNS0_4arch9wavefront6targetE0EEEvSQ_.num_agpr, 0
	.set _ZN7rocprim17ROCPRIM_400000_NS6detail17trampoline_kernelINS0_14default_configENS1_22reduce_config_selectorIbEEZNS1_11reduce_implILb1ES3_N6hipcub16HIPCUB_304000_NS22TransformInputIteratorIbN2at6native12_GLOBAL__N_19NonZeroOpIiEEPKilEEPiiNS8_6detail34convert_binary_result_type_wrapperINS8_3SumESH_iEEEE10hipError_tPvRmT1_T2_T3_mT4_P12ihipStream_tbEUlT_E1_NS1_11comp_targetILNS1_3genE5ELNS1_11target_archE942ELNS1_3gpuE9ELNS1_3repE0EEENS1_30default_config_static_selectorELNS0_4arch9wavefront6targetE0EEEvSQ_.numbered_sgpr, 0
	.set _ZN7rocprim17ROCPRIM_400000_NS6detail17trampoline_kernelINS0_14default_configENS1_22reduce_config_selectorIbEEZNS1_11reduce_implILb1ES3_N6hipcub16HIPCUB_304000_NS22TransformInputIteratorIbN2at6native12_GLOBAL__N_19NonZeroOpIiEEPKilEEPiiNS8_6detail34convert_binary_result_type_wrapperINS8_3SumESH_iEEEE10hipError_tPvRmT1_T2_T3_mT4_P12ihipStream_tbEUlT_E1_NS1_11comp_targetILNS1_3genE5ELNS1_11target_archE942ELNS1_3gpuE9ELNS1_3repE0EEENS1_30default_config_static_selectorELNS0_4arch9wavefront6targetE0EEEvSQ_.num_named_barrier, 0
	.set _ZN7rocprim17ROCPRIM_400000_NS6detail17trampoline_kernelINS0_14default_configENS1_22reduce_config_selectorIbEEZNS1_11reduce_implILb1ES3_N6hipcub16HIPCUB_304000_NS22TransformInputIteratorIbN2at6native12_GLOBAL__N_19NonZeroOpIiEEPKilEEPiiNS8_6detail34convert_binary_result_type_wrapperINS8_3SumESH_iEEEE10hipError_tPvRmT1_T2_T3_mT4_P12ihipStream_tbEUlT_E1_NS1_11comp_targetILNS1_3genE5ELNS1_11target_archE942ELNS1_3gpuE9ELNS1_3repE0EEENS1_30default_config_static_selectorELNS0_4arch9wavefront6targetE0EEEvSQ_.private_seg_size, 0
	.set _ZN7rocprim17ROCPRIM_400000_NS6detail17trampoline_kernelINS0_14default_configENS1_22reduce_config_selectorIbEEZNS1_11reduce_implILb1ES3_N6hipcub16HIPCUB_304000_NS22TransformInputIteratorIbN2at6native12_GLOBAL__N_19NonZeroOpIiEEPKilEEPiiNS8_6detail34convert_binary_result_type_wrapperINS8_3SumESH_iEEEE10hipError_tPvRmT1_T2_T3_mT4_P12ihipStream_tbEUlT_E1_NS1_11comp_targetILNS1_3genE5ELNS1_11target_archE942ELNS1_3gpuE9ELNS1_3repE0EEENS1_30default_config_static_selectorELNS0_4arch9wavefront6targetE0EEEvSQ_.uses_vcc, 0
	.set _ZN7rocprim17ROCPRIM_400000_NS6detail17trampoline_kernelINS0_14default_configENS1_22reduce_config_selectorIbEEZNS1_11reduce_implILb1ES3_N6hipcub16HIPCUB_304000_NS22TransformInputIteratorIbN2at6native12_GLOBAL__N_19NonZeroOpIiEEPKilEEPiiNS8_6detail34convert_binary_result_type_wrapperINS8_3SumESH_iEEEE10hipError_tPvRmT1_T2_T3_mT4_P12ihipStream_tbEUlT_E1_NS1_11comp_targetILNS1_3genE5ELNS1_11target_archE942ELNS1_3gpuE9ELNS1_3repE0EEENS1_30default_config_static_selectorELNS0_4arch9wavefront6targetE0EEEvSQ_.uses_flat_scratch, 0
	.set _ZN7rocprim17ROCPRIM_400000_NS6detail17trampoline_kernelINS0_14default_configENS1_22reduce_config_selectorIbEEZNS1_11reduce_implILb1ES3_N6hipcub16HIPCUB_304000_NS22TransformInputIteratorIbN2at6native12_GLOBAL__N_19NonZeroOpIiEEPKilEEPiiNS8_6detail34convert_binary_result_type_wrapperINS8_3SumESH_iEEEE10hipError_tPvRmT1_T2_T3_mT4_P12ihipStream_tbEUlT_E1_NS1_11comp_targetILNS1_3genE5ELNS1_11target_archE942ELNS1_3gpuE9ELNS1_3repE0EEENS1_30default_config_static_selectorELNS0_4arch9wavefront6targetE0EEEvSQ_.has_dyn_sized_stack, 0
	.set _ZN7rocprim17ROCPRIM_400000_NS6detail17trampoline_kernelINS0_14default_configENS1_22reduce_config_selectorIbEEZNS1_11reduce_implILb1ES3_N6hipcub16HIPCUB_304000_NS22TransformInputIteratorIbN2at6native12_GLOBAL__N_19NonZeroOpIiEEPKilEEPiiNS8_6detail34convert_binary_result_type_wrapperINS8_3SumESH_iEEEE10hipError_tPvRmT1_T2_T3_mT4_P12ihipStream_tbEUlT_E1_NS1_11comp_targetILNS1_3genE5ELNS1_11target_archE942ELNS1_3gpuE9ELNS1_3repE0EEENS1_30default_config_static_selectorELNS0_4arch9wavefront6targetE0EEEvSQ_.has_recursion, 0
	.set _ZN7rocprim17ROCPRIM_400000_NS6detail17trampoline_kernelINS0_14default_configENS1_22reduce_config_selectorIbEEZNS1_11reduce_implILb1ES3_N6hipcub16HIPCUB_304000_NS22TransformInputIteratorIbN2at6native12_GLOBAL__N_19NonZeroOpIiEEPKilEEPiiNS8_6detail34convert_binary_result_type_wrapperINS8_3SumESH_iEEEE10hipError_tPvRmT1_T2_T3_mT4_P12ihipStream_tbEUlT_E1_NS1_11comp_targetILNS1_3genE5ELNS1_11target_archE942ELNS1_3gpuE9ELNS1_3repE0EEENS1_30default_config_static_selectorELNS0_4arch9wavefront6targetE0EEEvSQ_.has_indirect_call, 0
	.section	.AMDGPU.csdata,"",@progbits
; Kernel info:
; codeLenInByte = 0
; TotalNumSgprs: 0
; NumVgprs: 0
; ScratchSize: 0
; MemoryBound: 0
; FloatMode: 240
; IeeeMode: 1
; LDSByteSize: 0 bytes/workgroup (compile time only)
; SGPRBlocks: 0
; VGPRBlocks: 0
; NumSGPRsForWavesPerEU: 1
; NumVGPRsForWavesPerEU: 1
; Occupancy: 16
; WaveLimiterHint : 0
; COMPUTE_PGM_RSRC2:SCRATCH_EN: 0
; COMPUTE_PGM_RSRC2:USER_SGPR: 2
; COMPUTE_PGM_RSRC2:TRAP_HANDLER: 0
; COMPUTE_PGM_RSRC2:TGID_X_EN: 1
; COMPUTE_PGM_RSRC2:TGID_Y_EN: 0
; COMPUTE_PGM_RSRC2:TGID_Z_EN: 0
; COMPUTE_PGM_RSRC2:TIDIG_COMP_CNT: 0
	.section	.text._ZN7rocprim17ROCPRIM_400000_NS6detail17trampoline_kernelINS0_14default_configENS1_22reduce_config_selectorIbEEZNS1_11reduce_implILb1ES3_N6hipcub16HIPCUB_304000_NS22TransformInputIteratorIbN2at6native12_GLOBAL__N_19NonZeroOpIiEEPKilEEPiiNS8_6detail34convert_binary_result_type_wrapperINS8_3SumESH_iEEEE10hipError_tPvRmT1_T2_T3_mT4_P12ihipStream_tbEUlT_E1_NS1_11comp_targetILNS1_3genE4ELNS1_11target_archE910ELNS1_3gpuE8ELNS1_3repE0EEENS1_30default_config_static_selectorELNS0_4arch9wavefront6targetE0EEEvSQ_,"axG",@progbits,_ZN7rocprim17ROCPRIM_400000_NS6detail17trampoline_kernelINS0_14default_configENS1_22reduce_config_selectorIbEEZNS1_11reduce_implILb1ES3_N6hipcub16HIPCUB_304000_NS22TransformInputIteratorIbN2at6native12_GLOBAL__N_19NonZeroOpIiEEPKilEEPiiNS8_6detail34convert_binary_result_type_wrapperINS8_3SumESH_iEEEE10hipError_tPvRmT1_T2_T3_mT4_P12ihipStream_tbEUlT_E1_NS1_11comp_targetILNS1_3genE4ELNS1_11target_archE910ELNS1_3gpuE8ELNS1_3repE0EEENS1_30default_config_static_selectorELNS0_4arch9wavefront6targetE0EEEvSQ_,comdat
	.globl	_ZN7rocprim17ROCPRIM_400000_NS6detail17trampoline_kernelINS0_14default_configENS1_22reduce_config_selectorIbEEZNS1_11reduce_implILb1ES3_N6hipcub16HIPCUB_304000_NS22TransformInputIteratorIbN2at6native12_GLOBAL__N_19NonZeroOpIiEEPKilEEPiiNS8_6detail34convert_binary_result_type_wrapperINS8_3SumESH_iEEEE10hipError_tPvRmT1_T2_T3_mT4_P12ihipStream_tbEUlT_E1_NS1_11comp_targetILNS1_3genE4ELNS1_11target_archE910ELNS1_3gpuE8ELNS1_3repE0EEENS1_30default_config_static_selectorELNS0_4arch9wavefront6targetE0EEEvSQ_ ; -- Begin function _ZN7rocprim17ROCPRIM_400000_NS6detail17trampoline_kernelINS0_14default_configENS1_22reduce_config_selectorIbEEZNS1_11reduce_implILb1ES3_N6hipcub16HIPCUB_304000_NS22TransformInputIteratorIbN2at6native12_GLOBAL__N_19NonZeroOpIiEEPKilEEPiiNS8_6detail34convert_binary_result_type_wrapperINS8_3SumESH_iEEEE10hipError_tPvRmT1_T2_T3_mT4_P12ihipStream_tbEUlT_E1_NS1_11comp_targetILNS1_3genE4ELNS1_11target_archE910ELNS1_3gpuE8ELNS1_3repE0EEENS1_30default_config_static_selectorELNS0_4arch9wavefront6targetE0EEEvSQ_
	.p2align	8
	.type	_ZN7rocprim17ROCPRIM_400000_NS6detail17trampoline_kernelINS0_14default_configENS1_22reduce_config_selectorIbEEZNS1_11reduce_implILb1ES3_N6hipcub16HIPCUB_304000_NS22TransformInputIteratorIbN2at6native12_GLOBAL__N_19NonZeroOpIiEEPKilEEPiiNS8_6detail34convert_binary_result_type_wrapperINS8_3SumESH_iEEEE10hipError_tPvRmT1_T2_T3_mT4_P12ihipStream_tbEUlT_E1_NS1_11comp_targetILNS1_3genE4ELNS1_11target_archE910ELNS1_3gpuE8ELNS1_3repE0EEENS1_30default_config_static_selectorELNS0_4arch9wavefront6targetE0EEEvSQ_,@function
_ZN7rocprim17ROCPRIM_400000_NS6detail17trampoline_kernelINS0_14default_configENS1_22reduce_config_selectorIbEEZNS1_11reduce_implILb1ES3_N6hipcub16HIPCUB_304000_NS22TransformInputIteratorIbN2at6native12_GLOBAL__N_19NonZeroOpIiEEPKilEEPiiNS8_6detail34convert_binary_result_type_wrapperINS8_3SumESH_iEEEE10hipError_tPvRmT1_T2_T3_mT4_P12ihipStream_tbEUlT_E1_NS1_11comp_targetILNS1_3genE4ELNS1_11target_archE910ELNS1_3gpuE8ELNS1_3repE0EEENS1_30default_config_static_selectorELNS0_4arch9wavefront6targetE0EEEvSQ_: ; @_ZN7rocprim17ROCPRIM_400000_NS6detail17trampoline_kernelINS0_14default_configENS1_22reduce_config_selectorIbEEZNS1_11reduce_implILb1ES3_N6hipcub16HIPCUB_304000_NS22TransformInputIteratorIbN2at6native12_GLOBAL__N_19NonZeroOpIiEEPKilEEPiiNS8_6detail34convert_binary_result_type_wrapperINS8_3SumESH_iEEEE10hipError_tPvRmT1_T2_T3_mT4_P12ihipStream_tbEUlT_E1_NS1_11comp_targetILNS1_3genE4ELNS1_11target_archE910ELNS1_3gpuE8ELNS1_3repE0EEENS1_30default_config_static_selectorELNS0_4arch9wavefront6targetE0EEEvSQ_
; %bb.0:
	.section	.rodata,"a",@progbits
	.p2align	6, 0x0
	.amdhsa_kernel _ZN7rocprim17ROCPRIM_400000_NS6detail17trampoline_kernelINS0_14default_configENS1_22reduce_config_selectorIbEEZNS1_11reduce_implILb1ES3_N6hipcub16HIPCUB_304000_NS22TransformInputIteratorIbN2at6native12_GLOBAL__N_19NonZeroOpIiEEPKilEEPiiNS8_6detail34convert_binary_result_type_wrapperINS8_3SumESH_iEEEE10hipError_tPvRmT1_T2_T3_mT4_P12ihipStream_tbEUlT_E1_NS1_11comp_targetILNS1_3genE4ELNS1_11target_archE910ELNS1_3gpuE8ELNS1_3repE0EEENS1_30default_config_static_selectorELNS0_4arch9wavefront6targetE0EEEvSQ_
		.amdhsa_group_segment_fixed_size 0
		.amdhsa_private_segment_fixed_size 0
		.amdhsa_kernarg_size 48
		.amdhsa_user_sgpr_count 2
		.amdhsa_user_sgpr_dispatch_ptr 0
		.amdhsa_user_sgpr_queue_ptr 0
		.amdhsa_user_sgpr_kernarg_segment_ptr 1
		.amdhsa_user_sgpr_dispatch_id 0
		.amdhsa_user_sgpr_private_segment_size 0
		.amdhsa_wavefront_size32 1
		.amdhsa_uses_dynamic_stack 0
		.amdhsa_enable_private_segment 0
		.amdhsa_system_sgpr_workgroup_id_x 1
		.amdhsa_system_sgpr_workgroup_id_y 0
		.amdhsa_system_sgpr_workgroup_id_z 0
		.amdhsa_system_sgpr_workgroup_info 0
		.amdhsa_system_vgpr_workitem_id 0
		.amdhsa_next_free_vgpr 1
		.amdhsa_next_free_sgpr 1
		.amdhsa_reserve_vcc 0
		.amdhsa_float_round_mode_32 0
		.amdhsa_float_round_mode_16_64 0
		.amdhsa_float_denorm_mode_32 3
		.amdhsa_float_denorm_mode_16_64 3
		.amdhsa_fp16_overflow 0
		.amdhsa_workgroup_processor_mode 1
		.amdhsa_memory_ordered 1
		.amdhsa_forward_progress 1
		.amdhsa_inst_pref_size 0
		.amdhsa_round_robin_scheduling 0
		.amdhsa_exception_fp_ieee_invalid_op 0
		.amdhsa_exception_fp_denorm_src 0
		.amdhsa_exception_fp_ieee_div_zero 0
		.amdhsa_exception_fp_ieee_overflow 0
		.amdhsa_exception_fp_ieee_underflow 0
		.amdhsa_exception_fp_ieee_inexact 0
		.amdhsa_exception_int_div_zero 0
	.end_amdhsa_kernel
	.section	.text._ZN7rocprim17ROCPRIM_400000_NS6detail17trampoline_kernelINS0_14default_configENS1_22reduce_config_selectorIbEEZNS1_11reduce_implILb1ES3_N6hipcub16HIPCUB_304000_NS22TransformInputIteratorIbN2at6native12_GLOBAL__N_19NonZeroOpIiEEPKilEEPiiNS8_6detail34convert_binary_result_type_wrapperINS8_3SumESH_iEEEE10hipError_tPvRmT1_T2_T3_mT4_P12ihipStream_tbEUlT_E1_NS1_11comp_targetILNS1_3genE4ELNS1_11target_archE910ELNS1_3gpuE8ELNS1_3repE0EEENS1_30default_config_static_selectorELNS0_4arch9wavefront6targetE0EEEvSQ_,"axG",@progbits,_ZN7rocprim17ROCPRIM_400000_NS6detail17trampoline_kernelINS0_14default_configENS1_22reduce_config_selectorIbEEZNS1_11reduce_implILb1ES3_N6hipcub16HIPCUB_304000_NS22TransformInputIteratorIbN2at6native12_GLOBAL__N_19NonZeroOpIiEEPKilEEPiiNS8_6detail34convert_binary_result_type_wrapperINS8_3SumESH_iEEEE10hipError_tPvRmT1_T2_T3_mT4_P12ihipStream_tbEUlT_E1_NS1_11comp_targetILNS1_3genE4ELNS1_11target_archE910ELNS1_3gpuE8ELNS1_3repE0EEENS1_30default_config_static_selectorELNS0_4arch9wavefront6targetE0EEEvSQ_,comdat
.Lfunc_end179:
	.size	_ZN7rocprim17ROCPRIM_400000_NS6detail17trampoline_kernelINS0_14default_configENS1_22reduce_config_selectorIbEEZNS1_11reduce_implILb1ES3_N6hipcub16HIPCUB_304000_NS22TransformInputIteratorIbN2at6native12_GLOBAL__N_19NonZeroOpIiEEPKilEEPiiNS8_6detail34convert_binary_result_type_wrapperINS8_3SumESH_iEEEE10hipError_tPvRmT1_T2_T3_mT4_P12ihipStream_tbEUlT_E1_NS1_11comp_targetILNS1_3genE4ELNS1_11target_archE910ELNS1_3gpuE8ELNS1_3repE0EEENS1_30default_config_static_selectorELNS0_4arch9wavefront6targetE0EEEvSQ_, .Lfunc_end179-_ZN7rocprim17ROCPRIM_400000_NS6detail17trampoline_kernelINS0_14default_configENS1_22reduce_config_selectorIbEEZNS1_11reduce_implILb1ES3_N6hipcub16HIPCUB_304000_NS22TransformInputIteratorIbN2at6native12_GLOBAL__N_19NonZeroOpIiEEPKilEEPiiNS8_6detail34convert_binary_result_type_wrapperINS8_3SumESH_iEEEE10hipError_tPvRmT1_T2_T3_mT4_P12ihipStream_tbEUlT_E1_NS1_11comp_targetILNS1_3genE4ELNS1_11target_archE910ELNS1_3gpuE8ELNS1_3repE0EEENS1_30default_config_static_selectorELNS0_4arch9wavefront6targetE0EEEvSQ_
                                        ; -- End function
	.set _ZN7rocprim17ROCPRIM_400000_NS6detail17trampoline_kernelINS0_14default_configENS1_22reduce_config_selectorIbEEZNS1_11reduce_implILb1ES3_N6hipcub16HIPCUB_304000_NS22TransformInputIteratorIbN2at6native12_GLOBAL__N_19NonZeroOpIiEEPKilEEPiiNS8_6detail34convert_binary_result_type_wrapperINS8_3SumESH_iEEEE10hipError_tPvRmT1_T2_T3_mT4_P12ihipStream_tbEUlT_E1_NS1_11comp_targetILNS1_3genE4ELNS1_11target_archE910ELNS1_3gpuE8ELNS1_3repE0EEENS1_30default_config_static_selectorELNS0_4arch9wavefront6targetE0EEEvSQ_.num_vgpr, 0
	.set _ZN7rocprim17ROCPRIM_400000_NS6detail17trampoline_kernelINS0_14default_configENS1_22reduce_config_selectorIbEEZNS1_11reduce_implILb1ES3_N6hipcub16HIPCUB_304000_NS22TransformInputIteratorIbN2at6native12_GLOBAL__N_19NonZeroOpIiEEPKilEEPiiNS8_6detail34convert_binary_result_type_wrapperINS8_3SumESH_iEEEE10hipError_tPvRmT1_T2_T3_mT4_P12ihipStream_tbEUlT_E1_NS1_11comp_targetILNS1_3genE4ELNS1_11target_archE910ELNS1_3gpuE8ELNS1_3repE0EEENS1_30default_config_static_selectorELNS0_4arch9wavefront6targetE0EEEvSQ_.num_agpr, 0
	.set _ZN7rocprim17ROCPRIM_400000_NS6detail17trampoline_kernelINS0_14default_configENS1_22reduce_config_selectorIbEEZNS1_11reduce_implILb1ES3_N6hipcub16HIPCUB_304000_NS22TransformInputIteratorIbN2at6native12_GLOBAL__N_19NonZeroOpIiEEPKilEEPiiNS8_6detail34convert_binary_result_type_wrapperINS8_3SumESH_iEEEE10hipError_tPvRmT1_T2_T3_mT4_P12ihipStream_tbEUlT_E1_NS1_11comp_targetILNS1_3genE4ELNS1_11target_archE910ELNS1_3gpuE8ELNS1_3repE0EEENS1_30default_config_static_selectorELNS0_4arch9wavefront6targetE0EEEvSQ_.numbered_sgpr, 0
	.set _ZN7rocprim17ROCPRIM_400000_NS6detail17trampoline_kernelINS0_14default_configENS1_22reduce_config_selectorIbEEZNS1_11reduce_implILb1ES3_N6hipcub16HIPCUB_304000_NS22TransformInputIteratorIbN2at6native12_GLOBAL__N_19NonZeroOpIiEEPKilEEPiiNS8_6detail34convert_binary_result_type_wrapperINS8_3SumESH_iEEEE10hipError_tPvRmT1_T2_T3_mT4_P12ihipStream_tbEUlT_E1_NS1_11comp_targetILNS1_3genE4ELNS1_11target_archE910ELNS1_3gpuE8ELNS1_3repE0EEENS1_30default_config_static_selectorELNS0_4arch9wavefront6targetE0EEEvSQ_.num_named_barrier, 0
	.set _ZN7rocprim17ROCPRIM_400000_NS6detail17trampoline_kernelINS0_14default_configENS1_22reduce_config_selectorIbEEZNS1_11reduce_implILb1ES3_N6hipcub16HIPCUB_304000_NS22TransformInputIteratorIbN2at6native12_GLOBAL__N_19NonZeroOpIiEEPKilEEPiiNS8_6detail34convert_binary_result_type_wrapperINS8_3SumESH_iEEEE10hipError_tPvRmT1_T2_T3_mT4_P12ihipStream_tbEUlT_E1_NS1_11comp_targetILNS1_3genE4ELNS1_11target_archE910ELNS1_3gpuE8ELNS1_3repE0EEENS1_30default_config_static_selectorELNS0_4arch9wavefront6targetE0EEEvSQ_.private_seg_size, 0
	.set _ZN7rocprim17ROCPRIM_400000_NS6detail17trampoline_kernelINS0_14default_configENS1_22reduce_config_selectorIbEEZNS1_11reduce_implILb1ES3_N6hipcub16HIPCUB_304000_NS22TransformInputIteratorIbN2at6native12_GLOBAL__N_19NonZeroOpIiEEPKilEEPiiNS8_6detail34convert_binary_result_type_wrapperINS8_3SumESH_iEEEE10hipError_tPvRmT1_T2_T3_mT4_P12ihipStream_tbEUlT_E1_NS1_11comp_targetILNS1_3genE4ELNS1_11target_archE910ELNS1_3gpuE8ELNS1_3repE0EEENS1_30default_config_static_selectorELNS0_4arch9wavefront6targetE0EEEvSQ_.uses_vcc, 0
	.set _ZN7rocprim17ROCPRIM_400000_NS6detail17trampoline_kernelINS0_14default_configENS1_22reduce_config_selectorIbEEZNS1_11reduce_implILb1ES3_N6hipcub16HIPCUB_304000_NS22TransformInputIteratorIbN2at6native12_GLOBAL__N_19NonZeroOpIiEEPKilEEPiiNS8_6detail34convert_binary_result_type_wrapperINS8_3SumESH_iEEEE10hipError_tPvRmT1_T2_T3_mT4_P12ihipStream_tbEUlT_E1_NS1_11comp_targetILNS1_3genE4ELNS1_11target_archE910ELNS1_3gpuE8ELNS1_3repE0EEENS1_30default_config_static_selectorELNS0_4arch9wavefront6targetE0EEEvSQ_.uses_flat_scratch, 0
	.set _ZN7rocprim17ROCPRIM_400000_NS6detail17trampoline_kernelINS0_14default_configENS1_22reduce_config_selectorIbEEZNS1_11reduce_implILb1ES3_N6hipcub16HIPCUB_304000_NS22TransformInputIteratorIbN2at6native12_GLOBAL__N_19NonZeroOpIiEEPKilEEPiiNS8_6detail34convert_binary_result_type_wrapperINS8_3SumESH_iEEEE10hipError_tPvRmT1_T2_T3_mT4_P12ihipStream_tbEUlT_E1_NS1_11comp_targetILNS1_3genE4ELNS1_11target_archE910ELNS1_3gpuE8ELNS1_3repE0EEENS1_30default_config_static_selectorELNS0_4arch9wavefront6targetE0EEEvSQ_.has_dyn_sized_stack, 0
	.set _ZN7rocprim17ROCPRIM_400000_NS6detail17trampoline_kernelINS0_14default_configENS1_22reduce_config_selectorIbEEZNS1_11reduce_implILb1ES3_N6hipcub16HIPCUB_304000_NS22TransformInputIteratorIbN2at6native12_GLOBAL__N_19NonZeroOpIiEEPKilEEPiiNS8_6detail34convert_binary_result_type_wrapperINS8_3SumESH_iEEEE10hipError_tPvRmT1_T2_T3_mT4_P12ihipStream_tbEUlT_E1_NS1_11comp_targetILNS1_3genE4ELNS1_11target_archE910ELNS1_3gpuE8ELNS1_3repE0EEENS1_30default_config_static_selectorELNS0_4arch9wavefront6targetE0EEEvSQ_.has_recursion, 0
	.set _ZN7rocprim17ROCPRIM_400000_NS6detail17trampoline_kernelINS0_14default_configENS1_22reduce_config_selectorIbEEZNS1_11reduce_implILb1ES3_N6hipcub16HIPCUB_304000_NS22TransformInputIteratorIbN2at6native12_GLOBAL__N_19NonZeroOpIiEEPKilEEPiiNS8_6detail34convert_binary_result_type_wrapperINS8_3SumESH_iEEEE10hipError_tPvRmT1_T2_T3_mT4_P12ihipStream_tbEUlT_E1_NS1_11comp_targetILNS1_3genE4ELNS1_11target_archE910ELNS1_3gpuE8ELNS1_3repE0EEENS1_30default_config_static_selectorELNS0_4arch9wavefront6targetE0EEEvSQ_.has_indirect_call, 0
	.section	.AMDGPU.csdata,"",@progbits
; Kernel info:
; codeLenInByte = 0
; TotalNumSgprs: 0
; NumVgprs: 0
; ScratchSize: 0
; MemoryBound: 0
; FloatMode: 240
; IeeeMode: 1
; LDSByteSize: 0 bytes/workgroup (compile time only)
; SGPRBlocks: 0
; VGPRBlocks: 0
; NumSGPRsForWavesPerEU: 1
; NumVGPRsForWavesPerEU: 1
; Occupancy: 16
; WaveLimiterHint : 0
; COMPUTE_PGM_RSRC2:SCRATCH_EN: 0
; COMPUTE_PGM_RSRC2:USER_SGPR: 2
; COMPUTE_PGM_RSRC2:TRAP_HANDLER: 0
; COMPUTE_PGM_RSRC2:TGID_X_EN: 1
; COMPUTE_PGM_RSRC2:TGID_Y_EN: 0
; COMPUTE_PGM_RSRC2:TGID_Z_EN: 0
; COMPUTE_PGM_RSRC2:TIDIG_COMP_CNT: 0
	.section	.text._ZN7rocprim17ROCPRIM_400000_NS6detail17trampoline_kernelINS0_14default_configENS1_22reduce_config_selectorIbEEZNS1_11reduce_implILb1ES3_N6hipcub16HIPCUB_304000_NS22TransformInputIteratorIbN2at6native12_GLOBAL__N_19NonZeroOpIiEEPKilEEPiiNS8_6detail34convert_binary_result_type_wrapperINS8_3SumESH_iEEEE10hipError_tPvRmT1_T2_T3_mT4_P12ihipStream_tbEUlT_E1_NS1_11comp_targetILNS1_3genE3ELNS1_11target_archE908ELNS1_3gpuE7ELNS1_3repE0EEENS1_30default_config_static_selectorELNS0_4arch9wavefront6targetE0EEEvSQ_,"axG",@progbits,_ZN7rocprim17ROCPRIM_400000_NS6detail17trampoline_kernelINS0_14default_configENS1_22reduce_config_selectorIbEEZNS1_11reduce_implILb1ES3_N6hipcub16HIPCUB_304000_NS22TransformInputIteratorIbN2at6native12_GLOBAL__N_19NonZeroOpIiEEPKilEEPiiNS8_6detail34convert_binary_result_type_wrapperINS8_3SumESH_iEEEE10hipError_tPvRmT1_T2_T3_mT4_P12ihipStream_tbEUlT_E1_NS1_11comp_targetILNS1_3genE3ELNS1_11target_archE908ELNS1_3gpuE7ELNS1_3repE0EEENS1_30default_config_static_selectorELNS0_4arch9wavefront6targetE0EEEvSQ_,comdat
	.globl	_ZN7rocprim17ROCPRIM_400000_NS6detail17trampoline_kernelINS0_14default_configENS1_22reduce_config_selectorIbEEZNS1_11reduce_implILb1ES3_N6hipcub16HIPCUB_304000_NS22TransformInputIteratorIbN2at6native12_GLOBAL__N_19NonZeroOpIiEEPKilEEPiiNS8_6detail34convert_binary_result_type_wrapperINS8_3SumESH_iEEEE10hipError_tPvRmT1_T2_T3_mT4_P12ihipStream_tbEUlT_E1_NS1_11comp_targetILNS1_3genE3ELNS1_11target_archE908ELNS1_3gpuE7ELNS1_3repE0EEENS1_30default_config_static_selectorELNS0_4arch9wavefront6targetE0EEEvSQ_ ; -- Begin function _ZN7rocprim17ROCPRIM_400000_NS6detail17trampoline_kernelINS0_14default_configENS1_22reduce_config_selectorIbEEZNS1_11reduce_implILb1ES3_N6hipcub16HIPCUB_304000_NS22TransformInputIteratorIbN2at6native12_GLOBAL__N_19NonZeroOpIiEEPKilEEPiiNS8_6detail34convert_binary_result_type_wrapperINS8_3SumESH_iEEEE10hipError_tPvRmT1_T2_T3_mT4_P12ihipStream_tbEUlT_E1_NS1_11comp_targetILNS1_3genE3ELNS1_11target_archE908ELNS1_3gpuE7ELNS1_3repE0EEENS1_30default_config_static_selectorELNS0_4arch9wavefront6targetE0EEEvSQ_
	.p2align	8
	.type	_ZN7rocprim17ROCPRIM_400000_NS6detail17trampoline_kernelINS0_14default_configENS1_22reduce_config_selectorIbEEZNS1_11reduce_implILb1ES3_N6hipcub16HIPCUB_304000_NS22TransformInputIteratorIbN2at6native12_GLOBAL__N_19NonZeroOpIiEEPKilEEPiiNS8_6detail34convert_binary_result_type_wrapperINS8_3SumESH_iEEEE10hipError_tPvRmT1_T2_T3_mT4_P12ihipStream_tbEUlT_E1_NS1_11comp_targetILNS1_3genE3ELNS1_11target_archE908ELNS1_3gpuE7ELNS1_3repE0EEENS1_30default_config_static_selectorELNS0_4arch9wavefront6targetE0EEEvSQ_,@function
_ZN7rocprim17ROCPRIM_400000_NS6detail17trampoline_kernelINS0_14default_configENS1_22reduce_config_selectorIbEEZNS1_11reduce_implILb1ES3_N6hipcub16HIPCUB_304000_NS22TransformInputIteratorIbN2at6native12_GLOBAL__N_19NonZeroOpIiEEPKilEEPiiNS8_6detail34convert_binary_result_type_wrapperINS8_3SumESH_iEEEE10hipError_tPvRmT1_T2_T3_mT4_P12ihipStream_tbEUlT_E1_NS1_11comp_targetILNS1_3genE3ELNS1_11target_archE908ELNS1_3gpuE7ELNS1_3repE0EEENS1_30default_config_static_selectorELNS0_4arch9wavefront6targetE0EEEvSQ_: ; @_ZN7rocprim17ROCPRIM_400000_NS6detail17trampoline_kernelINS0_14default_configENS1_22reduce_config_selectorIbEEZNS1_11reduce_implILb1ES3_N6hipcub16HIPCUB_304000_NS22TransformInputIteratorIbN2at6native12_GLOBAL__N_19NonZeroOpIiEEPKilEEPiiNS8_6detail34convert_binary_result_type_wrapperINS8_3SumESH_iEEEE10hipError_tPvRmT1_T2_T3_mT4_P12ihipStream_tbEUlT_E1_NS1_11comp_targetILNS1_3genE3ELNS1_11target_archE908ELNS1_3gpuE7ELNS1_3repE0EEENS1_30default_config_static_selectorELNS0_4arch9wavefront6targetE0EEEvSQ_
; %bb.0:
	.section	.rodata,"a",@progbits
	.p2align	6, 0x0
	.amdhsa_kernel _ZN7rocprim17ROCPRIM_400000_NS6detail17trampoline_kernelINS0_14default_configENS1_22reduce_config_selectorIbEEZNS1_11reduce_implILb1ES3_N6hipcub16HIPCUB_304000_NS22TransformInputIteratorIbN2at6native12_GLOBAL__N_19NonZeroOpIiEEPKilEEPiiNS8_6detail34convert_binary_result_type_wrapperINS8_3SumESH_iEEEE10hipError_tPvRmT1_T2_T3_mT4_P12ihipStream_tbEUlT_E1_NS1_11comp_targetILNS1_3genE3ELNS1_11target_archE908ELNS1_3gpuE7ELNS1_3repE0EEENS1_30default_config_static_selectorELNS0_4arch9wavefront6targetE0EEEvSQ_
		.amdhsa_group_segment_fixed_size 0
		.amdhsa_private_segment_fixed_size 0
		.amdhsa_kernarg_size 48
		.amdhsa_user_sgpr_count 2
		.amdhsa_user_sgpr_dispatch_ptr 0
		.amdhsa_user_sgpr_queue_ptr 0
		.amdhsa_user_sgpr_kernarg_segment_ptr 1
		.amdhsa_user_sgpr_dispatch_id 0
		.amdhsa_user_sgpr_private_segment_size 0
		.amdhsa_wavefront_size32 1
		.amdhsa_uses_dynamic_stack 0
		.amdhsa_enable_private_segment 0
		.amdhsa_system_sgpr_workgroup_id_x 1
		.amdhsa_system_sgpr_workgroup_id_y 0
		.amdhsa_system_sgpr_workgroup_id_z 0
		.amdhsa_system_sgpr_workgroup_info 0
		.amdhsa_system_vgpr_workitem_id 0
		.amdhsa_next_free_vgpr 1
		.amdhsa_next_free_sgpr 1
		.amdhsa_reserve_vcc 0
		.amdhsa_float_round_mode_32 0
		.amdhsa_float_round_mode_16_64 0
		.amdhsa_float_denorm_mode_32 3
		.amdhsa_float_denorm_mode_16_64 3
		.amdhsa_fp16_overflow 0
		.amdhsa_workgroup_processor_mode 1
		.amdhsa_memory_ordered 1
		.amdhsa_forward_progress 1
		.amdhsa_inst_pref_size 0
		.amdhsa_round_robin_scheduling 0
		.amdhsa_exception_fp_ieee_invalid_op 0
		.amdhsa_exception_fp_denorm_src 0
		.amdhsa_exception_fp_ieee_div_zero 0
		.amdhsa_exception_fp_ieee_overflow 0
		.amdhsa_exception_fp_ieee_underflow 0
		.amdhsa_exception_fp_ieee_inexact 0
		.amdhsa_exception_int_div_zero 0
	.end_amdhsa_kernel
	.section	.text._ZN7rocprim17ROCPRIM_400000_NS6detail17trampoline_kernelINS0_14default_configENS1_22reduce_config_selectorIbEEZNS1_11reduce_implILb1ES3_N6hipcub16HIPCUB_304000_NS22TransformInputIteratorIbN2at6native12_GLOBAL__N_19NonZeroOpIiEEPKilEEPiiNS8_6detail34convert_binary_result_type_wrapperINS8_3SumESH_iEEEE10hipError_tPvRmT1_T2_T3_mT4_P12ihipStream_tbEUlT_E1_NS1_11comp_targetILNS1_3genE3ELNS1_11target_archE908ELNS1_3gpuE7ELNS1_3repE0EEENS1_30default_config_static_selectorELNS0_4arch9wavefront6targetE0EEEvSQ_,"axG",@progbits,_ZN7rocprim17ROCPRIM_400000_NS6detail17trampoline_kernelINS0_14default_configENS1_22reduce_config_selectorIbEEZNS1_11reduce_implILb1ES3_N6hipcub16HIPCUB_304000_NS22TransformInputIteratorIbN2at6native12_GLOBAL__N_19NonZeroOpIiEEPKilEEPiiNS8_6detail34convert_binary_result_type_wrapperINS8_3SumESH_iEEEE10hipError_tPvRmT1_T2_T3_mT4_P12ihipStream_tbEUlT_E1_NS1_11comp_targetILNS1_3genE3ELNS1_11target_archE908ELNS1_3gpuE7ELNS1_3repE0EEENS1_30default_config_static_selectorELNS0_4arch9wavefront6targetE0EEEvSQ_,comdat
.Lfunc_end180:
	.size	_ZN7rocprim17ROCPRIM_400000_NS6detail17trampoline_kernelINS0_14default_configENS1_22reduce_config_selectorIbEEZNS1_11reduce_implILb1ES3_N6hipcub16HIPCUB_304000_NS22TransformInputIteratorIbN2at6native12_GLOBAL__N_19NonZeroOpIiEEPKilEEPiiNS8_6detail34convert_binary_result_type_wrapperINS8_3SumESH_iEEEE10hipError_tPvRmT1_T2_T3_mT4_P12ihipStream_tbEUlT_E1_NS1_11comp_targetILNS1_3genE3ELNS1_11target_archE908ELNS1_3gpuE7ELNS1_3repE0EEENS1_30default_config_static_selectorELNS0_4arch9wavefront6targetE0EEEvSQ_, .Lfunc_end180-_ZN7rocprim17ROCPRIM_400000_NS6detail17trampoline_kernelINS0_14default_configENS1_22reduce_config_selectorIbEEZNS1_11reduce_implILb1ES3_N6hipcub16HIPCUB_304000_NS22TransformInputIteratorIbN2at6native12_GLOBAL__N_19NonZeroOpIiEEPKilEEPiiNS8_6detail34convert_binary_result_type_wrapperINS8_3SumESH_iEEEE10hipError_tPvRmT1_T2_T3_mT4_P12ihipStream_tbEUlT_E1_NS1_11comp_targetILNS1_3genE3ELNS1_11target_archE908ELNS1_3gpuE7ELNS1_3repE0EEENS1_30default_config_static_selectorELNS0_4arch9wavefront6targetE0EEEvSQ_
                                        ; -- End function
	.set _ZN7rocprim17ROCPRIM_400000_NS6detail17trampoline_kernelINS0_14default_configENS1_22reduce_config_selectorIbEEZNS1_11reduce_implILb1ES3_N6hipcub16HIPCUB_304000_NS22TransformInputIteratorIbN2at6native12_GLOBAL__N_19NonZeroOpIiEEPKilEEPiiNS8_6detail34convert_binary_result_type_wrapperINS8_3SumESH_iEEEE10hipError_tPvRmT1_T2_T3_mT4_P12ihipStream_tbEUlT_E1_NS1_11comp_targetILNS1_3genE3ELNS1_11target_archE908ELNS1_3gpuE7ELNS1_3repE0EEENS1_30default_config_static_selectorELNS0_4arch9wavefront6targetE0EEEvSQ_.num_vgpr, 0
	.set _ZN7rocprim17ROCPRIM_400000_NS6detail17trampoline_kernelINS0_14default_configENS1_22reduce_config_selectorIbEEZNS1_11reduce_implILb1ES3_N6hipcub16HIPCUB_304000_NS22TransformInputIteratorIbN2at6native12_GLOBAL__N_19NonZeroOpIiEEPKilEEPiiNS8_6detail34convert_binary_result_type_wrapperINS8_3SumESH_iEEEE10hipError_tPvRmT1_T2_T3_mT4_P12ihipStream_tbEUlT_E1_NS1_11comp_targetILNS1_3genE3ELNS1_11target_archE908ELNS1_3gpuE7ELNS1_3repE0EEENS1_30default_config_static_selectorELNS0_4arch9wavefront6targetE0EEEvSQ_.num_agpr, 0
	.set _ZN7rocprim17ROCPRIM_400000_NS6detail17trampoline_kernelINS0_14default_configENS1_22reduce_config_selectorIbEEZNS1_11reduce_implILb1ES3_N6hipcub16HIPCUB_304000_NS22TransformInputIteratorIbN2at6native12_GLOBAL__N_19NonZeroOpIiEEPKilEEPiiNS8_6detail34convert_binary_result_type_wrapperINS8_3SumESH_iEEEE10hipError_tPvRmT1_T2_T3_mT4_P12ihipStream_tbEUlT_E1_NS1_11comp_targetILNS1_3genE3ELNS1_11target_archE908ELNS1_3gpuE7ELNS1_3repE0EEENS1_30default_config_static_selectorELNS0_4arch9wavefront6targetE0EEEvSQ_.numbered_sgpr, 0
	.set _ZN7rocprim17ROCPRIM_400000_NS6detail17trampoline_kernelINS0_14default_configENS1_22reduce_config_selectorIbEEZNS1_11reduce_implILb1ES3_N6hipcub16HIPCUB_304000_NS22TransformInputIteratorIbN2at6native12_GLOBAL__N_19NonZeroOpIiEEPKilEEPiiNS8_6detail34convert_binary_result_type_wrapperINS8_3SumESH_iEEEE10hipError_tPvRmT1_T2_T3_mT4_P12ihipStream_tbEUlT_E1_NS1_11comp_targetILNS1_3genE3ELNS1_11target_archE908ELNS1_3gpuE7ELNS1_3repE0EEENS1_30default_config_static_selectorELNS0_4arch9wavefront6targetE0EEEvSQ_.num_named_barrier, 0
	.set _ZN7rocprim17ROCPRIM_400000_NS6detail17trampoline_kernelINS0_14default_configENS1_22reduce_config_selectorIbEEZNS1_11reduce_implILb1ES3_N6hipcub16HIPCUB_304000_NS22TransformInputIteratorIbN2at6native12_GLOBAL__N_19NonZeroOpIiEEPKilEEPiiNS8_6detail34convert_binary_result_type_wrapperINS8_3SumESH_iEEEE10hipError_tPvRmT1_T2_T3_mT4_P12ihipStream_tbEUlT_E1_NS1_11comp_targetILNS1_3genE3ELNS1_11target_archE908ELNS1_3gpuE7ELNS1_3repE0EEENS1_30default_config_static_selectorELNS0_4arch9wavefront6targetE0EEEvSQ_.private_seg_size, 0
	.set _ZN7rocprim17ROCPRIM_400000_NS6detail17trampoline_kernelINS0_14default_configENS1_22reduce_config_selectorIbEEZNS1_11reduce_implILb1ES3_N6hipcub16HIPCUB_304000_NS22TransformInputIteratorIbN2at6native12_GLOBAL__N_19NonZeroOpIiEEPKilEEPiiNS8_6detail34convert_binary_result_type_wrapperINS8_3SumESH_iEEEE10hipError_tPvRmT1_T2_T3_mT4_P12ihipStream_tbEUlT_E1_NS1_11comp_targetILNS1_3genE3ELNS1_11target_archE908ELNS1_3gpuE7ELNS1_3repE0EEENS1_30default_config_static_selectorELNS0_4arch9wavefront6targetE0EEEvSQ_.uses_vcc, 0
	.set _ZN7rocprim17ROCPRIM_400000_NS6detail17trampoline_kernelINS0_14default_configENS1_22reduce_config_selectorIbEEZNS1_11reduce_implILb1ES3_N6hipcub16HIPCUB_304000_NS22TransformInputIteratorIbN2at6native12_GLOBAL__N_19NonZeroOpIiEEPKilEEPiiNS8_6detail34convert_binary_result_type_wrapperINS8_3SumESH_iEEEE10hipError_tPvRmT1_T2_T3_mT4_P12ihipStream_tbEUlT_E1_NS1_11comp_targetILNS1_3genE3ELNS1_11target_archE908ELNS1_3gpuE7ELNS1_3repE0EEENS1_30default_config_static_selectorELNS0_4arch9wavefront6targetE0EEEvSQ_.uses_flat_scratch, 0
	.set _ZN7rocprim17ROCPRIM_400000_NS6detail17trampoline_kernelINS0_14default_configENS1_22reduce_config_selectorIbEEZNS1_11reduce_implILb1ES3_N6hipcub16HIPCUB_304000_NS22TransformInputIteratorIbN2at6native12_GLOBAL__N_19NonZeroOpIiEEPKilEEPiiNS8_6detail34convert_binary_result_type_wrapperINS8_3SumESH_iEEEE10hipError_tPvRmT1_T2_T3_mT4_P12ihipStream_tbEUlT_E1_NS1_11comp_targetILNS1_3genE3ELNS1_11target_archE908ELNS1_3gpuE7ELNS1_3repE0EEENS1_30default_config_static_selectorELNS0_4arch9wavefront6targetE0EEEvSQ_.has_dyn_sized_stack, 0
	.set _ZN7rocprim17ROCPRIM_400000_NS6detail17trampoline_kernelINS0_14default_configENS1_22reduce_config_selectorIbEEZNS1_11reduce_implILb1ES3_N6hipcub16HIPCUB_304000_NS22TransformInputIteratorIbN2at6native12_GLOBAL__N_19NonZeroOpIiEEPKilEEPiiNS8_6detail34convert_binary_result_type_wrapperINS8_3SumESH_iEEEE10hipError_tPvRmT1_T2_T3_mT4_P12ihipStream_tbEUlT_E1_NS1_11comp_targetILNS1_3genE3ELNS1_11target_archE908ELNS1_3gpuE7ELNS1_3repE0EEENS1_30default_config_static_selectorELNS0_4arch9wavefront6targetE0EEEvSQ_.has_recursion, 0
	.set _ZN7rocprim17ROCPRIM_400000_NS6detail17trampoline_kernelINS0_14default_configENS1_22reduce_config_selectorIbEEZNS1_11reduce_implILb1ES3_N6hipcub16HIPCUB_304000_NS22TransformInputIteratorIbN2at6native12_GLOBAL__N_19NonZeroOpIiEEPKilEEPiiNS8_6detail34convert_binary_result_type_wrapperINS8_3SumESH_iEEEE10hipError_tPvRmT1_T2_T3_mT4_P12ihipStream_tbEUlT_E1_NS1_11comp_targetILNS1_3genE3ELNS1_11target_archE908ELNS1_3gpuE7ELNS1_3repE0EEENS1_30default_config_static_selectorELNS0_4arch9wavefront6targetE0EEEvSQ_.has_indirect_call, 0
	.section	.AMDGPU.csdata,"",@progbits
; Kernel info:
; codeLenInByte = 0
; TotalNumSgprs: 0
; NumVgprs: 0
; ScratchSize: 0
; MemoryBound: 0
; FloatMode: 240
; IeeeMode: 1
; LDSByteSize: 0 bytes/workgroup (compile time only)
; SGPRBlocks: 0
; VGPRBlocks: 0
; NumSGPRsForWavesPerEU: 1
; NumVGPRsForWavesPerEU: 1
; Occupancy: 16
; WaveLimiterHint : 0
; COMPUTE_PGM_RSRC2:SCRATCH_EN: 0
; COMPUTE_PGM_RSRC2:USER_SGPR: 2
; COMPUTE_PGM_RSRC2:TRAP_HANDLER: 0
; COMPUTE_PGM_RSRC2:TGID_X_EN: 1
; COMPUTE_PGM_RSRC2:TGID_Y_EN: 0
; COMPUTE_PGM_RSRC2:TGID_Z_EN: 0
; COMPUTE_PGM_RSRC2:TIDIG_COMP_CNT: 0
	.section	.text._ZN7rocprim17ROCPRIM_400000_NS6detail17trampoline_kernelINS0_14default_configENS1_22reduce_config_selectorIbEEZNS1_11reduce_implILb1ES3_N6hipcub16HIPCUB_304000_NS22TransformInputIteratorIbN2at6native12_GLOBAL__N_19NonZeroOpIiEEPKilEEPiiNS8_6detail34convert_binary_result_type_wrapperINS8_3SumESH_iEEEE10hipError_tPvRmT1_T2_T3_mT4_P12ihipStream_tbEUlT_E1_NS1_11comp_targetILNS1_3genE2ELNS1_11target_archE906ELNS1_3gpuE6ELNS1_3repE0EEENS1_30default_config_static_selectorELNS0_4arch9wavefront6targetE0EEEvSQ_,"axG",@progbits,_ZN7rocprim17ROCPRIM_400000_NS6detail17trampoline_kernelINS0_14default_configENS1_22reduce_config_selectorIbEEZNS1_11reduce_implILb1ES3_N6hipcub16HIPCUB_304000_NS22TransformInputIteratorIbN2at6native12_GLOBAL__N_19NonZeroOpIiEEPKilEEPiiNS8_6detail34convert_binary_result_type_wrapperINS8_3SumESH_iEEEE10hipError_tPvRmT1_T2_T3_mT4_P12ihipStream_tbEUlT_E1_NS1_11comp_targetILNS1_3genE2ELNS1_11target_archE906ELNS1_3gpuE6ELNS1_3repE0EEENS1_30default_config_static_selectorELNS0_4arch9wavefront6targetE0EEEvSQ_,comdat
	.globl	_ZN7rocprim17ROCPRIM_400000_NS6detail17trampoline_kernelINS0_14default_configENS1_22reduce_config_selectorIbEEZNS1_11reduce_implILb1ES3_N6hipcub16HIPCUB_304000_NS22TransformInputIteratorIbN2at6native12_GLOBAL__N_19NonZeroOpIiEEPKilEEPiiNS8_6detail34convert_binary_result_type_wrapperINS8_3SumESH_iEEEE10hipError_tPvRmT1_T2_T3_mT4_P12ihipStream_tbEUlT_E1_NS1_11comp_targetILNS1_3genE2ELNS1_11target_archE906ELNS1_3gpuE6ELNS1_3repE0EEENS1_30default_config_static_selectorELNS0_4arch9wavefront6targetE0EEEvSQ_ ; -- Begin function _ZN7rocprim17ROCPRIM_400000_NS6detail17trampoline_kernelINS0_14default_configENS1_22reduce_config_selectorIbEEZNS1_11reduce_implILb1ES3_N6hipcub16HIPCUB_304000_NS22TransformInputIteratorIbN2at6native12_GLOBAL__N_19NonZeroOpIiEEPKilEEPiiNS8_6detail34convert_binary_result_type_wrapperINS8_3SumESH_iEEEE10hipError_tPvRmT1_T2_T3_mT4_P12ihipStream_tbEUlT_E1_NS1_11comp_targetILNS1_3genE2ELNS1_11target_archE906ELNS1_3gpuE6ELNS1_3repE0EEENS1_30default_config_static_selectorELNS0_4arch9wavefront6targetE0EEEvSQ_
	.p2align	8
	.type	_ZN7rocprim17ROCPRIM_400000_NS6detail17trampoline_kernelINS0_14default_configENS1_22reduce_config_selectorIbEEZNS1_11reduce_implILb1ES3_N6hipcub16HIPCUB_304000_NS22TransformInputIteratorIbN2at6native12_GLOBAL__N_19NonZeroOpIiEEPKilEEPiiNS8_6detail34convert_binary_result_type_wrapperINS8_3SumESH_iEEEE10hipError_tPvRmT1_T2_T3_mT4_P12ihipStream_tbEUlT_E1_NS1_11comp_targetILNS1_3genE2ELNS1_11target_archE906ELNS1_3gpuE6ELNS1_3repE0EEENS1_30default_config_static_selectorELNS0_4arch9wavefront6targetE0EEEvSQ_,@function
_ZN7rocprim17ROCPRIM_400000_NS6detail17trampoline_kernelINS0_14default_configENS1_22reduce_config_selectorIbEEZNS1_11reduce_implILb1ES3_N6hipcub16HIPCUB_304000_NS22TransformInputIteratorIbN2at6native12_GLOBAL__N_19NonZeroOpIiEEPKilEEPiiNS8_6detail34convert_binary_result_type_wrapperINS8_3SumESH_iEEEE10hipError_tPvRmT1_T2_T3_mT4_P12ihipStream_tbEUlT_E1_NS1_11comp_targetILNS1_3genE2ELNS1_11target_archE906ELNS1_3gpuE6ELNS1_3repE0EEENS1_30default_config_static_selectorELNS0_4arch9wavefront6targetE0EEEvSQ_: ; @_ZN7rocprim17ROCPRIM_400000_NS6detail17trampoline_kernelINS0_14default_configENS1_22reduce_config_selectorIbEEZNS1_11reduce_implILb1ES3_N6hipcub16HIPCUB_304000_NS22TransformInputIteratorIbN2at6native12_GLOBAL__N_19NonZeroOpIiEEPKilEEPiiNS8_6detail34convert_binary_result_type_wrapperINS8_3SumESH_iEEEE10hipError_tPvRmT1_T2_T3_mT4_P12ihipStream_tbEUlT_E1_NS1_11comp_targetILNS1_3genE2ELNS1_11target_archE906ELNS1_3gpuE6ELNS1_3repE0EEENS1_30default_config_static_selectorELNS0_4arch9wavefront6targetE0EEEvSQ_
; %bb.0:
	.section	.rodata,"a",@progbits
	.p2align	6, 0x0
	.amdhsa_kernel _ZN7rocprim17ROCPRIM_400000_NS6detail17trampoline_kernelINS0_14default_configENS1_22reduce_config_selectorIbEEZNS1_11reduce_implILb1ES3_N6hipcub16HIPCUB_304000_NS22TransformInputIteratorIbN2at6native12_GLOBAL__N_19NonZeroOpIiEEPKilEEPiiNS8_6detail34convert_binary_result_type_wrapperINS8_3SumESH_iEEEE10hipError_tPvRmT1_T2_T3_mT4_P12ihipStream_tbEUlT_E1_NS1_11comp_targetILNS1_3genE2ELNS1_11target_archE906ELNS1_3gpuE6ELNS1_3repE0EEENS1_30default_config_static_selectorELNS0_4arch9wavefront6targetE0EEEvSQ_
		.amdhsa_group_segment_fixed_size 0
		.amdhsa_private_segment_fixed_size 0
		.amdhsa_kernarg_size 48
		.amdhsa_user_sgpr_count 2
		.amdhsa_user_sgpr_dispatch_ptr 0
		.amdhsa_user_sgpr_queue_ptr 0
		.amdhsa_user_sgpr_kernarg_segment_ptr 1
		.amdhsa_user_sgpr_dispatch_id 0
		.amdhsa_user_sgpr_private_segment_size 0
		.amdhsa_wavefront_size32 1
		.amdhsa_uses_dynamic_stack 0
		.amdhsa_enable_private_segment 0
		.amdhsa_system_sgpr_workgroup_id_x 1
		.amdhsa_system_sgpr_workgroup_id_y 0
		.amdhsa_system_sgpr_workgroup_id_z 0
		.amdhsa_system_sgpr_workgroup_info 0
		.amdhsa_system_vgpr_workitem_id 0
		.amdhsa_next_free_vgpr 1
		.amdhsa_next_free_sgpr 1
		.amdhsa_reserve_vcc 0
		.amdhsa_float_round_mode_32 0
		.amdhsa_float_round_mode_16_64 0
		.amdhsa_float_denorm_mode_32 3
		.amdhsa_float_denorm_mode_16_64 3
		.amdhsa_fp16_overflow 0
		.amdhsa_workgroup_processor_mode 1
		.amdhsa_memory_ordered 1
		.amdhsa_forward_progress 1
		.amdhsa_inst_pref_size 0
		.amdhsa_round_robin_scheduling 0
		.amdhsa_exception_fp_ieee_invalid_op 0
		.amdhsa_exception_fp_denorm_src 0
		.amdhsa_exception_fp_ieee_div_zero 0
		.amdhsa_exception_fp_ieee_overflow 0
		.amdhsa_exception_fp_ieee_underflow 0
		.amdhsa_exception_fp_ieee_inexact 0
		.amdhsa_exception_int_div_zero 0
	.end_amdhsa_kernel
	.section	.text._ZN7rocprim17ROCPRIM_400000_NS6detail17trampoline_kernelINS0_14default_configENS1_22reduce_config_selectorIbEEZNS1_11reduce_implILb1ES3_N6hipcub16HIPCUB_304000_NS22TransformInputIteratorIbN2at6native12_GLOBAL__N_19NonZeroOpIiEEPKilEEPiiNS8_6detail34convert_binary_result_type_wrapperINS8_3SumESH_iEEEE10hipError_tPvRmT1_T2_T3_mT4_P12ihipStream_tbEUlT_E1_NS1_11comp_targetILNS1_3genE2ELNS1_11target_archE906ELNS1_3gpuE6ELNS1_3repE0EEENS1_30default_config_static_selectorELNS0_4arch9wavefront6targetE0EEEvSQ_,"axG",@progbits,_ZN7rocprim17ROCPRIM_400000_NS6detail17trampoline_kernelINS0_14default_configENS1_22reduce_config_selectorIbEEZNS1_11reduce_implILb1ES3_N6hipcub16HIPCUB_304000_NS22TransformInputIteratorIbN2at6native12_GLOBAL__N_19NonZeroOpIiEEPKilEEPiiNS8_6detail34convert_binary_result_type_wrapperINS8_3SumESH_iEEEE10hipError_tPvRmT1_T2_T3_mT4_P12ihipStream_tbEUlT_E1_NS1_11comp_targetILNS1_3genE2ELNS1_11target_archE906ELNS1_3gpuE6ELNS1_3repE0EEENS1_30default_config_static_selectorELNS0_4arch9wavefront6targetE0EEEvSQ_,comdat
.Lfunc_end181:
	.size	_ZN7rocprim17ROCPRIM_400000_NS6detail17trampoline_kernelINS0_14default_configENS1_22reduce_config_selectorIbEEZNS1_11reduce_implILb1ES3_N6hipcub16HIPCUB_304000_NS22TransformInputIteratorIbN2at6native12_GLOBAL__N_19NonZeroOpIiEEPKilEEPiiNS8_6detail34convert_binary_result_type_wrapperINS8_3SumESH_iEEEE10hipError_tPvRmT1_T2_T3_mT4_P12ihipStream_tbEUlT_E1_NS1_11comp_targetILNS1_3genE2ELNS1_11target_archE906ELNS1_3gpuE6ELNS1_3repE0EEENS1_30default_config_static_selectorELNS0_4arch9wavefront6targetE0EEEvSQ_, .Lfunc_end181-_ZN7rocprim17ROCPRIM_400000_NS6detail17trampoline_kernelINS0_14default_configENS1_22reduce_config_selectorIbEEZNS1_11reduce_implILb1ES3_N6hipcub16HIPCUB_304000_NS22TransformInputIteratorIbN2at6native12_GLOBAL__N_19NonZeroOpIiEEPKilEEPiiNS8_6detail34convert_binary_result_type_wrapperINS8_3SumESH_iEEEE10hipError_tPvRmT1_T2_T3_mT4_P12ihipStream_tbEUlT_E1_NS1_11comp_targetILNS1_3genE2ELNS1_11target_archE906ELNS1_3gpuE6ELNS1_3repE0EEENS1_30default_config_static_selectorELNS0_4arch9wavefront6targetE0EEEvSQ_
                                        ; -- End function
	.set _ZN7rocprim17ROCPRIM_400000_NS6detail17trampoline_kernelINS0_14default_configENS1_22reduce_config_selectorIbEEZNS1_11reduce_implILb1ES3_N6hipcub16HIPCUB_304000_NS22TransformInputIteratorIbN2at6native12_GLOBAL__N_19NonZeroOpIiEEPKilEEPiiNS8_6detail34convert_binary_result_type_wrapperINS8_3SumESH_iEEEE10hipError_tPvRmT1_T2_T3_mT4_P12ihipStream_tbEUlT_E1_NS1_11comp_targetILNS1_3genE2ELNS1_11target_archE906ELNS1_3gpuE6ELNS1_3repE0EEENS1_30default_config_static_selectorELNS0_4arch9wavefront6targetE0EEEvSQ_.num_vgpr, 0
	.set _ZN7rocprim17ROCPRIM_400000_NS6detail17trampoline_kernelINS0_14default_configENS1_22reduce_config_selectorIbEEZNS1_11reduce_implILb1ES3_N6hipcub16HIPCUB_304000_NS22TransformInputIteratorIbN2at6native12_GLOBAL__N_19NonZeroOpIiEEPKilEEPiiNS8_6detail34convert_binary_result_type_wrapperINS8_3SumESH_iEEEE10hipError_tPvRmT1_T2_T3_mT4_P12ihipStream_tbEUlT_E1_NS1_11comp_targetILNS1_3genE2ELNS1_11target_archE906ELNS1_3gpuE6ELNS1_3repE0EEENS1_30default_config_static_selectorELNS0_4arch9wavefront6targetE0EEEvSQ_.num_agpr, 0
	.set _ZN7rocprim17ROCPRIM_400000_NS6detail17trampoline_kernelINS0_14default_configENS1_22reduce_config_selectorIbEEZNS1_11reduce_implILb1ES3_N6hipcub16HIPCUB_304000_NS22TransformInputIteratorIbN2at6native12_GLOBAL__N_19NonZeroOpIiEEPKilEEPiiNS8_6detail34convert_binary_result_type_wrapperINS8_3SumESH_iEEEE10hipError_tPvRmT1_T2_T3_mT4_P12ihipStream_tbEUlT_E1_NS1_11comp_targetILNS1_3genE2ELNS1_11target_archE906ELNS1_3gpuE6ELNS1_3repE0EEENS1_30default_config_static_selectorELNS0_4arch9wavefront6targetE0EEEvSQ_.numbered_sgpr, 0
	.set _ZN7rocprim17ROCPRIM_400000_NS6detail17trampoline_kernelINS0_14default_configENS1_22reduce_config_selectorIbEEZNS1_11reduce_implILb1ES3_N6hipcub16HIPCUB_304000_NS22TransformInputIteratorIbN2at6native12_GLOBAL__N_19NonZeroOpIiEEPKilEEPiiNS8_6detail34convert_binary_result_type_wrapperINS8_3SumESH_iEEEE10hipError_tPvRmT1_T2_T3_mT4_P12ihipStream_tbEUlT_E1_NS1_11comp_targetILNS1_3genE2ELNS1_11target_archE906ELNS1_3gpuE6ELNS1_3repE0EEENS1_30default_config_static_selectorELNS0_4arch9wavefront6targetE0EEEvSQ_.num_named_barrier, 0
	.set _ZN7rocprim17ROCPRIM_400000_NS6detail17trampoline_kernelINS0_14default_configENS1_22reduce_config_selectorIbEEZNS1_11reduce_implILb1ES3_N6hipcub16HIPCUB_304000_NS22TransformInputIteratorIbN2at6native12_GLOBAL__N_19NonZeroOpIiEEPKilEEPiiNS8_6detail34convert_binary_result_type_wrapperINS8_3SumESH_iEEEE10hipError_tPvRmT1_T2_T3_mT4_P12ihipStream_tbEUlT_E1_NS1_11comp_targetILNS1_3genE2ELNS1_11target_archE906ELNS1_3gpuE6ELNS1_3repE0EEENS1_30default_config_static_selectorELNS0_4arch9wavefront6targetE0EEEvSQ_.private_seg_size, 0
	.set _ZN7rocprim17ROCPRIM_400000_NS6detail17trampoline_kernelINS0_14default_configENS1_22reduce_config_selectorIbEEZNS1_11reduce_implILb1ES3_N6hipcub16HIPCUB_304000_NS22TransformInputIteratorIbN2at6native12_GLOBAL__N_19NonZeroOpIiEEPKilEEPiiNS8_6detail34convert_binary_result_type_wrapperINS8_3SumESH_iEEEE10hipError_tPvRmT1_T2_T3_mT4_P12ihipStream_tbEUlT_E1_NS1_11comp_targetILNS1_3genE2ELNS1_11target_archE906ELNS1_3gpuE6ELNS1_3repE0EEENS1_30default_config_static_selectorELNS0_4arch9wavefront6targetE0EEEvSQ_.uses_vcc, 0
	.set _ZN7rocprim17ROCPRIM_400000_NS6detail17trampoline_kernelINS0_14default_configENS1_22reduce_config_selectorIbEEZNS1_11reduce_implILb1ES3_N6hipcub16HIPCUB_304000_NS22TransformInputIteratorIbN2at6native12_GLOBAL__N_19NonZeroOpIiEEPKilEEPiiNS8_6detail34convert_binary_result_type_wrapperINS8_3SumESH_iEEEE10hipError_tPvRmT1_T2_T3_mT4_P12ihipStream_tbEUlT_E1_NS1_11comp_targetILNS1_3genE2ELNS1_11target_archE906ELNS1_3gpuE6ELNS1_3repE0EEENS1_30default_config_static_selectorELNS0_4arch9wavefront6targetE0EEEvSQ_.uses_flat_scratch, 0
	.set _ZN7rocprim17ROCPRIM_400000_NS6detail17trampoline_kernelINS0_14default_configENS1_22reduce_config_selectorIbEEZNS1_11reduce_implILb1ES3_N6hipcub16HIPCUB_304000_NS22TransformInputIteratorIbN2at6native12_GLOBAL__N_19NonZeroOpIiEEPKilEEPiiNS8_6detail34convert_binary_result_type_wrapperINS8_3SumESH_iEEEE10hipError_tPvRmT1_T2_T3_mT4_P12ihipStream_tbEUlT_E1_NS1_11comp_targetILNS1_3genE2ELNS1_11target_archE906ELNS1_3gpuE6ELNS1_3repE0EEENS1_30default_config_static_selectorELNS0_4arch9wavefront6targetE0EEEvSQ_.has_dyn_sized_stack, 0
	.set _ZN7rocprim17ROCPRIM_400000_NS6detail17trampoline_kernelINS0_14default_configENS1_22reduce_config_selectorIbEEZNS1_11reduce_implILb1ES3_N6hipcub16HIPCUB_304000_NS22TransformInputIteratorIbN2at6native12_GLOBAL__N_19NonZeroOpIiEEPKilEEPiiNS8_6detail34convert_binary_result_type_wrapperINS8_3SumESH_iEEEE10hipError_tPvRmT1_T2_T3_mT4_P12ihipStream_tbEUlT_E1_NS1_11comp_targetILNS1_3genE2ELNS1_11target_archE906ELNS1_3gpuE6ELNS1_3repE0EEENS1_30default_config_static_selectorELNS0_4arch9wavefront6targetE0EEEvSQ_.has_recursion, 0
	.set _ZN7rocprim17ROCPRIM_400000_NS6detail17trampoline_kernelINS0_14default_configENS1_22reduce_config_selectorIbEEZNS1_11reduce_implILb1ES3_N6hipcub16HIPCUB_304000_NS22TransformInputIteratorIbN2at6native12_GLOBAL__N_19NonZeroOpIiEEPKilEEPiiNS8_6detail34convert_binary_result_type_wrapperINS8_3SumESH_iEEEE10hipError_tPvRmT1_T2_T3_mT4_P12ihipStream_tbEUlT_E1_NS1_11comp_targetILNS1_3genE2ELNS1_11target_archE906ELNS1_3gpuE6ELNS1_3repE0EEENS1_30default_config_static_selectorELNS0_4arch9wavefront6targetE0EEEvSQ_.has_indirect_call, 0
	.section	.AMDGPU.csdata,"",@progbits
; Kernel info:
; codeLenInByte = 0
; TotalNumSgprs: 0
; NumVgprs: 0
; ScratchSize: 0
; MemoryBound: 0
; FloatMode: 240
; IeeeMode: 1
; LDSByteSize: 0 bytes/workgroup (compile time only)
; SGPRBlocks: 0
; VGPRBlocks: 0
; NumSGPRsForWavesPerEU: 1
; NumVGPRsForWavesPerEU: 1
; Occupancy: 16
; WaveLimiterHint : 0
; COMPUTE_PGM_RSRC2:SCRATCH_EN: 0
; COMPUTE_PGM_RSRC2:USER_SGPR: 2
; COMPUTE_PGM_RSRC2:TRAP_HANDLER: 0
; COMPUTE_PGM_RSRC2:TGID_X_EN: 1
; COMPUTE_PGM_RSRC2:TGID_Y_EN: 0
; COMPUTE_PGM_RSRC2:TGID_Z_EN: 0
; COMPUTE_PGM_RSRC2:TIDIG_COMP_CNT: 0
	.section	.text._ZN7rocprim17ROCPRIM_400000_NS6detail17trampoline_kernelINS0_14default_configENS1_22reduce_config_selectorIbEEZNS1_11reduce_implILb1ES3_N6hipcub16HIPCUB_304000_NS22TransformInputIteratorIbN2at6native12_GLOBAL__N_19NonZeroOpIiEEPKilEEPiiNS8_6detail34convert_binary_result_type_wrapperINS8_3SumESH_iEEEE10hipError_tPvRmT1_T2_T3_mT4_P12ihipStream_tbEUlT_E1_NS1_11comp_targetILNS1_3genE10ELNS1_11target_archE1201ELNS1_3gpuE5ELNS1_3repE0EEENS1_30default_config_static_selectorELNS0_4arch9wavefront6targetE0EEEvSQ_,"axG",@progbits,_ZN7rocprim17ROCPRIM_400000_NS6detail17trampoline_kernelINS0_14default_configENS1_22reduce_config_selectorIbEEZNS1_11reduce_implILb1ES3_N6hipcub16HIPCUB_304000_NS22TransformInputIteratorIbN2at6native12_GLOBAL__N_19NonZeroOpIiEEPKilEEPiiNS8_6detail34convert_binary_result_type_wrapperINS8_3SumESH_iEEEE10hipError_tPvRmT1_T2_T3_mT4_P12ihipStream_tbEUlT_E1_NS1_11comp_targetILNS1_3genE10ELNS1_11target_archE1201ELNS1_3gpuE5ELNS1_3repE0EEENS1_30default_config_static_selectorELNS0_4arch9wavefront6targetE0EEEvSQ_,comdat
	.globl	_ZN7rocprim17ROCPRIM_400000_NS6detail17trampoline_kernelINS0_14default_configENS1_22reduce_config_selectorIbEEZNS1_11reduce_implILb1ES3_N6hipcub16HIPCUB_304000_NS22TransformInputIteratorIbN2at6native12_GLOBAL__N_19NonZeroOpIiEEPKilEEPiiNS8_6detail34convert_binary_result_type_wrapperINS8_3SumESH_iEEEE10hipError_tPvRmT1_T2_T3_mT4_P12ihipStream_tbEUlT_E1_NS1_11comp_targetILNS1_3genE10ELNS1_11target_archE1201ELNS1_3gpuE5ELNS1_3repE0EEENS1_30default_config_static_selectorELNS0_4arch9wavefront6targetE0EEEvSQ_ ; -- Begin function _ZN7rocprim17ROCPRIM_400000_NS6detail17trampoline_kernelINS0_14default_configENS1_22reduce_config_selectorIbEEZNS1_11reduce_implILb1ES3_N6hipcub16HIPCUB_304000_NS22TransformInputIteratorIbN2at6native12_GLOBAL__N_19NonZeroOpIiEEPKilEEPiiNS8_6detail34convert_binary_result_type_wrapperINS8_3SumESH_iEEEE10hipError_tPvRmT1_T2_T3_mT4_P12ihipStream_tbEUlT_E1_NS1_11comp_targetILNS1_3genE10ELNS1_11target_archE1201ELNS1_3gpuE5ELNS1_3repE0EEENS1_30default_config_static_selectorELNS0_4arch9wavefront6targetE0EEEvSQ_
	.p2align	8
	.type	_ZN7rocprim17ROCPRIM_400000_NS6detail17trampoline_kernelINS0_14default_configENS1_22reduce_config_selectorIbEEZNS1_11reduce_implILb1ES3_N6hipcub16HIPCUB_304000_NS22TransformInputIteratorIbN2at6native12_GLOBAL__N_19NonZeroOpIiEEPKilEEPiiNS8_6detail34convert_binary_result_type_wrapperINS8_3SumESH_iEEEE10hipError_tPvRmT1_T2_T3_mT4_P12ihipStream_tbEUlT_E1_NS1_11comp_targetILNS1_3genE10ELNS1_11target_archE1201ELNS1_3gpuE5ELNS1_3repE0EEENS1_30default_config_static_selectorELNS0_4arch9wavefront6targetE0EEEvSQ_,@function
_ZN7rocprim17ROCPRIM_400000_NS6detail17trampoline_kernelINS0_14default_configENS1_22reduce_config_selectorIbEEZNS1_11reduce_implILb1ES3_N6hipcub16HIPCUB_304000_NS22TransformInputIteratorIbN2at6native12_GLOBAL__N_19NonZeroOpIiEEPKilEEPiiNS8_6detail34convert_binary_result_type_wrapperINS8_3SumESH_iEEEE10hipError_tPvRmT1_T2_T3_mT4_P12ihipStream_tbEUlT_E1_NS1_11comp_targetILNS1_3genE10ELNS1_11target_archE1201ELNS1_3gpuE5ELNS1_3repE0EEENS1_30default_config_static_selectorELNS0_4arch9wavefront6targetE0EEEvSQ_: ; @_ZN7rocprim17ROCPRIM_400000_NS6detail17trampoline_kernelINS0_14default_configENS1_22reduce_config_selectorIbEEZNS1_11reduce_implILb1ES3_N6hipcub16HIPCUB_304000_NS22TransformInputIteratorIbN2at6native12_GLOBAL__N_19NonZeroOpIiEEPKilEEPiiNS8_6detail34convert_binary_result_type_wrapperINS8_3SumESH_iEEEE10hipError_tPvRmT1_T2_T3_mT4_P12ihipStream_tbEUlT_E1_NS1_11comp_targetILNS1_3genE10ELNS1_11target_archE1201ELNS1_3gpuE5ELNS1_3repE0EEENS1_30default_config_static_selectorELNS0_4arch9wavefront6targetE0EEEvSQ_
; %bb.0:
	s_clause 0x2
	s_load_b32 s44, s[0:1], 0x4
	s_load_b64 s[40:41], s[0:1], 0x8
	s_load_b128 s[36:39], s[0:1], 0x18
	s_mov_b32 s34, ttmp9
	s_wait_kmcnt 0x0
	s_cmp_lt_i32 s44, 16
	s_cbranch_scc1 .LBB182_12
; %bb.1:
	s_cmp_gt_i32 s44, 63
	s_cbranch_scc0 .LBB182_13
; %bb.2:
	s_cmp_gt_i32 s44, 0x7f
	s_cbranch_scc0 .LBB182_22
; %bb.3:
	s_cmp_eq_u32 s44, 0x80
	s_mov_b32 s6, 0
	s_cbranch_scc0 .LBB182_23
; %bb.4:
	s_mov_b32 s35, 0
	s_lshl_b32 s4, s34, 15
	s_mov_b32 s5, s35
	s_lshr_b64 s[2:3], s[36:37], 15
	s_lshl_b64 s[8:9], s[4:5], 2
	s_cmp_lg_u64 s[2:3], s[34:35]
	s_add_nc_u64 s[2:3], s[40:41], s[8:9]
	s_cbranch_scc0 .LBB182_34
; %bb.5:
	v_lshlrev_b32_e32 v1, 2, v0
	s_mov_b32 s5, exec_lo
	s_clause 0x1f
	global_load_b32 v2, v1, s[2:3]
	global_load_b32 v3, v1, s[2:3] offset:2048
	global_load_b32 v4, v1, s[2:3] offset:1024
	global_load_b32 v5, v1, s[2:3] offset:4096
	global_load_b32 v6, v1, s[2:3] offset:3072
	global_load_b32 v7, v1, s[2:3] offset:6144
	global_load_b32 v8, v1, s[2:3] offset:5120
	global_load_b32 v9, v1, s[2:3] offset:8192
	global_load_b32 v10, v1, s[2:3] offset:7168
	global_load_b32 v11, v1, s[2:3] offset:10240
	global_load_b32 v12, v1, s[2:3] offset:9216
	global_load_b32 v13, v1, s[2:3] offset:12288
	global_load_b32 v14, v1, s[2:3] offset:11264
	global_load_b32 v15, v1, s[2:3] offset:14336
	global_load_b32 v16, v1, s[2:3] offset:13312
	global_load_b32 v17, v1, s[2:3] offset:16384
	global_load_b32 v18, v1, s[2:3] offset:15360
	global_load_b32 v19, v1, s[2:3] offset:18432
	global_load_b32 v20, v1, s[2:3] offset:17408
	global_load_b32 v21, v1, s[2:3] offset:20480
	global_load_b32 v22, v1, s[2:3] offset:19456
	global_load_b32 v23, v1, s[2:3] offset:22528
	global_load_b32 v24, v1, s[2:3] offset:21504
	global_load_b32 v25, v1, s[2:3] offset:24576
	global_load_b32 v26, v1, s[2:3] offset:23552
	global_load_b32 v27, v1, s[2:3] offset:26624
	global_load_b32 v28, v1, s[2:3] offset:25600
	global_load_b32 v29, v1, s[2:3] offset:28672
	global_load_b32 v30, v1, s[2:3] offset:27648
	global_load_b32 v31, v1, s[2:3] offset:30720
	global_load_b32 v32, v1, s[2:3] offset:29696
	global_load_b32 v33, v1, s[2:3] offset:32768
	s_clause 0x1f
	global_load_b32 v34, v1, s[2:3] offset:31744
	global_load_b32 v35, v1, s[2:3] offset:34816
	global_load_b32 v36, v1, s[2:3] offset:33792
	global_load_b32 v37, v1, s[2:3] offset:36864
	global_load_b32 v38, v1, s[2:3] offset:35840
	global_load_b32 v39, v1, s[2:3] offset:38912
	global_load_b32 v40, v1, s[2:3] offset:37888
	global_load_b32 v41, v1, s[2:3] offset:40960
	global_load_b32 v42, v1, s[2:3] offset:39936
	global_load_b32 v43, v1, s[2:3] offset:43008
	global_load_b32 v44, v1, s[2:3] offset:41984
	global_load_b32 v45, v1, s[2:3] offset:45056
	global_load_b32 v46, v1, s[2:3] offset:44032
	global_load_b32 v47, v1, s[2:3] offset:47104
	global_load_b32 v48, v1, s[2:3] offset:46080
	global_load_b32 v49, v1, s[2:3] offset:49152
	global_load_b32 v50, v1, s[2:3] offset:48128
	global_load_b32 v51, v1, s[2:3] offset:51200
	global_load_b32 v52, v1, s[2:3] offset:50176
	global_load_b32 v53, v1, s[2:3] offset:53248
	global_load_b32 v54, v1, s[2:3] offset:52224
	global_load_b32 v55, v1, s[2:3] offset:55296
	global_load_b32 v56, v1, s[2:3] offset:54272
	global_load_b32 v57, v1, s[2:3] offset:57344
	global_load_b32 v58, v1, s[2:3] offset:56320
	global_load_b32 v59, v1, s[2:3] offset:59392
	global_load_b32 v60, v1, s[2:3] offset:58368
	global_load_b32 v61, v1, s[2:3] offset:61440
	global_load_b32 v62, v1, s[2:3] offset:60416
	global_load_b32 v63, v1, s[2:3] offset:63488
	global_load_b32 v64, v1, s[2:3] offset:62464
	global_load_b32 v65, v1, s[2:3] offset:65536
	s_clause 0x1f
	global_load_b32 v66, v1, s[2:3] offset:64512
	;; [unrolled: 33-line block ×3, first 2 shown]
	global_load_b32 v99, v1, s[2:3] offset:100352
	global_load_b32 v100, v1, s[2:3] offset:99328
	;; [unrolled: 1-line block ×31, first 2 shown]
	s_wait_loadcnt 0x3e
	v_cmp_ne_u32_e32 vcc_lo, 0, v2
	v_cndmask_b32_e64 v2, 0, 1, vcc_lo
	v_cmp_ne_u32_e32 vcc_lo, 0, v3
	s_wait_alu 0xfffd
	v_cndmask_b32_e64 v3, 0, 1, vcc_lo
	v_cmp_ne_u32_e32 vcc_lo, 0, v4
	s_wait_alu 0xfffd
	v_add_co_ci_u32_e64 v2, null, 0, v2, vcc_lo
	v_cmp_ne_u32_e32 vcc_lo, 0, v5
	s_wait_alu 0xfffd
	v_cndmask_b32_e64 v4, 0, 1, vcc_lo
	v_cmp_ne_u32_e32 vcc_lo, 0, v6
	s_wait_alu 0xfffd
	v_add_co_ci_u32_e64 v2, null, v2, v3, vcc_lo
	;; [unrolled: 6-line block ×32, first 2 shown]
	v_cmp_ne_u32_e32 vcc_lo, 0, v67
	s_wait_alu 0xfffd
	v_cndmask_b32_e64 v3, 0, 1, vcc_lo
	s_wait_loadcnt 0x3d
	v_cmp_ne_u32_e32 vcc_lo, 0, v68
	s_wait_alu 0xfffd
	v_add_co_ci_u32_e64 v2, null, v2, v4, vcc_lo
	s_wait_loadcnt 0x3c
	v_cmp_ne_u32_e32 vcc_lo, 0, v69
	s_wait_alu 0xfffd
	v_cndmask_b32_e64 v4, 0, 1, vcc_lo
	s_wait_loadcnt 0x3b
	v_cmp_ne_u32_e32 vcc_lo, 0, v70
	s_wait_alu 0xfffd
	v_add_co_ci_u32_e64 v2, null, v2, v3, vcc_lo
	s_wait_loadcnt 0x3a
	;; [unrolled: 8-line block ×31, first 2 shown]
	v_cmp_ne_u32_e32 vcc_lo, 0, v1
	s_wait_alu 0xfffd
	s_delay_alu instid0(VALU_DEP_2) | instskip(NEXT) | instid1(VALU_DEP_1)
	v_add_co_ci_u32_e64 v1, null, v2, v3, vcc_lo
	v_mov_b32_dpp v2, v1 quad_perm:[1,0,3,2] row_mask:0xf bank_mask:0xf
	s_delay_alu instid0(VALU_DEP_1) | instskip(NEXT) | instid1(VALU_DEP_1)
	v_add_nc_u32_e32 v1, v1, v2
	v_mov_b32_dpp v2, v1 quad_perm:[2,3,0,1] row_mask:0xf bank_mask:0xf
	s_delay_alu instid0(VALU_DEP_1) | instskip(NEXT) | instid1(VALU_DEP_1)
	v_add_nc_u32_e32 v1, v1, v2
	v_mov_b32_dpp v2, v1 row_ror:4 row_mask:0xf bank_mask:0xf
	s_delay_alu instid0(VALU_DEP_1) | instskip(NEXT) | instid1(VALU_DEP_1)
	v_add_nc_u32_e32 v1, v1, v2
	v_mov_b32_dpp v2, v1 row_ror:8 row_mask:0xf bank_mask:0xf
	s_delay_alu instid0(VALU_DEP_1)
	v_add_nc_u32_e32 v1, v1, v2
	ds_swizzle_b32 v2, v1 offset:swizzle(BROADCAST,32,15)
	s_wait_dscnt 0x0
	v_dual_mov_b32 v2, 0 :: v_dual_add_nc_u32 v1, v1, v2
	ds_bpermute_b32 v1, v2, v1 offset:124
	v_mbcnt_lo_u32_b32 v2, -1, 0
	s_delay_alu instid0(VALU_DEP_1)
	v_cmpx_eq_u32_e32 0, v2
	s_cbranch_execz .LBB182_7
; %bb.6:
	v_lshrrev_b32_e32 v3, 3, v0
	s_delay_alu instid0(VALU_DEP_1)
	v_and_b32_e32 v3, 28, v3
	s_wait_dscnt 0x0
	ds_store_b32 v3, v1
.LBB182_7:
	s_or_b32 exec_lo, exec_lo, s5
	s_delay_alu instid0(SALU_CYCLE_1)
	s_mov_b32 s5, exec_lo
	s_wait_dscnt 0x0
	s_barrier_signal -1
	s_barrier_wait -1
	global_inv scope:SCOPE_SE
	v_cmpx_gt_u32_e32 32, v0
	s_cbranch_execz .LBB182_9
; %bb.8:
	v_and_b32_e32 v1, 7, v2
	s_delay_alu instid0(VALU_DEP_1)
	v_lshlrev_b32_e32 v3, 2, v1
	v_cmp_ne_u32_e32 vcc_lo, 7, v1
	ds_load_b32 v3, v3
	s_wait_alu 0xfffd
	v_add_co_ci_u32_e64 v4, null, 0, v2, vcc_lo
	v_cmp_gt_u32_e32 vcc_lo, 6, v1
	s_delay_alu instid0(VALU_DEP_2) | instskip(SKIP_2) | instid1(VALU_DEP_1)
	v_lshlrev_b32_e32 v4, 2, v4
	s_wait_alu 0xfffd
	v_cndmask_b32_e64 v1, 0, 2, vcc_lo
	v_add_lshl_u32 v1, v1, v2, 2
	v_lshlrev_b32_e32 v2, 2, v2
	s_delay_alu instid0(VALU_DEP_1)
	v_or_b32_e32 v2, 16, v2
	s_wait_dscnt 0x0
	ds_bpermute_b32 v4, v4, v3
	s_wait_dscnt 0x0
	v_add_nc_u32_e32 v3, v4, v3
	ds_bpermute_b32 v1, v1, v3
	s_wait_dscnt 0x0
	v_add_nc_u32_e32 v1, v1, v3
	;; [unrolled: 3-line block ×3, first 2 shown]
.LBB182_9:
	s_or_b32 exec_lo, exec_lo, s5
.LBB182_10:
	v_cmp_eq_u32_e64 s2, 0, v0
	s_and_b32 vcc_lo, exec_lo, s6
	s_wait_alu 0xfffe
	s_cbranch_vccnz .LBB182_24
.LBB182_11:
	s_branch .LBB182_512
.LBB182_12:
	s_mov_b32 s2, 0
                                        ; implicit-def: $vgpr1
	s_cbranch_execz .LBB182_623
	s_branch .LBB182_513
.LBB182_13:
	s_mov_b32 s2, 0
                                        ; implicit-def: $vgpr1
	s_cbranch_execz .LBB182_512
; %bb.14:
	s_cmp_gt_i32 s44, 31
	s_cbranch_scc0 .LBB182_31
; %bb.15:
	s_cmp_eq_u32 s44, 32
	s_cbranch_scc0 .LBB182_32
; %bb.16:
	s_mov_b32 s35, 0
	s_lshl_b32 s2, s34, 13
	s_mov_b32 s3, s35
	s_lshr_b64 s[4:5], s[36:37], 13
	s_lshl_b64 s[6:7], s[2:3], 2
	s_cmp_lg_u64 s[4:5], s[34:35]
	s_add_nc_u64 s[42:43], s[40:41], s[6:7]
	s_cbranch_scc0 .LBB182_296
; %bb.17:
	v_lshlrev_b32_e32 v1, 2, v0
	s_mov_b32 s3, exec_lo
	s_clause 0x1f
	global_load_b32 v2, v1, s[42:43]
	global_load_b32 v3, v1, s[42:43] offset:2048
	global_load_b32 v4, v1, s[42:43] offset:1024
	;; [unrolled: 1-line block ×31, first 2 shown]
	s_wait_loadcnt 0x1f
	v_cmp_ne_u32_e32 vcc_lo, 0, v2
	v_cndmask_b32_e64 v2, 0, 1, vcc_lo
	s_wait_loadcnt 0x1e
	v_cmp_ne_u32_e32 vcc_lo, 0, v3
	s_wait_alu 0xfffd
	v_cndmask_b32_e64 v3, 0, 1, vcc_lo
	s_wait_loadcnt 0x1d
	v_cmp_ne_u32_e32 vcc_lo, 0, v4
	s_wait_alu 0xfffd
	v_add_co_ci_u32_e64 v2, null, 0, v2, vcc_lo
	s_wait_loadcnt 0x1c
	v_cmp_ne_u32_e32 vcc_lo, 0, v5
	s_wait_alu 0xfffd
	v_cndmask_b32_e64 v4, 0, 1, vcc_lo
	s_wait_loadcnt 0x1b
	v_cmp_ne_u32_e32 vcc_lo, 0, v6
	s_wait_alu 0xfffd
	v_add_co_ci_u32_e64 v2, null, v2, v3, vcc_lo
	s_wait_loadcnt 0x1a
	v_cmp_ne_u32_e32 vcc_lo, 0, v7
	s_wait_alu 0xfffd
	v_cndmask_b32_e64 v3, 0, 1, vcc_lo
	s_wait_loadcnt 0x19
	v_cmp_ne_u32_e32 vcc_lo, 0, v8
	s_wait_alu 0xfffd
	v_add_co_ci_u32_e64 v2, null, v2, v4, vcc_lo
	s_wait_loadcnt 0x18
	v_cmp_ne_u32_e32 vcc_lo, 0, v9
	s_wait_alu 0xfffd
	v_cndmask_b32_e64 v4, 0, 1, vcc_lo
	s_wait_loadcnt 0x17
	v_cmp_ne_u32_e32 vcc_lo, 0, v10
	s_wait_alu 0xfffd
	v_add_co_ci_u32_e64 v2, null, v2, v3, vcc_lo
	s_wait_loadcnt 0x16
	v_cmp_ne_u32_e32 vcc_lo, 0, v11
	s_wait_alu 0xfffd
	v_cndmask_b32_e64 v3, 0, 1, vcc_lo
	s_wait_loadcnt 0x15
	v_cmp_ne_u32_e32 vcc_lo, 0, v12
	s_wait_alu 0xfffd
	v_add_co_ci_u32_e64 v2, null, v2, v4, vcc_lo
	s_wait_loadcnt 0x14
	v_cmp_ne_u32_e32 vcc_lo, 0, v13
	s_wait_alu 0xfffd
	v_cndmask_b32_e64 v4, 0, 1, vcc_lo
	s_wait_loadcnt 0x13
	v_cmp_ne_u32_e32 vcc_lo, 0, v14
	s_wait_alu 0xfffd
	v_add_co_ci_u32_e64 v2, null, v2, v3, vcc_lo
	s_wait_loadcnt 0x12
	v_cmp_ne_u32_e32 vcc_lo, 0, v15
	s_wait_alu 0xfffd
	v_cndmask_b32_e64 v3, 0, 1, vcc_lo
	s_wait_loadcnt 0x11
	v_cmp_ne_u32_e32 vcc_lo, 0, v16
	s_wait_alu 0xfffd
	v_add_co_ci_u32_e64 v2, null, v2, v4, vcc_lo
	s_wait_loadcnt 0x10
	v_cmp_ne_u32_e32 vcc_lo, 0, v17
	s_wait_alu 0xfffd
	v_cndmask_b32_e64 v4, 0, 1, vcc_lo
	s_wait_loadcnt 0xf
	v_cmp_ne_u32_e32 vcc_lo, 0, v18
	s_wait_alu 0xfffd
	v_add_co_ci_u32_e64 v2, null, v2, v3, vcc_lo
	s_wait_loadcnt 0xe
	v_cmp_ne_u32_e32 vcc_lo, 0, v19
	s_wait_alu 0xfffd
	v_cndmask_b32_e64 v3, 0, 1, vcc_lo
	s_wait_loadcnt 0xd
	v_cmp_ne_u32_e32 vcc_lo, 0, v20
	s_wait_alu 0xfffd
	v_add_co_ci_u32_e64 v2, null, v2, v4, vcc_lo
	s_wait_loadcnt 0xc
	v_cmp_ne_u32_e32 vcc_lo, 0, v21
	s_wait_alu 0xfffd
	v_cndmask_b32_e64 v4, 0, 1, vcc_lo
	s_wait_loadcnt 0xb
	v_cmp_ne_u32_e32 vcc_lo, 0, v22
	s_wait_alu 0xfffd
	v_add_co_ci_u32_e64 v2, null, v2, v3, vcc_lo
	s_wait_loadcnt 0xa
	v_cmp_ne_u32_e32 vcc_lo, 0, v23
	s_wait_alu 0xfffd
	v_cndmask_b32_e64 v3, 0, 1, vcc_lo
	s_wait_loadcnt 0x9
	v_cmp_ne_u32_e32 vcc_lo, 0, v24
	s_wait_alu 0xfffd
	v_add_co_ci_u32_e64 v2, null, v2, v4, vcc_lo
	s_wait_loadcnt 0x8
	v_cmp_ne_u32_e32 vcc_lo, 0, v25
	s_wait_alu 0xfffd
	v_cndmask_b32_e64 v4, 0, 1, vcc_lo
	s_wait_loadcnt 0x7
	v_cmp_ne_u32_e32 vcc_lo, 0, v26
	s_wait_alu 0xfffd
	v_add_co_ci_u32_e64 v2, null, v2, v3, vcc_lo
	s_wait_loadcnt 0x6
	v_cmp_ne_u32_e32 vcc_lo, 0, v27
	s_wait_alu 0xfffd
	v_cndmask_b32_e64 v3, 0, 1, vcc_lo
	s_wait_loadcnt 0x5
	v_cmp_ne_u32_e32 vcc_lo, 0, v28
	s_wait_alu 0xfffd
	v_add_co_ci_u32_e64 v2, null, v2, v4, vcc_lo
	s_wait_loadcnt 0x4
	v_cmp_ne_u32_e32 vcc_lo, 0, v29
	s_wait_alu 0xfffd
	v_cndmask_b32_e64 v4, 0, 1, vcc_lo
	s_wait_loadcnt 0x3
	v_cmp_ne_u32_e32 vcc_lo, 0, v30
	s_wait_alu 0xfffd
	v_add_co_ci_u32_e64 v2, null, v2, v3, vcc_lo
	s_wait_loadcnt 0x2
	v_cmp_ne_u32_e32 vcc_lo, 0, v31
	s_wait_alu 0xfffd
	v_cndmask_b32_e64 v3, 0, 1, vcc_lo
	s_wait_loadcnt 0x1
	v_cmp_ne_u32_e32 vcc_lo, 0, v32
	s_wait_alu 0xfffd
	v_add_co_ci_u32_e64 v2, null, v2, v4, vcc_lo
	s_wait_loadcnt 0x0
	v_cmp_ne_u32_e32 vcc_lo, 0, v1
	s_wait_alu 0xfffd
	s_delay_alu instid0(VALU_DEP_2) | instskip(NEXT) | instid1(VALU_DEP_1)
	v_add_co_ci_u32_e64 v1, null, v2, v3, vcc_lo
	v_mov_b32_dpp v2, v1 quad_perm:[1,0,3,2] row_mask:0xf bank_mask:0xf
	s_delay_alu instid0(VALU_DEP_1) | instskip(NEXT) | instid1(VALU_DEP_1)
	v_add_nc_u32_e32 v1, v1, v2
	v_mov_b32_dpp v2, v1 quad_perm:[2,3,0,1] row_mask:0xf bank_mask:0xf
	s_delay_alu instid0(VALU_DEP_1) | instskip(NEXT) | instid1(VALU_DEP_1)
	v_add_nc_u32_e32 v1, v1, v2
	v_mov_b32_dpp v2, v1 row_ror:4 row_mask:0xf bank_mask:0xf
	s_delay_alu instid0(VALU_DEP_1) | instskip(NEXT) | instid1(VALU_DEP_1)
	v_add_nc_u32_e32 v1, v1, v2
	v_mov_b32_dpp v2, v1 row_ror:8 row_mask:0xf bank_mask:0xf
	s_delay_alu instid0(VALU_DEP_1)
	v_add_nc_u32_e32 v1, v1, v2
	ds_swizzle_b32 v2, v1 offset:swizzle(BROADCAST,32,15)
	s_wait_dscnt 0x0
	v_dual_mov_b32 v2, 0 :: v_dual_add_nc_u32 v1, v1, v2
	ds_bpermute_b32 v1, v2, v1 offset:124
	v_mbcnt_lo_u32_b32 v2, -1, 0
	s_delay_alu instid0(VALU_DEP_1)
	v_cmpx_eq_u32_e32 0, v2
	s_cbranch_execz .LBB182_19
; %bb.18:
	v_lshrrev_b32_e32 v3, 3, v0
	s_delay_alu instid0(VALU_DEP_1)
	v_and_b32_e32 v3, 28, v3
	s_wait_dscnt 0x0
	ds_store_b32 v3, v1 offset:128
.LBB182_19:
	s_or_b32 exec_lo, exec_lo, s3
	s_delay_alu instid0(SALU_CYCLE_1)
	s_mov_b32 s3, exec_lo
	s_wait_dscnt 0x0
	s_barrier_signal -1
	s_barrier_wait -1
	global_inv scope:SCOPE_SE
	v_cmpx_gt_u32_e32 32, v0
	s_cbranch_execz .LBB182_21
; %bb.20:
	v_and_b32_e32 v1, 7, v2
	s_delay_alu instid0(VALU_DEP_1)
	v_lshlrev_b32_e32 v3, 2, v1
	v_cmp_ne_u32_e32 vcc_lo, 7, v1
	ds_load_b32 v3, v3 offset:128
	s_wait_alu 0xfffd
	v_add_co_ci_u32_e64 v4, null, 0, v2, vcc_lo
	v_cmp_gt_u32_e32 vcc_lo, 6, v1
	s_delay_alu instid0(VALU_DEP_2) | instskip(SKIP_2) | instid1(VALU_DEP_1)
	v_lshlrev_b32_e32 v4, 2, v4
	s_wait_alu 0xfffd
	v_cndmask_b32_e64 v1, 0, 2, vcc_lo
	v_add_lshl_u32 v1, v1, v2, 2
	v_lshlrev_b32_e32 v2, 2, v2
	s_delay_alu instid0(VALU_DEP_1)
	v_or_b32_e32 v2, 16, v2
	s_wait_dscnt 0x0
	ds_bpermute_b32 v4, v4, v3
	s_wait_dscnt 0x0
	v_add_nc_u32_e32 v3, v4, v3
	ds_bpermute_b32 v1, v1, v3
	s_wait_dscnt 0x0
	v_add_nc_u32_e32 v1, v1, v3
	;; [unrolled: 3-line block ×3, first 2 shown]
.LBB182_21:
	s_or_b32 exec_lo, exec_lo, s3
	s_mov_b32 s3, 0
	s_branch .LBB182_297
.LBB182_22:
	s_mov_b32 s6, -1
.LBB182_23:
	s_mov_b32 s2, 0
                                        ; implicit-def: $vgpr1
	s_and_b32 vcc_lo, exec_lo, s6
	s_cbranch_vccz .LBB182_11
.LBB182_24:
	s_cmp_eq_u32 s44, 64
	s_cbranch_scc0 .LBB182_33
; %bb.25:
	s_mov_b32 s35, 0
	s_lshl_b32 s4, s34, 14
	s_mov_b32 s5, s35
	s_lshr_b64 s[2:3], s[36:37], 14
	s_wait_alu 0xfffe
	s_lshl_b64 s[6:7], s[4:5], 2
	s_cmp_lg_u64 s[2:3], s[34:35]
	s_add_nc_u64 s[2:3], s[40:41], s[6:7]
	s_cbranch_scc0 .LBB182_376
; %bb.26:
	v_lshlrev_b32_e32 v1, 2, v0
	s_mov_b32 s5, exec_lo
	s_clause 0x1f
	global_load_b32 v2, v1, s[2:3]
	global_load_b32 v3, v1, s[2:3] offset:2048
	global_load_b32 v4, v1, s[2:3] offset:1024
	;; [unrolled: 1-line block ×31, first 2 shown]
	s_clause 0x1f
	global_load_b32 v34, v1, s[2:3] offset:31744
	global_load_b32 v35, v1, s[2:3] offset:34816
	;; [unrolled: 1-line block ×32, first 2 shown]
	s_wait_loadcnt 0x3e
	v_cmp_ne_u32_e32 vcc_lo, 0, v2
	s_wait_alu 0xfffd
	v_cndmask_b32_e64 v2, 0, 1, vcc_lo
	v_cmp_ne_u32_e32 vcc_lo, 0, v3
	s_wait_alu 0xfffd
	v_cndmask_b32_e64 v3, 0, 1, vcc_lo
	s_wait_loadcnt 0x3d
	v_cmp_ne_u32_e32 vcc_lo, 0, v4
	s_wait_alu 0xfffd
	v_add_co_ci_u32_e64 v2, null, 0, v2, vcc_lo
	s_wait_loadcnt 0x3c
	v_cmp_ne_u32_e32 vcc_lo, 0, v5
	s_wait_alu 0xfffd
	v_cndmask_b32_e64 v4, 0, 1, vcc_lo
	s_wait_loadcnt 0x3b
	v_cmp_ne_u32_e32 vcc_lo, 0, v6
	s_wait_alu 0xfffd
	v_add_co_ci_u32_e64 v2, null, v2, v3, vcc_lo
	s_wait_loadcnt 0x3a
	;; [unrolled: 8-line block ×31, first 2 shown]
	v_cmp_ne_u32_e32 vcc_lo, 0, v1
	s_wait_alu 0xfffd
	s_delay_alu instid0(VALU_DEP_2) | instskip(NEXT) | instid1(VALU_DEP_1)
	v_add_co_ci_u32_e64 v1, null, v2, v3, vcc_lo
	v_mov_b32_dpp v2, v1 quad_perm:[1,0,3,2] row_mask:0xf bank_mask:0xf
	s_delay_alu instid0(VALU_DEP_1) | instskip(NEXT) | instid1(VALU_DEP_1)
	v_add_nc_u32_e32 v1, v1, v2
	v_mov_b32_dpp v2, v1 quad_perm:[2,3,0,1] row_mask:0xf bank_mask:0xf
	s_delay_alu instid0(VALU_DEP_1) | instskip(NEXT) | instid1(VALU_DEP_1)
	v_add_nc_u32_e32 v1, v1, v2
	v_mov_b32_dpp v2, v1 row_ror:4 row_mask:0xf bank_mask:0xf
	s_delay_alu instid0(VALU_DEP_1) | instskip(NEXT) | instid1(VALU_DEP_1)
	v_add_nc_u32_e32 v1, v1, v2
	v_mov_b32_dpp v2, v1 row_ror:8 row_mask:0xf bank_mask:0xf
	s_delay_alu instid0(VALU_DEP_1)
	v_add_nc_u32_e32 v1, v1, v2
	ds_swizzle_b32 v2, v1 offset:swizzle(BROADCAST,32,15)
	s_wait_dscnt 0x0
	v_dual_mov_b32 v2, 0 :: v_dual_add_nc_u32 v1, v1, v2
	ds_bpermute_b32 v1, v2, v1 offset:124
	v_mbcnt_lo_u32_b32 v2, -1, 0
	s_delay_alu instid0(VALU_DEP_1)
	v_cmpx_eq_u32_e32 0, v2
	s_cbranch_execz .LBB182_28
; %bb.27:
	v_lshrrev_b32_e32 v3, 3, v0
	s_delay_alu instid0(VALU_DEP_1)
	v_and_b32_e32 v3, 28, v3
	s_wait_dscnt 0x0
	ds_store_b32 v3, v1 offset:192
.LBB182_28:
	s_wait_alu 0xfffe
	s_or_b32 exec_lo, exec_lo, s5
	s_delay_alu instid0(SALU_CYCLE_1)
	s_mov_b32 s5, exec_lo
	s_wait_dscnt 0x0
	s_barrier_signal -1
	s_barrier_wait -1
	global_inv scope:SCOPE_SE
	v_cmpx_gt_u32_e32 32, v0
	s_cbranch_execz .LBB182_30
; %bb.29:
	v_and_b32_e32 v1, 7, v2
	s_delay_alu instid0(VALU_DEP_1)
	v_lshlrev_b32_e32 v3, 2, v1
	v_cmp_ne_u32_e32 vcc_lo, 7, v1
	ds_load_b32 v3, v3 offset:192
	s_wait_alu 0xfffd
	v_add_co_ci_u32_e64 v4, null, 0, v2, vcc_lo
	v_cmp_gt_u32_e32 vcc_lo, 6, v1
	s_delay_alu instid0(VALU_DEP_2) | instskip(SKIP_2) | instid1(VALU_DEP_1)
	v_lshlrev_b32_e32 v4, 2, v4
	s_wait_alu 0xfffd
	v_cndmask_b32_e64 v1, 0, 2, vcc_lo
	v_add_lshl_u32 v1, v1, v2, 2
	v_lshlrev_b32_e32 v2, 2, v2
	s_delay_alu instid0(VALU_DEP_1)
	v_or_b32_e32 v2, 16, v2
	s_wait_dscnt 0x0
	ds_bpermute_b32 v4, v4, v3
	s_wait_dscnt 0x0
	v_add_nc_u32_e32 v3, v4, v3
	ds_bpermute_b32 v1, v1, v3
	s_wait_dscnt 0x0
	v_add_nc_u32_e32 v1, v1, v3
	;; [unrolled: 3-line block ×3, first 2 shown]
.LBB182_30:
	s_wait_alu 0xfffe
	s_or_b32 exec_lo, exec_lo, s5
	s_mov_b32 s5, 0
	s_branch .LBB182_377
.LBB182_31:
                                        ; implicit-def: $vgpr1
	s_cbranch_execz .LBB182_512
	s_branch .LBB182_368
.LBB182_32:
                                        ; implicit-def: $vgpr1
	s_branch .LBB182_512
.LBB182_33:
                                        ; implicit-def: $vgpr1
	s_branch .LBB182_512
.LBB182_34:
                                        ; implicit-def: $vgpr1
	s_cbranch_execz .LBB182_10
; %bb.35:
	s_sub_co_i32 s4, s36, s4
	s_mov_b32 s5, exec_lo
                                        ; implicit-def: $vgpr1
	v_cmpx_gt_u32_e64 s4, v0
	s_cbranch_execz .LBB182_37
; %bb.36:
	v_lshlrev_b32_e32 v1, 2, v0
	global_load_b32 v1, v1, s[2:3]
	s_wait_loadcnt 0x0
	v_cmp_ne_u32_e32 vcc_lo, 0, v1
	v_cndmask_b32_e64 v1, 0, 1, vcc_lo
.LBB182_37:
	s_or_b32 exec_lo, exec_lo, s5
	v_or_b32_e32 v3, 0x100, v0
	v_mov_b32_e32 v2, 0
	s_delay_alu instid0(VALU_DEP_2)
	v_cmp_gt_u32_e32 vcc_lo, s4, v3
	v_mov_b32_e32 v3, 0
	s_and_saveexec_b32 s5, vcc_lo
	s_cbranch_execz .LBB182_39
; %bb.38:
	v_lshlrev_b32_e32 v3, 2, v0
	global_load_b32 v3, v3, s[2:3] offset:1024
	s_wait_loadcnt 0x0
	v_cmp_ne_u32_e32 vcc_lo, 0, v3
	s_wait_alu 0xfffd
	v_cndmask_b32_e64 v3, 0, 1, vcc_lo
.LBB182_39:
	s_wait_alu 0xfffe
	s_or_b32 exec_lo, exec_lo, s5
	v_or_b32_e32 v4, 0x200, v0
	s_mov_b32 s5, exec_lo
	s_delay_alu instid0(VALU_DEP_1)
	v_cmpx_gt_u32_e64 s4, v4
	s_cbranch_execz .LBB182_41
; %bb.40:
	v_lshlrev_b32_e32 v2, 2, v0
	global_load_b32 v2, v2, s[2:3] offset:2048
	s_wait_loadcnt 0x0
	v_cmp_ne_u32_e32 vcc_lo, 0, v2
	s_wait_alu 0xfffd
	v_cndmask_b32_e64 v2, 0, 1, vcc_lo
.LBB182_41:
	s_wait_alu 0xfffe
	s_or_b32 exec_lo, exec_lo, s5
	v_or_b32_e32 v5, 0x300, v0
	v_mov_b32_e32 v4, 0
	s_delay_alu instid0(VALU_DEP_2)
	v_cmp_gt_u32_e32 vcc_lo, s4, v5
	v_mov_b32_e32 v5, 0
	s_and_saveexec_b32 s5, vcc_lo
	s_cbranch_execz .LBB182_43
; %bb.42:
	v_lshlrev_b32_e32 v5, 2, v0
	global_load_b32 v5, v5, s[2:3] offset:3072
	s_wait_loadcnt 0x0
	v_cmp_ne_u32_e32 vcc_lo, 0, v5
	s_wait_alu 0xfffd
	v_cndmask_b32_e64 v5, 0, 1, vcc_lo
.LBB182_43:
	s_wait_alu 0xfffe
	s_or_b32 exec_lo, exec_lo, s5
	v_or_b32_e32 v6, 0x400, v0
	s_mov_b32 s5, exec_lo
	s_delay_alu instid0(VALU_DEP_1)
	v_cmpx_gt_u32_e64 s4, v6
	s_cbranch_execz .LBB182_45
; %bb.44:
	v_lshlrev_b32_e32 v4, 2, v0
	global_load_b32 v4, v4, s[2:3] offset:4096
	s_wait_loadcnt 0x0
	v_cmp_ne_u32_e32 vcc_lo, 0, v4
	s_wait_alu 0xfffd
	v_cndmask_b32_e64 v4, 0, 1, vcc_lo
.LBB182_45:
	s_wait_alu 0xfffe
	;; [unrolled: 32-line block ×63, first 2 shown]
	s_or_b32 exec_lo, exec_lo, s5
	v_or_b32_e32 v128, 0x7f00, v0
	s_delay_alu instid0(VALU_DEP_1)
	v_cmp_gt_u32_e32 vcc_lo, s4, v128
	v_mov_b32_e32 v128, 0
	s_and_saveexec_b32 s5, vcc_lo
	s_cbranch_execz .LBB182_291
; %bb.290:
	v_lshlrev_b32_e32 v128, 2, v0
	global_load_b32 v128, v128, s[2:3] offset:130048
	s_wait_loadcnt 0x0
	v_cmp_ne_u32_e32 vcc_lo, 0, v128
	s_wait_alu 0xfffd
	v_cndmask_b32_e64 v128, 0, 1, vcc_lo
.LBB182_291:
	s_wait_alu 0xfffe
	s_or_b32 exec_lo, exec_lo, s5
	v_add_nc_u32_e32 v1, v3, v1
	s_min_u32 s2, s4, 0x100
	s_mov_b32 s3, exec_lo
	s_delay_alu instid0(VALU_DEP_1) | instskip(SKIP_1) | instid1(VALU_DEP_2)
	v_add3_u32 v1, v1, v2, v5
	v_mbcnt_lo_u32_b32 v2, -1, 0
	v_add3_u32 v1, v1, v4, v7
	s_delay_alu instid0(VALU_DEP_2) | instskip(SKIP_1) | instid1(VALU_DEP_3)
	v_cmp_ne_u32_e32 vcc_lo, 31, v2
	v_add_nc_u32_e32 v5, 1, v2
	v_add3_u32 v1, v1, v6, v9
	s_wait_alu 0xfffd
	v_add_co_ci_u32_e64 v3, null, 0, v2, vcc_lo
	v_cmp_gt_u32_e32 vcc_lo, 30, v2
	s_delay_alu instid0(VALU_DEP_3) | instskip(NEXT) | instid1(VALU_DEP_3)
	v_add3_u32 v1, v1, v8, v11
	v_lshlrev_b32_e32 v3, 2, v3
	s_wait_alu 0xfffd
	v_cndmask_b32_e64 v6, 0, 2, vcc_lo
	s_delay_alu instid0(VALU_DEP_3) | instskip(NEXT) | instid1(VALU_DEP_1)
	v_add3_u32 v1, v1, v10, v13
	v_add3_u32 v1, v1, v12, v15
	s_delay_alu instid0(VALU_DEP_1) | instskip(NEXT) | instid1(VALU_DEP_1)
	v_add3_u32 v1, v1, v14, v17
	v_add3_u32 v1, v1, v16, v19
	s_delay_alu instid0(VALU_DEP_1) | instskip(NEXT) | instid1(VALU_DEP_1)
	;; [unrolled: 3-line block ×28, first 2 shown]
	v_add3_u32 v1, v1, v122, v125
	v_add3_u32 v1, v1, v124, v127
	s_delay_alu instid0(VALU_DEP_1) | instskip(SKIP_2) | instid1(VALU_DEP_1)
	v_add3_u32 v1, v1, v126, v128
	ds_bpermute_b32 v3, v3, v1
	v_and_b32_e32 v4, 0xe0, v0
	v_sub_nc_u32_e64 v4, s2, v4 clamp
	s_delay_alu instid0(VALU_DEP_1)
	v_cmp_lt_u32_e32 vcc_lo, v5, v4
	v_add_lshl_u32 v5, v6, v2, 2
	s_wait_dscnt 0x0
	s_wait_alu 0xfffd
	v_cndmask_b32_e32 v3, 0, v3, vcc_lo
	v_cmp_gt_u32_e32 vcc_lo, 28, v2
	s_delay_alu instid0(VALU_DEP_2) | instskip(SKIP_4) | instid1(VALU_DEP_1)
	v_add_nc_u32_e32 v1, v3, v1
	s_wait_alu 0xfffd
	v_cndmask_b32_e64 v6, 0, 4, vcc_lo
	ds_bpermute_b32 v3, v5, v1
	v_add_nc_u32_e32 v5, 2, v2
	v_cmp_lt_u32_e32 vcc_lo, v5, v4
	v_add_lshl_u32 v5, v6, v2, 2
	s_wait_dscnt 0x0
	s_wait_alu 0xfffd
	v_cndmask_b32_e32 v3, 0, v3, vcc_lo
	v_cmp_gt_u32_e32 vcc_lo, 24, v2
	s_delay_alu instid0(VALU_DEP_2) | instskip(SKIP_4) | instid1(VALU_DEP_1)
	v_add_nc_u32_e32 v1, v1, v3
	s_wait_alu 0xfffd
	v_cndmask_b32_e64 v6, 0, 8, vcc_lo
	ds_bpermute_b32 v3, v5, v1
	v_add_nc_u32_e32 v5, 4, v2
	v_cmp_lt_u32_e32 vcc_lo, v5, v4
	v_add_lshl_u32 v5, v6, v2, 2
	s_wait_dscnt 0x0
	s_wait_alu 0xfffd
	v_dual_cndmask_b32 v3, 0, v3 :: v_dual_add_nc_u32 v6, 8, v2
	s_delay_alu instid0(VALU_DEP_1) | instskip(NEXT) | instid1(VALU_DEP_2)
	v_cmp_lt_u32_e32 vcc_lo, v6, v4
	v_add_nc_u32_e32 v1, v1, v3
	v_lshlrev_b32_e32 v3, 2, v2
	ds_bpermute_b32 v5, v5, v1
	v_or_b32_e32 v6, 64, v3
	s_wait_dscnt 0x0
	s_wait_alu 0xfffd
	v_cndmask_b32_e32 v5, 0, v5, vcc_lo
	s_delay_alu instid0(VALU_DEP_1) | instskip(SKIP_2) | instid1(VALU_DEP_1)
	v_add_nc_u32_e32 v1, v1, v5
	ds_bpermute_b32 v5, v6, v1
	v_add_nc_u32_e32 v6, 16, v2
	v_cmp_lt_u32_e32 vcc_lo, v6, v4
	s_wait_dscnt 0x0
	s_wait_alu 0xfffd
	v_cndmask_b32_e32 v4, 0, v5, vcc_lo
	s_delay_alu instid0(VALU_DEP_1)
	v_add_nc_u32_e32 v1, v1, v4
	v_cmpx_eq_u32_e32 0, v2
; %bb.292:
	v_lshrrev_b32_e32 v4, 3, v0
	s_delay_alu instid0(VALU_DEP_1)
	v_and_b32_e32 v4, 28, v4
	ds_store_b32 v4, v1 offset:256
; %bb.293:
	s_or_b32 exec_lo, exec_lo, s3
	s_delay_alu instid0(SALU_CYCLE_1)
	s_mov_b32 s3, exec_lo
	s_wait_loadcnt_dscnt 0x0
	s_barrier_signal -1
	s_barrier_wait -1
	global_inv scope:SCOPE_SE
	v_cmpx_gt_u32_e32 8, v0
	s_cbranch_execz .LBB182_295
; %bb.294:
	ds_load_b32 v1, v3 offset:256
	v_and_b32_e32 v4, 7, v2
	s_add_co_i32 s2, s2, 31
	s_wait_alu 0xfffe
	s_lshr_b32 s2, s2, 5
	s_delay_alu instid0(VALU_DEP_1) | instskip(SKIP_4) | instid1(VALU_DEP_2)
	v_cmp_ne_u32_e32 vcc_lo, 7, v4
	v_add_nc_u32_e32 v6, 1, v4
	s_wait_alu 0xfffd
	v_add_co_ci_u32_e64 v5, null, 0, v2, vcc_lo
	v_cmp_gt_u32_e32 vcc_lo, 6, v4
	v_lshlrev_b32_e32 v5, 2, v5
	s_wait_alu 0xfffd
	v_cndmask_b32_e64 v7, 0, 2, vcc_lo
	s_wait_alu 0xfffe
	v_cmp_gt_u32_e32 vcc_lo, s2, v6
	s_wait_dscnt 0x0
	ds_bpermute_b32 v5, v5, v1
	v_add_lshl_u32 v2, v7, v2, 2
	s_wait_dscnt 0x0
	s_wait_alu 0xfffd
	v_cndmask_b32_e32 v5, 0, v5, vcc_lo
	s_delay_alu instid0(VALU_DEP_1)
	v_add_nc_u32_e32 v1, v5, v1
	v_add_nc_u32_e32 v5, 2, v4
	ds_bpermute_b32 v2, v2, v1
	v_cmp_gt_u32_e32 vcc_lo, s2, v5
	s_wait_dscnt 0x0
	s_wait_alu 0xfffd
	v_cndmask_b32_e32 v2, 0, v2, vcc_lo
	s_delay_alu instid0(VALU_DEP_1)
	v_add_nc_u32_e32 v1, v1, v2
	v_or_b32_e32 v2, 16, v3
	v_add_nc_u32_e32 v3, 4, v4
	ds_bpermute_b32 v2, v2, v1
	v_cmp_gt_u32_e32 vcc_lo, s2, v3
	s_wait_dscnt 0x0
	s_wait_alu 0xfffd
	v_cndmask_b32_e32 v2, 0, v2, vcc_lo
	s_delay_alu instid0(VALU_DEP_1)
	v_add_nc_u32_e32 v1, v1, v2
.LBB182_295:
	s_wait_alu 0xfffe
	s_or_b32 exec_lo, exec_lo, s3
	v_cmp_eq_u32_e64 s2, 0, v0
	s_and_b32 vcc_lo, exec_lo, s6
	s_wait_alu 0xfffe
	s_cbranch_vccnz .LBB182_24
	s_branch .LBB182_11
.LBB182_296:
	s_mov_b32 s3, -1
                                        ; implicit-def: $vgpr1
.LBB182_297:
	s_delay_alu instid0(SALU_CYCLE_1)
	s_and_b32 vcc_lo, exec_lo, s3
	s_wait_alu 0xfffe
	s_cbranch_vccz .LBB182_367
; %bb.298:
	v_mov_b32_e32 v1, 0
	s_sub_co_i32 s45, s36, s2
	s_delay_alu instid0(SALU_CYCLE_1) | instskip(NEXT) | instid1(VALU_DEP_2)
	v_cmp_gt_u32_e32 vcc_lo, s45, v0
	v_dual_mov_b32 v2, v1 :: v_dual_mov_b32 v3, v1
	v_dual_mov_b32 v4, v1 :: v_dual_mov_b32 v5, v1
	;; [unrolled: 1-line block ×15, first 2 shown]
	v_mov_b32_e32 v32, v1
	s_and_saveexec_b32 s2, vcc_lo
	s_cbranch_execz .LBB182_300
; %bb.299:
	v_dual_mov_b32 v3, v1 :: v_dual_lshlrev_b32 v2, 2, v0
	v_dual_mov_b32 v32, v1 :: v_dual_mov_b32 v33, v1
	v_dual_mov_b32 v4, v1 :: v_dual_mov_b32 v5, v1
	global_load_b32 v2, v2, s[42:43]
	v_dual_mov_b32 v6, v1 :: v_dual_mov_b32 v7, v1
	v_dual_mov_b32 v8, v1 :: v_dual_mov_b32 v9, v1
	;; [unrolled: 1-line block ×13, first 2 shown]
	s_wait_loadcnt 0x0
	v_cmp_ne_u32_e32 vcc_lo, 0, v2
	s_wait_alu 0xfffd
	v_cndmask_b32_e64 v2, 0, 1, vcc_lo
	s_delay_alu instid0(VALU_DEP_1)
	v_mov_b32_e32 v1, v2
	v_mov_b32_e32 v2, v3
	;; [unrolled: 1-line block ×32, first 2 shown]
.LBB182_300:
	s_or_b32 exec_lo, exec_lo, s2
	v_or_b32_e32 v33, 0x100, v0
	s_delay_alu instid0(VALU_DEP_1)
	v_cmp_gt_u32_e32 vcc_lo, s45, v33
	s_and_saveexec_b32 s3, vcc_lo
	s_cbranch_execz .LBB182_302
; %bb.301:
	v_lshlrev_b32_e32 v2, 2, v0
	global_load_b32 v2, v2, s[42:43] offset:1024
	s_wait_loadcnt 0x0
	v_cmp_ne_u32_e64 s2, 0, v2
	s_delay_alu instid0(VALU_DEP_1)
	v_cndmask_b32_e64 v2, 0, 1, s2
.LBB182_302:
	s_or_b32 exec_lo, exec_lo, s3
	v_or_b32_e32 v33, 0x200, v0
	s_delay_alu instid0(VALU_DEP_1)
	v_cmp_gt_u32_e64 s2, s45, v33
	s_and_saveexec_b32 s4, s2
	s_cbranch_execz .LBB182_304
; %bb.303:
	v_lshlrev_b32_e32 v3, 2, v0
	global_load_b32 v3, v3, s[42:43] offset:2048
	s_wait_loadcnt 0x0
	v_cmp_ne_u32_e64 s3, 0, v3
	s_wait_alu 0xf1ff
	s_delay_alu instid0(VALU_DEP_1)
	v_cndmask_b32_e64 v3, 0, 1, s3
.LBB182_304:
	s_or_b32 exec_lo, exec_lo, s4
	v_or_b32_e32 v33, 0x300, v0
	s_delay_alu instid0(VALU_DEP_1)
	v_cmp_gt_u32_e64 s3, s45, v33
	s_and_saveexec_b32 s5, s3
	s_cbranch_execz .LBB182_306
; %bb.305:
	v_lshlrev_b32_e32 v4, 2, v0
	global_load_b32 v4, v4, s[42:43] offset:3072
	s_wait_loadcnt 0x0
	v_cmp_ne_u32_e64 s4, 0, v4
	s_delay_alu instid0(VALU_DEP_1)
	v_cndmask_b32_e64 v4, 0, 1, s4
.LBB182_306:
	s_or_b32 exec_lo, exec_lo, s5
	v_or_b32_e32 v33, 0x400, v0
	s_delay_alu instid0(VALU_DEP_1)
	v_cmp_gt_u32_e64 s4, s45, v33
	s_and_saveexec_b32 s6, s4
	s_cbranch_execz .LBB182_308
; %bb.307:
	v_lshlrev_b32_e32 v5, 2, v0
	global_load_b32 v5, v5, s[42:43] offset:4096
	s_wait_loadcnt 0x0
	v_cmp_ne_u32_e64 s5, 0, v5
	s_wait_alu 0xf1ff
	s_delay_alu instid0(VALU_DEP_1)
	v_cndmask_b32_e64 v5, 0, 1, s5
.LBB182_308:
	s_or_b32 exec_lo, exec_lo, s6
	v_or_b32_e32 v33, 0x500, v0
	s_delay_alu instid0(VALU_DEP_1)
	v_cmp_gt_u32_e64 s5, s45, v33
	s_and_saveexec_b32 s7, s5
	;; [unrolled: 29-line block ×15, first 2 shown]
	s_cbranch_execz .LBB182_362
; %bb.361:
	v_lshlrev_b32_e32 v32, 2, v0
	global_load_b32 v32, v32, s[42:43] offset:31744
	s_wait_loadcnt 0x0
	v_cmp_ne_u32_e64 s33, 0, v32
	s_delay_alu instid0(VALU_DEP_1)
	v_cndmask_b32_e64 v32, 0, 1, s33
.LBB182_362:
	s_or_b32 exec_lo, exec_lo, s46
	v_cndmask_b32_e32 v2, 0, v2, vcc_lo
	v_cndmask_b32_e64 v3, 0, v3, s2
	v_cndmask_b32_e64 v4, 0, v4, s3
	s_min_u32 s2, s45, 0x100
	s_mov_b32 s3, exec_lo
	v_add_nc_u32_e32 v1, v2, v1
	v_cndmask_b32_e64 v2, 0, v5, s4
	v_cndmask_b32_e64 v5, 0, v6, s5
	;; [unrolled: 1-line block ×3, first 2 shown]
	s_delay_alu instid0(VALU_DEP_4) | instskip(SKIP_3) | instid1(VALU_DEP_4)
	v_add3_u32 v1, v1, v3, v4
	v_cndmask_b32_e64 v3, 0, v7, s6
	v_cndmask_b32_e64 v4, 0, v8, s7
	;; [unrolled: 1-line block ×3, first 2 shown]
	v_add3_u32 v1, v1, v2, v5
	v_cndmask_b32_e64 v2, 0, v9, s8
	v_cndmask_b32_e64 v5, 0, v10, s9
	s_delay_alu instid0(VALU_DEP_3) | instskip(SKIP_2) | instid1(VALU_DEP_3)
	v_add3_u32 v1, v1, v3, v4
	v_cndmask_b32_e64 v3, 0, v11, s10
	v_cndmask_b32_e64 v4, 0, v12, s11
	v_add3_u32 v1, v1, v2, v5
	v_cndmask_b32_e64 v2, 0, v13, s12
	v_cndmask_b32_e64 v5, 0, v14, s13
	s_delay_alu instid0(VALU_DEP_3) | instskip(SKIP_2) | instid1(VALU_DEP_3)
	v_add3_u32 v1, v1, v3, v4
	v_cndmask_b32_e64 v3, 0, v15, s14
	v_cndmask_b32_e64 v4, 0, v16, s15
	;; [unrolled: 7-line block ×5, first 2 shown]
	v_add3_u32 v1, v1, v2, v5
	v_mbcnt_lo_u32_b32 v2, -1, 0
	v_cndmask_b32_e64 v5, 0, v29, s28
	s_delay_alu instid0(VALU_DEP_3) | instskip(NEXT) | instid1(VALU_DEP_3)
	v_add3_u32 v1, v1, v3, v4
	v_cmp_ne_u32_e32 vcc_lo, 31, v2
	v_cndmask_b32_e64 v3, 0, v32, s31
	s_delay_alu instid0(VALU_DEP_3)
	v_add3_u32 v1, v1, v5, v6
	s_wait_alu 0xfffd
	v_add_co_ci_u32_e64 v4, null, 0, v2, vcc_lo
	v_add_nc_u32_e32 v5, 1, v2
	v_cmp_gt_u32_e32 vcc_lo, 30, v2
	v_add3_u32 v1, v1, v7, v3
	s_delay_alu instid0(VALU_DEP_4)
	v_lshlrev_b32_e32 v4, 2, v4
	s_wait_alu 0xfffd
	v_cndmask_b32_e64 v6, 0, 2, vcc_lo
	ds_bpermute_b32 v3, v4, v1
	v_and_b32_e32 v4, 0xe0, v0
	s_wait_alu 0xfffe
	s_delay_alu instid0(VALU_DEP_1) | instskip(NEXT) | instid1(VALU_DEP_1)
	v_sub_nc_u32_e64 v4, s2, v4 clamp
	v_cmp_lt_u32_e32 vcc_lo, v5, v4
	v_add_lshl_u32 v5, v6, v2, 2
	s_wait_dscnt 0x0
	s_wait_alu 0xfffd
	v_cndmask_b32_e32 v3, 0, v3, vcc_lo
	v_cmp_gt_u32_e32 vcc_lo, 28, v2
	s_delay_alu instid0(VALU_DEP_2) | instskip(SKIP_4) | instid1(VALU_DEP_1)
	v_add_nc_u32_e32 v1, v1, v3
	s_wait_alu 0xfffd
	v_cndmask_b32_e64 v6, 0, 4, vcc_lo
	ds_bpermute_b32 v3, v5, v1
	v_add_nc_u32_e32 v5, 2, v2
	v_cmp_lt_u32_e32 vcc_lo, v5, v4
	v_add_lshl_u32 v5, v6, v2, 2
	s_wait_dscnt 0x0
	s_wait_alu 0xfffd
	v_cndmask_b32_e32 v3, 0, v3, vcc_lo
	v_cmp_gt_u32_e32 vcc_lo, 24, v2
	s_delay_alu instid0(VALU_DEP_2) | instskip(SKIP_4) | instid1(VALU_DEP_1)
	v_add_nc_u32_e32 v1, v1, v3
	s_wait_alu 0xfffd
	v_cndmask_b32_e64 v6, 0, 8, vcc_lo
	ds_bpermute_b32 v3, v5, v1
	v_add_nc_u32_e32 v5, 4, v2
	v_cmp_lt_u32_e32 vcc_lo, v5, v4
	v_add_lshl_u32 v5, v6, v2, 2
	s_wait_dscnt 0x0
	s_wait_alu 0xfffd
	v_cndmask_b32_e32 v3, 0, v3, vcc_lo
	s_delay_alu instid0(VALU_DEP_1) | instskip(SKIP_3) | instid1(VALU_DEP_1)
	v_add_nc_u32_e32 v1, v1, v3
	v_lshlrev_b32_e32 v3, 2, v2
	ds_bpermute_b32 v5, v5, v1
	v_add_nc_u32_e32 v6, 8, v2
	v_cmp_lt_u32_e32 vcc_lo, v6, v4
	v_or_b32_e32 v6, 64, v3
	s_wait_dscnt 0x0
	s_wait_alu 0xfffd
	v_cndmask_b32_e32 v5, 0, v5, vcc_lo
	s_delay_alu instid0(VALU_DEP_1) | instskip(SKIP_2) | instid1(VALU_DEP_1)
	v_add_nc_u32_e32 v1, v1, v5
	ds_bpermute_b32 v5, v6, v1
	v_add_nc_u32_e32 v6, 16, v2
	v_cmp_lt_u32_e32 vcc_lo, v6, v4
	s_wait_dscnt 0x0
	s_wait_alu 0xfffd
	v_cndmask_b32_e32 v4, 0, v5, vcc_lo
	s_delay_alu instid0(VALU_DEP_1)
	v_add_nc_u32_e32 v1, v1, v4
	v_cmpx_eq_u32_e32 0, v2
; %bb.363:
	v_lshrrev_b32_e32 v4, 3, v0
	s_delay_alu instid0(VALU_DEP_1)
	v_and_b32_e32 v4, 28, v4
	ds_store_b32 v4, v1 offset:256
; %bb.364:
	s_or_b32 exec_lo, exec_lo, s3
	s_delay_alu instid0(SALU_CYCLE_1)
	s_mov_b32 s3, exec_lo
	s_wait_loadcnt_dscnt 0x0
	s_barrier_signal -1
	s_barrier_wait -1
	global_inv scope:SCOPE_SE
	v_cmpx_gt_u32_e32 8, v0
	s_cbranch_execz .LBB182_366
; %bb.365:
	ds_load_b32 v1, v3 offset:256
	v_and_b32_e32 v4, 7, v2
	s_add_co_i32 s2, s2, 31
	s_wait_alu 0xfffe
	s_lshr_b32 s2, s2, 5
	s_delay_alu instid0(VALU_DEP_1) | instskip(SKIP_4) | instid1(VALU_DEP_2)
	v_cmp_ne_u32_e32 vcc_lo, 7, v4
	v_add_nc_u32_e32 v6, 1, v4
	s_wait_alu 0xfffd
	v_add_co_ci_u32_e64 v5, null, 0, v2, vcc_lo
	v_cmp_gt_u32_e32 vcc_lo, 6, v4
	v_lshlrev_b32_e32 v5, 2, v5
	s_wait_alu 0xfffd
	v_cndmask_b32_e64 v7, 0, 2, vcc_lo
	s_wait_alu 0xfffe
	v_cmp_gt_u32_e32 vcc_lo, s2, v6
	s_wait_dscnt 0x0
	ds_bpermute_b32 v5, v5, v1
	v_add_lshl_u32 v2, v7, v2, 2
	s_wait_dscnt 0x0
	s_wait_alu 0xfffd
	v_cndmask_b32_e32 v5, 0, v5, vcc_lo
	s_delay_alu instid0(VALU_DEP_1)
	v_add_nc_u32_e32 v1, v5, v1
	v_add_nc_u32_e32 v5, 2, v4
	ds_bpermute_b32 v2, v2, v1
	v_cmp_gt_u32_e32 vcc_lo, s2, v5
	s_wait_dscnt 0x0
	s_wait_alu 0xfffd
	v_cndmask_b32_e32 v2, 0, v2, vcc_lo
	s_delay_alu instid0(VALU_DEP_1)
	v_add_nc_u32_e32 v1, v1, v2
	v_or_b32_e32 v2, 16, v3
	v_add_nc_u32_e32 v3, 4, v4
	ds_bpermute_b32 v2, v2, v1
	v_cmp_gt_u32_e32 vcc_lo, s2, v3
	s_wait_dscnt 0x0
	s_wait_alu 0xfffd
	v_cndmask_b32_e32 v2, 0, v2, vcc_lo
	s_delay_alu instid0(VALU_DEP_1)
	v_add_nc_u32_e32 v1, v1, v2
.LBB182_366:
	s_wait_alu 0xfffe
	s_or_b32 exec_lo, exec_lo, s3
.LBB182_367:
	v_cmp_eq_u32_e64 s2, 0, v0
	s_branch .LBB182_512
.LBB182_368:
	s_cmp_eq_u32 s44, 16
	s_cbranch_scc0 .LBB182_375
; %bb.369:
	s_mov_b32 s35, 0
	s_lshl_b32 s2, s34, 12
	s_mov_b32 s3, s35
	s_lshr_b64 s[4:5], s[36:37], 12
	s_lshl_b64 s[6:7], s[2:3], 2
	s_cmp_lg_u64 s[4:5], s[34:35]
	s_add_nc_u64 s[16:17], s[40:41], s[6:7]
	s_cbranch_scc0 .LBB182_533
; %bb.370:
	v_lshlrev_b32_e32 v1, 2, v0
	s_mov_b32 s3, exec_lo
	s_clause 0xf
	global_load_b32 v2, v1, s[16:17]
	global_load_b32 v3, v1, s[16:17] offset:2048
	global_load_b32 v4, v1, s[16:17] offset:1024
	global_load_b32 v5, v1, s[16:17] offset:4096
	global_load_b32 v6, v1, s[16:17] offset:3072
	global_load_b32 v7, v1, s[16:17] offset:6144
	global_load_b32 v8, v1, s[16:17] offset:5120
	global_load_b32 v9, v1, s[16:17] offset:8192
	global_load_b32 v10, v1, s[16:17] offset:7168
	global_load_b32 v11, v1, s[16:17] offset:10240
	global_load_b32 v12, v1, s[16:17] offset:9216
	global_load_b32 v13, v1, s[16:17] offset:12288
	global_load_b32 v14, v1, s[16:17] offset:11264
	global_load_b32 v15, v1, s[16:17] offset:14336
	global_load_b32 v16, v1, s[16:17] offset:13312
	global_load_b32 v1, v1, s[16:17] offset:15360
	s_wait_loadcnt 0xf
	v_cmp_ne_u32_e32 vcc_lo, 0, v2
	v_cndmask_b32_e64 v2, 0, 1, vcc_lo
	s_wait_loadcnt 0xe
	v_cmp_ne_u32_e32 vcc_lo, 0, v3
	s_wait_alu 0xfffd
	v_cndmask_b32_e64 v3, 0, 1, vcc_lo
	s_wait_loadcnt 0xd
	v_cmp_ne_u32_e32 vcc_lo, 0, v4
	s_wait_alu 0xfffd
	v_add_co_ci_u32_e64 v2, null, 0, v2, vcc_lo
	s_wait_loadcnt 0xc
	v_cmp_ne_u32_e32 vcc_lo, 0, v5
	s_wait_alu 0xfffd
	v_cndmask_b32_e64 v4, 0, 1, vcc_lo
	s_wait_loadcnt 0xb
	v_cmp_ne_u32_e32 vcc_lo, 0, v6
	s_wait_alu 0xfffd
	v_add_co_ci_u32_e64 v2, null, v2, v3, vcc_lo
	;; [unrolled: 8-line block ×7, first 2 shown]
	s_wait_loadcnt 0x0
	v_cmp_ne_u32_e32 vcc_lo, 0, v1
	s_wait_alu 0xfffd
	s_delay_alu instid0(VALU_DEP_2) | instskip(NEXT) | instid1(VALU_DEP_1)
	v_add_co_ci_u32_e64 v1, null, v2, v3, vcc_lo
	v_mov_b32_dpp v2, v1 quad_perm:[1,0,3,2] row_mask:0xf bank_mask:0xf
	s_delay_alu instid0(VALU_DEP_1) | instskip(NEXT) | instid1(VALU_DEP_1)
	v_add_nc_u32_e32 v1, v1, v2
	v_mov_b32_dpp v2, v1 quad_perm:[2,3,0,1] row_mask:0xf bank_mask:0xf
	s_delay_alu instid0(VALU_DEP_1) | instskip(NEXT) | instid1(VALU_DEP_1)
	v_add_nc_u32_e32 v1, v1, v2
	v_mov_b32_dpp v2, v1 row_ror:4 row_mask:0xf bank_mask:0xf
	s_delay_alu instid0(VALU_DEP_1) | instskip(NEXT) | instid1(VALU_DEP_1)
	v_add_nc_u32_e32 v1, v1, v2
	v_mov_b32_dpp v2, v1 row_ror:8 row_mask:0xf bank_mask:0xf
	s_delay_alu instid0(VALU_DEP_1)
	v_add_nc_u32_e32 v1, v1, v2
	ds_swizzle_b32 v2, v1 offset:swizzle(BROADCAST,32,15)
	s_wait_dscnt 0x0
	v_dual_mov_b32 v2, 0 :: v_dual_add_nc_u32 v1, v1, v2
	ds_bpermute_b32 v1, v2, v1 offset:124
	v_mbcnt_lo_u32_b32 v2, -1, 0
	s_delay_alu instid0(VALU_DEP_1)
	v_cmpx_eq_u32_e32 0, v2
	s_cbranch_execz .LBB182_372
; %bb.371:
	v_lshrrev_b32_e32 v3, 3, v0
	s_delay_alu instid0(VALU_DEP_1)
	v_and_b32_e32 v3, 28, v3
	s_wait_dscnt 0x0
	ds_store_b32 v3, v1 offset:32
.LBB182_372:
	s_or_b32 exec_lo, exec_lo, s3
	s_delay_alu instid0(SALU_CYCLE_1)
	s_mov_b32 s3, exec_lo
	s_wait_dscnt 0x0
	s_barrier_signal -1
	s_barrier_wait -1
	global_inv scope:SCOPE_SE
	v_cmpx_gt_u32_e32 32, v0
	s_cbranch_execz .LBB182_374
; %bb.373:
	v_and_b32_e32 v1, 7, v2
	s_delay_alu instid0(VALU_DEP_1)
	v_lshlrev_b32_e32 v3, 2, v1
	v_cmp_ne_u32_e32 vcc_lo, 7, v1
	ds_load_b32 v3, v3 offset:32
	s_wait_alu 0xfffd
	v_add_co_ci_u32_e64 v4, null, 0, v2, vcc_lo
	v_cmp_gt_u32_e32 vcc_lo, 6, v1
	s_delay_alu instid0(VALU_DEP_2) | instskip(SKIP_2) | instid1(VALU_DEP_1)
	v_lshlrev_b32_e32 v4, 2, v4
	s_wait_alu 0xfffd
	v_cndmask_b32_e64 v1, 0, 2, vcc_lo
	v_add_lshl_u32 v1, v1, v2, 2
	v_lshlrev_b32_e32 v2, 2, v2
	s_delay_alu instid0(VALU_DEP_1)
	v_or_b32_e32 v2, 16, v2
	s_wait_dscnt 0x0
	ds_bpermute_b32 v4, v4, v3
	s_wait_dscnt 0x0
	v_add_nc_u32_e32 v3, v4, v3
	ds_bpermute_b32 v1, v1, v3
	s_wait_dscnt 0x0
	v_add_nc_u32_e32 v1, v1, v3
	;; [unrolled: 3-line block ×3, first 2 shown]
.LBB182_374:
	s_or_b32 exec_lo, exec_lo, s3
	s_mov_b32 s3, 0
	s_branch .LBB182_534
.LBB182_375:
                                        ; implicit-def: $vgpr1
	s_branch .LBB182_623
.LBB182_376:
	s_mov_b32 s5, -1
                                        ; implicit-def: $vgpr1
.LBB182_377:
	s_wait_alu 0xfffe
	s_and_b32 vcc_lo, exec_lo, s5
	s_wait_alu 0xfffe
	s_cbranch_vccz .LBB182_511
; %bb.378:
	s_sub_co_i32 s4, s36, s4
	s_mov_b32 s5, exec_lo
                                        ; implicit-def: $vgpr1
	s_wait_alu 0xfffe
	v_cmpx_gt_u32_e64 s4, v0
	s_cbranch_execz .LBB182_380
; %bb.379:
	v_lshlrev_b32_e32 v1, 2, v0
	global_load_b32 v1, v1, s[2:3]
	s_wait_loadcnt 0x0
	v_cmp_ne_u32_e32 vcc_lo, 0, v1
	s_wait_alu 0xfffd
	v_cndmask_b32_e64 v1, 0, 1, vcc_lo
.LBB182_380:
	s_or_b32 exec_lo, exec_lo, s5
	v_or_b32_e32 v3, 0x100, v0
	v_mov_b32_e32 v2, 0
	s_delay_alu instid0(VALU_DEP_2)
	v_cmp_gt_u32_e32 vcc_lo, s4, v3
	v_mov_b32_e32 v3, 0
	s_and_saveexec_b32 s5, vcc_lo
	s_cbranch_execz .LBB182_382
; %bb.381:
	v_lshlrev_b32_e32 v3, 2, v0
	global_load_b32 v3, v3, s[2:3] offset:1024
	s_wait_loadcnt 0x0
	v_cmp_ne_u32_e32 vcc_lo, 0, v3
	s_wait_alu 0xfffd
	v_cndmask_b32_e64 v3, 0, 1, vcc_lo
.LBB182_382:
	s_wait_alu 0xfffe
	s_or_b32 exec_lo, exec_lo, s5
	v_or_b32_e32 v4, 0x200, v0
	s_mov_b32 s5, exec_lo
	s_delay_alu instid0(VALU_DEP_1)
	v_cmpx_gt_u32_e64 s4, v4
	s_cbranch_execz .LBB182_384
; %bb.383:
	v_lshlrev_b32_e32 v2, 2, v0
	global_load_b32 v2, v2, s[2:3] offset:2048
	s_wait_loadcnt 0x0
	v_cmp_ne_u32_e32 vcc_lo, 0, v2
	s_wait_alu 0xfffd
	v_cndmask_b32_e64 v2, 0, 1, vcc_lo
.LBB182_384:
	s_wait_alu 0xfffe
	s_or_b32 exec_lo, exec_lo, s5
	v_or_b32_e32 v5, 0x300, v0
	v_mov_b32_e32 v4, 0
	s_delay_alu instid0(VALU_DEP_2)
	v_cmp_gt_u32_e32 vcc_lo, s4, v5
	v_mov_b32_e32 v5, 0
	s_and_saveexec_b32 s5, vcc_lo
	s_cbranch_execz .LBB182_386
; %bb.385:
	v_lshlrev_b32_e32 v5, 2, v0
	global_load_b32 v5, v5, s[2:3] offset:3072
	s_wait_loadcnt 0x0
	v_cmp_ne_u32_e32 vcc_lo, 0, v5
	s_wait_alu 0xfffd
	v_cndmask_b32_e64 v5, 0, 1, vcc_lo
.LBB182_386:
	s_wait_alu 0xfffe
	s_or_b32 exec_lo, exec_lo, s5
	v_or_b32_e32 v6, 0x400, v0
	s_mov_b32 s5, exec_lo
	s_delay_alu instid0(VALU_DEP_1)
	v_cmpx_gt_u32_e64 s4, v6
	s_cbranch_execz .LBB182_388
; %bb.387:
	v_lshlrev_b32_e32 v4, 2, v0
	global_load_b32 v4, v4, s[2:3] offset:4096
	s_wait_loadcnt 0x0
	v_cmp_ne_u32_e32 vcc_lo, 0, v4
	s_wait_alu 0xfffd
	v_cndmask_b32_e64 v4, 0, 1, vcc_lo
.LBB182_388:
	s_wait_alu 0xfffe
	;; [unrolled: 32-line block ×31, first 2 shown]
	s_or_b32 exec_lo, exec_lo, s5
	v_or_b32_e32 v64, 0x3f00, v0
	s_delay_alu instid0(VALU_DEP_1)
	v_cmp_gt_u32_e32 vcc_lo, s4, v64
	v_mov_b32_e32 v64, 0
	s_and_saveexec_b32 s5, vcc_lo
	s_cbranch_execz .LBB182_506
; %bb.505:
	v_lshlrev_b32_e32 v64, 2, v0
	global_load_b32 v64, v64, s[2:3] offset:64512
	s_wait_loadcnt 0x0
	v_cmp_ne_u32_e32 vcc_lo, 0, v64
	s_wait_alu 0xfffd
	v_cndmask_b32_e64 v64, 0, 1, vcc_lo
.LBB182_506:
	s_wait_alu 0xfffe
	s_or_b32 exec_lo, exec_lo, s5
	v_add_nc_u32_e32 v1, v3, v1
	s_min_u32 s2, s4, 0x100
	s_mov_b32 s3, exec_lo
	s_delay_alu instid0(VALU_DEP_1) | instskip(SKIP_1) | instid1(VALU_DEP_2)
	v_add3_u32 v1, v1, v2, v5
	v_mbcnt_lo_u32_b32 v2, -1, 0
	v_add3_u32 v1, v1, v4, v7
	s_delay_alu instid0(VALU_DEP_2) | instskip(SKIP_1) | instid1(VALU_DEP_3)
	v_cmp_ne_u32_e32 vcc_lo, 31, v2
	v_add_nc_u32_e32 v5, 1, v2
	v_add3_u32 v1, v1, v6, v9
	s_wait_alu 0xfffd
	v_add_co_ci_u32_e64 v3, null, 0, v2, vcc_lo
	v_cmp_gt_u32_e32 vcc_lo, 30, v2
	s_delay_alu instid0(VALU_DEP_3) | instskip(NEXT) | instid1(VALU_DEP_3)
	v_add3_u32 v1, v1, v8, v11
	v_lshlrev_b32_e32 v3, 2, v3
	s_wait_alu 0xfffd
	v_cndmask_b32_e64 v6, 0, 2, vcc_lo
	s_delay_alu instid0(VALU_DEP_3) | instskip(NEXT) | instid1(VALU_DEP_1)
	v_add3_u32 v1, v1, v10, v13
	v_add3_u32 v1, v1, v12, v15
	s_delay_alu instid0(VALU_DEP_1) | instskip(NEXT) | instid1(VALU_DEP_1)
	v_add3_u32 v1, v1, v14, v17
	v_add3_u32 v1, v1, v16, v19
	s_delay_alu instid0(VALU_DEP_1) | instskip(NEXT) | instid1(VALU_DEP_1)
	;; [unrolled: 3-line block ×12, first 2 shown]
	v_add3_u32 v1, v1, v58, v61
	v_add3_u32 v1, v1, v60, v63
	s_delay_alu instid0(VALU_DEP_1) | instskip(SKIP_3) | instid1(VALU_DEP_1)
	v_add3_u32 v1, v1, v62, v64
	ds_bpermute_b32 v3, v3, v1
	v_and_b32_e32 v4, 0xe0, v0
	s_wait_alu 0xfffe
	v_sub_nc_u32_e64 v4, s2, v4 clamp
	s_delay_alu instid0(VALU_DEP_1)
	v_cmp_lt_u32_e32 vcc_lo, v5, v4
	v_add_lshl_u32 v5, v6, v2, 2
	s_wait_dscnt 0x0
	s_wait_alu 0xfffd
	v_cndmask_b32_e32 v3, 0, v3, vcc_lo
	v_cmp_gt_u32_e32 vcc_lo, 28, v2
	s_delay_alu instid0(VALU_DEP_2) | instskip(SKIP_4) | instid1(VALU_DEP_1)
	v_add_nc_u32_e32 v1, v3, v1
	s_wait_alu 0xfffd
	v_cndmask_b32_e64 v6, 0, 4, vcc_lo
	ds_bpermute_b32 v3, v5, v1
	v_add_nc_u32_e32 v5, 2, v2
	v_cmp_lt_u32_e32 vcc_lo, v5, v4
	v_add_lshl_u32 v5, v6, v2, 2
	s_wait_dscnt 0x0
	s_wait_alu 0xfffd
	v_cndmask_b32_e32 v3, 0, v3, vcc_lo
	v_cmp_gt_u32_e32 vcc_lo, 24, v2
	s_delay_alu instid0(VALU_DEP_2) | instskip(SKIP_4) | instid1(VALU_DEP_1)
	v_add_nc_u32_e32 v1, v1, v3
	s_wait_alu 0xfffd
	v_cndmask_b32_e64 v6, 0, 8, vcc_lo
	ds_bpermute_b32 v3, v5, v1
	v_add_nc_u32_e32 v5, 4, v2
	v_cmp_lt_u32_e32 vcc_lo, v5, v4
	v_add_lshl_u32 v5, v6, v2, 2
	s_wait_dscnt 0x0
	s_wait_alu 0xfffd
	v_dual_cndmask_b32 v3, 0, v3 :: v_dual_add_nc_u32 v6, 8, v2
	s_delay_alu instid0(VALU_DEP_1) | instskip(NEXT) | instid1(VALU_DEP_2)
	v_cmp_lt_u32_e32 vcc_lo, v6, v4
	v_add_nc_u32_e32 v1, v1, v3
	v_lshlrev_b32_e32 v3, 2, v2
	ds_bpermute_b32 v5, v5, v1
	v_or_b32_e32 v6, 64, v3
	s_wait_dscnt 0x0
	s_wait_alu 0xfffd
	v_cndmask_b32_e32 v5, 0, v5, vcc_lo
	s_delay_alu instid0(VALU_DEP_1) | instskip(SKIP_2) | instid1(VALU_DEP_1)
	v_add_nc_u32_e32 v1, v1, v5
	ds_bpermute_b32 v5, v6, v1
	v_add_nc_u32_e32 v6, 16, v2
	v_cmp_lt_u32_e32 vcc_lo, v6, v4
	s_wait_dscnt 0x0
	s_wait_alu 0xfffd
	v_cndmask_b32_e32 v4, 0, v5, vcc_lo
	s_delay_alu instid0(VALU_DEP_1)
	v_add_nc_u32_e32 v1, v1, v4
	v_cmpx_eq_u32_e32 0, v2
; %bb.507:
	v_lshrrev_b32_e32 v4, 3, v0
	s_delay_alu instid0(VALU_DEP_1)
	v_and_b32_e32 v4, 28, v4
	ds_store_b32 v4, v1 offset:256
; %bb.508:
	s_or_b32 exec_lo, exec_lo, s3
	s_delay_alu instid0(SALU_CYCLE_1)
	s_mov_b32 s3, exec_lo
	s_wait_loadcnt_dscnt 0x0
	s_barrier_signal -1
	s_barrier_wait -1
	global_inv scope:SCOPE_SE
	v_cmpx_gt_u32_e32 8, v0
	s_cbranch_execz .LBB182_510
; %bb.509:
	ds_load_b32 v1, v3 offset:256
	v_and_b32_e32 v4, 7, v2
	s_add_co_i32 s2, s2, 31
	s_wait_alu 0xfffe
	s_lshr_b32 s2, s2, 5
	s_delay_alu instid0(VALU_DEP_1) | instskip(SKIP_4) | instid1(VALU_DEP_2)
	v_cmp_ne_u32_e32 vcc_lo, 7, v4
	v_add_nc_u32_e32 v6, 1, v4
	s_wait_alu 0xfffd
	v_add_co_ci_u32_e64 v5, null, 0, v2, vcc_lo
	v_cmp_gt_u32_e32 vcc_lo, 6, v4
	v_lshlrev_b32_e32 v5, 2, v5
	s_wait_alu 0xfffd
	v_cndmask_b32_e64 v7, 0, 2, vcc_lo
	s_wait_alu 0xfffe
	v_cmp_gt_u32_e32 vcc_lo, s2, v6
	s_wait_dscnt 0x0
	ds_bpermute_b32 v5, v5, v1
	v_add_lshl_u32 v2, v7, v2, 2
	s_wait_dscnt 0x0
	s_wait_alu 0xfffd
	v_cndmask_b32_e32 v5, 0, v5, vcc_lo
	s_delay_alu instid0(VALU_DEP_1)
	v_add_nc_u32_e32 v1, v5, v1
	v_add_nc_u32_e32 v5, 2, v4
	ds_bpermute_b32 v2, v2, v1
	v_cmp_gt_u32_e32 vcc_lo, s2, v5
	s_wait_dscnt 0x0
	s_wait_alu 0xfffd
	v_cndmask_b32_e32 v2, 0, v2, vcc_lo
	s_delay_alu instid0(VALU_DEP_1)
	v_add_nc_u32_e32 v1, v1, v2
	v_or_b32_e32 v2, 16, v3
	v_add_nc_u32_e32 v3, 4, v4
	ds_bpermute_b32 v2, v2, v1
	v_cmp_gt_u32_e32 vcc_lo, s2, v3
	s_wait_dscnt 0x0
	s_wait_alu 0xfffd
	v_cndmask_b32_e32 v2, 0, v2, vcc_lo
	s_delay_alu instid0(VALU_DEP_1)
	v_add_nc_u32_e32 v1, v1, v2
.LBB182_510:
	s_wait_alu 0xfffe
	s_or_b32 exec_lo, exec_lo, s3
.LBB182_511:
	v_cmp_eq_u32_e64 s2, 0, v0
.LBB182_512:
	s_branch .LBB182_623
.LBB182_513:
	s_cmp_gt_i32 s44, 3
	s_cbranch_scc0 .LBB182_522
; %bb.514:
	s_cmp_gt_i32 s44, 7
	s_cbranch_scc0 .LBB182_523
; %bb.515:
	s_cmp_eq_u32 s44, 8
	s_cbranch_scc0 .LBB182_531
; %bb.516:
	s_mov_b32 s35, 0
	s_lshl_b32 s2, s34, 11
	s_mov_b32 s3, s35
	s_lshr_b64 s[4:5], s[36:37], 11
	s_lshl_b64 s[6:7], s[2:3], 2
	s_cmp_lg_u64 s[4:5], s[34:35]
	s_add_nc_u64 s[8:9], s[40:41], s[6:7]
	s_cbranch_scc0 .LBB182_573
; %bb.517:
	v_lshlrev_b32_e32 v1, 2, v0
	s_mov_b32 s3, exec_lo
	s_clause 0x7
	global_load_b32 v2, v1, s[8:9]
	global_load_b32 v3, v1, s[8:9] offset:2048
	global_load_b32 v4, v1, s[8:9] offset:1024
	;; [unrolled: 1-line block ×7, first 2 shown]
	s_wait_loadcnt 0x7
	v_cmp_ne_u32_e32 vcc_lo, 0, v2
	v_cndmask_b32_e64 v2, 0, 1, vcc_lo
	s_wait_loadcnt 0x6
	v_cmp_ne_u32_e32 vcc_lo, 0, v3
	s_wait_alu 0xfffd
	v_cndmask_b32_e64 v3, 0, 1, vcc_lo
	s_wait_loadcnt 0x5
	v_cmp_ne_u32_e32 vcc_lo, 0, v4
	s_wait_alu 0xfffd
	v_add_co_ci_u32_e64 v2, null, 0, v2, vcc_lo
	s_wait_loadcnt 0x4
	v_cmp_ne_u32_e32 vcc_lo, 0, v5
	s_wait_alu 0xfffd
	v_cndmask_b32_e64 v4, 0, 1, vcc_lo
	s_wait_loadcnt 0x3
	v_cmp_ne_u32_e32 vcc_lo, 0, v6
	s_wait_alu 0xfffd
	v_add_co_ci_u32_e64 v2, null, v2, v3, vcc_lo
	;; [unrolled: 8-line block ×3, first 2 shown]
	s_wait_loadcnt 0x0
	v_cmp_ne_u32_e32 vcc_lo, 0, v1
	s_wait_alu 0xfffd
	s_delay_alu instid0(VALU_DEP_2) | instskip(NEXT) | instid1(VALU_DEP_1)
	v_add_co_ci_u32_e64 v1, null, v2, v3, vcc_lo
	v_mov_b32_dpp v2, v1 quad_perm:[1,0,3,2] row_mask:0xf bank_mask:0xf
	s_delay_alu instid0(VALU_DEP_1) | instskip(NEXT) | instid1(VALU_DEP_1)
	v_add_nc_u32_e32 v1, v1, v2
	v_mov_b32_dpp v2, v1 quad_perm:[2,3,0,1] row_mask:0xf bank_mask:0xf
	s_delay_alu instid0(VALU_DEP_1) | instskip(NEXT) | instid1(VALU_DEP_1)
	v_add_nc_u32_e32 v1, v1, v2
	v_mov_b32_dpp v2, v1 row_ror:4 row_mask:0xf bank_mask:0xf
	s_delay_alu instid0(VALU_DEP_1) | instskip(NEXT) | instid1(VALU_DEP_1)
	v_add_nc_u32_e32 v1, v1, v2
	v_mov_b32_dpp v2, v1 row_ror:8 row_mask:0xf bank_mask:0xf
	s_delay_alu instid0(VALU_DEP_1)
	v_add_nc_u32_e32 v1, v1, v2
	ds_swizzle_b32 v2, v1 offset:swizzle(BROADCAST,32,15)
	s_wait_dscnt 0x0
	v_dual_mov_b32 v2, 0 :: v_dual_add_nc_u32 v1, v1, v2
	ds_bpermute_b32 v1, v2, v1 offset:124
	v_mbcnt_lo_u32_b32 v2, -1, 0
	s_delay_alu instid0(VALU_DEP_1)
	v_cmpx_eq_u32_e32 0, v2
	s_cbranch_execz .LBB182_519
; %bb.518:
	v_lshrrev_b32_e32 v3, 3, v0
	s_delay_alu instid0(VALU_DEP_1)
	v_and_b32_e32 v3, 28, v3
	s_wait_dscnt 0x0
	ds_store_b32 v3, v1 offset:224
.LBB182_519:
	s_or_b32 exec_lo, exec_lo, s3
	s_delay_alu instid0(SALU_CYCLE_1)
	s_mov_b32 s3, exec_lo
	s_wait_dscnt 0x0
	s_barrier_signal -1
	s_barrier_wait -1
	global_inv scope:SCOPE_SE
	v_cmpx_gt_u32_e32 32, v0
	s_cbranch_execz .LBB182_521
; %bb.520:
	v_lshl_or_b32 v1, v2, 2, 0xe0
	v_and_b32_e32 v3, 7, v2
	ds_load_b32 v1, v1
	v_cmp_ne_u32_e32 vcc_lo, 7, v3
	s_wait_alu 0xfffd
	v_add_co_ci_u32_e64 v4, null, 0, v2, vcc_lo
	v_cmp_gt_u32_e32 vcc_lo, 6, v3
	s_delay_alu instid0(VALU_DEP_2) | instskip(SKIP_2) | instid1(VALU_DEP_1)
	v_lshlrev_b32_e32 v4, 2, v4
	s_wait_alu 0xfffd
	v_cndmask_b32_e64 v3, 0, 2, vcc_lo
	v_add_lshl_u32 v3, v3, v2, 2
	v_lshlrev_b32_e32 v2, 2, v2
	s_wait_dscnt 0x0
	ds_bpermute_b32 v4, v4, v1
	v_or_b32_e32 v2, 16, v2
	s_wait_dscnt 0x0
	v_add_nc_u32_e32 v1, v4, v1
	ds_bpermute_b32 v3, v3, v1
	s_wait_dscnt 0x0
	v_add_nc_u32_e32 v1, v3, v1
	ds_bpermute_b32 v2, v2, v1
	s_wait_dscnt 0x0
	v_add_nc_u32_e32 v1, v2, v1
.LBB182_521:
	s_or_b32 exec_lo, exec_lo, s3
	s_mov_b32 s3, 0
	s_branch .LBB182_574
.LBB182_522:
                                        ; implicit-def: $vgpr1
	s_cbranch_execnz .LBB182_614
	s_branch .LBB182_623
.LBB182_523:
                                        ; implicit-def: $vgpr1
	s_cbranch_execz .LBB182_597
; %bb.524:
	s_cmp_eq_u32 s44, 4
	s_cbranch_scc0 .LBB182_532
; %bb.525:
	s_mov_b32 s35, 0
	s_lshl_b32 s2, s34, 10
	s_mov_b32 s3, s35
	s_lshr_b64 s[4:5], s[36:37], 10
	s_lshl_b64 s[6:7], s[2:3], 2
	s_cmp_lg_u64 s[4:5], s[34:35]
	s_add_nc_u64 s[4:5], s[40:41], s[6:7]
	s_cbranch_scc0 .LBB182_598
; %bb.526:
	v_lshlrev_b32_e32 v1, 2, v0
	s_mov_b32 s3, exec_lo
	s_clause 0x3
	global_load_b32 v2, v1, s[4:5]
	global_load_b32 v3, v1, s[4:5] offset:2048
	global_load_b32 v4, v1, s[4:5] offset:1024
	;; [unrolled: 1-line block ×3, first 2 shown]
	s_wait_loadcnt 0x3
	v_cmp_ne_u32_e32 vcc_lo, 0, v2
	v_cndmask_b32_e64 v2, 0, 1, vcc_lo
	s_wait_loadcnt 0x2
	v_cmp_ne_u32_e32 vcc_lo, 0, v3
	s_wait_alu 0xfffd
	v_cndmask_b32_e64 v3, 0, 1, vcc_lo
	s_wait_loadcnt 0x1
	v_cmp_ne_u32_e32 vcc_lo, 0, v4
	s_wait_alu 0xfffd
	v_add_co_ci_u32_e64 v2, null, 0, v2, vcc_lo
	s_wait_loadcnt 0x0
	v_cmp_ne_u32_e32 vcc_lo, 0, v1
	s_wait_alu 0xfffd
	s_delay_alu instid0(VALU_DEP_2) | instskip(NEXT) | instid1(VALU_DEP_1)
	v_add_co_ci_u32_e64 v1, null, v2, v3, vcc_lo
	v_mov_b32_dpp v2, v1 quad_perm:[1,0,3,2] row_mask:0xf bank_mask:0xf
	s_delay_alu instid0(VALU_DEP_1) | instskip(NEXT) | instid1(VALU_DEP_1)
	v_add_nc_u32_e32 v1, v1, v2
	v_mov_b32_dpp v2, v1 quad_perm:[2,3,0,1] row_mask:0xf bank_mask:0xf
	s_delay_alu instid0(VALU_DEP_1) | instskip(NEXT) | instid1(VALU_DEP_1)
	v_add_nc_u32_e32 v1, v1, v2
	v_mov_b32_dpp v2, v1 row_ror:4 row_mask:0xf bank_mask:0xf
	s_delay_alu instid0(VALU_DEP_1) | instskip(NEXT) | instid1(VALU_DEP_1)
	v_add_nc_u32_e32 v1, v1, v2
	v_mov_b32_dpp v2, v1 row_ror:8 row_mask:0xf bank_mask:0xf
	s_delay_alu instid0(VALU_DEP_1)
	v_add_nc_u32_e32 v1, v1, v2
	ds_swizzle_b32 v2, v1 offset:swizzle(BROADCAST,32,15)
	s_wait_dscnt 0x0
	v_dual_mov_b32 v2, 0 :: v_dual_add_nc_u32 v1, v1, v2
	ds_bpermute_b32 v1, v2, v1 offset:124
	v_mbcnt_lo_u32_b32 v2, -1, 0
	s_delay_alu instid0(VALU_DEP_1)
	v_cmpx_eq_u32_e32 0, v2
	s_cbranch_execz .LBB182_528
; %bb.527:
	v_lshrrev_b32_e32 v3, 3, v0
	s_delay_alu instid0(VALU_DEP_1)
	v_and_b32_e32 v3, 28, v3
	s_wait_dscnt 0x0
	ds_store_b32 v3, v1 offset:160
.LBB182_528:
	s_or_b32 exec_lo, exec_lo, s3
	s_delay_alu instid0(SALU_CYCLE_1)
	s_mov_b32 s3, exec_lo
	s_wait_dscnt 0x0
	s_barrier_signal -1
	s_barrier_wait -1
	global_inv scope:SCOPE_SE
	v_cmpx_gt_u32_e32 32, v0
	s_cbranch_execz .LBB182_530
; %bb.529:
	v_and_b32_e32 v1, 7, v2
	s_delay_alu instid0(VALU_DEP_1)
	v_lshlrev_b32_e32 v3, 2, v1
	v_cmp_ne_u32_e32 vcc_lo, 7, v1
	ds_load_b32 v3, v3 offset:160
	s_wait_alu 0xfffd
	v_add_co_ci_u32_e64 v4, null, 0, v2, vcc_lo
	v_cmp_gt_u32_e32 vcc_lo, 6, v1
	s_delay_alu instid0(VALU_DEP_2) | instskip(SKIP_2) | instid1(VALU_DEP_1)
	v_lshlrev_b32_e32 v4, 2, v4
	s_wait_alu 0xfffd
	v_cndmask_b32_e64 v1, 0, 2, vcc_lo
	v_add_lshl_u32 v1, v1, v2, 2
	v_lshlrev_b32_e32 v2, 2, v2
	s_delay_alu instid0(VALU_DEP_1)
	v_or_b32_e32 v2, 16, v2
	s_wait_dscnt 0x0
	ds_bpermute_b32 v4, v4, v3
	s_wait_dscnt 0x0
	v_add_nc_u32_e32 v3, v4, v3
	ds_bpermute_b32 v1, v1, v3
	s_wait_dscnt 0x0
	v_add_nc_u32_e32 v1, v1, v3
	;; [unrolled: 3-line block ×3, first 2 shown]
.LBB182_530:
	s_or_b32 exec_lo, exec_lo, s3
	s_mov_b32 s3, 0
	s_branch .LBB182_599
.LBB182_531:
                                        ; implicit-def: $vgpr1
	s_branch .LBB182_597
.LBB182_532:
                                        ; implicit-def: $vgpr1
	s_branch .LBB182_623
.LBB182_533:
	s_mov_b32 s3, -1
                                        ; implicit-def: $vgpr1
.LBB182_534:
	s_delay_alu instid0(SALU_CYCLE_1)
	s_and_b32 vcc_lo, exec_lo, s3
	s_wait_alu 0xfffe
	s_cbranch_vccz .LBB182_572
; %bb.535:
	v_mov_b32_e32 v1, 0
	s_sub_co_i32 s18, s36, s2
	s_mov_b32 s2, exec_lo
	s_delay_alu instid0(VALU_DEP_1)
	v_dual_mov_b32 v2, v1 :: v_dual_mov_b32 v3, v1
	v_dual_mov_b32 v4, v1 :: v_dual_mov_b32 v5, v1
	;; [unrolled: 1-line block ×7, first 2 shown]
	v_mov_b32_e32 v16, v1
	v_cmpx_gt_u32_e64 s18, v0
	s_cbranch_execz .LBB182_537
; %bb.536:
	v_dual_mov_b32 v3, v1 :: v_dual_lshlrev_b32 v2, 2, v0
	v_dual_mov_b32 v16, v1 :: v_dual_mov_b32 v17, v1
	v_dual_mov_b32 v4, v1 :: v_dual_mov_b32 v5, v1
	global_load_b32 v2, v2, s[16:17]
	v_dual_mov_b32 v6, v1 :: v_dual_mov_b32 v7, v1
	v_dual_mov_b32 v8, v1 :: v_dual_mov_b32 v9, v1
	;; [unrolled: 1-line block ×5, first 2 shown]
	s_wait_loadcnt 0x0
	v_cmp_ne_u32_e32 vcc_lo, 0, v2
	s_wait_alu 0xfffd
	v_cndmask_b32_e64 v2, 0, 1, vcc_lo
	s_delay_alu instid0(VALU_DEP_1) | instskip(NEXT) | instid1(VALU_DEP_1)
	v_and_b32_e32 v2, 0xffff, v2
	v_mov_b32_e32 v1, v2
	v_mov_b32_e32 v2, v3
	;; [unrolled: 1-line block ×16, first 2 shown]
.LBB182_537:
	s_or_b32 exec_lo, exec_lo, s2
	v_or_b32_e32 v17, 0x100, v0
	s_delay_alu instid0(VALU_DEP_1)
	v_cmp_gt_u32_e32 vcc_lo, s18, v17
	s_and_saveexec_b32 s3, vcc_lo
	s_cbranch_execz .LBB182_539
; %bb.538:
	v_lshlrev_b32_e32 v2, 2, v0
	global_load_b32 v2, v2, s[16:17] offset:1024
	s_wait_loadcnt 0x0
	v_cmp_ne_u32_e64 s2, 0, v2
	s_delay_alu instid0(VALU_DEP_1)
	v_cndmask_b32_e64 v2, 0, 1, s2
.LBB182_539:
	s_or_b32 exec_lo, exec_lo, s3
	v_or_b32_e32 v17, 0x200, v0
	s_delay_alu instid0(VALU_DEP_1)
	v_cmp_gt_u32_e64 s2, s18, v17
	s_and_saveexec_b32 s4, s2
	s_cbranch_execz .LBB182_541
; %bb.540:
	v_lshlrev_b32_e32 v3, 2, v0
	global_load_b32 v3, v3, s[16:17] offset:2048
	s_wait_loadcnt 0x0
	v_cmp_ne_u32_e64 s3, 0, v3
	s_wait_alu 0xf1ff
	s_delay_alu instid0(VALU_DEP_1)
	v_cndmask_b32_e64 v3, 0, 1, s3
.LBB182_541:
	s_or_b32 exec_lo, exec_lo, s4
	v_or_b32_e32 v17, 0x300, v0
	s_delay_alu instid0(VALU_DEP_1)
	v_cmp_gt_u32_e64 s3, s18, v17
	s_and_saveexec_b32 s5, s3
	s_cbranch_execz .LBB182_543
; %bb.542:
	v_lshlrev_b32_e32 v4, 2, v0
	global_load_b32 v4, v4, s[16:17] offset:3072
	s_wait_loadcnt 0x0
	v_cmp_ne_u32_e64 s4, 0, v4
	s_delay_alu instid0(VALU_DEP_1)
	v_cndmask_b32_e64 v4, 0, 1, s4
.LBB182_543:
	s_or_b32 exec_lo, exec_lo, s5
	v_or_b32_e32 v17, 0x400, v0
	s_delay_alu instid0(VALU_DEP_1)
	v_cmp_gt_u32_e64 s4, s18, v17
	s_and_saveexec_b32 s6, s4
	s_cbranch_execz .LBB182_545
; %bb.544:
	v_lshlrev_b32_e32 v5, 2, v0
	global_load_b32 v5, v5, s[16:17] offset:4096
	s_wait_loadcnt 0x0
	v_cmp_ne_u32_e64 s5, 0, v5
	s_wait_alu 0xf1ff
	s_delay_alu instid0(VALU_DEP_1)
	v_cndmask_b32_e64 v5, 0, 1, s5
.LBB182_545:
	s_or_b32 exec_lo, exec_lo, s6
	v_or_b32_e32 v17, 0x500, v0
	s_delay_alu instid0(VALU_DEP_1)
	v_cmp_gt_u32_e64 s5, s18, v17
	s_and_saveexec_b32 s7, s5
	;; [unrolled: 29-line block ×6, first 2 shown]
	s_cbranch_execz .LBB182_563
; %bb.562:
	v_lshlrev_b32_e32 v14, 2, v0
	global_load_b32 v14, v14, s[16:17] offset:13312
	s_wait_loadcnt 0x0
	v_cmp_ne_u32_e64 s14, 0, v14
	s_delay_alu instid0(VALU_DEP_1)
	v_cndmask_b32_e64 v14, 0, 1, s14
.LBB182_563:
	s_or_b32 exec_lo, exec_lo, s15
	v_or_b32_e32 v17, 0xe00, v0
	s_delay_alu instid0(VALU_DEP_1)
	v_cmp_gt_u32_e64 s14, s18, v17
	s_and_saveexec_b32 s19, s14
	s_cbranch_execz .LBB182_565
; %bb.564:
	v_lshlrev_b32_e32 v15, 2, v0
	global_load_b32 v15, v15, s[16:17] offset:14336
	s_wait_loadcnt 0x0
	v_cmp_ne_u32_e64 s15, 0, v15
	s_wait_alu 0xf1ff
	s_delay_alu instid0(VALU_DEP_1)
	v_cndmask_b32_e64 v15, 0, 1, s15
.LBB182_565:
	s_wait_alu 0xfffe
	s_or_b32 exec_lo, exec_lo, s19
	v_or_b32_e32 v17, 0xf00, v0
	s_delay_alu instid0(VALU_DEP_1)
	v_cmp_gt_u32_e64 s15, s18, v17
	s_and_saveexec_b32 s19, s15
	s_cbranch_execz .LBB182_567
; %bb.566:
	v_lshlrev_b32_e32 v16, 2, v0
	global_load_b32 v16, v16, s[16:17] offset:15360
	s_wait_loadcnt 0x0
	v_cmp_ne_u32_e64 s16, 0, v16
	s_delay_alu instid0(VALU_DEP_1)
	v_cndmask_b32_e64 v16, 0, 1, s16
.LBB182_567:
	s_wait_alu 0xfffe
	s_or_b32 exec_lo, exec_lo, s19
	v_cndmask_b32_e32 v2, 0, v2, vcc_lo
	v_cndmask_b32_e64 v3, 0, v3, s2
	v_cndmask_b32_e64 v4, 0, v4, s3
	s_min_u32 s2, s18, 0x100
	s_mov_b32 s3, exec_lo
	v_add_nc_u32_e32 v1, v2, v1
	v_cndmask_b32_e64 v2, 0, v5, s4
	v_cndmask_b32_e64 v5, 0, v6, s5
	;; [unrolled: 1-line block ×3, first 2 shown]
	s_delay_alu instid0(VALU_DEP_4) | instskip(SKIP_3) | instid1(VALU_DEP_4)
	v_add3_u32 v1, v1, v3, v4
	v_cndmask_b32_e64 v3, 0, v7, s6
	v_cndmask_b32_e64 v4, 0, v8, s7
	;; [unrolled: 1-line block ×3, first 2 shown]
	v_add3_u32 v1, v1, v2, v5
	v_cndmask_b32_e64 v2, 0, v9, s8
	v_cndmask_b32_e64 v5, 0, v10, s9
	s_delay_alu instid0(VALU_DEP_3) | instskip(SKIP_2) | instid1(VALU_DEP_3)
	v_add3_u32 v1, v1, v3, v4
	v_cndmask_b32_e64 v3, 0, v11, s10
	v_cndmask_b32_e64 v4, 0, v12, s11
	v_add3_u32 v1, v1, v2, v5
	v_mbcnt_lo_u32_b32 v2, -1, 0
	v_cndmask_b32_e64 v5, 0, v13, s12
	s_delay_alu instid0(VALU_DEP_3) | instskip(NEXT) | instid1(VALU_DEP_3)
	v_add3_u32 v1, v1, v3, v4
	v_cmp_ne_u32_e32 vcc_lo, 31, v2
	v_cndmask_b32_e64 v3, 0, v16, s15
	s_delay_alu instid0(VALU_DEP_3)
	v_add3_u32 v1, v1, v5, v6
	s_wait_alu 0xfffd
	v_add_co_ci_u32_e64 v4, null, 0, v2, vcc_lo
	v_add_nc_u32_e32 v5, 1, v2
	v_cmp_gt_u32_e32 vcc_lo, 30, v2
	v_add3_u32 v1, v1, v7, v3
	s_delay_alu instid0(VALU_DEP_4)
	v_lshlrev_b32_e32 v4, 2, v4
	s_wait_alu 0xfffd
	v_cndmask_b32_e64 v6, 0, 2, vcc_lo
	ds_bpermute_b32 v3, v4, v1
	v_and_b32_e32 v4, 0xe0, v0
	s_wait_alu 0xfffe
	s_delay_alu instid0(VALU_DEP_1) | instskip(NEXT) | instid1(VALU_DEP_1)
	v_sub_nc_u32_e64 v4, s2, v4 clamp
	v_cmp_lt_u32_e32 vcc_lo, v5, v4
	v_add_lshl_u32 v5, v6, v2, 2
	s_wait_dscnt 0x0
	s_wait_alu 0xfffd
	v_cndmask_b32_e32 v3, 0, v3, vcc_lo
	v_cmp_gt_u32_e32 vcc_lo, 28, v2
	s_delay_alu instid0(VALU_DEP_2) | instskip(SKIP_4) | instid1(VALU_DEP_1)
	v_add_nc_u32_e32 v1, v1, v3
	s_wait_alu 0xfffd
	v_cndmask_b32_e64 v6, 0, 4, vcc_lo
	ds_bpermute_b32 v3, v5, v1
	v_add_nc_u32_e32 v5, 2, v2
	v_cmp_lt_u32_e32 vcc_lo, v5, v4
	v_add_lshl_u32 v5, v6, v2, 2
	s_wait_dscnt 0x0
	s_wait_alu 0xfffd
	v_cndmask_b32_e32 v3, 0, v3, vcc_lo
	v_cmp_gt_u32_e32 vcc_lo, 24, v2
	s_delay_alu instid0(VALU_DEP_2) | instskip(SKIP_4) | instid1(VALU_DEP_1)
	v_add_nc_u32_e32 v1, v1, v3
	s_wait_alu 0xfffd
	v_cndmask_b32_e64 v6, 0, 8, vcc_lo
	ds_bpermute_b32 v3, v5, v1
	v_add_nc_u32_e32 v5, 4, v2
	v_cmp_lt_u32_e32 vcc_lo, v5, v4
	v_add_lshl_u32 v5, v6, v2, 2
	s_wait_dscnt 0x0
	s_wait_alu 0xfffd
	v_cndmask_b32_e32 v3, 0, v3, vcc_lo
	s_delay_alu instid0(VALU_DEP_1) | instskip(SKIP_3) | instid1(VALU_DEP_1)
	v_add_nc_u32_e32 v1, v1, v3
	v_lshlrev_b32_e32 v3, 2, v2
	ds_bpermute_b32 v5, v5, v1
	v_add_nc_u32_e32 v6, 8, v2
	v_cmp_lt_u32_e32 vcc_lo, v6, v4
	v_or_b32_e32 v6, 64, v3
	s_wait_dscnt 0x0
	s_wait_alu 0xfffd
	v_cndmask_b32_e32 v5, 0, v5, vcc_lo
	s_delay_alu instid0(VALU_DEP_1) | instskip(SKIP_2) | instid1(VALU_DEP_1)
	v_add_nc_u32_e32 v1, v1, v5
	ds_bpermute_b32 v5, v6, v1
	v_add_nc_u32_e32 v6, 16, v2
	v_cmp_lt_u32_e32 vcc_lo, v6, v4
	s_wait_dscnt 0x0
	s_wait_alu 0xfffd
	v_cndmask_b32_e32 v4, 0, v5, vcc_lo
	s_delay_alu instid0(VALU_DEP_1)
	v_add_nc_u32_e32 v1, v1, v4
	v_cmpx_eq_u32_e32 0, v2
; %bb.568:
	v_lshrrev_b32_e32 v4, 3, v0
	s_delay_alu instid0(VALU_DEP_1)
	v_and_b32_e32 v4, 28, v4
	ds_store_b32 v4, v1 offset:256
; %bb.569:
	s_or_b32 exec_lo, exec_lo, s3
	s_delay_alu instid0(SALU_CYCLE_1)
	s_mov_b32 s3, exec_lo
	s_wait_loadcnt_dscnt 0x0
	s_barrier_signal -1
	s_barrier_wait -1
	global_inv scope:SCOPE_SE
	v_cmpx_gt_u32_e32 8, v0
	s_cbranch_execz .LBB182_571
; %bb.570:
	ds_load_b32 v1, v3 offset:256
	v_and_b32_e32 v4, 7, v2
	s_add_co_i32 s2, s2, 31
	s_wait_alu 0xfffe
	s_lshr_b32 s2, s2, 5
	s_delay_alu instid0(VALU_DEP_1) | instskip(SKIP_4) | instid1(VALU_DEP_2)
	v_cmp_ne_u32_e32 vcc_lo, 7, v4
	v_add_nc_u32_e32 v6, 1, v4
	s_wait_alu 0xfffd
	v_add_co_ci_u32_e64 v5, null, 0, v2, vcc_lo
	v_cmp_gt_u32_e32 vcc_lo, 6, v4
	v_lshlrev_b32_e32 v5, 2, v5
	s_wait_alu 0xfffd
	v_cndmask_b32_e64 v7, 0, 2, vcc_lo
	s_wait_alu 0xfffe
	v_cmp_gt_u32_e32 vcc_lo, s2, v6
	s_wait_dscnt 0x0
	ds_bpermute_b32 v5, v5, v1
	v_add_lshl_u32 v2, v7, v2, 2
	s_wait_dscnt 0x0
	s_wait_alu 0xfffd
	v_cndmask_b32_e32 v5, 0, v5, vcc_lo
	s_delay_alu instid0(VALU_DEP_1)
	v_add_nc_u32_e32 v1, v5, v1
	v_add_nc_u32_e32 v5, 2, v4
	ds_bpermute_b32 v2, v2, v1
	v_cmp_gt_u32_e32 vcc_lo, s2, v5
	s_wait_dscnt 0x0
	s_wait_alu 0xfffd
	v_cndmask_b32_e32 v2, 0, v2, vcc_lo
	s_delay_alu instid0(VALU_DEP_1)
	v_add_nc_u32_e32 v1, v1, v2
	v_or_b32_e32 v2, 16, v3
	v_add_nc_u32_e32 v3, 4, v4
	ds_bpermute_b32 v2, v2, v1
	v_cmp_gt_u32_e32 vcc_lo, s2, v3
	s_wait_dscnt 0x0
	s_wait_alu 0xfffd
	v_cndmask_b32_e32 v2, 0, v2, vcc_lo
	s_delay_alu instid0(VALU_DEP_1)
	v_add_nc_u32_e32 v1, v1, v2
.LBB182_571:
	s_wait_alu 0xfffe
	s_or_b32 exec_lo, exec_lo, s3
.LBB182_572:
	v_cmp_eq_u32_e64 s2, 0, v0
	s_branch .LBB182_623
.LBB182_573:
	s_mov_b32 s3, -1
                                        ; implicit-def: $vgpr1
.LBB182_574:
	s_delay_alu instid0(SALU_CYCLE_1)
	s_and_b32 vcc_lo, exec_lo, s3
	s_wait_alu 0xfffe
	s_cbranch_vccz .LBB182_596
; %bb.575:
	v_mov_b32_e32 v1, 0
	s_sub_co_i32 s10, s36, s2
	s_mov_b32 s2, exec_lo
	s_delay_alu instid0(VALU_DEP_1)
	v_dual_mov_b32 v2, v1 :: v_dual_mov_b32 v3, v1
	v_dual_mov_b32 v4, v1 :: v_dual_mov_b32 v5, v1
	;; [unrolled: 1-line block ×3, first 2 shown]
	v_mov_b32_e32 v8, v1
	v_cmpx_gt_u32_e64 s10, v0
	s_cbranch_execz .LBB182_577
; %bb.576:
	v_dual_mov_b32 v3, v1 :: v_dual_lshlrev_b32 v2, 2, v0
	v_dual_mov_b32 v8, v1 :: v_dual_mov_b32 v9, v1
	v_dual_mov_b32 v4, v1 :: v_dual_mov_b32 v5, v1
	global_load_b32 v2, v2, s[8:9]
	v_dual_mov_b32 v6, v1 :: v_dual_mov_b32 v7, v1
	s_wait_loadcnt 0x0
	v_cmp_ne_u32_e32 vcc_lo, 0, v2
	s_wait_alu 0xfffd
	v_cndmask_b32_e64 v2, 0, 1, vcc_lo
	s_delay_alu instid0(VALU_DEP_1) | instskip(NEXT) | instid1(VALU_DEP_1)
	v_and_b32_e32 v2, 0xffff, v2
	v_mov_b32_e32 v1, v2
	v_mov_b32_e32 v2, v3
	;; [unrolled: 1-line block ×8, first 2 shown]
.LBB182_577:
	s_or_b32 exec_lo, exec_lo, s2
	v_or_b32_e32 v9, 0x100, v0
	s_delay_alu instid0(VALU_DEP_1)
	v_cmp_gt_u32_e32 vcc_lo, s10, v9
	s_and_saveexec_b32 s3, vcc_lo
	s_cbranch_execz .LBB182_579
; %bb.578:
	v_lshlrev_b32_e32 v2, 2, v0
	global_load_b32 v2, v2, s[8:9] offset:1024
	s_wait_loadcnt 0x0
	v_cmp_ne_u32_e64 s2, 0, v2
	s_delay_alu instid0(VALU_DEP_1)
	v_cndmask_b32_e64 v2, 0, 1, s2
.LBB182_579:
	s_or_b32 exec_lo, exec_lo, s3
	v_or_b32_e32 v9, 0x200, v0
	s_delay_alu instid0(VALU_DEP_1)
	v_cmp_gt_u32_e64 s2, s10, v9
	s_and_saveexec_b32 s4, s2
	s_cbranch_execz .LBB182_581
; %bb.580:
	v_lshlrev_b32_e32 v3, 2, v0
	global_load_b32 v3, v3, s[8:9] offset:2048
	s_wait_loadcnt 0x0
	v_cmp_ne_u32_e64 s3, 0, v3
	s_wait_alu 0xf1ff
	s_delay_alu instid0(VALU_DEP_1)
	v_cndmask_b32_e64 v3, 0, 1, s3
.LBB182_581:
	s_or_b32 exec_lo, exec_lo, s4
	v_or_b32_e32 v9, 0x300, v0
	s_delay_alu instid0(VALU_DEP_1)
	v_cmp_gt_u32_e64 s3, s10, v9
	s_and_saveexec_b32 s5, s3
	s_cbranch_execz .LBB182_583
; %bb.582:
	v_lshlrev_b32_e32 v4, 2, v0
	global_load_b32 v4, v4, s[8:9] offset:3072
	s_wait_loadcnt 0x0
	v_cmp_ne_u32_e64 s4, 0, v4
	s_delay_alu instid0(VALU_DEP_1)
	v_cndmask_b32_e64 v4, 0, 1, s4
.LBB182_583:
	s_or_b32 exec_lo, exec_lo, s5
	v_or_b32_e32 v9, 0x400, v0
	s_delay_alu instid0(VALU_DEP_1)
	v_cmp_gt_u32_e64 s4, s10, v9
	s_and_saveexec_b32 s6, s4
	s_cbranch_execz .LBB182_585
; %bb.584:
	v_lshlrev_b32_e32 v5, 2, v0
	global_load_b32 v5, v5, s[8:9] offset:4096
	s_wait_loadcnt 0x0
	v_cmp_ne_u32_e64 s5, 0, v5
	s_wait_alu 0xf1ff
	s_delay_alu instid0(VALU_DEP_1)
	v_cndmask_b32_e64 v5, 0, 1, s5
.LBB182_585:
	s_or_b32 exec_lo, exec_lo, s6
	v_or_b32_e32 v9, 0x500, v0
	s_delay_alu instid0(VALU_DEP_1)
	v_cmp_gt_u32_e64 s5, s10, v9
	s_and_saveexec_b32 s7, s5
	s_cbranch_execz .LBB182_587
; %bb.586:
	v_lshlrev_b32_e32 v6, 2, v0
	global_load_b32 v6, v6, s[8:9] offset:5120
	s_wait_loadcnt 0x0
	v_cmp_ne_u32_e64 s6, 0, v6
	s_delay_alu instid0(VALU_DEP_1)
	v_cndmask_b32_e64 v6, 0, 1, s6
.LBB182_587:
	s_or_b32 exec_lo, exec_lo, s7
	v_or_b32_e32 v9, 0x600, v0
	s_delay_alu instid0(VALU_DEP_1)
	v_cmp_gt_u32_e64 s6, s10, v9
	s_and_saveexec_b32 s11, s6
	s_cbranch_execz .LBB182_589
; %bb.588:
	v_lshlrev_b32_e32 v7, 2, v0
	global_load_b32 v7, v7, s[8:9] offset:6144
	s_wait_loadcnt 0x0
	v_cmp_ne_u32_e64 s7, 0, v7
	s_wait_alu 0xf1ff
	s_delay_alu instid0(VALU_DEP_1)
	v_cndmask_b32_e64 v7, 0, 1, s7
.LBB182_589:
	s_wait_alu 0xfffe
	s_or_b32 exec_lo, exec_lo, s11
	v_or_b32_e32 v9, 0x700, v0
	s_delay_alu instid0(VALU_DEP_1)
	v_cmp_gt_u32_e64 s7, s10, v9
	s_and_saveexec_b32 s11, s7
	s_cbranch_execz .LBB182_591
; %bb.590:
	v_lshlrev_b32_e32 v8, 2, v0
	global_load_b32 v8, v8, s[8:9] offset:7168
	s_wait_loadcnt 0x0
	v_cmp_ne_u32_e64 s8, 0, v8
	s_delay_alu instid0(VALU_DEP_1)
	v_cndmask_b32_e64 v8, 0, 1, s8
.LBB182_591:
	s_wait_alu 0xfffe
	s_or_b32 exec_lo, exec_lo, s11
	v_cndmask_b32_e32 v2, 0, v2, vcc_lo
	v_cndmask_b32_e64 v3, 0, v3, s2
	v_cndmask_b32_e64 v4, 0, v4, s3
	;; [unrolled: 1-line block ×4, first 2 shown]
	v_add_nc_u32_e32 v1, v2, v1
	v_mbcnt_lo_u32_b32 v2, -1, 0
	v_cndmask_b32_e64 v7, 0, v7, s6
	s_min_u32 s2, s10, 0x100
	s_mov_b32 s3, exec_lo
	v_add3_u32 v1, v1, v3, v4
	v_cmp_ne_u32_e32 vcc_lo, 31, v2
	v_cndmask_b32_e64 v3, 0, v8, s7
	s_delay_alu instid0(VALU_DEP_3)
	v_add3_u32 v1, v1, v5, v6
	s_wait_alu 0xfffd
	v_add_co_ci_u32_e64 v4, null, 0, v2, vcc_lo
	v_add_nc_u32_e32 v5, 1, v2
	v_cmp_gt_u32_e32 vcc_lo, 30, v2
	v_add3_u32 v1, v1, v7, v3
	s_delay_alu instid0(VALU_DEP_4)
	v_lshlrev_b32_e32 v4, 2, v4
	s_wait_alu 0xfffd
	v_cndmask_b32_e64 v6, 0, 2, vcc_lo
	ds_bpermute_b32 v3, v4, v1
	v_and_b32_e32 v4, 0xe0, v0
	s_wait_alu 0xfffe
	s_delay_alu instid0(VALU_DEP_1) | instskip(NEXT) | instid1(VALU_DEP_1)
	v_sub_nc_u32_e64 v4, s2, v4 clamp
	v_cmp_lt_u32_e32 vcc_lo, v5, v4
	v_add_lshl_u32 v5, v6, v2, 2
	s_wait_dscnt 0x0
	s_wait_alu 0xfffd
	v_cndmask_b32_e32 v3, 0, v3, vcc_lo
	v_cmp_gt_u32_e32 vcc_lo, 28, v2
	s_delay_alu instid0(VALU_DEP_2) | instskip(SKIP_4) | instid1(VALU_DEP_1)
	v_add_nc_u32_e32 v1, v1, v3
	s_wait_alu 0xfffd
	v_cndmask_b32_e64 v6, 0, 4, vcc_lo
	ds_bpermute_b32 v3, v5, v1
	v_add_nc_u32_e32 v5, 2, v2
	v_cmp_lt_u32_e32 vcc_lo, v5, v4
	v_add_lshl_u32 v5, v6, v2, 2
	s_wait_dscnt 0x0
	s_wait_alu 0xfffd
	v_cndmask_b32_e32 v3, 0, v3, vcc_lo
	v_cmp_gt_u32_e32 vcc_lo, 24, v2
	s_delay_alu instid0(VALU_DEP_2) | instskip(SKIP_4) | instid1(VALU_DEP_1)
	v_add_nc_u32_e32 v1, v1, v3
	s_wait_alu 0xfffd
	v_cndmask_b32_e64 v6, 0, 8, vcc_lo
	ds_bpermute_b32 v3, v5, v1
	v_add_nc_u32_e32 v5, 4, v2
	v_cmp_lt_u32_e32 vcc_lo, v5, v4
	v_add_lshl_u32 v5, v6, v2, 2
	s_wait_dscnt 0x0
	s_wait_alu 0xfffd
	v_cndmask_b32_e32 v3, 0, v3, vcc_lo
	s_delay_alu instid0(VALU_DEP_1) | instskip(SKIP_3) | instid1(VALU_DEP_1)
	v_add_nc_u32_e32 v1, v1, v3
	v_lshlrev_b32_e32 v3, 2, v2
	ds_bpermute_b32 v5, v5, v1
	v_add_nc_u32_e32 v6, 8, v2
	v_cmp_lt_u32_e32 vcc_lo, v6, v4
	v_or_b32_e32 v6, 64, v3
	s_wait_dscnt 0x0
	s_wait_alu 0xfffd
	v_cndmask_b32_e32 v5, 0, v5, vcc_lo
	s_delay_alu instid0(VALU_DEP_1) | instskip(SKIP_2) | instid1(VALU_DEP_1)
	v_add_nc_u32_e32 v1, v1, v5
	ds_bpermute_b32 v5, v6, v1
	v_add_nc_u32_e32 v6, 16, v2
	v_cmp_lt_u32_e32 vcc_lo, v6, v4
	s_wait_dscnt 0x0
	s_wait_alu 0xfffd
	v_cndmask_b32_e32 v4, 0, v5, vcc_lo
	s_delay_alu instid0(VALU_DEP_1)
	v_add_nc_u32_e32 v1, v1, v4
	v_cmpx_eq_u32_e32 0, v2
; %bb.592:
	v_lshrrev_b32_e32 v4, 3, v0
	s_delay_alu instid0(VALU_DEP_1)
	v_and_b32_e32 v4, 28, v4
	ds_store_b32 v4, v1 offset:256
; %bb.593:
	s_or_b32 exec_lo, exec_lo, s3
	s_delay_alu instid0(SALU_CYCLE_1)
	s_mov_b32 s3, exec_lo
	s_wait_loadcnt_dscnt 0x0
	s_barrier_signal -1
	s_barrier_wait -1
	global_inv scope:SCOPE_SE
	v_cmpx_gt_u32_e32 8, v0
	s_cbranch_execz .LBB182_595
; %bb.594:
	ds_load_b32 v1, v3 offset:256
	v_and_b32_e32 v4, 7, v2
	s_add_co_i32 s2, s2, 31
	s_wait_alu 0xfffe
	s_lshr_b32 s2, s2, 5
	s_delay_alu instid0(VALU_DEP_1) | instskip(SKIP_4) | instid1(VALU_DEP_2)
	v_cmp_ne_u32_e32 vcc_lo, 7, v4
	v_add_nc_u32_e32 v6, 1, v4
	s_wait_alu 0xfffd
	v_add_co_ci_u32_e64 v5, null, 0, v2, vcc_lo
	v_cmp_gt_u32_e32 vcc_lo, 6, v4
	v_lshlrev_b32_e32 v5, 2, v5
	s_wait_alu 0xfffd
	v_cndmask_b32_e64 v7, 0, 2, vcc_lo
	s_wait_alu 0xfffe
	v_cmp_gt_u32_e32 vcc_lo, s2, v6
	s_wait_dscnt 0x0
	ds_bpermute_b32 v5, v5, v1
	v_add_lshl_u32 v2, v7, v2, 2
	s_wait_dscnt 0x0
	s_wait_alu 0xfffd
	v_cndmask_b32_e32 v5, 0, v5, vcc_lo
	s_delay_alu instid0(VALU_DEP_1)
	v_add_nc_u32_e32 v1, v5, v1
	v_add_nc_u32_e32 v5, 2, v4
	ds_bpermute_b32 v2, v2, v1
	v_cmp_gt_u32_e32 vcc_lo, s2, v5
	s_wait_dscnt 0x0
	s_wait_alu 0xfffd
	v_cndmask_b32_e32 v2, 0, v2, vcc_lo
	s_delay_alu instid0(VALU_DEP_1)
	v_add_nc_u32_e32 v1, v1, v2
	v_or_b32_e32 v2, 16, v3
	v_add_nc_u32_e32 v3, 4, v4
	ds_bpermute_b32 v2, v2, v1
	v_cmp_gt_u32_e32 vcc_lo, s2, v3
	s_wait_dscnt 0x0
	s_wait_alu 0xfffd
	v_cndmask_b32_e32 v2, 0, v2, vcc_lo
	s_delay_alu instid0(VALU_DEP_1)
	v_add_nc_u32_e32 v1, v1, v2
.LBB182_595:
	s_wait_alu 0xfffe
	s_or_b32 exec_lo, exec_lo, s3
.LBB182_596:
	v_cmp_eq_u32_e64 s2, 0, v0
.LBB182_597:
	s_branch .LBB182_623
.LBB182_598:
	s_mov_b32 s3, -1
                                        ; implicit-def: $vgpr1
.LBB182_599:
	s_delay_alu instid0(SALU_CYCLE_1)
	s_and_b32 vcc_lo, exec_lo, s3
	s_wait_alu 0xfffe
	s_cbranch_vccz .LBB182_613
; %bb.600:
	v_mov_b32_e32 v1, 0
	s_sub_co_i32 s6, s36, s2
	s_mov_b32 s2, exec_lo
	s_delay_alu instid0(VALU_DEP_1)
	v_dual_mov_b32 v2, v1 :: v_dual_mov_b32 v3, v1
	v_mov_b32_e32 v4, v1
	v_cmpx_gt_u32_e64 s6, v0
	s_cbranch_execz .LBB182_602
; %bb.601:
	v_dual_mov_b32 v3, v1 :: v_dual_lshlrev_b32 v2, 2, v0
	v_dual_mov_b32 v4, v1 :: v_dual_mov_b32 v5, v1
	global_load_b32 v2, v2, s[4:5]
	s_wait_loadcnt 0x0
	v_cmp_ne_u32_e32 vcc_lo, 0, v2
	s_wait_alu 0xfffd
	v_cndmask_b32_e64 v2, 0, 1, vcc_lo
	s_delay_alu instid0(VALU_DEP_1) | instskip(NEXT) | instid1(VALU_DEP_1)
	v_and_b32_e32 v2, 0xffff, v2
	v_mov_b32_e32 v1, v2
	v_mov_b32_e32 v2, v3
	v_mov_b32_e32 v3, v4
	v_mov_b32_e32 v4, v5
.LBB182_602:
	s_or_b32 exec_lo, exec_lo, s2
	v_or_b32_e32 v5, 0x100, v0
	s_delay_alu instid0(VALU_DEP_1)
	v_cmp_gt_u32_e32 vcc_lo, s6, v5
	s_and_saveexec_b32 s3, vcc_lo
	s_cbranch_execz .LBB182_604
; %bb.603:
	v_lshlrev_b32_e32 v2, 2, v0
	global_load_b32 v2, v2, s[4:5] offset:1024
	s_wait_loadcnt 0x0
	v_cmp_ne_u32_e64 s2, 0, v2
	s_delay_alu instid0(VALU_DEP_1)
	v_cndmask_b32_e64 v2, 0, 1, s2
.LBB182_604:
	s_or_b32 exec_lo, exec_lo, s3
	v_or_b32_e32 v5, 0x200, v0
	s_delay_alu instid0(VALU_DEP_1)
	v_cmp_gt_u32_e64 s2, s6, v5
	s_and_saveexec_b32 s7, s2
	s_cbranch_execz .LBB182_606
; %bb.605:
	v_lshlrev_b32_e32 v3, 2, v0
	global_load_b32 v3, v3, s[4:5] offset:2048
	s_wait_loadcnt 0x0
	v_cmp_ne_u32_e64 s3, 0, v3
	s_wait_alu 0xf1ff
	s_delay_alu instid0(VALU_DEP_1)
	v_cndmask_b32_e64 v3, 0, 1, s3
.LBB182_606:
	s_wait_alu 0xfffe
	s_or_b32 exec_lo, exec_lo, s7
	v_or_b32_e32 v5, 0x300, v0
	s_delay_alu instid0(VALU_DEP_1)
	v_cmp_gt_u32_e64 s3, s6, v5
	s_and_saveexec_b32 s7, s3
	s_cbranch_execz .LBB182_608
; %bb.607:
	v_lshlrev_b32_e32 v4, 2, v0
	global_load_b32 v4, v4, s[4:5] offset:3072
	s_wait_loadcnt 0x0
	v_cmp_ne_u32_e64 s4, 0, v4
	s_delay_alu instid0(VALU_DEP_1)
	v_cndmask_b32_e64 v4, 0, 1, s4
.LBB182_608:
	s_wait_alu 0xfffe
	s_or_b32 exec_lo, exec_lo, s7
	v_cndmask_b32_e32 v5, 0, v2, vcc_lo
	v_mbcnt_lo_u32_b32 v2, -1, 0
	v_cndmask_b32_e64 v3, 0, v3, s2
	v_cndmask_b32_e64 v4, 0, v4, s3
	s_min_u32 s2, s6, 0x100
	v_add_nc_u32_e32 v1, v5, v1
	v_cmp_ne_u32_e32 vcc_lo, 31, v2
	s_mov_b32 s3, exec_lo
	s_delay_alu instid0(VALU_DEP_2) | instskip(SKIP_4) | instid1(VALU_DEP_3)
	v_add3_u32 v1, v1, v3, v4
	s_wait_alu 0xfffd
	v_add_co_ci_u32_e64 v5, null, 0, v2, vcc_lo
	v_and_b32_e32 v4, 0xe0, v0
	v_cmp_gt_u32_e32 vcc_lo, 30, v2
	v_lshlrev_b32_e32 v3, 2, v5
	v_add_nc_u32_e32 v5, 1, v2
	s_wait_alu 0xfffe
	v_sub_nc_u32_e64 v4, s2, v4 clamp
	s_wait_alu 0xfffd
	v_cndmask_b32_e64 v6, 0, 2, vcc_lo
	ds_bpermute_b32 v3, v3, v1
	v_cmp_lt_u32_e32 vcc_lo, v5, v4
	v_add_lshl_u32 v5, v6, v2, 2
	s_wait_dscnt 0x0
	s_wait_alu 0xfffd
	v_cndmask_b32_e32 v3, 0, v3, vcc_lo
	v_cmp_gt_u32_e32 vcc_lo, 28, v2
	s_delay_alu instid0(VALU_DEP_2) | instskip(SKIP_4) | instid1(VALU_DEP_1)
	v_add_nc_u32_e32 v1, v3, v1
	s_wait_alu 0xfffd
	v_cndmask_b32_e64 v6, 0, 4, vcc_lo
	ds_bpermute_b32 v3, v5, v1
	v_add_nc_u32_e32 v5, 2, v2
	v_cmp_lt_u32_e32 vcc_lo, v5, v4
	v_add_lshl_u32 v5, v6, v2, 2
	s_wait_dscnt 0x0
	s_wait_alu 0xfffd
	v_cndmask_b32_e32 v3, 0, v3, vcc_lo
	v_cmp_gt_u32_e32 vcc_lo, 24, v2
	s_delay_alu instid0(VALU_DEP_2) | instskip(SKIP_4) | instid1(VALU_DEP_1)
	v_add_nc_u32_e32 v1, v1, v3
	s_wait_alu 0xfffd
	v_cndmask_b32_e64 v6, 0, 8, vcc_lo
	ds_bpermute_b32 v3, v5, v1
	v_add_nc_u32_e32 v5, 4, v2
	v_cmp_lt_u32_e32 vcc_lo, v5, v4
	v_add_lshl_u32 v5, v6, v2, 2
	s_wait_dscnt 0x0
	s_wait_alu 0xfffd
	v_dual_cndmask_b32 v3, 0, v3 :: v_dual_add_nc_u32 v6, 8, v2
	s_delay_alu instid0(VALU_DEP_1) | instskip(NEXT) | instid1(VALU_DEP_2)
	v_cmp_lt_u32_e32 vcc_lo, v6, v4
	v_add_nc_u32_e32 v1, v1, v3
	v_lshlrev_b32_e32 v3, 2, v2
	ds_bpermute_b32 v5, v5, v1
	v_or_b32_e32 v6, 64, v3
	s_wait_dscnt 0x0
	s_wait_alu 0xfffd
	v_cndmask_b32_e32 v5, 0, v5, vcc_lo
	s_delay_alu instid0(VALU_DEP_1) | instskip(SKIP_2) | instid1(VALU_DEP_1)
	v_add_nc_u32_e32 v1, v1, v5
	ds_bpermute_b32 v5, v6, v1
	v_add_nc_u32_e32 v6, 16, v2
	v_cmp_lt_u32_e32 vcc_lo, v6, v4
	s_wait_dscnt 0x0
	s_wait_alu 0xfffd
	v_cndmask_b32_e32 v4, 0, v5, vcc_lo
	s_delay_alu instid0(VALU_DEP_1)
	v_add_nc_u32_e32 v1, v1, v4
	v_cmpx_eq_u32_e32 0, v2
; %bb.609:
	v_lshrrev_b32_e32 v4, 3, v0
	s_delay_alu instid0(VALU_DEP_1)
	v_and_b32_e32 v4, 28, v4
	ds_store_b32 v4, v1 offset:256
; %bb.610:
	s_or_b32 exec_lo, exec_lo, s3
	s_delay_alu instid0(SALU_CYCLE_1)
	s_mov_b32 s3, exec_lo
	s_wait_loadcnt_dscnt 0x0
	s_barrier_signal -1
	s_barrier_wait -1
	global_inv scope:SCOPE_SE
	v_cmpx_gt_u32_e32 8, v0
	s_cbranch_execz .LBB182_612
; %bb.611:
	ds_load_b32 v1, v3 offset:256
	v_and_b32_e32 v4, 7, v2
	s_add_co_i32 s2, s2, 31
	s_wait_alu 0xfffe
	s_lshr_b32 s2, s2, 5
	s_delay_alu instid0(VALU_DEP_1) | instskip(SKIP_4) | instid1(VALU_DEP_2)
	v_cmp_ne_u32_e32 vcc_lo, 7, v4
	v_add_nc_u32_e32 v6, 1, v4
	s_wait_alu 0xfffd
	v_add_co_ci_u32_e64 v5, null, 0, v2, vcc_lo
	v_cmp_gt_u32_e32 vcc_lo, 6, v4
	v_lshlrev_b32_e32 v5, 2, v5
	s_wait_alu 0xfffd
	v_cndmask_b32_e64 v7, 0, 2, vcc_lo
	s_wait_alu 0xfffe
	v_cmp_gt_u32_e32 vcc_lo, s2, v6
	s_wait_dscnt 0x0
	ds_bpermute_b32 v5, v5, v1
	v_add_lshl_u32 v2, v7, v2, 2
	s_wait_dscnt 0x0
	s_wait_alu 0xfffd
	v_cndmask_b32_e32 v5, 0, v5, vcc_lo
	s_delay_alu instid0(VALU_DEP_1)
	v_add_nc_u32_e32 v1, v5, v1
	v_add_nc_u32_e32 v5, 2, v4
	ds_bpermute_b32 v2, v2, v1
	v_cmp_gt_u32_e32 vcc_lo, s2, v5
	s_wait_dscnt 0x0
	s_wait_alu 0xfffd
	v_cndmask_b32_e32 v2, 0, v2, vcc_lo
	s_delay_alu instid0(VALU_DEP_1)
	v_add_nc_u32_e32 v1, v1, v2
	v_or_b32_e32 v2, 16, v3
	v_add_nc_u32_e32 v3, 4, v4
	ds_bpermute_b32 v2, v2, v1
	v_cmp_gt_u32_e32 vcc_lo, s2, v3
	s_wait_dscnt 0x0
	s_wait_alu 0xfffd
	v_cndmask_b32_e32 v2, 0, v2, vcc_lo
	s_delay_alu instid0(VALU_DEP_1)
	v_add_nc_u32_e32 v1, v1, v2
.LBB182_612:
	s_wait_alu 0xfffe
	s_or_b32 exec_lo, exec_lo, s3
.LBB182_613:
	v_cmp_eq_u32_e64 s2, 0, v0
	s_branch .LBB182_623
.LBB182_614:
	s_cmp_gt_i32 s44, 1
	s_cbranch_scc0 .LBB182_622
; %bb.615:
	s_cmp_eq_u32 s44, 2
	s_cbranch_scc0 .LBB182_626
; %bb.616:
	s_mov_b32 s35, 0
	s_lshl_b32 s4, s34, 9
	s_mov_b32 s5, s35
	s_lshr_b64 s[2:3], s[36:37], 9
	s_lshl_b64 s[6:7], s[4:5], 2
	s_cmp_lg_u64 s[2:3], s[34:35]
	s_add_nc_u64 s[2:3], s[40:41], s[6:7]
	s_cbranch_scc0 .LBB182_627
; %bb.617:
	v_lshlrev_b32_e32 v1, 2, v0
	s_mov_b32 s5, exec_lo
	s_clause 0x1
	global_load_b32 v2, v1, s[2:3]
	global_load_b32 v1, v1, s[2:3] offset:1024
	s_wait_loadcnt 0x1
	v_cmp_ne_u32_e32 vcc_lo, 0, v2
	v_cndmask_b32_e64 v2, 0, 1, vcc_lo
	s_wait_loadcnt 0x0
	v_cmp_ne_u32_e32 vcc_lo, 0, v1
	s_wait_alu 0xfffd
	s_delay_alu instid0(VALU_DEP_2) | instskip(NEXT) | instid1(VALU_DEP_1)
	v_add_co_ci_u32_e64 v1, null, 0, v2, vcc_lo
	v_mov_b32_dpp v1, v1 quad_perm:[1,0,3,2] row_mask:0xf bank_mask:0xf
	s_delay_alu instid0(VALU_DEP_1) | instskip(NEXT) | instid1(VALU_DEP_1)
	v_add_co_ci_u32_e64 v1, null, v1, v2, vcc_lo
	v_mov_b32_dpp v2, v1 quad_perm:[2,3,0,1] row_mask:0xf bank_mask:0xf
	s_delay_alu instid0(VALU_DEP_1) | instskip(NEXT) | instid1(VALU_DEP_1)
	v_add_nc_u32_e32 v1, v1, v2
	v_mov_b32_dpp v2, v1 row_ror:4 row_mask:0xf bank_mask:0xf
	s_delay_alu instid0(VALU_DEP_1) | instskip(NEXT) | instid1(VALU_DEP_1)
	v_add_nc_u32_e32 v1, v1, v2
	v_mov_b32_dpp v2, v1 row_ror:8 row_mask:0xf bank_mask:0xf
	s_delay_alu instid0(VALU_DEP_1)
	v_add_nc_u32_e32 v1, v1, v2
	ds_swizzle_b32 v2, v1 offset:swizzle(BROADCAST,32,15)
	s_wait_dscnt 0x0
	v_dual_mov_b32 v2, 0 :: v_dual_add_nc_u32 v1, v1, v2
	ds_bpermute_b32 v1, v2, v1 offset:124
	v_mbcnt_lo_u32_b32 v2, -1, 0
	s_delay_alu instid0(VALU_DEP_1)
	v_cmpx_eq_u32_e32 0, v2
	s_cbranch_execz .LBB182_619
; %bb.618:
	v_lshrrev_b32_e32 v3, 3, v0
	s_delay_alu instid0(VALU_DEP_1)
	v_and_b32_e32 v3, 28, v3
	s_wait_dscnt 0x0
	ds_store_b32 v3, v1 offset:96
.LBB182_619:
	s_or_b32 exec_lo, exec_lo, s5
	s_delay_alu instid0(SALU_CYCLE_1)
	s_mov_b32 s5, exec_lo
	s_wait_dscnt 0x0
	s_barrier_signal -1
	s_barrier_wait -1
	global_inv scope:SCOPE_SE
	v_cmpx_gt_u32_e32 32, v0
	s_cbranch_execz .LBB182_621
; %bb.620:
	v_lshl_or_b32 v1, v2, 2, 0x60
	v_and_b32_e32 v3, 7, v2
	ds_load_b32 v1, v1
	v_cmp_ne_u32_e32 vcc_lo, 7, v3
	s_wait_alu 0xfffd
	v_add_co_ci_u32_e64 v4, null, 0, v2, vcc_lo
	v_cmp_gt_u32_e32 vcc_lo, 6, v3
	s_delay_alu instid0(VALU_DEP_2) | instskip(SKIP_2) | instid1(VALU_DEP_1)
	v_lshlrev_b32_e32 v4, 2, v4
	s_wait_alu 0xfffd
	v_cndmask_b32_e64 v3, 0, 2, vcc_lo
	v_add_lshl_u32 v3, v3, v2, 2
	v_lshlrev_b32_e32 v2, 2, v2
	s_wait_dscnt 0x0
	ds_bpermute_b32 v4, v4, v1
	v_or_b32_e32 v2, 16, v2
	s_wait_dscnt 0x0
	v_add_nc_u32_e32 v1, v4, v1
	ds_bpermute_b32 v3, v3, v1
	s_wait_dscnt 0x0
	v_add_nc_u32_e32 v1, v3, v1
	ds_bpermute_b32 v2, v2, v1
	s_wait_dscnt 0x0
	v_add_nc_u32_e32 v1, v2, v1
.LBB182_621:
	s_or_b32 exec_lo, exec_lo, s5
	s_mov_b32 s5, 0
	s_branch .LBB182_628
.LBB182_622:
                                        ; implicit-def: $vgpr1
	s_cbranch_execnz .LBB182_639
.LBB182_623:
	s_delay_alu instid0(VALU_DEP_1)
	s_and_saveexec_b32 s3, s2
	s_cbranch_execz .LBB182_625
.LBB182_624:
	s_load_b32 s2, s[0:1], 0x28
	s_lshl_b64 s[0:1], s[34:35], 2
	s_cmp_lg_u64 s[36:37], 0
	s_add_nc_u64 s[0:1], s[38:39], s[0:1]
	s_cselect_b32 vcc_lo, -1, 0
	s_wait_alu 0xfffe
	v_dual_cndmask_b32 v0, 0, v1 :: v_dual_mov_b32 v1, 0
	s_wait_kmcnt 0x0
	s_delay_alu instid0(VALU_DEP_1)
	v_add_nc_u32_e32 v0, s2, v0
	global_store_b32 v1, v0, s[0:1]
.LBB182_625:
	s_nop 0
	s_sendmsg sendmsg(MSG_DEALLOC_VGPRS)
	s_endpgm
.LBB182_626:
                                        ; implicit-def: $vgpr1
	s_branch .LBB182_623
.LBB182_627:
	s_mov_b32 s5, -1
                                        ; implicit-def: $vgpr1
.LBB182_628:
	s_delay_alu instid0(SALU_CYCLE_1)
	s_and_b32 vcc_lo, exec_lo, s5
	s_wait_alu 0xfffe
	s_cbranch_vccz .LBB182_638
; %bb.629:
	v_mov_b32_e32 v1, 0
	s_sub_co_i32 s4, s36, s4
	s_mov_b32 s5, exec_lo
	s_delay_alu instid0(VALU_DEP_1)
	v_mov_b32_e32 v2, v1
	v_cmpx_gt_u32_e64 s4, v0
	s_cbranch_execz .LBB182_631
; %bb.630:
	v_dual_mov_b32 v3, v1 :: v_dual_lshlrev_b32 v2, 2, v0
	global_load_b32 v2, v2, s[2:3]
	s_wait_loadcnt 0x0
	v_cmp_ne_u32_e32 vcc_lo, 0, v2
	s_wait_alu 0xfffd
	v_cndmask_b32_e64 v2, 0, 1, vcc_lo
	s_delay_alu instid0(VALU_DEP_1) | instskip(NEXT) | instid1(VALU_DEP_1)
	v_and_b32_e32 v2, 0xffff, v2
	v_mov_b32_e32 v1, v2
	v_mov_b32_e32 v2, v3
.LBB182_631:
	s_or_b32 exec_lo, exec_lo, s5
	v_or_b32_e32 v3, 0x100, v0
	s_delay_alu instid0(VALU_DEP_1)
	v_cmp_gt_u32_e32 vcc_lo, s4, v3
	s_and_saveexec_b32 s5, vcc_lo
	s_cbranch_execz .LBB182_633
; %bb.632:
	v_lshlrev_b32_e32 v2, 2, v0
	global_load_b32 v2, v2, s[2:3] offset:1024
	s_wait_loadcnt 0x0
	v_cmp_ne_u32_e64 s2, 0, v2
	s_delay_alu instid0(VALU_DEP_1)
	v_cndmask_b32_e64 v2, 0, 1, s2
.LBB182_633:
	s_wait_alu 0xfffe
	s_or_b32 exec_lo, exec_lo, s5
	v_mbcnt_lo_u32_b32 v3, -1, 0
	s_delay_alu instid0(VALU_DEP_2) | instskip(SKIP_2) | instid1(VALU_DEP_2)
	v_cndmask_b32_e32 v2, 0, v2, vcc_lo
	s_min_u32 s2, s4, 0x100
	s_mov_b32 s3, exec_lo
	v_cmp_ne_u32_e32 vcc_lo, 31, v3
	v_add_nc_u32_e32 v5, 1, v3
	v_add_nc_u32_e32 v1, v2, v1
	s_wait_alu 0xfffd
	v_add_co_ci_u32_e64 v4, null, 0, v3, vcc_lo
	v_cmp_gt_u32_e32 vcc_lo, 30, v3
	s_delay_alu instid0(VALU_DEP_2)
	v_lshlrev_b32_e32 v2, 2, v4
	v_and_b32_e32 v4, 0xe0, v0
	s_wait_alu 0xfffd
	v_cndmask_b32_e64 v6, 0, 2, vcc_lo
	ds_bpermute_b32 v2, v2, v1
	s_wait_alu 0xfffe
	v_sub_nc_u32_e64 v4, s2, v4 clamp
	s_delay_alu instid0(VALU_DEP_1)
	v_cmp_lt_u32_e32 vcc_lo, v5, v4
	v_add_lshl_u32 v5, v6, v3, 2
	s_wait_dscnt 0x0
	s_wait_alu 0xfffd
	v_cndmask_b32_e32 v2, 0, v2, vcc_lo
	v_cmp_gt_u32_e32 vcc_lo, 28, v3
	s_delay_alu instid0(VALU_DEP_2) | instskip(SKIP_4) | instid1(VALU_DEP_1)
	v_add_nc_u32_e32 v1, v2, v1
	s_wait_alu 0xfffd
	v_cndmask_b32_e64 v6, 0, 4, vcc_lo
	ds_bpermute_b32 v2, v5, v1
	v_add_nc_u32_e32 v5, 2, v3
	v_cmp_lt_u32_e32 vcc_lo, v5, v4
	v_add_lshl_u32 v5, v6, v3, 2
	s_wait_dscnt 0x0
	s_wait_alu 0xfffd
	v_cndmask_b32_e32 v2, 0, v2, vcc_lo
	v_cmp_gt_u32_e32 vcc_lo, 24, v3
	s_delay_alu instid0(VALU_DEP_2) | instskip(SKIP_4) | instid1(VALU_DEP_1)
	v_add_nc_u32_e32 v1, v1, v2
	s_wait_alu 0xfffd
	v_cndmask_b32_e64 v6, 0, 8, vcc_lo
	ds_bpermute_b32 v2, v5, v1
	v_add_nc_u32_e32 v5, 4, v3
	v_cmp_lt_u32_e32 vcc_lo, v5, v4
	v_add_lshl_u32 v5, v6, v3, 2
	v_add_nc_u32_e32 v6, 8, v3
	s_wait_dscnt 0x0
	s_wait_alu 0xfffd
	v_cndmask_b32_e32 v2, 0, v2, vcc_lo
	s_delay_alu instid0(VALU_DEP_2) | instskip(NEXT) | instid1(VALU_DEP_2)
	v_cmp_lt_u32_e32 vcc_lo, v6, v4
	v_add_nc_u32_e32 v1, v1, v2
	v_lshlrev_b32_e32 v2, 2, v3
	ds_bpermute_b32 v5, v5, v1
	v_or_b32_e32 v6, 64, v2
	s_wait_dscnt 0x0
	s_wait_alu 0xfffd
	v_cndmask_b32_e32 v5, 0, v5, vcc_lo
	s_delay_alu instid0(VALU_DEP_1) | instskip(SKIP_2) | instid1(VALU_DEP_1)
	v_add_nc_u32_e32 v1, v1, v5
	ds_bpermute_b32 v5, v6, v1
	v_add_nc_u32_e32 v6, 16, v3
	v_cmp_lt_u32_e32 vcc_lo, v6, v4
	s_wait_dscnt 0x0
	s_wait_alu 0xfffd
	v_cndmask_b32_e32 v4, 0, v5, vcc_lo
	s_delay_alu instid0(VALU_DEP_1)
	v_add_nc_u32_e32 v1, v1, v4
	v_cmpx_eq_u32_e32 0, v3
; %bb.634:
	v_lshrrev_b32_e32 v4, 3, v0
	s_delay_alu instid0(VALU_DEP_1)
	v_and_b32_e32 v4, 28, v4
	ds_store_b32 v4, v1 offset:256
; %bb.635:
	s_or_b32 exec_lo, exec_lo, s3
	s_delay_alu instid0(SALU_CYCLE_1)
	s_mov_b32 s3, exec_lo
	s_wait_loadcnt_dscnt 0x0
	s_barrier_signal -1
	s_barrier_wait -1
	global_inv scope:SCOPE_SE
	v_cmpx_gt_u32_e32 8, v0
	s_cbranch_execz .LBB182_637
; %bb.636:
	ds_load_b32 v1, v2 offset:256
	v_and_b32_e32 v4, 7, v3
	s_add_co_i32 s2, s2, 31
	v_or_b32_e32 v2, 16, v2
	s_wait_alu 0xfffe
	s_lshr_b32 s2, s2, 5
	v_cmp_ne_u32_e32 vcc_lo, 7, v4
	v_add_nc_u32_e32 v6, 1, v4
	s_wait_alu 0xfffd
	v_add_co_ci_u32_e64 v5, null, 0, v3, vcc_lo
	v_cmp_gt_u32_e32 vcc_lo, 6, v4
	s_delay_alu instid0(VALU_DEP_2)
	v_lshlrev_b32_e32 v5, 2, v5
	s_wait_alu 0xfffd
	v_cndmask_b32_e64 v7, 0, 2, vcc_lo
	s_wait_alu 0xfffe
	v_cmp_gt_u32_e32 vcc_lo, s2, v6
	s_wait_dscnt 0x0
	ds_bpermute_b32 v5, v5, v1
	v_add_lshl_u32 v3, v7, v3, 2
	s_wait_dscnt 0x0
	s_wait_alu 0xfffd
	v_cndmask_b32_e32 v5, 0, v5, vcc_lo
	s_delay_alu instid0(VALU_DEP_1)
	v_add_nc_u32_e32 v1, v5, v1
	v_add_nc_u32_e32 v5, 2, v4
	ds_bpermute_b32 v3, v3, v1
	v_cmp_gt_u32_e32 vcc_lo, s2, v5
	s_wait_dscnt 0x0
	s_wait_alu 0xfffd
	v_cndmask_b32_e32 v3, 0, v3, vcc_lo
	s_delay_alu instid0(VALU_DEP_1)
	v_add_nc_u32_e32 v1, v1, v3
	v_add_nc_u32_e32 v3, 4, v4
	ds_bpermute_b32 v2, v2, v1
	v_cmp_gt_u32_e32 vcc_lo, s2, v3
	s_wait_dscnt 0x0
	s_wait_alu 0xfffd
	v_cndmask_b32_e32 v2, 0, v2, vcc_lo
	s_delay_alu instid0(VALU_DEP_1)
	v_add_nc_u32_e32 v1, v1, v2
.LBB182_637:
	s_wait_alu 0xfffe
	s_or_b32 exec_lo, exec_lo, s3
.LBB182_638:
	v_cmp_eq_u32_e64 s2, 0, v0
	s_branch .LBB182_623
.LBB182_639:
	s_cmp_eq_u32 s44, 1
	s_cbranch_scc0 .LBB182_647
; %bb.640:
	s_mov_b32 s3, 0
	v_mbcnt_lo_u32_b32 v2, -1, 0
	s_lshr_b64 s[4:5], s[36:37], 8
	s_mov_b32 s35, s3
	s_lshl_b32 s2, s34, 8
	s_cmp_lg_u64 s[4:5], s[34:35]
	s_cbranch_scc0 .LBB182_648
; %bb.641:
	v_lshlrev_b32_e32 v1, 2, v0
	s_lshl_b64 s[4:5], s[2:3], 2
	s_delay_alu instid0(SALU_CYCLE_1)
	s_add_nc_u64 s[4:5], s[40:41], s[4:5]
	global_load_b32 v1, v1, s[4:5]
	s_mov_b32 s4, exec_lo
	s_wait_loadcnt 0x0
	v_cmp_ne_u32_e32 vcc_lo, 0, v1
	v_cndmask_b32_e64 v1, 0, 1, vcc_lo
	s_delay_alu instid0(VALU_DEP_1) | instskip(NEXT) | instid1(VALU_DEP_1)
	v_mov_b32_dpp v1, v1 quad_perm:[1,0,3,2] row_mask:0xf bank_mask:0xf
	v_add_co_ci_u32_e64 v3, null, 0, v1, vcc_lo
	s_delay_alu instid0(VALU_DEP_1) | instskip(NEXT) | instid1(VALU_DEP_1)
	v_mov_b32_dpp v3, v3 quad_perm:[2,3,0,1] row_mask:0xf bank_mask:0xf
	v_add_co_ci_u32_e64 v1, null, v3, v1, vcc_lo
	s_delay_alu instid0(VALU_DEP_1) | instskip(NEXT) | instid1(VALU_DEP_1)
	v_mov_b32_dpp v3, v1 row_ror:4 row_mask:0xf bank_mask:0xf
	v_add_nc_u32_e32 v1, v1, v3
	s_delay_alu instid0(VALU_DEP_1) | instskip(NEXT) | instid1(VALU_DEP_1)
	v_mov_b32_dpp v3, v1 row_ror:8 row_mask:0xf bank_mask:0xf
	v_add_nc_u32_e32 v1, v1, v3
	ds_swizzle_b32 v3, v1 offset:swizzle(BROADCAST,32,15)
	s_wait_dscnt 0x0
	v_add_nc_u32_e32 v1, v1, v3
	v_mov_b32_e32 v3, 0
	ds_bpermute_b32 v1, v3, v1 offset:124
	v_cmpx_eq_u32_e32 0, v2
	s_cbranch_execz .LBB182_643
; %bb.642:
	v_lshrrev_b32_e32 v3, 3, v0
	s_delay_alu instid0(VALU_DEP_1)
	v_and_b32_e32 v3, 28, v3
	s_wait_dscnt 0x0
	ds_store_b32 v3, v1 offset:64
.LBB182_643:
	s_or_b32 exec_lo, exec_lo, s4
	s_delay_alu instid0(SALU_CYCLE_1)
	s_mov_b32 s4, exec_lo
	s_wait_dscnt 0x0
	s_barrier_signal -1
	s_barrier_wait -1
	global_inv scope:SCOPE_SE
	v_cmpx_gt_u32_e32 32, v0
	s_cbranch_execz .LBB182_645
; %bb.644:
	v_and_b32_e32 v1, 7, v2
	s_delay_alu instid0(VALU_DEP_1)
	v_lshlrev_b32_e32 v3, 2, v1
	v_cmp_ne_u32_e32 vcc_lo, 7, v1
	ds_load_b32 v3, v3 offset:64
	s_wait_alu 0xfffd
	v_add_co_ci_u32_e64 v4, null, 0, v2, vcc_lo
	v_cmp_gt_u32_e32 vcc_lo, 6, v1
	s_delay_alu instid0(VALU_DEP_2) | instskip(SKIP_2) | instid1(VALU_DEP_1)
	v_lshlrev_b32_e32 v4, 2, v4
	s_wait_alu 0xfffd
	v_cndmask_b32_e64 v1, 0, 2, vcc_lo
	v_add_lshl_u32 v1, v1, v2, 2
	s_wait_dscnt 0x0
	ds_bpermute_b32 v4, v4, v3
	s_wait_dscnt 0x0
	v_add_nc_u32_e32 v3, v4, v3
	v_lshlrev_b32_e32 v4, 2, v2
	ds_bpermute_b32 v1, v1, v3
	s_wait_dscnt 0x0
	v_add_nc_u32_e32 v1, v1, v3
	v_or_b32_e32 v3, 16, v4
	ds_bpermute_b32 v3, v3, v1
	s_wait_dscnt 0x0
	v_add_nc_u32_e32 v1, v3, v1
.LBB182_645:
	s_or_b32 exec_lo, exec_lo, s4
.LBB182_646:
	v_cmp_eq_u32_e64 s2, 0, v0
	s_and_saveexec_b32 s3, s2
	s_cbranch_execnz .LBB182_624
	s_branch .LBB182_625
.LBB182_647:
                                        ; implicit-def: $vgpr1
                                        ; implicit-def: $sgpr34_sgpr35
	s_and_saveexec_b32 s3, s2
	s_cbranch_execz .LBB182_625
	s_branch .LBB182_624
.LBB182_648:
                                        ; implicit-def: $vgpr1
	s_cbranch_execz .LBB182_646
; %bb.649:
	s_sub_co_i32 s4, s36, s2
	s_mov_b32 s5, exec_lo
                                        ; implicit-def: $vgpr1
	v_cmpx_gt_u32_e64 s4, v0
	s_cbranch_execz .LBB182_651
; %bb.650:
	v_lshlrev_b32_e32 v1, 2, v0
	s_lshl_b64 s[2:3], s[2:3], 2
	s_delay_alu instid0(SALU_CYCLE_1)
	s_add_nc_u64 s[2:3], s[40:41], s[2:3]
	global_load_b32 v1, v1, s[2:3]
	s_wait_loadcnt 0x0
	v_cmp_ne_u32_e32 vcc_lo, 0, v1
	v_cndmask_b32_e64 v1, 0, 1, vcc_lo
.LBB182_651:
	s_or_b32 exec_lo, exec_lo, s5
	v_cmp_ne_u32_e32 vcc_lo, 31, v2
	s_min_u32 s2, s4, 0x100
	v_add_nc_u32_e32 v5, 1, v2
	s_mov_b32 s3, exec_lo
	s_wait_alu 0xfffd
	v_add_co_ci_u32_e64 v3, null, 0, v2, vcc_lo
	v_cmp_gt_u32_e32 vcc_lo, 30, v2
	s_delay_alu instid0(VALU_DEP_2) | instskip(SKIP_4) | instid1(VALU_DEP_1)
	v_lshlrev_b32_e32 v3, 2, v3
	s_wait_alu 0xfffd
	v_cndmask_b32_e64 v6, 0, 2, vcc_lo
	ds_bpermute_b32 v3, v3, v1
	v_and_b32_e32 v4, 0xe0, v0
	v_sub_nc_u32_e64 v4, s2, v4 clamp
	s_delay_alu instid0(VALU_DEP_1)
	v_cmp_lt_u32_e32 vcc_lo, v5, v4
	v_add_lshl_u32 v5, v6, v2, 2
	s_wait_dscnt 0x0
	s_wait_alu 0xfffd
	v_cndmask_b32_e32 v3, 0, v3, vcc_lo
	v_cmp_gt_u32_e32 vcc_lo, 28, v2
	s_delay_alu instid0(VALU_DEP_2) | instskip(SKIP_4) | instid1(VALU_DEP_1)
	v_add_nc_u32_e32 v1, v3, v1
	s_wait_alu 0xfffd
	v_cndmask_b32_e64 v6, 0, 4, vcc_lo
	ds_bpermute_b32 v3, v5, v1
	v_add_nc_u32_e32 v5, 2, v2
	v_cmp_lt_u32_e32 vcc_lo, v5, v4
	v_add_lshl_u32 v5, v6, v2, 2
	s_wait_dscnt 0x0
	s_wait_alu 0xfffd
	v_cndmask_b32_e32 v3, 0, v3, vcc_lo
	v_cmp_gt_u32_e32 vcc_lo, 24, v2
	s_delay_alu instid0(VALU_DEP_2) | instskip(SKIP_4) | instid1(VALU_DEP_1)
	v_add_nc_u32_e32 v1, v1, v3
	s_wait_alu 0xfffd
	v_cndmask_b32_e64 v6, 0, 8, vcc_lo
	ds_bpermute_b32 v3, v5, v1
	v_add_nc_u32_e32 v5, 4, v2
	v_cmp_lt_u32_e32 vcc_lo, v5, v4
	v_add_lshl_u32 v5, v6, v2, 2
	s_wait_dscnt 0x0
	s_wait_alu 0xfffd
	v_dual_cndmask_b32 v3, 0, v3 :: v_dual_add_nc_u32 v6, 8, v2
	s_delay_alu instid0(VALU_DEP_1) | instskip(NEXT) | instid1(VALU_DEP_2)
	v_cmp_lt_u32_e32 vcc_lo, v6, v4
	v_add_nc_u32_e32 v1, v1, v3
	v_lshlrev_b32_e32 v3, 2, v2
	ds_bpermute_b32 v5, v5, v1
	v_or_b32_e32 v6, 64, v3
	s_wait_dscnt 0x0
	s_wait_alu 0xfffd
	v_cndmask_b32_e32 v5, 0, v5, vcc_lo
	s_delay_alu instid0(VALU_DEP_1) | instskip(SKIP_2) | instid1(VALU_DEP_1)
	v_add_nc_u32_e32 v1, v1, v5
	ds_bpermute_b32 v5, v6, v1
	v_add_nc_u32_e32 v6, 16, v2
	v_cmp_lt_u32_e32 vcc_lo, v6, v4
	s_wait_dscnt 0x0
	s_wait_alu 0xfffd
	v_cndmask_b32_e32 v4, 0, v5, vcc_lo
	s_delay_alu instid0(VALU_DEP_1)
	v_add_nc_u32_e32 v1, v1, v4
	v_cmpx_eq_u32_e32 0, v2
; %bb.652:
	v_lshrrev_b32_e32 v4, 3, v0
	s_delay_alu instid0(VALU_DEP_1)
	v_and_b32_e32 v4, 28, v4
	ds_store_b32 v4, v1 offset:256
; %bb.653:
	s_or_b32 exec_lo, exec_lo, s3
	s_delay_alu instid0(SALU_CYCLE_1)
	s_mov_b32 s3, exec_lo
	s_wait_loadcnt_dscnt 0x0
	s_barrier_signal -1
	s_barrier_wait -1
	global_inv scope:SCOPE_SE
	v_cmpx_gt_u32_e32 8, v0
	s_cbranch_execz .LBB182_655
; %bb.654:
	ds_load_b32 v1, v3 offset:256
	v_and_b32_e32 v4, 7, v2
	s_add_co_i32 s2, s2, 31
	s_wait_alu 0xfffe
	s_lshr_b32 s2, s2, 5
	s_delay_alu instid0(VALU_DEP_1) | instskip(SKIP_4) | instid1(VALU_DEP_2)
	v_cmp_ne_u32_e32 vcc_lo, 7, v4
	v_add_nc_u32_e32 v6, 1, v4
	s_wait_alu 0xfffd
	v_add_co_ci_u32_e64 v5, null, 0, v2, vcc_lo
	v_cmp_gt_u32_e32 vcc_lo, 6, v4
	v_lshlrev_b32_e32 v5, 2, v5
	s_wait_alu 0xfffd
	v_cndmask_b32_e64 v7, 0, 2, vcc_lo
	s_wait_alu 0xfffe
	v_cmp_gt_u32_e32 vcc_lo, s2, v6
	s_wait_dscnt 0x0
	ds_bpermute_b32 v5, v5, v1
	v_add_lshl_u32 v2, v7, v2, 2
	s_wait_dscnt 0x0
	s_wait_alu 0xfffd
	v_cndmask_b32_e32 v5, 0, v5, vcc_lo
	s_delay_alu instid0(VALU_DEP_1)
	v_add_nc_u32_e32 v1, v5, v1
	v_add_nc_u32_e32 v5, 2, v4
	ds_bpermute_b32 v2, v2, v1
	v_cmp_gt_u32_e32 vcc_lo, s2, v5
	s_wait_dscnt 0x0
	s_wait_alu 0xfffd
	v_cndmask_b32_e32 v2, 0, v2, vcc_lo
	s_delay_alu instid0(VALU_DEP_1)
	v_add_nc_u32_e32 v1, v1, v2
	v_or_b32_e32 v2, 16, v3
	v_add_nc_u32_e32 v3, 4, v4
	ds_bpermute_b32 v2, v2, v1
	v_cmp_gt_u32_e32 vcc_lo, s2, v3
	s_wait_dscnt 0x0
	s_wait_alu 0xfffd
	v_cndmask_b32_e32 v2, 0, v2, vcc_lo
	s_delay_alu instid0(VALU_DEP_1)
	v_add_nc_u32_e32 v1, v1, v2
.LBB182_655:
	s_wait_alu 0xfffe
	s_or_b32 exec_lo, exec_lo, s3
	v_cmp_eq_u32_e64 s2, 0, v0
	s_and_saveexec_b32 s3, s2
	s_cbranch_execnz .LBB182_624
	s_branch .LBB182_625
	.section	.rodata,"a",@progbits
	.p2align	6, 0x0
	.amdhsa_kernel _ZN7rocprim17ROCPRIM_400000_NS6detail17trampoline_kernelINS0_14default_configENS1_22reduce_config_selectorIbEEZNS1_11reduce_implILb1ES3_N6hipcub16HIPCUB_304000_NS22TransformInputIteratorIbN2at6native12_GLOBAL__N_19NonZeroOpIiEEPKilEEPiiNS8_6detail34convert_binary_result_type_wrapperINS8_3SumESH_iEEEE10hipError_tPvRmT1_T2_T3_mT4_P12ihipStream_tbEUlT_E1_NS1_11comp_targetILNS1_3genE10ELNS1_11target_archE1201ELNS1_3gpuE5ELNS1_3repE0EEENS1_30default_config_static_selectorELNS0_4arch9wavefront6targetE0EEEvSQ_
		.amdhsa_group_segment_fixed_size 288
		.amdhsa_private_segment_fixed_size 0
		.amdhsa_kernarg_size 48
		.amdhsa_user_sgpr_count 2
		.amdhsa_user_sgpr_dispatch_ptr 0
		.amdhsa_user_sgpr_queue_ptr 0
		.amdhsa_user_sgpr_kernarg_segment_ptr 1
		.amdhsa_user_sgpr_dispatch_id 0
		.amdhsa_user_sgpr_private_segment_size 0
		.amdhsa_wavefront_size32 1
		.amdhsa_uses_dynamic_stack 0
		.amdhsa_enable_private_segment 0
		.amdhsa_system_sgpr_workgroup_id_x 1
		.amdhsa_system_sgpr_workgroup_id_y 0
		.amdhsa_system_sgpr_workgroup_id_z 0
		.amdhsa_system_sgpr_workgroup_info 0
		.amdhsa_system_vgpr_workitem_id 0
		.amdhsa_next_free_vgpr 129
		.amdhsa_next_free_sgpr 47
		.amdhsa_reserve_vcc 1
		.amdhsa_float_round_mode_32 0
		.amdhsa_float_round_mode_16_64 0
		.amdhsa_float_denorm_mode_32 3
		.amdhsa_float_denorm_mode_16_64 3
		.amdhsa_fp16_overflow 0
		.amdhsa_workgroup_processor_mode 1
		.amdhsa_memory_ordered 1
		.amdhsa_forward_progress 1
		.amdhsa_inst_pref_size 255
		.amdhsa_round_robin_scheduling 0
		.amdhsa_exception_fp_ieee_invalid_op 0
		.amdhsa_exception_fp_denorm_src 0
		.amdhsa_exception_fp_ieee_div_zero 0
		.amdhsa_exception_fp_ieee_overflow 0
		.amdhsa_exception_fp_ieee_underflow 0
		.amdhsa_exception_fp_ieee_inexact 0
		.amdhsa_exception_int_div_zero 0
	.end_amdhsa_kernel
	.section	.text._ZN7rocprim17ROCPRIM_400000_NS6detail17trampoline_kernelINS0_14default_configENS1_22reduce_config_selectorIbEEZNS1_11reduce_implILb1ES3_N6hipcub16HIPCUB_304000_NS22TransformInputIteratorIbN2at6native12_GLOBAL__N_19NonZeroOpIiEEPKilEEPiiNS8_6detail34convert_binary_result_type_wrapperINS8_3SumESH_iEEEE10hipError_tPvRmT1_T2_T3_mT4_P12ihipStream_tbEUlT_E1_NS1_11comp_targetILNS1_3genE10ELNS1_11target_archE1201ELNS1_3gpuE5ELNS1_3repE0EEENS1_30default_config_static_selectorELNS0_4arch9wavefront6targetE0EEEvSQ_,"axG",@progbits,_ZN7rocprim17ROCPRIM_400000_NS6detail17trampoline_kernelINS0_14default_configENS1_22reduce_config_selectorIbEEZNS1_11reduce_implILb1ES3_N6hipcub16HIPCUB_304000_NS22TransformInputIteratorIbN2at6native12_GLOBAL__N_19NonZeroOpIiEEPKilEEPiiNS8_6detail34convert_binary_result_type_wrapperINS8_3SumESH_iEEEE10hipError_tPvRmT1_T2_T3_mT4_P12ihipStream_tbEUlT_E1_NS1_11comp_targetILNS1_3genE10ELNS1_11target_archE1201ELNS1_3gpuE5ELNS1_3repE0EEENS1_30default_config_static_selectorELNS0_4arch9wavefront6targetE0EEEvSQ_,comdat
.Lfunc_end182:
	.size	_ZN7rocprim17ROCPRIM_400000_NS6detail17trampoline_kernelINS0_14default_configENS1_22reduce_config_selectorIbEEZNS1_11reduce_implILb1ES3_N6hipcub16HIPCUB_304000_NS22TransformInputIteratorIbN2at6native12_GLOBAL__N_19NonZeroOpIiEEPKilEEPiiNS8_6detail34convert_binary_result_type_wrapperINS8_3SumESH_iEEEE10hipError_tPvRmT1_T2_T3_mT4_P12ihipStream_tbEUlT_E1_NS1_11comp_targetILNS1_3genE10ELNS1_11target_archE1201ELNS1_3gpuE5ELNS1_3repE0EEENS1_30default_config_static_selectorELNS0_4arch9wavefront6targetE0EEEvSQ_, .Lfunc_end182-_ZN7rocprim17ROCPRIM_400000_NS6detail17trampoline_kernelINS0_14default_configENS1_22reduce_config_selectorIbEEZNS1_11reduce_implILb1ES3_N6hipcub16HIPCUB_304000_NS22TransformInputIteratorIbN2at6native12_GLOBAL__N_19NonZeroOpIiEEPKilEEPiiNS8_6detail34convert_binary_result_type_wrapperINS8_3SumESH_iEEEE10hipError_tPvRmT1_T2_T3_mT4_P12ihipStream_tbEUlT_E1_NS1_11comp_targetILNS1_3genE10ELNS1_11target_archE1201ELNS1_3gpuE5ELNS1_3repE0EEENS1_30default_config_static_selectorELNS0_4arch9wavefront6targetE0EEEvSQ_
                                        ; -- End function
	.set _ZN7rocprim17ROCPRIM_400000_NS6detail17trampoline_kernelINS0_14default_configENS1_22reduce_config_selectorIbEEZNS1_11reduce_implILb1ES3_N6hipcub16HIPCUB_304000_NS22TransformInputIteratorIbN2at6native12_GLOBAL__N_19NonZeroOpIiEEPKilEEPiiNS8_6detail34convert_binary_result_type_wrapperINS8_3SumESH_iEEEE10hipError_tPvRmT1_T2_T3_mT4_P12ihipStream_tbEUlT_E1_NS1_11comp_targetILNS1_3genE10ELNS1_11target_archE1201ELNS1_3gpuE5ELNS1_3repE0EEENS1_30default_config_static_selectorELNS0_4arch9wavefront6targetE0EEEvSQ_.num_vgpr, 129
	.set _ZN7rocprim17ROCPRIM_400000_NS6detail17trampoline_kernelINS0_14default_configENS1_22reduce_config_selectorIbEEZNS1_11reduce_implILb1ES3_N6hipcub16HIPCUB_304000_NS22TransformInputIteratorIbN2at6native12_GLOBAL__N_19NonZeroOpIiEEPKilEEPiiNS8_6detail34convert_binary_result_type_wrapperINS8_3SumESH_iEEEE10hipError_tPvRmT1_T2_T3_mT4_P12ihipStream_tbEUlT_E1_NS1_11comp_targetILNS1_3genE10ELNS1_11target_archE1201ELNS1_3gpuE5ELNS1_3repE0EEENS1_30default_config_static_selectorELNS0_4arch9wavefront6targetE0EEEvSQ_.num_agpr, 0
	.set _ZN7rocprim17ROCPRIM_400000_NS6detail17trampoline_kernelINS0_14default_configENS1_22reduce_config_selectorIbEEZNS1_11reduce_implILb1ES3_N6hipcub16HIPCUB_304000_NS22TransformInputIteratorIbN2at6native12_GLOBAL__N_19NonZeroOpIiEEPKilEEPiiNS8_6detail34convert_binary_result_type_wrapperINS8_3SumESH_iEEEE10hipError_tPvRmT1_T2_T3_mT4_P12ihipStream_tbEUlT_E1_NS1_11comp_targetILNS1_3genE10ELNS1_11target_archE1201ELNS1_3gpuE5ELNS1_3repE0EEENS1_30default_config_static_selectorELNS0_4arch9wavefront6targetE0EEEvSQ_.numbered_sgpr, 47
	.set _ZN7rocprim17ROCPRIM_400000_NS6detail17trampoline_kernelINS0_14default_configENS1_22reduce_config_selectorIbEEZNS1_11reduce_implILb1ES3_N6hipcub16HIPCUB_304000_NS22TransformInputIteratorIbN2at6native12_GLOBAL__N_19NonZeroOpIiEEPKilEEPiiNS8_6detail34convert_binary_result_type_wrapperINS8_3SumESH_iEEEE10hipError_tPvRmT1_T2_T3_mT4_P12ihipStream_tbEUlT_E1_NS1_11comp_targetILNS1_3genE10ELNS1_11target_archE1201ELNS1_3gpuE5ELNS1_3repE0EEENS1_30default_config_static_selectorELNS0_4arch9wavefront6targetE0EEEvSQ_.num_named_barrier, 0
	.set _ZN7rocprim17ROCPRIM_400000_NS6detail17trampoline_kernelINS0_14default_configENS1_22reduce_config_selectorIbEEZNS1_11reduce_implILb1ES3_N6hipcub16HIPCUB_304000_NS22TransformInputIteratorIbN2at6native12_GLOBAL__N_19NonZeroOpIiEEPKilEEPiiNS8_6detail34convert_binary_result_type_wrapperINS8_3SumESH_iEEEE10hipError_tPvRmT1_T2_T3_mT4_P12ihipStream_tbEUlT_E1_NS1_11comp_targetILNS1_3genE10ELNS1_11target_archE1201ELNS1_3gpuE5ELNS1_3repE0EEENS1_30default_config_static_selectorELNS0_4arch9wavefront6targetE0EEEvSQ_.private_seg_size, 0
	.set _ZN7rocprim17ROCPRIM_400000_NS6detail17trampoline_kernelINS0_14default_configENS1_22reduce_config_selectorIbEEZNS1_11reduce_implILb1ES3_N6hipcub16HIPCUB_304000_NS22TransformInputIteratorIbN2at6native12_GLOBAL__N_19NonZeroOpIiEEPKilEEPiiNS8_6detail34convert_binary_result_type_wrapperINS8_3SumESH_iEEEE10hipError_tPvRmT1_T2_T3_mT4_P12ihipStream_tbEUlT_E1_NS1_11comp_targetILNS1_3genE10ELNS1_11target_archE1201ELNS1_3gpuE5ELNS1_3repE0EEENS1_30default_config_static_selectorELNS0_4arch9wavefront6targetE0EEEvSQ_.uses_vcc, 1
	.set _ZN7rocprim17ROCPRIM_400000_NS6detail17trampoline_kernelINS0_14default_configENS1_22reduce_config_selectorIbEEZNS1_11reduce_implILb1ES3_N6hipcub16HIPCUB_304000_NS22TransformInputIteratorIbN2at6native12_GLOBAL__N_19NonZeroOpIiEEPKilEEPiiNS8_6detail34convert_binary_result_type_wrapperINS8_3SumESH_iEEEE10hipError_tPvRmT1_T2_T3_mT4_P12ihipStream_tbEUlT_E1_NS1_11comp_targetILNS1_3genE10ELNS1_11target_archE1201ELNS1_3gpuE5ELNS1_3repE0EEENS1_30default_config_static_selectorELNS0_4arch9wavefront6targetE0EEEvSQ_.uses_flat_scratch, 0
	.set _ZN7rocprim17ROCPRIM_400000_NS6detail17trampoline_kernelINS0_14default_configENS1_22reduce_config_selectorIbEEZNS1_11reduce_implILb1ES3_N6hipcub16HIPCUB_304000_NS22TransformInputIteratorIbN2at6native12_GLOBAL__N_19NonZeroOpIiEEPKilEEPiiNS8_6detail34convert_binary_result_type_wrapperINS8_3SumESH_iEEEE10hipError_tPvRmT1_T2_T3_mT4_P12ihipStream_tbEUlT_E1_NS1_11comp_targetILNS1_3genE10ELNS1_11target_archE1201ELNS1_3gpuE5ELNS1_3repE0EEENS1_30default_config_static_selectorELNS0_4arch9wavefront6targetE0EEEvSQ_.has_dyn_sized_stack, 0
	.set _ZN7rocprim17ROCPRIM_400000_NS6detail17trampoline_kernelINS0_14default_configENS1_22reduce_config_selectorIbEEZNS1_11reduce_implILb1ES3_N6hipcub16HIPCUB_304000_NS22TransformInputIteratorIbN2at6native12_GLOBAL__N_19NonZeroOpIiEEPKilEEPiiNS8_6detail34convert_binary_result_type_wrapperINS8_3SumESH_iEEEE10hipError_tPvRmT1_T2_T3_mT4_P12ihipStream_tbEUlT_E1_NS1_11comp_targetILNS1_3genE10ELNS1_11target_archE1201ELNS1_3gpuE5ELNS1_3repE0EEENS1_30default_config_static_selectorELNS0_4arch9wavefront6targetE0EEEvSQ_.has_recursion, 0
	.set _ZN7rocprim17ROCPRIM_400000_NS6detail17trampoline_kernelINS0_14default_configENS1_22reduce_config_selectorIbEEZNS1_11reduce_implILb1ES3_N6hipcub16HIPCUB_304000_NS22TransformInputIteratorIbN2at6native12_GLOBAL__N_19NonZeroOpIiEEPKilEEPiiNS8_6detail34convert_binary_result_type_wrapperINS8_3SumESH_iEEEE10hipError_tPvRmT1_T2_T3_mT4_P12ihipStream_tbEUlT_E1_NS1_11comp_targetILNS1_3genE10ELNS1_11target_archE1201ELNS1_3gpuE5ELNS1_3repE0EEENS1_30default_config_static_selectorELNS0_4arch9wavefront6targetE0EEEvSQ_.has_indirect_call, 0
	.section	.AMDGPU.csdata,"",@progbits
; Kernel info:
; codeLenInByte = 37464
; TotalNumSgprs: 49
; NumVgprs: 129
; ScratchSize: 0
; MemoryBound: 0
; FloatMode: 240
; IeeeMode: 1
; LDSByteSize: 288 bytes/workgroup (compile time only)
; SGPRBlocks: 0
; VGPRBlocks: 16
; NumSGPRsForWavesPerEU: 49
; NumVGPRsForWavesPerEU: 129
; Occupancy: 10
; WaveLimiterHint : 1
; COMPUTE_PGM_RSRC2:SCRATCH_EN: 0
; COMPUTE_PGM_RSRC2:USER_SGPR: 2
; COMPUTE_PGM_RSRC2:TRAP_HANDLER: 0
; COMPUTE_PGM_RSRC2:TGID_X_EN: 1
; COMPUTE_PGM_RSRC2:TGID_Y_EN: 0
; COMPUTE_PGM_RSRC2:TGID_Z_EN: 0
; COMPUTE_PGM_RSRC2:TIDIG_COMP_CNT: 0
	.section	.text._ZN7rocprim17ROCPRIM_400000_NS6detail17trampoline_kernelINS0_14default_configENS1_22reduce_config_selectorIbEEZNS1_11reduce_implILb1ES3_N6hipcub16HIPCUB_304000_NS22TransformInputIteratorIbN2at6native12_GLOBAL__N_19NonZeroOpIiEEPKilEEPiiNS8_6detail34convert_binary_result_type_wrapperINS8_3SumESH_iEEEE10hipError_tPvRmT1_T2_T3_mT4_P12ihipStream_tbEUlT_E1_NS1_11comp_targetILNS1_3genE10ELNS1_11target_archE1200ELNS1_3gpuE4ELNS1_3repE0EEENS1_30default_config_static_selectorELNS0_4arch9wavefront6targetE0EEEvSQ_,"axG",@progbits,_ZN7rocprim17ROCPRIM_400000_NS6detail17trampoline_kernelINS0_14default_configENS1_22reduce_config_selectorIbEEZNS1_11reduce_implILb1ES3_N6hipcub16HIPCUB_304000_NS22TransformInputIteratorIbN2at6native12_GLOBAL__N_19NonZeroOpIiEEPKilEEPiiNS8_6detail34convert_binary_result_type_wrapperINS8_3SumESH_iEEEE10hipError_tPvRmT1_T2_T3_mT4_P12ihipStream_tbEUlT_E1_NS1_11comp_targetILNS1_3genE10ELNS1_11target_archE1200ELNS1_3gpuE4ELNS1_3repE0EEENS1_30default_config_static_selectorELNS0_4arch9wavefront6targetE0EEEvSQ_,comdat
	.globl	_ZN7rocprim17ROCPRIM_400000_NS6detail17trampoline_kernelINS0_14default_configENS1_22reduce_config_selectorIbEEZNS1_11reduce_implILb1ES3_N6hipcub16HIPCUB_304000_NS22TransformInputIteratorIbN2at6native12_GLOBAL__N_19NonZeroOpIiEEPKilEEPiiNS8_6detail34convert_binary_result_type_wrapperINS8_3SumESH_iEEEE10hipError_tPvRmT1_T2_T3_mT4_P12ihipStream_tbEUlT_E1_NS1_11comp_targetILNS1_3genE10ELNS1_11target_archE1200ELNS1_3gpuE4ELNS1_3repE0EEENS1_30default_config_static_selectorELNS0_4arch9wavefront6targetE0EEEvSQ_ ; -- Begin function _ZN7rocprim17ROCPRIM_400000_NS6detail17trampoline_kernelINS0_14default_configENS1_22reduce_config_selectorIbEEZNS1_11reduce_implILb1ES3_N6hipcub16HIPCUB_304000_NS22TransformInputIteratorIbN2at6native12_GLOBAL__N_19NonZeroOpIiEEPKilEEPiiNS8_6detail34convert_binary_result_type_wrapperINS8_3SumESH_iEEEE10hipError_tPvRmT1_T2_T3_mT4_P12ihipStream_tbEUlT_E1_NS1_11comp_targetILNS1_3genE10ELNS1_11target_archE1200ELNS1_3gpuE4ELNS1_3repE0EEENS1_30default_config_static_selectorELNS0_4arch9wavefront6targetE0EEEvSQ_
	.p2align	8
	.type	_ZN7rocprim17ROCPRIM_400000_NS6detail17trampoline_kernelINS0_14default_configENS1_22reduce_config_selectorIbEEZNS1_11reduce_implILb1ES3_N6hipcub16HIPCUB_304000_NS22TransformInputIteratorIbN2at6native12_GLOBAL__N_19NonZeroOpIiEEPKilEEPiiNS8_6detail34convert_binary_result_type_wrapperINS8_3SumESH_iEEEE10hipError_tPvRmT1_T2_T3_mT4_P12ihipStream_tbEUlT_E1_NS1_11comp_targetILNS1_3genE10ELNS1_11target_archE1200ELNS1_3gpuE4ELNS1_3repE0EEENS1_30default_config_static_selectorELNS0_4arch9wavefront6targetE0EEEvSQ_,@function
_ZN7rocprim17ROCPRIM_400000_NS6detail17trampoline_kernelINS0_14default_configENS1_22reduce_config_selectorIbEEZNS1_11reduce_implILb1ES3_N6hipcub16HIPCUB_304000_NS22TransformInputIteratorIbN2at6native12_GLOBAL__N_19NonZeroOpIiEEPKilEEPiiNS8_6detail34convert_binary_result_type_wrapperINS8_3SumESH_iEEEE10hipError_tPvRmT1_T2_T3_mT4_P12ihipStream_tbEUlT_E1_NS1_11comp_targetILNS1_3genE10ELNS1_11target_archE1200ELNS1_3gpuE4ELNS1_3repE0EEENS1_30default_config_static_selectorELNS0_4arch9wavefront6targetE0EEEvSQ_: ; @_ZN7rocprim17ROCPRIM_400000_NS6detail17trampoline_kernelINS0_14default_configENS1_22reduce_config_selectorIbEEZNS1_11reduce_implILb1ES3_N6hipcub16HIPCUB_304000_NS22TransformInputIteratorIbN2at6native12_GLOBAL__N_19NonZeroOpIiEEPKilEEPiiNS8_6detail34convert_binary_result_type_wrapperINS8_3SumESH_iEEEE10hipError_tPvRmT1_T2_T3_mT4_P12ihipStream_tbEUlT_E1_NS1_11comp_targetILNS1_3genE10ELNS1_11target_archE1200ELNS1_3gpuE4ELNS1_3repE0EEENS1_30default_config_static_selectorELNS0_4arch9wavefront6targetE0EEEvSQ_
; %bb.0:
	.section	.rodata,"a",@progbits
	.p2align	6, 0x0
	.amdhsa_kernel _ZN7rocprim17ROCPRIM_400000_NS6detail17trampoline_kernelINS0_14default_configENS1_22reduce_config_selectorIbEEZNS1_11reduce_implILb1ES3_N6hipcub16HIPCUB_304000_NS22TransformInputIteratorIbN2at6native12_GLOBAL__N_19NonZeroOpIiEEPKilEEPiiNS8_6detail34convert_binary_result_type_wrapperINS8_3SumESH_iEEEE10hipError_tPvRmT1_T2_T3_mT4_P12ihipStream_tbEUlT_E1_NS1_11comp_targetILNS1_3genE10ELNS1_11target_archE1200ELNS1_3gpuE4ELNS1_3repE0EEENS1_30default_config_static_selectorELNS0_4arch9wavefront6targetE0EEEvSQ_
		.amdhsa_group_segment_fixed_size 0
		.amdhsa_private_segment_fixed_size 0
		.amdhsa_kernarg_size 48
		.amdhsa_user_sgpr_count 2
		.amdhsa_user_sgpr_dispatch_ptr 0
		.amdhsa_user_sgpr_queue_ptr 0
		.amdhsa_user_sgpr_kernarg_segment_ptr 1
		.amdhsa_user_sgpr_dispatch_id 0
		.amdhsa_user_sgpr_private_segment_size 0
		.amdhsa_wavefront_size32 1
		.amdhsa_uses_dynamic_stack 0
		.amdhsa_enable_private_segment 0
		.amdhsa_system_sgpr_workgroup_id_x 1
		.amdhsa_system_sgpr_workgroup_id_y 0
		.amdhsa_system_sgpr_workgroup_id_z 0
		.amdhsa_system_sgpr_workgroup_info 0
		.amdhsa_system_vgpr_workitem_id 0
		.amdhsa_next_free_vgpr 1
		.amdhsa_next_free_sgpr 1
		.amdhsa_reserve_vcc 0
		.amdhsa_float_round_mode_32 0
		.amdhsa_float_round_mode_16_64 0
		.amdhsa_float_denorm_mode_32 3
		.amdhsa_float_denorm_mode_16_64 3
		.amdhsa_fp16_overflow 0
		.amdhsa_workgroup_processor_mode 1
		.amdhsa_memory_ordered 1
		.amdhsa_forward_progress 1
		.amdhsa_inst_pref_size 0
		.amdhsa_round_robin_scheduling 0
		.amdhsa_exception_fp_ieee_invalid_op 0
		.amdhsa_exception_fp_denorm_src 0
		.amdhsa_exception_fp_ieee_div_zero 0
		.amdhsa_exception_fp_ieee_overflow 0
		.amdhsa_exception_fp_ieee_underflow 0
		.amdhsa_exception_fp_ieee_inexact 0
		.amdhsa_exception_int_div_zero 0
	.end_amdhsa_kernel
	.section	.text._ZN7rocprim17ROCPRIM_400000_NS6detail17trampoline_kernelINS0_14default_configENS1_22reduce_config_selectorIbEEZNS1_11reduce_implILb1ES3_N6hipcub16HIPCUB_304000_NS22TransformInputIteratorIbN2at6native12_GLOBAL__N_19NonZeroOpIiEEPKilEEPiiNS8_6detail34convert_binary_result_type_wrapperINS8_3SumESH_iEEEE10hipError_tPvRmT1_T2_T3_mT4_P12ihipStream_tbEUlT_E1_NS1_11comp_targetILNS1_3genE10ELNS1_11target_archE1200ELNS1_3gpuE4ELNS1_3repE0EEENS1_30default_config_static_selectorELNS0_4arch9wavefront6targetE0EEEvSQ_,"axG",@progbits,_ZN7rocprim17ROCPRIM_400000_NS6detail17trampoline_kernelINS0_14default_configENS1_22reduce_config_selectorIbEEZNS1_11reduce_implILb1ES3_N6hipcub16HIPCUB_304000_NS22TransformInputIteratorIbN2at6native12_GLOBAL__N_19NonZeroOpIiEEPKilEEPiiNS8_6detail34convert_binary_result_type_wrapperINS8_3SumESH_iEEEE10hipError_tPvRmT1_T2_T3_mT4_P12ihipStream_tbEUlT_E1_NS1_11comp_targetILNS1_3genE10ELNS1_11target_archE1200ELNS1_3gpuE4ELNS1_3repE0EEENS1_30default_config_static_selectorELNS0_4arch9wavefront6targetE0EEEvSQ_,comdat
.Lfunc_end183:
	.size	_ZN7rocprim17ROCPRIM_400000_NS6detail17trampoline_kernelINS0_14default_configENS1_22reduce_config_selectorIbEEZNS1_11reduce_implILb1ES3_N6hipcub16HIPCUB_304000_NS22TransformInputIteratorIbN2at6native12_GLOBAL__N_19NonZeroOpIiEEPKilEEPiiNS8_6detail34convert_binary_result_type_wrapperINS8_3SumESH_iEEEE10hipError_tPvRmT1_T2_T3_mT4_P12ihipStream_tbEUlT_E1_NS1_11comp_targetILNS1_3genE10ELNS1_11target_archE1200ELNS1_3gpuE4ELNS1_3repE0EEENS1_30default_config_static_selectorELNS0_4arch9wavefront6targetE0EEEvSQ_, .Lfunc_end183-_ZN7rocprim17ROCPRIM_400000_NS6detail17trampoline_kernelINS0_14default_configENS1_22reduce_config_selectorIbEEZNS1_11reduce_implILb1ES3_N6hipcub16HIPCUB_304000_NS22TransformInputIteratorIbN2at6native12_GLOBAL__N_19NonZeroOpIiEEPKilEEPiiNS8_6detail34convert_binary_result_type_wrapperINS8_3SumESH_iEEEE10hipError_tPvRmT1_T2_T3_mT4_P12ihipStream_tbEUlT_E1_NS1_11comp_targetILNS1_3genE10ELNS1_11target_archE1200ELNS1_3gpuE4ELNS1_3repE0EEENS1_30default_config_static_selectorELNS0_4arch9wavefront6targetE0EEEvSQ_
                                        ; -- End function
	.set _ZN7rocprim17ROCPRIM_400000_NS6detail17trampoline_kernelINS0_14default_configENS1_22reduce_config_selectorIbEEZNS1_11reduce_implILb1ES3_N6hipcub16HIPCUB_304000_NS22TransformInputIteratorIbN2at6native12_GLOBAL__N_19NonZeroOpIiEEPKilEEPiiNS8_6detail34convert_binary_result_type_wrapperINS8_3SumESH_iEEEE10hipError_tPvRmT1_T2_T3_mT4_P12ihipStream_tbEUlT_E1_NS1_11comp_targetILNS1_3genE10ELNS1_11target_archE1200ELNS1_3gpuE4ELNS1_3repE0EEENS1_30default_config_static_selectorELNS0_4arch9wavefront6targetE0EEEvSQ_.num_vgpr, 0
	.set _ZN7rocprim17ROCPRIM_400000_NS6detail17trampoline_kernelINS0_14default_configENS1_22reduce_config_selectorIbEEZNS1_11reduce_implILb1ES3_N6hipcub16HIPCUB_304000_NS22TransformInputIteratorIbN2at6native12_GLOBAL__N_19NonZeroOpIiEEPKilEEPiiNS8_6detail34convert_binary_result_type_wrapperINS8_3SumESH_iEEEE10hipError_tPvRmT1_T2_T3_mT4_P12ihipStream_tbEUlT_E1_NS1_11comp_targetILNS1_3genE10ELNS1_11target_archE1200ELNS1_3gpuE4ELNS1_3repE0EEENS1_30default_config_static_selectorELNS0_4arch9wavefront6targetE0EEEvSQ_.num_agpr, 0
	.set _ZN7rocprim17ROCPRIM_400000_NS6detail17trampoline_kernelINS0_14default_configENS1_22reduce_config_selectorIbEEZNS1_11reduce_implILb1ES3_N6hipcub16HIPCUB_304000_NS22TransformInputIteratorIbN2at6native12_GLOBAL__N_19NonZeroOpIiEEPKilEEPiiNS8_6detail34convert_binary_result_type_wrapperINS8_3SumESH_iEEEE10hipError_tPvRmT1_T2_T3_mT4_P12ihipStream_tbEUlT_E1_NS1_11comp_targetILNS1_3genE10ELNS1_11target_archE1200ELNS1_3gpuE4ELNS1_3repE0EEENS1_30default_config_static_selectorELNS0_4arch9wavefront6targetE0EEEvSQ_.numbered_sgpr, 0
	.set _ZN7rocprim17ROCPRIM_400000_NS6detail17trampoline_kernelINS0_14default_configENS1_22reduce_config_selectorIbEEZNS1_11reduce_implILb1ES3_N6hipcub16HIPCUB_304000_NS22TransformInputIteratorIbN2at6native12_GLOBAL__N_19NonZeroOpIiEEPKilEEPiiNS8_6detail34convert_binary_result_type_wrapperINS8_3SumESH_iEEEE10hipError_tPvRmT1_T2_T3_mT4_P12ihipStream_tbEUlT_E1_NS1_11comp_targetILNS1_3genE10ELNS1_11target_archE1200ELNS1_3gpuE4ELNS1_3repE0EEENS1_30default_config_static_selectorELNS0_4arch9wavefront6targetE0EEEvSQ_.num_named_barrier, 0
	.set _ZN7rocprim17ROCPRIM_400000_NS6detail17trampoline_kernelINS0_14default_configENS1_22reduce_config_selectorIbEEZNS1_11reduce_implILb1ES3_N6hipcub16HIPCUB_304000_NS22TransformInputIteratorIbN2at6native12_GLOBAL__N_19NonZeroOpIiEEPKilEEPiiNS8_6detail34convert_binary_result_type_wrapperINS8_3SumESH_iEEEE10hipError_tPvRmT1_T2_T3_mT4_P12ihipStream_tbEUlT_E1_NS1_11comp_targetILNS1_3genE10ELNS1_11target_archE1200ELNS1_3gpuE4ELNS1_3repE0EEENS1_30default_config_static_selectorELNS0_4arch9wavefront6targetE0EEEvSQ_.private_seg_size, 0
	.set _ZN7rocprim17ROCPRIM_400000_NS6detail17trampoline_kernelINS0_14default_configENS1_22reduce_config_selectorIbEEZNS1_11reduce_implILb1ES3_N6hipcub16HIPCUB_304000_NS22TransformInputIteratorIbN2at6native12_GLOBAL__N_19NonZeroOpIiEEPKilEEPiiNS8_6detail34convert_binary_result_type_wrapperINS8_3SumESH_iEEEE10hipError_tPvRmT1_T2_T3_mT4_P12ihipStream_tbEUlT_E1_NS1_11comp_targetILNS1_3genE10ELNS1_11target_archE1200ELNS1_3gpuE4ELNS1_3repE0EEENS1_30default_config_static_selectorELNS0_4arch9wavefront6targetE0EEEvSQ_.uses_vcc, 0
	.set _ZN7rocprim17ROCPRIM_400000_NS6detail17trampoline_kernelINS0_14default_configENS1_22reduce_config_selectorIbEEZNS1_11reduce_implILb1ES3_N6hipcub16HIPCUB_304000_NS22TransformInputIteratorIbN2at6native12_GLOBAL__N_19NonZeroOpIiEEPKilEEPiiNS8_6detail34convert_binary_result_type_wrapperINS8_3SumESH_iEEEE10hipError_tPvRmT1_T2_T3_mT4_P12ihipStream_tbEUlT_E1_NS1_11comp_targetILNS1_3genE10ELNS1_11target_archE1200ELNS1_3gpuE4ELNS1_3repE0EEENS1_30default_config_static_selectorELNS0_4arch9wavefront6targetE0EEEvSQ_.uses_flat_scratch, 0
	.set _ZN7rocprim17ROCPRIM_400000_NS6detail17trampoline_kernelINS0_14default_configENS1_22reduce_config_selectorIbEEZNS1_11reduce_implILb1ES3_N6hipcub16HIPCUB_304000_NS22TransformInputIteratorIbN2at6native12_GLOBAL__N_19NonZeroOpIiEEPKilEEPiiNS8_6detail34convert_binary_result_type_wrapperINS8_3SumESH_iEEEE10hipError_tPvRmT1_T2_T3_mT4_P12ihipStream_tbEUlT_E1_NS1_11comp_targetILNS1_3genE10ELNS1_11target_archE1200ELNS1_3gpuE4ELNS1_3repE0EEENS1_30default_config_static_selectorELNS0_4arch9wavefront6targetE0EEEvSQ_.has_dyn_sized_stack, 0
	.set _ZN7rocprim17ROCPRIM_400000_NS6detail17trampoline_kernelINS0_14default_configENS1_22reduce_config_selectorIbEEZNS1_11reduce_implILb1ES3_N6hipcub16HIPCUB_304000_NS22TransformInputIteratorIbN2at6native12_GLOBAL__N_19NonZeroOpIiEEPKilEEPiiNS8_6detail34convert_binary_result_type_wrapperINS8_3SumESH_iEEEE10hipError_tPvRmT1_T2_T3_mT4_P12ihipStream_tbEUlT_E1_NS1_11comp_targetILNS1_3genE10ELNS1_11target_archE1200ELNS1_3gpuE4ELNS1_3repE0EEENS1_30default_config_static_selectorELNS0_4arch9wavefront6targetE0EEEvSQ_.has_recursion, 0
	.set _ZN7rocprim17ROCPRIM_400000_NS6detail17trampoline_kernelINS0_14default_configENS1_22reduce_config_selectorIbEEZNS1_11reduce_implILb1ES3_N6hipcub16HIPCUB_304000_NS22TransformInputIteratorIbN2at6native12_GLOBAL__N_19NonZeroOpIiEEPKilEEPiiNS8_6detail34convert_binary_result_type_wrapperINS8_3SumESH_iEEEE10hipError_tPvRmT1_T2_T3_mT4_P12ihipStream_tbEUlT_E1_NS1_11comp_targetILNS1_3genE10ELNS1_11target_archE1200ELNS1_3gpuE4ELNS1_3repE0EEENS1_30default_config_static_selectorELNS0_4arch9wavefront6targetE0EEEvSQ_.has_indirect_call, 0
	.section	.AMDGPU.csdata,"",@progbits
; Kernel info:
; codeLenInByte = 0
; TotalNumSgprs: 0
; NumVgprs: 0
; ScratchSize: 0
; MemoryBound: 0
; FloatMode: 240
; IeeeMode: 1
; LDSByteSize: 0 bytes/workgroup (compile time only)
; SGPRBlocks: 0
; VGPRBlocks: 0
; NumSGPRsForWavesPerEU: 1
; NumVGPRsForWavesPerEU: 1
; Occupancy: 16
; WaveLimiterHint : 0
; COMPUTE_PGM_RSRC2:SCRATCH_EN: 0
; COMPUTE_PGM_RSRC2:USER_SGPR: 2
; COMPUTE_PGM_RSRC2:TRAP_HANDLER: 0
; COMPUTE_PGM_RSRC2:TGID_X_EN: 1
; COMPUTE_PGM_RSRC2:TGID_Y_EN: 0
; COMPUTE_PGM_RSRC2:TGID_Z_EN: 0
; COMPUTE_PGM_RSRC2:TIDIG_COMP_CNT: 0
	.section	.text._ZN7rocprim17ROCPRIM_400000_NS6detail17trampoline_kernelINS0_14default_configENS1_22reduce_config_selectorIbEEZNS1_11reduce_implILb1ES3_N6hipcub16HIPCUB_304000_NS22TransformInputIteratorIbN2at6native12_GLOBAL__N_19NonZeroOpIiEEPKilEEPiiNS8_6detail34convert_binary_result_type_wrapperINS8_3SumESH_iEEEE10hipError_tPvRmT1_T2_T3_mT4_P12ihipStream_tbEUlT_E1_NS1_11comp_targetILNS1_3genE9ELNS1_11target_archE1100ELNS1_3gpuE3ELNS1_3repE0EEENS1_30default_config_static_selectorELNS0_4arch9wavefront6targetE0EEEvSQ_,"axG",@progbits,_ZN7rocprim17ROCPRIM_400000_NS6detail17trampoline_kernelINS0_14default_configENS1_22reduce_config_selectorIbEEZNS1_11reduce_implILb1ES3_N6hipcub16HIPCUB_304000_NS22TransformInputIteratorIbN2at6native12_GLOBAL__N_19NonZeroOpIiEEPKilEEPiiNS8_6detail34convert_binary_result_type_wrapperINS8_3SumESH_iEEEE10hipError_tPvRmT1_T2_T3_mT4_P12ihipStream_tbEUlT_E1_NS1_11comp_targetILNS1_3genE9ELNS1_11target_archE1100ELNS1_3gpuE3ELNS1_3repE0EEENS1_30default_config_static_selectorELNS0_4arch9wavefront6targetE0EEEvSQ_,comdat
	.globl	_ZN7rocprim17ROCPRIM_400000_NS6detail17trampoline_kernelINS0_14default_configENS1_22reduce_config_selectorIbEEZNS1_11reduce_implILb1ES3_N6hipcub16HIPCUB_304000_NS22TransformInputIteratorIbN2at6native12_GLOBAL__N_19NonZeroOpIiEEPKilEEPiiNS8_6detail34convert_binary_result_type_wrapperINS8_3SumESH_iEEEE10hipError_tPvRmT1_T2_T3_mT4_P12ihipStream_tbEUlT_E1_NS1_11comp_targetILNS1_3genE9ELNS1_11target_archE1100ELNS1_3gpuE3ELNS1_3repE0EEENS1_30default_config_static_selectorELNS0_4arch9wavefront6targetE0EEEvSQ_ ; -- Begin function _ZN7rocprim17ROCPRIM_400000_NS6detail17trampoline_kernelINS0_14default_configENS1_22reduce_config_selectorIbEEZNS1_11reduce_implILb1ES3_N6hipcub16HIPCUB_304000_NS22TransformInputIteratorIbN2at6native12_GLOBAL__N_19NonZeroOpIiEEPKilEEPiiNS8_6detail34convert_binary_result_type_wrapperINS8_3SumESH_iEEEE10hipError_tPvRmT1_T2_T3_mT4_P12ihipStream_tbEUlT_E1_NS1_11comp_targetILNS1_3genE9ELNS1_11target_archE1100ELNS1_3gpuE3ELNS1_3repE0EEENS1_30default_config_static_selectorELNS0_4arch9wavefront6targetE0EEEvSQ_
	.p2align	8
	.type	_ZN7rocprim17ROCPRIM_400000_NS6detail17trampoline_kernelINS0_14default_configENS1_22reduce_config_selectorIbEEZNS1_11reduce_implILb1ES3_N6hipcub16HIPCUB_304000_NS22TransformInputIteratorIbN2at6native12_GLOBAL__N_19NonZeroOpIiEEPKilEEPiiNS8_6detail34convert_binary_result_type_wrapperINS8_3SumESH_iEEEE10hipError_tPvRmT1_T2_T3_mT4_P12ihipStream_tbEUlT_E1_NS1_11comp_targetILNS1_3genE9ELNS1_11target_archE1100ELNS1_3gpuE3ELNS1_3repE0EEENS1_30default_config_static_selectorELNS0_4arch9wavefront6targetE0EEEvSQ_,@function
_ZN7rocprim17ROCPRIM_400000_NS6detail17trampoline_kernelINS0_14default_configENS1_22reduce_config_selectorIbEEZNS1_11reduce_implILb1ES3_N6hipcub16HIPCUB_304000_NS22TransformInputIteratorIbN2at6native12_GLOBAL__N_19NonZeroOpIiEEPKilEEPiiNS8_6detail34convert_binary_result_type_wrapperINS8_3SumESH_iEEEE10hipError_tPvRmT1_T2_T3_mT4_P12ihipStream_tbEUlT_E1_NS1_11comp_targetILNS1_3genE9ELNS1_11target_archE1100ELNS1_3gpuE3ELNS1_3repE0EEENS1_30default_config_static_selectorELNS0_4arch9wavefront6targetE0EEEvSQ_: ; @_ZN7rocprim17ROCPRIM_400000_NS6detail17trampoline_kernelINS0_14default_configENS1_22reduce_config_selectorIbEEZNS1_11reduce_implILb1ES3_N6hipcub16HIPCUB_304000_NS22TransformInputIteratorIbN2at6native12_GLOBAL__N_19NonZeroOpIiEEPKilEEPiiNS8_6detail34convert_binary_result_type_wrapperINS8_3SumESH_iEEEE10hipError_tPvRmT1_T2_T3_mT4_P12ihipStream_tbEUlT_E1_NS1_11comp_targetILNS1_3genE9ELNS1_11target_archE1100ELNS1_3gpuE3ELNS1_3repE0EEENS1_30default_config_static_selectorELNS0_4arch9wavefront6targetE0EEEvSQ_
; %bb.0:
	.section	.rodata,"a",@progbits
	.p2align	6, 0x0
	.amdhsa_kernel _ZN7rocprim17ROCPRIM_400000_NS6detail17trampoline_kernelINS0_14default_configENS1_22reduce_config_selectorIbEEZNS1_11reduce_implILb1ES3_N6hipcub16HIPCUB_304000_NS22TransformInputIteratorIbN2at6native12_GLOBAL__N_19NonZeroOpIiEEPKilEEPiiNS8_6detail34convert_binary_result_type_wrapperINS8_3SumESH_iEEEE10hipError_tPvRmT1_T2_T3_mT4_P12ihipStream_tbEUlT_E1_NS1_11comp_targetILNS1_3genE9ELNS1_11target_archE1100ELNS1_3gpuE3ELNS1_3repE0EEENS1_30default_config_static_selectorELNS0_4arch9wavefront6targetE0EEEvSQ_
		.amdhsa_group_segment_fixed_size 0
		.amdhsa_private_segment_fixed_size 0
		.amdhsa_kernarg_size 48
		.amdhsa_user_sgpr_count 2
		.amdhsa_user_sgpr_dispatch_ptr 0
		.amdhsa_user_sgpr_queue_ptr 0
		.amdhsa_user_sgpr_kernarg_segment_ptr 1
		.amdhsa_user_sgpr_dispatch_id 0
		.amdhsa_user_sgpr_private_segment_size 0
		.amdhsa_wavefront_size32 1
		.amdhsa_uses_dynamic_stack 0
		.amdhsa_enable_private_segment 0
		.amdhsa_system_sgpr_workgroup_id_x 1
		.amdhsa_system_sgpr_workgroup_id_y 0
		.amdhsa_system_sgpr_workgroup_id_z 0
		.amdhsa_system_sgpr_workgroup_info 0
		.amdhsa_system_vgpr_workitem_id 0
		.amdhsa_next_free_vgpr 1
		.amdhsa_next_free_sgpr 1
		.amdhsa_reserve_vcc 0
		.amdhsa_float_round_mode_32 0
		.amdhsa_float_round_mode_16_64 0
		.amdhsa_float_denorm_mode_32 3
		.amdhsa_float_denorm_mode_16_64 3
		.amdhsa_fp16_overflow 0
		.amdhsa_workgroup_processor_mode 1
		.amdhsa_memory_ordered 1
		.amdhsa_forward_progress 1
		.amdhsa_inst_pref_size 0
		.amdhsa_round_robin_scheduling 0
		.amdhsa_exception_fp_ieee_invalid_op 0
		.amdhsa_exception_fp_denorm_src 0
		.amdhsa_exception_fp_ieee_div_zero 0
		.amdhsa_exception_fp_ieee_overflow 0
		.amdhsa_exception_fp_ieee_underflow 0
		.amdhsa_exception_fp_ieee_inexact 0
		.amdhsa_exception_int_div_zero 0
	.end_amdhsa_kernel
	.section	.text._ZN7rocprim17ROCPRIM_400000_NS6detail17trampoline_kernelINS0_14default_configENS1_22reduce_config_selectorIbEEZNS1_11reduce_implILb1ES3_N6hipcub16HIPCUB_304000_NS22TransformInputIteratorIbN2at6native12_GLOBAL__N_19NonZeroOpIiEEPKilEEPiiNS8_6detail34convert_binary_result_type_wrapperINS8_3SumESH_iEEEE10hipError_tPvRmT1_T2_T3_mT4_P12ihipStream_tbEUlT_E1_NS1_11comp_targetILNS1_3genE9ELNS1_11target_archE1100ELNS1_3gpuE3ELNS1_3repE0EEENS1_30default_config_static_selectorELNS0_4arch9wavefront6targetE0EEEvSQ_,"axG",@progbits,_ZN7rocprim17ROCPRIM_400000_NS6detail17trampoline_kernelINS0_14default_configENS1_22reduce_config_selectorIbEEZNS1_11reduce_implILb1ES3_N6hipcub16HIPCUB_304000_NS22TransformInputIteratorIbN2at6native12_GLOBAL__N_19NonZeroOpIiEEPKilEEPiiNS8_6detail34convert_binary_result_type_wrapperINS8_3SumESH_iEEEE10hipError_tPvRmT1_T2_T3_mT4_P12ihipStream_tbEUlT_E1_NS1_11comp_targetILNS1_3genE9ELNS1_11target_archE1100ELNS1_3gpuE3ELNS1_3repE0EEENS1_30default_config_static_selectorELNS0_4arch9wavefront6targetE0EEEvSQ_,comdat
.Lfunc_end184:
	.size	_ZN7rocprim17ROCPRIM_400000_NS6detail17trampoline_kernelINS0_14default_configENS1_22reduce_config_selectorIbEEZNS1_11reduce_implILb1ES3_N6hipcub16HIPCUB_304000_NS22TransformInputIteratorIbN2at6native12_GLOBAL__N_19NonZeroOpIiEEPKilEEPiiNS8_6detail34convert_binary_result_type_wrapperINS8_3SumESH_iEEEE10hipError_tPvRmT1_T2_T3_mT4_P12ihipStream_tbEUlT_E1_NS1_11comp_targetILNS1_3genE9ELNS1_11target_archE1100ELNS1_3gpuE3ELNS1_3repE0EEENS1_30default_config_static_selectorELNS0_4arch9wavefront6targetE0EEEvSQ_, .Lfunc_end184-_ZN7rocprim17ROCPRIM_400000_NS6detail17trampoline_kernelINS0_14default_configENS1_22reduce_config_selectorIbEEZNS1_11reduce_implILb1ES3_N6hipcub16HIPCUB_304000_NS22TransformInputIteratorIbN2at6native12_GLOBAL__N_19NonZeroOpIiEEPKilEEPiiNS8_6detail34convert_binary_result_type_wrapperINS8_3SumESH_iEEEE10hipError_tPvRmT1_T2_T3_mT4_P12ihipStream_tbEUlT_E1_NS1_11comp_targetILNS1_3genE9ELNS1_11target_archE1100ELNS1_3gpuE3ELNS1_3repE0EEENS1_30default_config_static_selectorELNS0_4arch9wavefront6targetE0EEEvSQ_
                                        ; -- End function
	.set _ZN7rocprim17ROCPRIM_400000_NS6detail17trampoline_kernelINS0_14default_configENS1_22reduce_config_selectorIbEEZNS1_11reduce_implILb1ES3_N6hipcub16HIPCUB_304000_NS22TransformInputIteratorIbN2at6native12_GLOBAL__N_19NonZeroOpIiEEPKilEEPiiNS8_6detail34convert_binary_result_type_wrapperINS8_3SumESH_iEEEE10hipError_tPvRmT1_T2_T3_mT4_P12ihipStream_tbEUlT_E1_NS1_11comp_targetILNS1_3genE9ELNS1_11target_archE1100ELNS1_3gpuE3ELNS1_3repE0EEENS1_30default_config_static_selectorELNS0_4arch9wavefront6targetE0EEEvSQ_.num_vgpr, 0
	.set _ZN7rocprim17ROCPRIM_400000_NS6detail17trampoline_kernelINS0_14default_configENS1_22reduce_config_selectorIbEEZNS1_11reduce_implILb1ES3_N6hipcub16HIPCUB_304000_NS22TransformInputIteratorIbN2at6native12_GLOBAL__N_19NonZeroOpIiEEPKilEEPiiNS8_6detail34convert_binary_result_type_wrapperINS8_3SumESH_iEEEE10hipError_tPvRmT1_T2_T3_mT4_P12ihipStream_tbEUlT_E1_NS1_11comp_targetILNS1_3genE9ELNS1_11target_archE1100ELNS1_3gpuE3ELNS1_3repE0EEENS1_30default_config_static_selectorELNS0_4arch9wavefront6targetE0EEEvSQ_.num_agpr, 0
	.set _ZN7rocprim17ROCPRIM_400000_NS6detail17trampoline_kernelINS0_14default_configENS1_22reduce_config_selectorIbEEZNS1_11reduce_implILb1ES3_N6hipcub16HIPCUB_304000_NS22TransformInputIteratorIbN2at6native12_GLOBAL__N_19NonZeroOpIiEEPKilEEPiiNS8_6detail34convert_binary_result_type_wrapperINS8_3SumESH_iEEEE10hipError_tPvRmT1_T2_T3_mT4_P12ihipStream_tbEUlT_E1_NS1_11comp_targetILNS1_3genE9ELNS1_11target_archE1100ELNS1_3gpuE3ELNS1_3repE0EEENS1_30default_config_static_selectorELNS0_4arch9wavefront6targetE0EEEvSQ_.numbered_sgpr, 0
	.set _ZN7rocprim17ROCPRIM_400000_NS6detail17trampoline_kernelINS0_14default_configENS1_22reduce_config_selectorIbEEZNS1_11reduce_implILb1ES3_N6hipcub16HIPCUB_304000_NS22TransformInputIteratorIbN2at6native12_GLOBAL__N_19NonZeroOpIiEEPKilEEPiiNS8_6detail34convert_binary_result_type_wrapperINS8_3SumESH_iEEEE10hipError_tPvRmT1_T2_T3_mT4_P12ihipStream_tbEUlT_E1_NS1_11comp_targetILNS1_3genE9ELNS1_11target_archE1100ELNS1_3gpuE3ELNS1_3repE0EEENS1_30default_config_static_selectorELNS0_4arch9wavefront6targetE0EEEvSQ_.num_named_barrier, 0
	.set _ZN7rocprim17ROCPRIM_400000_NS6detail17trampoline_kernelINS0_14default_configENS1_22reduce_config_selectorIbEEZNS1_11reduce_implILb1ES3_N6hipcub16HIPCUB_304000_NS22TransformInputIteratorIbN2at6native12_GLOBAL__N_19NonZeroOpIiEEPKilEEPiiNS8_6detail34convert_binary_result_type_wrapperINS8_3SumESH_iEEEE10hipError_tPvRmT1_T2_T3_mT4_P12ihipStream_tbEUlT_E1_NS1_11comp_targetILNS1_3genE9ELNS1_11target_archE1100ELNS1_3gpuE3ELNS1_3repE0EEENS1_30default_config_static_selectorELNS0_4arch9wavefront6targetE0EEEvSQ_.private_seg_size, 0
	.set _ZN7rocprim17ROCPRIM_400000_NS6detail17trampoline_kernelINS0_14default_configENS1_22reduce_config_selectorIbEEZNS1_11reduce_implILb1ES3_N6hipcub16HIPCUB_304000_NS22TransformInputIteratorIbN2at6native12_GLOBAL__N_19NonZeroOpIiEEPKilEEPiiNS8_6detail34convert_binary_result_type_wrapperINS8_3SumESH_iEEEE10hipError_tPvRmT1_T2_T3_mT4_P12ihipStream_tbEUlT_E1_NS1_11comp_targetILNS1_3genE9ELNS1_11target_archE1100ELNS1_3gpuE3ELNS1_3repE0EEENS1_30default_config_static_selectorELNS0_4arch9wavefront6targetE0EEEvSQ_.uses_vcc, 0
	.set _ZN7rocprim17ROCPRIM_400000_NS6detail17trampoline_kernelINS0_14default_configENS1_22reduce_config_selectorIbEEZNS1_11reduce_implILb1ES3_N6hipcub16HIPCUB_304000_NS22TransformInputIteratorIbN2at6native12_GLOBAL__N_19NonZeroOpIiEEPKilEEPiiNS8_6detail34convert_binary_result_type_wrapperINS8_3SumESH_iEEEE10hipError_tPvRmT1_T2_T3_mT4_P12ihipStream_tbEUlT_E1_NS1_11comp_targetILNS1_3genE9ELNS1_11target_archE1100ELNS1_3gpuE3ELNS1_3repE0EEENS1_30default_config_static_selectorELNS0_4arch9wavefront6targetE0EEEvSQ_.uses_flat_scratch, 0
	.set _ZN7rocprim17ROCPRIM_400000_NS6detail17trampoline_kernelINS0_14default_configENS1_22reduce_config_selectorIbEEZNS1_11reduce_implILb1ES3_N6hipcub16HIPCUB_304000_NS22TransformInputIteratorIbN2at6native12_GLOBAL__N_19NonZeroOpIiEEPKilEEPiiNS8_6detail34convert_binary_result_type_wrapperINS8_3SumESH_iEEEE10hipError_tPvRmT1_T2_T3_mT4_P12ihipStream_tbEUlT_E1_NS1_11comp_targetILNS1_3genE9ELNS1_11target_archE1100ELNS1_3gpuE3ELNS1_3repE0EEENS1_30default_config_static_selectorELNS0_4arch9wavefront6targetE0EEEvSQ_.has_dyn_sized_stack, 0
	.set _ZN7rocprim17ROCPRIM_400000_NS6detail17trampoline_kernelINS0_14default_configENS1_22reduce_config_selectorIbEEZNS1_11reduce_implILb1ES3_N6hipcub16HIPCUB_304000_NS22TransformInputIteratorIbN2at6native12_GLOBAL__N_19NonZeroOpIiEEPKilEEPiiNS8_6detail34convert_binary_result_type_wrapperINS8_3SumESH_iEEEE10hipError_tPvRmT1_T2_T3_mT4_P12ihipStream_tbEUlT_E1_NS1_11comp_targetILNS1_3genE9ELNS1_11target_archE1100ELNS1_3gpuE3ELNS1_3repE0EEENS1_30default_config_static_selectorELNS0_4arch9wavefront6targetE0EEEvSQ_.has_recursion, 0
	.set _ZN7rocprim17ROCPRIM_400000_NS6detail17trampoline_kernelINS0_14default_configENS1_22reduce_config_selectorIbEEZNS1_11reduce_implILb1ES3_N6hipcub16HIPCUB_304000_NS22TransformInputIteratorIbN2at6native12_GLOBAL__N_19NonZeroOpIiEEPKilEEPiiNS8_6detail34convert_binary_result_type_wrapperINS8_3SumESH_iEEEE10hipError_tPvRmT1_T2_T3_mT4_P12ihipStream_tbEUlT_E1_NS1_11comp_targetILNS1_3genE9ELNS1_11target_archE1100ELNS1_3gpuE3ELNS1_3repE0EEENS1_30default_config_static_selectorELNS0_4arch9wavefront6targetE0EEEvSQ_.has_indirect_call, 0
	.section	.AMDGPU.csdata,"",@progbits
; Kernel info:
; codeLenInByte = 0
; TotalNumSgprs: 0
; NumVgprs: 0
; ScratchSize: 0
; MemoryBound: 0
; FloatMode: 240
; IeeeMode: 1
; LDSByteSize: 0 bytes/workgroup (compile time only)
; SGPRBlocks: 0
; VGPRBlocks: 0
; NumSGPRsForWavesPerEU: 1
; NumVGPRsForWavesPerEU: 1
; Occupancy: 16
; WaveLimiterHint : 0
; COMPUTE_PGM_RSRC2:SCRATCH_EN: 0
; COMPUTE_PGM_RSRC2:USER_SGPR: 2
; COMPUTE_PGM_RSRC2:TRAP_HANDLER: 0
; COMPUTE_PGM_RSRC2:TGID_X_EN: 1
; COMPUTE_PGM_RSRC2:TGID_Y_EN: 0
; COMPUTE_PGM_RSRC2:TGID_Z_EN: 0
; COMPUTE_PGM_RSRC2:TIDIG_COMP_CNT: 0
	.section	.text._ZN7rocprim17ROCPRIM_400000_NS6detail17trampoline_kernelINS0_14default_configENS1_22reduce_config_selectorIbEEZNS1_11reduce_implILb1ES3_N6hipcub16HIPCUB_304000_NS22TransformInputIteratorIbN2at6native12_GLOBAL__N_19NonZeroOpIiEEPKilEEPiiNS8_6detail34convert_binary_result_type_wrapperINS8_3SumESH_iEEEE10hipError_tPvRmT1_T2_T3_mT4_P12ihipStream_tbEUlT_E1_NS1_11comp_targetILNS1_3genE8ELNS1_11target_archE1030ELNS1_3gpuE2ELNS1_3repE0EEENS1_30default_config_static_selectorELNS0_4arch9wavefront6targetE0EEEvSQ_,"axG",@progbits,_ZN7rocprim17ROCPRIM_400000_NS6detail17trampoline_kernelINS0_14default_configENS1_22reduce_config_selectorIbEEZNS1_11reduce_implILb1ES3_N6hipcub16HIPCUB_304000_NS22TransformInputIteratorIbN2at6native12_GLOBAL__N_19NonZeroOpIiEEPKilEEPiiNS8_6detail34convert_binary_result_type_wrapperINS8_3SumESH_iEEEE10hipError_tPvRmT1_T2_T3_mT4_P12ihipStream_tbEUlT_E1_NS1_11comp_targetILNS1_3genE8ELNS1_11target_archE1030ELNS1_3gpuE2ELNS1_3repE0EEENS1_30default_config_static_selectorELNS0_4arch9wavefront6targetE0EEEvSQ_,comdat
	.globl	_ZN7rocprim17ROCPRIM_400000_NS6detail17trampoline_kernelINS0_14default_configENS1_22reduce_config_selectorIbEEZNS1_11reduce_implILb1ES3_N6hipcub16HIPCUB_304000_NS22TransformInputIteratorIbN2at6native12_GLOBAL__N_19NonZeroOpIiEEPKilEEPiiNS8_6detail34convert_binary_result_type_wrapperINS8_3SumESH_iEEEE10hipError_tPvRmT1_T2_T3_mT4_P12ihipStream_tbEUlT_E1_NS1_11comp_targetILNS1_3genE8ELNS1_11target_archE1030ELNS1_3gpuE2ELNS1_3repE0EEENS1_30default_config_static_selectorELNS0_4arch9wavefront6targetE0EEEvSQ_ ; -- Begin function _ZN7rocprim17ROCPRIM_400000_NS6detail17trampoline_kernelINS0_14default_configENS1_22reduce_config_selectorIbEEZNS1_11reduce_implILb1ES3_N6hipcub16HIPCUB_304000_NS22TransformInputIteratorIbN2at6native12_GLOBAL__N_19NonZeroOpIiEEPKilEEPiiNS8_6detail34convert_binary_result_type_wrapperINS8_3SumESH_iEEEE10hipError_tPvRmT1_T2_T3_mT4_P12ihipStream_tbEUlT_E1_NS1_11comp_targetILNS1_3genE8ELNS1_11target_archE1030ELNS1_3gpuE2ELNS1_3repE0EEENS1_30default_config_static_selectorELNS0_4arch9wavefront6targetE0EEEvSQ_
	.p2align	8
	.type	_ZN7rocprim17ROCPRIM_400000_NS6detail17trampoline_kernelINS0_14default_configENS1_22reduce_config_selectorIbEEZNS1_11reduce_implILb1ES3_N6hipcub16HIPCUB_304000_NS22TransformInputIteratorIbN2at6native12_GLOBAL__N_19NonZeroOpIiEEPKilEEPiiNS8_6detail34convert_binary_result_type_wrapperINS8_3SumESH_iEEEE10hipError_tPvRmT1_T2_T3_mT4_P12ihipStream_tbEUlT_E1_NS1_11comp_targetILNS1_3genE8ELNS1_11target_archE1030ELNS1_3gpuE2ELNS1_3repE0EEENS1_30default_config_static_selectorELNS0_4arch9wavefront6targetE0EEEvSQ_,@function
_ZN7rocprim17ROCPRIM_400000_NS6detail17trampoline_kernelINS0_14default_configENS1_22reduce_config_selectorIbEEZNS1_11reduce_implILb1ES3_N6hipcub16HIPCUB_304000_NS22TransformInputIteratorIbN2at6native12_GLOBAL__N_19NonZeroOpIiEEPKilEEPiiNS8_6detail34convert_binary_result_type_wrapperINS8_3SumESH_iEEEE10hipError_tPvRmT1_T2_T3_mT4_P12ihipStream_tbEUlT_E1_NS1_11comp_targetILNS1_3genE8ELNS1_11target_archE1030ELNS1_3gpuE2ELNS1_3repE0EEENS1_30default_config_static_selectorELNS0_4arch9wavefront6targetE0EEEvSQ_: ; @_ZN7rocprim17ROCPRIM_400000_NS6detail17trampoline_kernelINS0_14default_configENS1_22reduce_config_selectorIbEEZNS1_11reduce_implILb1ES3_N6hipcub16HIPCUB_304000_NS22TransformInputIteratorIbN2at6native12_GLOBAL__N_19NonZeroOpIiEEPKilEEPiiNS8_6detail34convert_binary_result_type_wrapperINS8_3SumESH_iEEEE10hipError_tPvRmT1_T2_T3_mT4_P12ihipStream_tbEUlT_E1_NS1_11comp_targetILNS1_3genE8ELNS1_11target_archE1030ELNS1_3gpuE2ELNS1_3repE0EEENS1_30default_config_static_selectorELNS0_4arch9wavefront6targetE0EEEvSQ_
; %bb.0:
	.section	.rodata,"a",@progbits
	.p2align	6, 0x0
	.amdhsa_kernel _ZN7rocprim17ROCPRIM_400000_NS6detail17trampoline_kernelINS0_14default_configENS1_22reduce_config_selectorIbEEZNS1_11reduce_implILb1ES3_N6hipcub16HIPCUB_304000_NS22TransformInputIteratorIbN2at6native12_GLOBAL__N_19NonZeroOpIiEEPKilEEPiiNS8_6detail34convert_binary_result_type_wrapperINS8_3SumESH_iEEEE10hipError_tPvRmT1_T2_T3_mT4_P12ihipStream_tbEUlT_E1_NS1_11comp_targetILNS1_3genE8ELNS1_11target_archE1030ELNS1_3gpuE2ELNS1_3repE0EEENS1_30default_config_static_selectorELNS0_4arch9wavefront6targetE0EEEvSQ_
		.amdhsa_group_segment_fixed_size 0
		.amdhsa_private_segment_fixed_size 0
		.amdhsa_kernarg_size 48
		.amdhsa_user_sgpr_count 2
		.amdhsa_user_sgpr_dispatch_ptr 0
		.amdhsa_user_sgpr_queue_ptr 0
		.amdhsa_user_sgpr_kernarg_segment_ptr 1
		.amdhsa_user_sgpr_dispatch_id 0
		.amdhsa_user_sgpr_private_segment_size 0
		.amdhsa_wavefront_size32 1
		.amdhsa_uses_dynamic_stack 0
		.amdhsa_enable_private_segment 0
		.amdhsa_system_sgpr_workgroup_id_x 1
		.amdhsa_system_sgpr_workgroup_id_y 0
		.amdhsa_system_sgpr_workgroup_id_z 0
		.amdhsa_system_sgpr_workgroup_info 0
		.amdhsa_system_vgpr_workitem_id 0
		.amdhsa_next_free_vgpr 1
		.amdhsa_next_free_sgpr 1
		.amdhsa_reserve_vcc 0
		.amdhsa_float_round_mode_32 0
		.amdhsa_float_round_mode_16_64 0
		.amdhsa_float_denorm_mode_32 3
		.amdhsa_float_denorm_mode_16_64 3
		.amdhsa_fp16_overflow 0
		.amdhsa_workgroup_processor_mode 1
		.amdhsa_memory_ordered 1
		.amdhsa_forward_progress 1
		.amdhsa_inst_pref_size 0
		.amdhsa_round_robin_scheduling 0
		.amdhsa_exception_fp_ieee_invalid_op 0
		.amdhsa_exception_fp_denorm_src 0
		.amdhsa_exception_fp_ieee_div_zero 0
		.amdhsa_exception_fp_ieee_overflow 0
		.amdhsa_exception_fp_ieee_underflow 0
		.amdhsa_exception_fp_ieee_inexact 0
		.amdhsa_exception_int_div_zero 0
	.end_amdhsa_kernel
	.section	.text._ZN7rocprim17ROCPRIM_400000_NS6detail17trampoline_kernelINS0_14default_configENS1_22reduce_config_selectorIbEEZNS1_11reduce_implILb1ES3_N6hipcub16HIPCUB_304000_NS22TransformInputIteratorIbN2at6native12_GLOBAL__N_19NonZeroOpIiEEPKilEEPiiNS8_6detail34convert_binary_result_type_wrapperINS8_3SumESH_iEEEE10hipError_tPvRmT1_T2_T3_mT4_P12ihipStream_tbEUlT_E1_NS1_11comp_targetILNS1_3genE8ELNS1_11target_archE1030ELNS1_3gpuE2ELNS1_3repE0EEENS1_30default_config_static_selectorELNS0_4arch9wavefront6targetE0EEEvSQ_,"axG",@progbits,_ZN7rocprim17ROCPRIM_400000_NS6detail17trampoline_kernelINS0_14default_configENS1_22reduce_config_selectorIbEEZNS1_11reduce_implILb1ES3_N6hipcub16HIPCUB_304000_NS22TransformInputIteratorIbN2at6native12_GLOBAL__N_19NonZeroOpIiEEPKilEEPiiNS8_6detail34convert_binary_result_type_wrapperINS8_3SumESH_iEEEE10hipError_tPvRmT1_T2_T3_mT4_P12ihipStream_tbEUlT_E1_NS1_11comp_targetILNS1_3genE8ELNS1_11target_archE1030ELNS1_3gpuE2ELNS1_3repE0EEENS1_30default_config_static_selectorELNS0_4arch9wavefront6targetE0EEEvSQ_,comdat
.Lfunc_end185:
	.size	_ZN7rocprim17ROCPRIM_400000_NS6detail17trampoline_kernelINS0_14default_configENS1_22reduce_config_selectorIbEEZNS1_11reduce_implILb1ES3_N6hipcub16HIPCUB_304000_NS22TransformInputIteratorIbN2at6native12_GLOBAL__N_19NonZeroOpIiEEPKilEEPiiNS8_6detail34convert_binary_result_type_wrapperINS8_3SumESH_iEEEE10hipError_tPvRmT1_T2_T3_mT4_P12ihipStream_tbEUlT_E1_NS1_11comp_targetILNS1_3genE8ELNS1_11target_archE1030ELNS1_3gpuE2ELNS1_3repE0EEENS1_30default_config_static_selectorELNS0_4arch9wavefront6targetE0EEEvSQ_, .Lfunc_end185-_ZN7rocprim17ROCPRIM_400000_NS6detail17trampoline_kernelINS0_14default_configENS1_22reduce_config_selectorIbEEZNS1_11reduce_implILb1ES3_N6hipcub16HIPCUB_304000_NS22TransformInputIteratorIbN2at6native12_GLOBAL__N_19NonZeroOpIiEEPKilEEPiiNS8_6detail34convert_binary_result_type_wrapperINS8_3SumESH_iEEEE10hipError_tPvRmT1_T2_T3_mT4_P12ihipStream_tbEUlT_E1_NS1_11comp_targetILNS1_3genE8ELNS1_11target_archE1030ELNS1_3gpuE2ELNS1_3repE0EEENS1_30default_config_static_selectorELNS0_4arch9wavefront6targetE0EEEvSQ_
                                        ; -- End function
	.set _ZN7rocprim17ROCPRIM_400000_NS6detail17trampoline_kernelINS0_14default_configENS1_22reduce_config_selectorIbEEZNS1_11reduce_implILb1ES3_N6hipcub16HIPCUB_304000_NS22TransformInputIteratorIbN2at6native12_GLOBAL__N_19NonZeroOpIiEEPKilEEPiiNS8_6detail34convert_binary_result_type_wrapperINS8_3SumESH_iEEEE10hipError_tPvRmT1_T2_T3_mT4_P12ihipStream_tbEUlT_E1_NS1_11comp_targetILNS1_3genE8ELNS1_11target_archE1030ELNS1_3gpuE2ELNS1_3repE0EEENS1_30default_config_static_selectorELNS0_4arch9wavefront6targetE0EEEvSQ_.num_vgpr, 0
	.set _ZN7rocprim17ROCPRIM_400000_NS6detail17trampoline_kernelINS0_14default_configENS1_22reduce_config_selectorIbEEZNS1_11reduce_implILb1ES3_N6hipcub16HIPCUB_304000_NS22TransformInputIteratorIbN2at6native12_GLOBAL__N_19NonZeroOpIiEEPKilEEPiiNS8_6detail34convert_binary_result_type_wrapperINS8_3SumESH_iEEEE10hipError_tPvRmT1_T2_T3_mT4_P12ihipStream_tbEUlT_E1_NS1_11comp_targetILNS1_3genE8ELNS1_11target_archE1030ELNS1_3gpuE2ELNS1_3repE0EEENS1_30default_config_static_selectorELNS0_4arch9wavefront6targetE0EEEvSQ_.num_agpr, 0
	.set _ZN7rocprim17ROCPRIM_400000_NS6detail17trampoline_kernelINS0_14default_configENS1_22reduce_config_selectorIbEEZNS1_11reduce_implILb1ES3_N6hipcub16HIPCUB_304000_NS22TransformInputIteratorIbN2at6native12_GLOBAL__N_19NonZeroOpIiEEPKilEEPiiNS8_6detail34convert_binary_result_type_wrapperINS8_3SumESH_iEEEE10hipError_tPvRmT1_T2_T3_mT4_P12ihipStream_tbEUlT_E1_NS1_11comp_targetILNS1_3genE8ELNS1_11target_archE1030ELNS1_3gpuE2ELNS1_3repE0EEENS1_30default_config_static_selectorELNS0_4arch9wavefront6targetE0EEEvSQ_.numbered_sgpr, 0
	.set _ZN7rocprim17ROCPRIM_400000_NS6detail17trampoline_kernelINS0_14default_configENS1_22reduce_config_selectorIbEEZNS1_11reduce_implILb1ES3_N6hipcub16HIPCUB_304000_NS22TransformInputIteratorIbN2at6native12_GLOBAL__N_19NonZeroOpIiEEPKilEEPiiNS8_6detail34convert_binary_result_type_wrapperINS8_3SumESH_iEEEE10hipError_tPvRmT1_T2_T3_mT4_P12ihipStream_tbEUlT_E1_NS1_11comp_targetILNS1_3genE8ELNS1_11target_archE1030ELNS1_3gpuE2ELNS1_3repE0EEENS1_30default_config_static_selectorELNS0_4arch9wavefront6targetE0EEEvSQ_.num_named_barrier, 0
	.set _ZN7rocprim17ROCPRIM_400000_NS6detail17trampoline_kernelINS0_14default_configENS1_22reduce_config_selectorIbEEZNS1_11reduce_implILb1ES3_N6hipcub16HIPCUB_304000_NS22TransformInputIteratorIbN2at6native12_GLOBAL__N_19NonZeroOpIiEEPKilEEPiiNS8_6detail34convert_binary_result_type_wrapperINS8_3SumESH_iEEEE10hipError_tPvRmT1_T2_T3_mT4_P12ihipStream_tbEUlT_E1_NS1_11comp_targetILNS1_3genE8ELNS1_11target_archE1030ELNS1_3gpuE2ELNS1_3repE0EEENS1_30default_config_static_selectorELNS0_4arch9wavefront6targetE0EEEvSQ_.private_seg_size, 0
	.set _ZN7rocprim17ROCPRIM_400000_NS6detail17trampoline_kernelINS0_14default_configENS1_22reduce_config_selectorIbEEZNS1_11reduce_implILb1ES3_N6hipcub16HIPCUB_304000_NS22TransformInputIteratorIbN2at6native12_GLOBAL__N_19NonZeroOpIiEEPKilEEPiiNS8_6detail34convert_binary_result_type_wrapperINS8_3SumESH_iEEEE10hipError_tPvRmT1_T2_T3_mT4_P12ihipStream_tbEUlT_E1_NS1_11comp_targetILNS1_3genE8ELNS1_11target_archE1030ELNS1_3gpuE2ELNS1_3repE0EEENS1_30default_config_static_selectorELNS0_4arch9wavefront6targetE0EEEvSQ_.uses_vcc, 0
	.set _ZN7rocprim17ROCPRIM_400000_NS6detail17trampoline_kernelINS0_14default_configENS1_22reduce_config_selectorIbEEZNS1_11reduce_implILb1ES3_N6hipcub16HIPCUB_304000_NS22TransformInputIteratorIbN2at6native12_GLOBAL__N_19NonZeroOpIiEEPKilEEPiiNS8_6detail34convert_binary_result_type_wrapperINS8_3SumESH_iEEEE10hipError_tPvRmT1_T2_T3_mT4_P12ihipStream_tbEUlT_E1_NS1_11comp_targetILNS1_3genE8ELNS1_11target_archE1030ELNS1_3gpuE2ELNS1_3repE0EEENS1_30default_config_static_selectorELNS0_4arch9wavefront6targetE0EEEvSQ_.uses_flat_scratch, 0
	.set _ZN7rocprim17ROCPRIM_400000_NS6detail17trampoline_kernelINS0_14default_configENS1_22reduce_config_selectorIbEEZNS1_11reduce_implILb1ES3_N6hipcub16HIPCUB_304000_NS22TransformInputIteratorIbN2at6native12_GLOBAL__N_19NonZeroOpIiEEPKilEEPiiNS8_6detail34convert_binary_result_type_wrapperINS8_3SumESH_iEEEE10hipError_tPvRmT1_T2_T3_mT4_P12ihipStream_tbEUlT_E1_NS1_11comp_targetILNS1_3genE8ELNS1_11target_archE1030ELNS1_3gpuE2ELNS1_3repE0EEENS1_30default_config_static_selectorELNS0_4arch9wavefront6targetE0EEEvSQ_.has_dyn_sized_stack, 0
	.set _ZN7rocprim17ROCPRIM_400000_NS6detail17trampoline_kernelINS0_14default_configENS1_22reduce_config_selectorIbEEZNS1_11reduce_implILb1ES3_N6hipcub16HIPCUB_304000_NS22TransformInputIteratorIbN2at6native12_GLOBAL__N_19NonZeroOpIiEEPKilEEPiiNS8_6detail34convert_binary_result_type_wrapperINS8_3SumESH_iEEEE10hipError_tPvRmT1_T2_T3_mT4_P12ihipStream_tbEUlT_E1_NS1_11comp_targetILNS1_3genE8ELNS1_11target_archE1030ELNS1_3gpuE2ELNS1_3repE0EEENS1_30default_config_static_selectorELNS0_4arch9wavefront6targetE0EEEvSQ_.has_recursion, 0
	.set _ZN7rocprim17ROCPRIM_400000_NS6detail17trampoline_kernelINS0_14default_configENS1_22reduce_config_selectorIbEEZNS1_11reduce_implILb1ES3_N6hipcub16HIPCUB_304000_NS22TransformInputIteratorIbN2at6native12_GLOBAL__N_19NonZeroOpIiEEPKilEEPiiNS8_6detail34convert_binary_result_type_wrapperINS8_3SumESH_iEEEE10hipError_tPvRmT1_T2_T3_mT4_P12ihipStream_tbEUlT_E1_NS1_11comp_targetILNS1_3genE8ELNS1_11target_archE1030ELNS1_3gpuE2ELNS1_3repE0EEENS1_30default_config_static_selectorELNS0_4arch9wavefront6targetE0EEEvSQ_.has_indirect_call, 0
	.section	.AMDGPU.csdata,"",@progbits
; Kernel info:
; codeLenInByte = 0
; TotalNumSgprs: 0
; NumVgprs: 0
; ScratchSize: 0
; MemoryBound: 0
; FloatMode: 240
; IeeeMode: 1
; LDSByteSize: 0 bytes/workgroup (compile time only)
; SGPRBlocks: 0
; VGPRBlocks: 0
; NumSGPRsForWavesPerEU: 1
; NumVGPRsForWavesPerEU: 1
; Occupancy: 16
; WaveLimiterHint : 0
; COMPUTE_PGM_RSRC2:SCRATCH_EN: 0
; COMPUTE_PGM_RSRC2:USER_SGPR: 2
; COMPUTE_PGM_RSRC2:TRAP_HANDLER: 0
; COMPUTE_PGM_RSRC2:TGID_X_EN: 1
; COMPUTE_PGM_RSRC2:TGID_Y_EN: 0
; COMPUTE_PGM_RSRC2:TGID_Z_EN: 0
; COMPUTE_PGM_RSRC2:TIDIG_COMP_CNT: 0
	.section	.text._ZN7rocprim17ROCPRIM_400000_NS6detail17trampoline_kernelINS0_14default_configENS1_25partition_config_selectorILNS1_17partition_subalgoE5ElNS0_10empty_typeEbEEZZNS1_14partition_implILS5_5ELb0ES3_mN6hipcub16HIPCUB_304000_NS21CountingInputIteratorIllEEPS6_NSA_22TransformInputIteratorIbN2at6native12_GLOBAL__N_19NonZeroOpIiEEPKilEENS0_5tupleIJPlS6_EEENSN_IJSD_SD_EEES6_PiJS6_EEE10hipError_tPvRmT3_T4_T5_T6_T7_T9_mT8_P12ihipStream_tbDpT10_ENKUlT_T0_E_clISt17integral_constantIbLb0EES1B_EEDaS16_S17_EUlS16_E_NS1_11comp_targetILNS1_3genE0ELNS1_11target_archE4294967295ELNS1_3gpuE0ELNS1_3repE0EEENS1_30default_config_static_selectorELNS0_4arch9wavefront6targetE0EEEvT1_,"axG",@progbits,_ZN7rocprim17ROCPRIM_400000_NS6detail17trampoline_kernelINS0_14default_configENS1_25partition_config_selectorILNS1_17partition_subalgoE5ElNS0_10empty_typeEbEEZZNS1_14partition_implILS5_5ELb0ES3_mN6hipcub16HIPCUB_304000_NS21CountingInputIteratorIllEEPS6_NSA_22TransformInputIteratorIbN2at6native12_GLOBAL__N_19NonZeroOpIiEEPKilEENS0_5tupleIJPlS6_EEENSN_IJSD_SD_EEES6_PiJS6_EEE10hipError_tPvRmT3_T4_T5_T6_T7_T9_mT8_P12ihipStream_tbDpT10_ENKUlT_T0_E_clISt17integral_constantIbLb0EES1B_EEDaS16_S17_EUlS16_E_NS1_11comp_targetILNS1_3genE0ELNS1_11target_archE4294967295ELNS1_3gpuE0ELNS1_3repE0EEENS1_30default_config_static_selectorELNS0_4arch9wavefront6targetE0EEEvT1_,comdat
	.globl	_ZN7rocprim17ROCPRIM_400000_NS6detail17trampoline_kernelINS0_14default_configENS1_25partition_config_selectorILNS1_17partition_subalgoE5ElNS0_10empty_typeEbEEZZNS1_14partition_implILS5_5ELb0ES3_mN6hipcub16HIPCUB_304000_NS21CountingInputIteratorIllEEPS6_NSA_22TransformInputIteratorIbN2at6native12_GLOBAL__N_19NonZeroOpIiEEPKilEENS0_5tupleIJPlS6_EEENSN_IJSD_SD_EEES6_PiJS6_EEE10hipError_tPvRmT3_T4_T5_T6_T7_T9_mT8_P12ihipStream_tbDpT10_ENKUlT_T0_E_clISt17integral_constantIbLb0EES1B_EEDaS16_S17_EUlS16_E_NS1_11comp_targetILNS1_3genE0ELNS1_11target_archE4294967295ELNS1_3gpuE0ELNS1_3repE0EEENS1_30default_config_static_selectorELNS0_4arch9wavefront6targetE0EEEvT1_ ; -- Begin function _ZN7rocprim17ROCPRIM_400000_NS6detail17trampoline_kernelINS0_14default_configENS1_25partition_config_selectorILNS1_17partition_subalgoE5ElNS0_10empty_typeEbEEZZNS1_14partition_implILS5_5ELb0ES3_mN6hipcub16HIPCUB_304000_NS21CountingInputIteratorIllEEPS6_NSA_22TransformInputIteratorIbN2at6native12_GLOBAL__N_19NonZeroOpIiEEPKilEENS0_5tupleIJPlS6_EEENSN_IJSD_SD_EEES6_PiJS6_EEE10hipError_tPvRmT3_T4_T5_T6_T7_T9_mT8_P12ihipStream_tbDpT10_ENKUlT_T0_E_clISt17integral_constantIbLb0EES1B_EEDaS16_S17_EUlS16_E_NS1_11comp_targetILNS1_3genE0ELNS1_11target_archE4294967295ELNS1_3gpuE0ELNS1_3repE0EEENS1_30default_config_static_selectorELNS0_4arch9wavefront6targetE0EEEvT1_
	.p2align	8
	.type	_ZN7rocprim17ROCPRIM_400000_NS6detail17trampoline_kernelINS0_14default_configENS1_25partition_config_selectorILNS1_17partition_subalgoE5ElNS0_10empty_typeEbEEZZNS1_14partition_implILS5_5ELb0ES3_mN6hipcub16HIPCUB_304000_NS21CountingInputIteratorIllEEPS6_NSA_22TransformInputIteratorIbN2at6native12_GLOBAL__N_19NonZeroOpIiEEPKilEENS0_5tupleIJPlS6_EEENSN_IJSD_SD_EEES6_PiJS6_EEE10hipError_tPvRmT3_T4_T5_T6_T7_T9_mT8_P12ihipStream_tbDpT10_ENKUlT_T0_E_clISt17integral_constantIbLb0EES1B_EEDaS16_S17_EUlS16_E_NS1_11comp_targetILNS1_3genE0ELNS1_11target_archE4294967295ELNS1_3gpuE0ELNS1_3repE0EEENS1_30default_config_static_selectorELNS0_4arch9wavefront6targetE0EEEvT1_,@function
_ZN7rocprim17ROCPRIM_400000_NS6detail17trampoline_kernelINS0_14default_configENS1_25partition_config_selectorILNS1_17partition_subalgoE5ElNS0_10empty_typeEbEEZZNS1_14partition_implILS5_5ELb0ES3_mN6hipcub16HIPCUB_304000_NS21CountingInputIteratorIllEEPS6_NSA_22TransformInputIteratorIbN2at6native12_GLOBAL__N_19NonZeroOpIiEEPKilEENS0_5tupleIJPlS6_EEENSN_IJSD_SD_EEES6_PiJS6_EEE10hipError_tPvRmT3_T4_T5_T6_T7_T9_mT8_P12ihipStream_tbDpT10_ENKUlT_T0_E_clISt17integral_constantIbLb0EES1B_EEDaS16_S17_EUlS16_E_NS1_11comp_targetILNS1_3genE0ELNS1_11target_archE4294967295ELNS1_3gpuE0ELNS1_3repE0EEENS1_30default_config_static_selectorELNS0_4arch9wavefront6targetE0EEEvT1_: ; @_ZN7rocprim17ROCPRIM_400000_NS6detail17trampoline_kernelINS0_14default_configENS1_25partition_config_selectorILNS1_17partition_subalgoE5ElNS0_10empty_typeEbEEZZNS1_14partition_implILS5_5ELb0ES3_mN6hipcub16HIPCUB_304000_NS21CountingInputIteratorIllEEPS6_NSA_22TransformInputIteratorIbN2at6native12_GLOBAL__N_19NonZeroOpIiEEPKilEENS0_5tupleIJPlS6_EEENSN_IJSD_SD_EEES6_PiJS6_EEE10hipError_tPvRmT3_T4_T5_T6_T7_T9_mT8_P12ihipStream_tbDpT10_ENKUlT_T0_E_clISt17integral_constantIbLb0EES1B_EEDaS16_S17_EUlS16_E_NS1_11comp_targetILNS1_3genE0ELNS1_11target_archE4294967295ELNS1_3gpuE0ELNS1_3repE0EEENS1_30default_config_static_selectorELNS0_4arch9wavefront6targetE0EEEvT1_
; %bb.0:
	.section	.rodata,"a",@progbits
	.p2align	6, 0x0
	.amdhsa_kernel _ZN7rocprim17ROCPRIM_400000_NS6detail17trampoline_kernelINS0_14default_configENS1_25partition_config_selectorILNS1_17partition_subalgoE5ElNS0_10empty_typeEbEEZZNS1_14partition_implILS5_5ELb0ES3_mN6hipcub16HIPCUB_304000_NS21CountingInputIteratorIllEEPS6_NSA_22TransformInputIteratorIbN2at6native12_GLOBAL__N_19NonZeroOpIiEEPKilEENS0_5tupleIJPlS6_EEENSN_IJSD_SD_EEES6_PiJS6_EEE10hipError_tPvRmT3_T4_T5_T6_T7_T9_mT8_P12ihipStream_tbDpT10_ENKUlT_T0_E_clISt17integral_constantIbLb0EES1B_EEDaS16_S17_EUlS16_E_NS1_11comp_targetILNS1_3genE0ELNS1_11target_archE4294967295ELNS1_3gpuE0ELNS1_3repE0EEENS1_30default_config_static_selectorELNS0_4arch9wavefront6targetE0EEEvT1_
		.amdhsa_group_segment_fixed_size 0
		.amdhsa_private_segment_fixed_size 0
		.amdhsa_kernarg_size 120
		.amdhsa_user_sgpr_count 2
		.amdhsa_user_sgpr_dispatch_ptr 0
		.amdhsa_user_sgpr_queue_ptr 0
		.amdhsa_user_sgpr_kernarg_segment_ptr 1
		.amdhsa_user_sgpr_dispatch_id 0
		.amdhsa_user_sgpr_private_segment_size 0
		.amdhsa_wavefront_size32 1
		.amdhsa_uses_dynamic_stack 0
		.amdhsa_enable_private_segment 0
		.amdhsa_system_sgpr_workgroup_id_x 1
		.amdhsa_system_sgpr_workgroup_id_y 0
		.amdhsa_system_sgpr_workgroup_id_z 0
		.amdhsa_system_sgpr_workgroup_info 0
		.amdhsa_system_vgpr_workitem_id 0
		.amdhsa_next_free_vgpr 1
		.amdhsa_next_free_sgpr 1
		.amdhsa_reserve_vcc 0
		.amdhsa_float_round_mode_32 0
		.amdhsa_float_round_mode_16_64 0
		.amdhsa_float_denorm_mode_32 3
		.amdhsa_float_denorm_mode_16_64 3
		.amdhsa_fp16_overflow 0
		.amdhsa_workgroup_processor_mode 1
		.amdhsa_memory_ordered 1
		.amdhsa_forward_progress 1
		.amdhsa_inst_pref_size 0
		.amdhsa_round_robin_scheduling 0
		.amdhsa_exception_fp_ieee_invalid_op 0
		.amdhsa_exception_fp_denorm_src 0
		.amdhsa_exception_fp_ieee_div_zero 0
		.amdhsa_exception_fp_ieee_overflow 0
		.amdhsa_exception_fp_ieee_underflow 0
		.amdhsa_exception_fp_ieee_inexact 0
		.amdhsa_exception_int_div_zero 0
	.end_amdhsa_kernel
	.section	.text._ZN7rocprim17ROCPRIM_400000_NS6detail17trampoline_kernelINS0_14default_configENS1_25partition_config_selectorILNS1_17partition_subalgoE5ElNS0_10empty_typeEbEEZZNS1_14partition_implILS5_5ELb0ES3_mN6hipcub16HIPCUB_304000_NS21CountingInputIteratorIllEEPS6_NSA_22TransformInputIteratorIbN2at6native12_GLOBAL__N_19NonZeroOpIiEEPKilEENS0_5tupleIJPlS6_EEENSN_IJSD_SD_EEES6_PiJS6_EEE10hipError_tPvRmT3_T4_T5_T6_T7_T9_mT8_P12ihipStream_tbDpT10_ENKUlT_T0_E_clISt17integral_constantIbLb0EES1B_EEDaS16_S17_EUlS16_E_NS1_11comp_targetILNS1_3genE0ELNS1_11target_archE4294967295ELNS1_3gpuE0ELNS1_3repE0EEENS1_30default_config_static_selectorELNS0_4arch9wavefront6targetE0EEEvT1_,"axG",@progbits,_ZN7rocprim17ROCPRIM_400000_NS6detail17trampoline_kernelINS0_14default_configENS1_25partition_config_selectorILNS1_17partition_subalgoE5ElNS0_10empty_typeEbEEZZNS1_14partition_implILS5_5ELb0ES3_mN6hipcub16HIPCUB_304000_NS21CountingInputIteratorIllEEPS6_NSA_22TransformInputIteratorIbN2at6native12_GLOBAL__N_19NonZeroOpIiEEPKilEENS0_5tupleIJPlS6_EEENSN_IJSD_SD_EEES6_PiJS6_EEE10hipError_tPvRmT3_T4_T5_T6_T7_T9_mT8_P12ihipStream_tbDpT10_ENKUlT_T0_E_clISt17integral_constantIbLb0EES1B_EEDaS16_S17_EUlS16_E_NS1_11comp_targetILNS1_3genE0ELNS1_11target_archE4294967295ELNS1_3gpuE0ELNS1_3repE0EEENS1_30default_config_static_selectorELNS0_4arch9wavefront6targetE0EEEvT1_,comdat
.Lfunc_end186:
	.size	_ZN7rocprim17ROCPRIM_400000_NS6detail17trampoline_kernelINS0_14default_configENS1_25partition_config_selectorILNS1_17partition_subalgoE5ElNS0_10empty_typeEbEEZZNS1_14partition_implILS5_5ELb0ES3_mN6hipcub16HIPCUB_304000_NS21CountingInputIteratorIllEEPS6_NSA_22TransformInputIteratorIbN2at6native12_GLOBAL__N_19NonZeroOpIiEEPKilEENS0_5tupleIJPlS6_EEENSN_IJSD_SD_EEES6_PiJS6_EEE10hipError_tPvRmT3_T4_T5_T6_T7_T9_mT8_P12ihipStream_tbDpT10_ENKUlT_T0_E_clISt17integral_constantIbLb0EES1B_EEDaS16_S17_EUlS16_E_NS1_11comp_targetILNS1_3genE0ELNS1_11target_archE4294967295ELNS1_3gpuE0ELNS1_3repE0EEENS1_30default_config_static_selectorELNS0_4arch9wavefront6targetE0EEEvT1_, .Lfunc_end186-_ZN7rocprim17ROCPRIM_400000_NS6detail17trampoline_kernelINS0_14default_configENS1_25partition_config_selectorILNS1_17partition_subalgoE5ElNS0_10empty_typeEbEEZZNS1_14partition_implILS5_5ELb0ES3_mN6hipcub16HIPCUB_304000_NS21CountingInputIteratorIllEEPS6_NSA_22TransformInputIteratorIbN2at6native12_GLOBAL__N_19NonZeroOpIiEEPKilEENS0_5tupleIJPlS6_EEENSN_IJSD_SD_EEES6_PiJS6_EEE10hipError_tPvRmT3_T4_T5_T6_T7_T9_mT8_P12ihipStream_tbDpT10_ENKUlT_T0_E_clISt17integral_constantIbLb0EES1B_EEDaS16_S17_EUlS16_E_NS1_11comp_targetILNS1_3genE0ELNS1_11target_archE4294967295ELNS1_3gpuE0ELNS1_3repE0EEENS1_30default_config_static_selectorELNS0_4arch9wavefront6targetE0EEEvT1_
                                        ; -- End function
	.set _ZN7rocprim17ROCPRIM_400000_NS6detail17trampoline_kernelINS0_14default_configENS1_25partition_config_selectorILNS1_17partition_subalgoE5ElNS0_10empty_typeEbEEZZNS1_14partition_implILS5_5ELb0ES3_mN6hipcub16HIPCUB_304000_NS21CountingInputIteratorIllEEPS6_NSA_22TransformInputIteratorIbN2at6native12_GLOBAL__N_19NonZeroOpIiEEPKilEENS0_5tupleIJPlS6_EEENSN_IJSD_SD_EEES6_PiJS6_EEE10hipError_tPvRmT3_T4_T5_T6_T7_T9_mT8_P12ihipStream_tbDpT10_ENKUlT_T0_E_clISt17integral_constantIbLb0EES1B_EEDaS16_S17_EUlS16_E_NS1_11comp_targetILNS1_3genE0ELNS1_11target_archE4294967295ELNS1_3gpuE0ELNS1_3repE0EEENS1_30default_config_static_selectorELNS0_4arch9wavefront6targetE0EEEvT1_.num_vgpr, 0
	.set _ZN7rocprim17ROCPRIM_400000_NS6detail17trampoline_kernelINS0_14default_configENS1_25partition_config_selectorILNS1_17partition_subalgoE5ElNS0_10empty_typeEbEEZZNS1_14partition_implILS5_5ELb0ES3_mN6hipcub16HIPCUB_304000_NS21CountingInputIteratorIllEEPS6_NSA_22TransformInputIteratorIbN2at6native12_GLOBAL__N_19NonZeroOpIiEEPKilEENS0_5tupleIJPlS6_EEENSN_IJSD_SD_EEES6_PiJS6_EEE10hipError_tPvRmT3_T4_T5_T6_T7_T9_mT8_P12ihipStream_tbDpT10_ENKUlT_T0_E_clISt17integral_constantIbLb0EES1B_EEDaS16_S17_EUlS16_E_NS1_11comp_targetILNS1_3genE0ELNS1_11target_archE4294967295ELNS1_3gpuE0ELNS1_3repE0EEENS1_30default_config_static_selectorELNS0_4arch9wavefront6targetE0EEEvT1_.num_agpr, 0
	.set _ZN7rocprim17ROCPRIM_400000_NS6detail17trampoline_kernelINS0_14default_configENS1_25partition_config_selectorILNS1_17partition_subalgoE5ElNS0_10empty_typeEbEEZZNS1_14partition_implILS5_5ELb0ES3_mN6hipcub16HIPCUB_304000_NS21CountingInputIteratorIllEEPS6_NSA_22TransformInputIteratorIbN2at6native12_GLOBAL__N_19NonZeroOpIiEEPKilEENS0_5tupleIJPlS6_EEENSN_IJSD_SD_EEES6_PiJS6_EEE10hipError_tPvRmT3_T4_T5_T6_T7_T9_mT8_P12ihipStream_tbDpT10_ENKUlT_T0_E_clISt17integral_constantIbLb0EES1B_EEDaS16_S17_EUlS16_E_NS1_11comp_targetILNS1_3genE0ELNS1_11target_archE4294967295ELNS1_3gpuE0ELNS1_3repE0EEENS1_30default_config_static_selectorELNS0_4arch9wavefront6targetE0EEEvT1_.numbered_sgpr, 0
	.set _ZN7rocprim17ROCPRIM_400000_NS6detail17trampoline_kernelINS0_14default_configENS1_25partition_config_selectorILNS1_17partition_subalgoE5ElNS0_10empty_typeEbEEZZNS1_14partition_implILS5_5ELb0ES3_mN6hipcub16HIPCUB_304000_NS21CountingInputIteratorIllEEPS6_NSA_22TransformInputIteratorIbN2at6native12_GLOBAL__N_19NonZeroOpIiEEPKilEENS0_5tupleIJPlS6_EEENSN_IJSD_SD_EEES6_PiJS6_EEE10hipError_tPvRmT3_T4_T5_T6_T7_T9_mT8_P12ihipStream_tbDpT10_ENKUlT_T0_E_clISt17integral_constantIbLb0EES1B_EEDaS16_S17_EUlS16_E_NS1_11comp_targetILNS1_3genE0ELNS1_11target_archE4294967295ELNS1_3gpuE0ELNS1_3repE0EEENS1_30default_config_static_selectorELNS0_4arch9wavefront6targetE0EEEvT1_.num_named_barrier, 0
	.set _ZN7rocprim17ROCPRIM_400000_NS6detail17trampoline_kernelINS0_14default_configENS1_25partition_config_selectorILNS1_17partition_subalgoE5ElNS0_10empty_typeEbEEZZNS1_14partition_implILS5_5ELb0ES3_mN6hipcub16HIPCUB_304000_NS21CountingInputIteratorIllEEPS6_NSA_22TransformInputIteratorIbN2at6native12_GLOBAL__N_19NonZeroOpIiEEPKilEENS0_5tupleIJPlS6_EEENSN_IJSD_SD_EEES6_PiJS6_EEE10hipError_tPvRmT3_T4_T5_T6_T7_T9_mT8_P12ihipStream_tbDpT10_ENKUlT_T0_E_clISt17integral_constantIbLb0EES1B_EEDaS16_S17_EUlS16_E_NS1_11comp_targetILNS1_3genE0ELNS1_11target_archE4294967295ELNS1_3gpuE0ELNS1_3repE0EEENS1_30default_config_static_selectorELNS0_4arch9wavefront6targetE0EEEvT1_.private_seg_size, 0
	.set _ZN7rocprim17ROCPRIM_400000_NS6detail17trampoline_kernelINS0_14default_configENS1_25partition_config_selectorILNS1_17partition_subalgoE5ElNS0_10empty_typeEbEEZZNS1_14partition_implILS5_5ELb0ES3_mN6hipcub16HIPCUB_304000_NS21CountingInputIteratorIllEEPS6_NSA_22TransformInputIteratorIbN2at6native12_GLOBAL__N_19NonZeroOpIiEEPKilEENS0_5tupleIJPlS6_EEENSN_IJSD_SD_EEES6_PiJS6_EEE10hipError_tPvRmT3_T4_T5_T6_T7_T9_mT8_P12ihipStream_tbDpT10_ENKUlT_T0_E_clISt17integral_constantIbLb0EES1B_EEDaS16_S17_EUlS16_E_NS1_11comp_targetILNS1_3genE0ELNS1_11target_archE4294967295ELNS1_3gpuE0ELNS1_3repE0EEENS1_30default_config_static_selectorELNS0_4arch9wavefront6targetE0EEEvT1_.uses_vcc, 0
	.set _ZN7rocprim17ROCPRIM_400000_NS6detail17trampoline_kernelINS0_14default_configENS1_25partition_config_selectorILNS1_17partition_subalgoE5ElNS0_10empty_typeEbEEZZNS1_14partition_implILS5_5ELb0ES3_mN6hipcub16HIPCUB_304000_NS21CountingInputIteratorIllEEPS6_NSA_22TransformInputIteratorIbN2at6native12_GLOBAL__N_19NonZeroOpIiEEPKilEENS0_5tupleIJPlS6_EEENSN_IJSD_SD_EEES6_PiJS6_EEE10hipError_tPvRmT3_T4_T5_T6_T7_T9_mT8_P12ihipStream_tbDpT10_ENKUlT_T0_E_clISt17integral_constantIbLb0EES1B_EEDaS16_S17_EUlS16_E_NS1_11comp_targetILNS1_3genE0ELNS1_11target_archE4294967295ELNS1_3gpuE0ELNS1_3repE0EEENS1_30default_config_static_selectorELNS0_4arch9wavefront6targetE0EEEvT1_.uses_flat_scratch, 0
	.set _ZN7rocprim17ROCPRIM_400000_NS6detail17trampoline_kernelINS0_14default_configENS1_25partition_config_selectorILNS1_17partition_subalgoE5ElNS0_10empty_typeEbEEZZNS1_14partition_implILS5_5ELb0ES3_mN6hipcub16HIPCUB_304000_NS21CountingInputIteratorIllEEPS6_NSA_22TransformInputIteratorIbN2at6native12_GLOBAL__N_19NonZeroOpIiEEPKilEENS0_5tupleIJPlS6_EEENSN_IJSD_SD_EEES6_PiJS6_EEE10hipError_tPvRmT3_T4_T5_T6_T7_T9_mT8_P12ihipStream_tbDpT10_ENKUlT_T0_E_clISt17integral_constantIbLb0EES1B_EEDaS16_S17_EUlS16_E_NS1_11comp_targetILNS1_3genE0ELNS1_11target_archE4294967295ELNS1_3gpuE0ELNS1_3repE0EEENS1_30default_config_static_selectorELNS0_4arch9wavefront6targetE0EEEvT1_.has_dyn_sized_stack, 0
	.set _ZN7rocprim17ROCPRIM_400000_NS6detail17trampoline_kernelINS0_14default_configENS1_25partition_config_selectorILNS1_17partition_subalgoE5ElNS0_10empty_typeEbEEZZNS1_14partition_implILS5_5ELb0ES3_mN6hipcub16HIPCUB_304000_NS21CountingInputIteratorIllEEPS6_NSA_22TransformInputIteratorIbN2at6native12_GLOBAL__N_19NonZeroOpIiEEPKilEENS0_5tupleIJPlS6_EEENSN_IJSD_SD_EEES6_PiJS6_EEE10hipError_tPvRmT3_T4_T5_T6_T7_T9_mT8_P12ihipStream_tbDpT10_ENKUlT_T0_E_clISt17integral_constantIbLb0EES1B_EEDaS16_S17_EUlS16_E_NS1_11comp_targetILNS1_3genE0ELNS1_11target_archE4294967295ELNS1_3gpuE0ELNS1_3repE0EEENS1_30default_config_static_selectorELNS0_4arch9wavefront6targetE0EEEvT1_.has_recursion, 0
	.set _ZN7rocprim17ROCPRIM_400000_NS6detail17trampoline_kernelINS0_14default_configENS1_25partition_config_selectorILNS1_17partition_subalgoE5ElNS0_10empty_typeEbEEZZNS1_14partition_implILS5_5ELb0ES3_mN6hipcub16HIPCUB_304000_NS21CountingInputIteratorIllEEPS6_NSA_22TransformInputIteratorIbN2at6native12_GLOBAL__N_19NonZeroOpIiEEPKilEENS0_5tupleIJPlS6_EEENSN_IJSD_SD_EEES6_PiJS6_EEE10hipError_tPvRmT3_T4_T5_T6_T7_T9_mT8_P12ihipStream_tbDpT10_ENKUlT_T0_E_clISt17integral_constantIbLb0EES1B_EEDaS16_S17_EUlS16_E_NS1_11comp_targetILNS1_3genE0ELNS1_11target_archE4294967295ELNS1_3gpuE0ELNS1_3repE0EEENS1_30default_config_static_selectorELNS0_4arch9wavefront6targetE0EEEvT1_.has_indirect_call, 0
	.section	.AMDGPU.csdata,"",@progbits
; Kernel info:
; codeLenInByte = 0
; TotalNumSgprs: 0
; NumVgprs: 0
; ScratchSize: 0
; MemoryBound: 0
; FloatMode: 240
; IeeeMode: 1
; LDSByteSize: 0 bytes/workgroup (compile time only)
; SGPRBlocks: 0
; VGPRBlocks: 0
; NumSGPRsForWavesPerEU: 1
; NumVGPRsForWavesPerEU: 1
; Occupancy: 16
; WaveLimiterHint : 0
; COMPUTE_PGM_RSRC2:SCRATCH_EN: 0
; COMPUTE_PGM_RSRC2:USER_SGPR: 2
; COMPUTE_PGM_RSRC2:TRAP_HANDLER: 0
; COMPUTE_PGM_RSRC2:TGID_X_EN: 1
; COMPUTE_PGM_RSRC2:TGID_Y_EN: 0
; COMPUTE_PGM_RSRC2:TGID_Z_EN: 0
; COMPUTE_PGM_RSRC2:TIDIG_COMP_CNT: 0
	.section	.text._ZN7rocprim17ROCPRIM_400000_NS6detail17trampoline_kernelINS0_14default_configENS1_25partition_config_selectorILNS1_17partition_subalgoE5ElNS0_10empty_typeEbEEZZNS1_14partition_implILS5_5ELb0ES3_mN6hipcub16HIPCUB_304000_NS21CountingInputIteratorIllEEPS6_NSA_22TransformInputIteratorIbN2at6native12_GLOBAL__N_19NonZeroOpIiEEPKilEENS0_5tupleIJPlS6_EEENSN_IJSD_SD_EEES6_PiJS6_EEE10hipError_tPvRmT3_T4_T5_T6_T7_T9_mT8_P12ihipStream_tbDpT10_ENKUlT_T0_E_clISt17integral_constantIbLb0EES1B_EEDaS16_S17_EUlS16_E_NS1_11comp_targetILNS1_3genE5ELNS1_11target_archE942ELNS1_3gpuE9ELNS1_3repE0EEENS1_30default_config_static_selectorELNS0_4arch9wavefront6targetE0EEEvT1_,"axG",@progbits,_ZN7rocprim17ROCPRIM_400000_NS6detail17trampoline_kernelINS0_14default_configENS1_25partition_config_selectorILNS1_17partition_subalgoE5ElNS0_10empty_typeEbEEZZNS1_14partition_implILS5_5ELb0ES3_mN6hipcub16HIPCUB_304000_NS21CountingInputIteratorIllEEPS6_NSA_22TransformInputIteratorIbN2at6native12_GLOBAL__N_19NonZeroOpIiEEPKilEENS0_5tupleIJPlS6_EEENSN_IJSD_SD_EEES6_PiJS6_EEE10hipError_tPvRmT3_T4_T5_T6_T7_T9_mT8_P12ihipStream_tbDpT10_ENKUlT_T0_E_clISt17integral_constantIbLb0EES1B_EEDaS16_S17_EUlS16_E_NS1_11comp_targetILNS1_3genE5ELNS1_11target_archE942ELNS1_3gpuE9ELNS1_3repE0EEENS1_30default_config_static_selectorELNS0_4arch9wavefront6targetE0EEEvT1_,comdat
	.globl	_ZN7rocprim17ROCPRIM_400000_NS6detail17trampoline_kernelINS0_14default_configENS1_25partition_config_selectorILNS1_17partition_subalgoE5ElNS0_10empty_typeEbEEZZNS1_14partition_implILS5_5ELb0ES3_mN6hipcub16HIPCUB_304000_NS21CountingInputIteratorIllEEPS6_NSA_22TransformInputIteratorIbN2at6native12_GLOBAL__N_19NonZeroOpIiEEPKilEENS0_5tupleIJPlS6_EEENSN_IJSD_SD_EEES6_PiJS6_EEE10hipError_tPvRmT3_T4_T5_T6_T7_T9_mT8_P12ihipStream_tbDpT10_ENKUlT_T0_E_clISt17integral_constantIbLb0EES1B_EEDaS16_S17_EUlS16_E_NS1_11comp_targetILNS1_3genE5ELNS1_11target_archE942ELNS1_3gpuE9ELNS1_3repE0EEENS1_30default_config_static_selectorELNS0_4arch9wavefront6targetE0EEEvT1_ ; -- Begin function _ZN7rocprim17ROCPRIM_400000_NS6detail17trampoline_kernelINS0_14default_configENS1_25partition_config_selectorILNS1_17partition_subalgoE5ElNS0_10empty_typeEbEEZZNS1_14partition_implILS5_5ELb0ES3_mN6hipcub16HIPCUB_304000_NS21CountingInputIteratorIllEEPS6_NSA_22TransformInputIteratorIbN2at6native12_GLOBAL__N_19NonZeroOpIiEEPKilEENS0_5tupleIJPlS6_EEENSN_IJSD_SD_EEES6_PiJS6_EEE10hipError_tPvRmT3_T4_T5_T6_T7_T9_mT8_P12ihipStream_tbDpT10_ENKUlT_T0_E_clISt17integral_constantIbLb0EES1B_EEDaS16_S17_EUlS16_E_NS1_11comp_targetILNS1_3genE5ELNS1_11target_archE942ELNS1_3gpuE9ELNS1_3repE0EEENS1_30default_config_static_selectorELNS0_4arch9wavefront6targetE0EEEvT1_
	.p2align	8
	.type	_ZN7rocprim17ROCPRIM_400000_NS6detail17trampoline_kernelINS0_14default_configENS1_25partition_config_selectorILNS1_17partition_subalgoE5ElNS0_10empty_typeEbEEZZNS1_14partition_implILS5_5ELb0ES3_mN6hipcub16HIPCUB_304000_NS21CountingInputIteratorIllEEPS6_NSA_22TransformInputIteratorIbN2at6native12_GLOBAL__N_19NonZeroOpIiEEPKilEENS0_5tupleIJPlS6_EEENSN_IJSD_SD_EEES6_PiJS6_EEE10hipError_tPvRmT3_T4_T5_T6_T7_T9_mT8_P12ihipStream_tbDpT10_ENKUlT_T0_E_clISt17integral_constantIbLb0EES1B_EEDaS16_S17_EUlS16_E_NS1_11comp_targetILNS1_3genE5ELNS1_11target_archE942ELNS1_3gpuE9ELNS1_3repE0EEENS1_30default_config_static_selectorELNS0_4arch9wavefront6targetE0EEEvT1_,@function
_ZN7rocprim17ROCPRIM_400000_NS6detail17trampoline_kernelINS0_14default_configENS1_25partition_config_selectorILNS1_17partition_subalgoE5ElNS0_10empty_typeEbEEZZNS1_14partition_implILS5_5ELb0ES3_mN6hipcub16HIPCUB_304000_NS21CountingInputIteratorIllEEPS6_NSA_22TransformInputIteratorIbN2at6native12_GLOBAL__N_19NonZeroOpIiEEPKilEENS0_5tupleIJPlS6_EEENSN_IJSD_SD_EEES6_PiJS6_EEE10hipError_tPvRmT3_T4_T5_T6_T7_T9_mT8_P12ihipStream_tbDpT10_ENKUlT_T0_E_clISt17integral_constantIbLb0EES1B_EEDaS16_S17_EUlS16_E_NS1_11comp_targetILNS1_3genE5ELNS1_11target_archE942ELNS1_3gpuE9ELNS1_3repE0EEENS1_30default_config_static_selectorELNS0_4arch9wavefront6targetE0EEEvT1_: ; @_ZN7rocprim17ROCPRIM_400000_NS6detail17trampoline_kernelINS0_14default_configENS1_25partition_config_selectorILNS1_17partition_subalgoE5ElNS0_10empty_typeEbEEZZNS1_14partition_implILS5_5ELb0ES3_mN6hipcub16HIPCUB_304000_NS21CountingInputIteratorIllEEPS6_NSA_22TransformInputIteratorIbN2at6native12_GLOBAL__N_19NonZeroOpIiEEPKilEENS0_5tupleIJPlS6_EEENSN_IJSD_SD_EEES6_PiJS6_EEE10hipError_tPvRmT3_T4_T5_T6_T7_T9_mT8_P12ihipStream_tbDpT10_ENKUlT_T0_E_clISt17integral_constantIbLb0EES1B_EEDaS16_S17_EUlS16_E_NS1_11comp_targetILNS1_3genE5ELNS1_11target_archE942ELNS1_3gpuE9ELNS1_3repE0EEENS1_30default_config_static_selectorELNS0_4arch9wavefront6targetE0EEEvT1_
; %bb.0:
	.section	.rodata,"a",@progbits
	.p2align	6, 0x0
	.amdhsa_kernel _ZN7rocprim17ROCPRIM_400000_NS6detail17trampoline_kernelINS0_14default_configENS1_25partition_config_selectorILNS1_17partition_subalgoE5ElNS0_10empty_typeEbEEZZNS1_14partition_implILS5_5ELb0ES3_mN6hipcub16HIPCUB_304000_NS21CountingInputIteratorIllEEPS6_NSA_22TransformInputIteratorIbN2at6native12_GLOBAL__N_19NonZeroOpIiEEPKilEENS0_5tupleIJPlS6_EEENSN_IJSD_SD_EEES6_PiJS6_EEE10hipError_tPvRmT3_T4_T5_T6_T7_T9_mT8_P12ihipStream_tbDpT10_ENKUlT_T0_E_clISt17integral_constantIbLb0EES1B_EEDaS16_S17_EUlS16_E_NS1_11comp_targetILNS1_3genE5ELNS1_11target_archE942ELNS1_3gpuE9ELNS1_3repE0EEENS1_30default_config_static_selectorELNS0_4arch9wavefront6targetE0EEEvT1_
		.amdhsa_group_segment_fixed_size 0
		.amdhsa_private_segment_fixed_size 0
		.amdhsa_kernarg_size 120
		.amdhsa_user_sgpr_count 2
		.amdhsa_user_sgpr_dispatch_ptr 0
		.amdhsa_user_sgpr_queue_ptr 0
		.amdhsa_user_sgpr_kernarg_segment_ptr 1
		.amdhsa_user_sgpr_dispatch_id 0
		.amdhsa_user_sgpr_private_segment_size 0
		.amdhsa_wavefront_size32 1
		.amdhsa_uses_dynamic_stack 0
		.amdhsa_enable_private_segment 0
		.amdhsa_system_sgpr_workgroup_id_x 1
		.amdhsa_system_sgpr_workgroup_id_y 0
		.amdhsa_system_sgpr_workgroup_id_z 0
		.amdhsa_system_sgpr_workgroup_info 0
		.amdhsa_system_vgpr_workitem_id 0
		.amdhsa_next_free_vgpr 1
		.amdhsa_next_free_sgpr 1
		.amdhsa_reserve_vcc 0
		.amdhsa_float_round_mode_32 0
		.amdhsa_float_round_mode_16_64 0
		.amdhsa_float_denorm_mode_32 3
		.amdhsa_float_denorm_mode_16_64 3
		.amdhsa_fp16_overflow 0
		.amdhsa_workgroup_processor_mode 1
		.amdhsa_memory_ordered 1
		.amdhsa_forward_progress 1
		.amdhsa_inst_pref_size 0
		.amdhsa_round_robin_scheduling 0
		.amdhsa_exception_fp_ieee_invalid_op 0
		.amdhsa_exception_fp_denorm_src 0
		.amdhsa_exception_fp_ieee_div_zero 0
		.amdhsa_exception_fp_ieee_overflow 0
		.amdhsa_exception_fp_ieee_underflow 0
		.amdhsa_exception_fp_ieee_inexact 0
		.amdhsa_exception_int_div_zero 0
	.end_amdhsa_kernel
	.section	.text._ZN7rocprim17ROCPRIM_400000_NS6detail17trampoline_kernelINS0_14default_configENS1_25partition_config_selectorILNS1_17partition_subalgoE5ElNS0_10empty_typeEbEEZZNS1_14partition_implILS5_5ELb0ES3_mN6hipcub16HIPCUB_304000_NS21CountingInputIteratorIllEEPS6_NSA_22TransformInputIteratorIbN2at6native12_GLOBAL__N_19NonZeroOpIiEEPKilEENS0_5tupleIJPlS6_EEENSN_IJSD_SD_EEES6_PiJS6_EEE10hipError_tPvRmT3_T4_T5_T6_T7_T9_mT8_P12ihipStream_tbDpT10_ENKUlT_T0_E_clISt17integral_constantIbLb0EES1B_EEDaS16_S17_EUlS16_E_NS1_11comp_targetILNS1_3genE5ELNS1_11target_archE942ELNS1_3gpuE9ELNS1_3repE0EEENS1_30default_config_static_selectorELNS0_4arch9wavefront6targetE0EEEvT1_,"axG",@progbits,_ZN7rocprim17ROCPRIM_400000_NS6detail17trampoline_kernelINS0_14default_configENS1_25partition_config_selectorILNS1_17partition_subalgoE5ElNS0_10empty_typeEbEEZZNS1_14partition_implILS5_5ELb0ES3_mN6hipcub16HIPCUB_304000_NS21CountingInputIteratorIllEEPS6_NSA_22TransformInputIteratorIbN2at6native12_GLOBAL__N_19NonZeroOpIiEEPKilEENS0_5tupleIJPlS6_EEENSN_IJSD_SD_EEES6_PiJS6_EEE10hipError_tPvRmT3_T4_T5_T6_T7_T9_mT8_P12ihipStream_tbDpT10_ENKUlT_T0_E_clISt17integral_constantIbLb0EES1B_EEDaS16_S17_EUlS16_E_NS1_11comp_targetILNS1_3genE5ELNS1_11target_archE942ELNS1_3gpuE9ELNS1_3repE0EEENS1_30default_config_static_selectorELNS0_4arch9wavefront6targetE0EEEvT1_,comdat
.Lfunc_end187:
	.size	_ZN7rocprim17ROCPRIM_400000_NS6detail17trampoline_kernelINS0_14default_configENS1_25partition_config_selectorILNS1_17partition_subalgoE5ElNS0_10empty_typeEbEEZZNS1_14partition_implILS5_5ELb0ES3_mN6hipcub16HIPCUB_304000_NS21CountingInputIteratorIllEEPS6_NSA_22TransformInputIteratorIbN2at6native12_GLOBAL__N_19NonZeroOpIiEEPKilEENS0_5tupleIJPlS6_EEENSN_IJSD_SD_EEES6_PiJS6_EEE10hipError_tPvRmT3_T4_T5_T6_T7_T9_mT8_P12ihipStream_tbDpT10_ENKUlT_T0_E_clISt17integral_constantIbLb0EES1B_EEDaS16_S17_EUlS16_E_NS1_11comp_targetILNS1_3genE5ELNS1_11target_archE942ELNS1_3gpuE9ELNS1_3repE0EEENS1_30default_config_static_selectorELNS0_4arch9wavefront6targetE0EEEvT1_, .Lfunc_end187-_ZN7rocprim17ROCPRIM_400000_NS6detail17trampoline_kernelINS0_14default_configENS1_25partition_config_selectorILNS1_17partition_subalgoE5ElNS0_10empty_typeEbEEZZNS1_14partition_implILS5_5ELb0ES3_mN6hipcub16HIPCUB_304000_NS21CountingInputIteratorIllEEPS6_NSA_22TransformInputIteratorIbN2at6native12_GLOBAL__N_19NonZeroOpIiEEPKilEENS0_5tupleIJPlS6_EEENSN_IJSD_SD_EEES6_PiJS6_EEE10hipError_tPvRmT3_T4_T5_T6_T7_T9_mT8_P12ihipStream_tbDpT10_ENKUlT_T0_E_clISt17integral_constantIbLb0EES1B_EEDaS16_S17_EUlS16_E_NS1_11comp_targetILNS1_3genE5ELNS1_11target_archE942ELNS1_3gpuE9ELNS1_3repE0EEENS1_30default_config_static_selectorELNS0_4arch9wavefront6targetE0EEEvT1_
                                        ; -- End function
	.set _ZN7rocprim17ROCPRIM_400000_NS6detail17trampoline_kernelINS0_14default_configENS1_25partition_config_selectorILNS1_17partition_subalgoE5ElNS0_10empty_typeEbEEZZNS1_14partition_implILS5_5ELb0ES3_mN6hipcub16HIPCUB_304000_NS21CountingInputIteratorIllEEPS6_NSA_22TransformInputIteratorIbN2at6native12_GLOBAL__N_19NonZeroOpIiEEPKilEENS0_5tupleIJPlS6_EEENSN_IJSD_SD_EEES6_PiJS6_EEE10hipError_tPvRmT3_T4_T5_T6_T7_T9_mT8_P12ihipStream_tbDpT10_ENKUlT_T0_E_clISt17integral_constantIbLb0EES1B_EEDaS16_S17_EUlS16_E_NS1_11comp_targetILNS1_3genE5ELNS1_11target_archE942ELNS1_3gpuE9ELNS1_3repE0EEENS1_30default_config_static_selectorELNS0_4arch9wavefront6targetE0EEEvT1_.num_vgpr, 0
	.set _ZN7rocprim17ROCPRIM_400000_NS6detail17trampoline_kernelINS0_14default_configENS1_25partition_config_selectorILNS1_17partition_subalgoE5ElNS0_10empty_typeEbEEZZNS1_14partition_implILS5_5ELb0ES3_mN6hipcub16HIPCUB_304000_NS21CountingInputIteratorIllEEPS6_NSA_22TransformInputIteratorIbN2at6native12_GLOBAL__N_19NonZeroOpIiEEPKilEENS0_5tupleIJPlS6_EEENSN_IJSD_SD_EEES6_PiJS6_EEE10hipError_tPvRmT3_T4_T5_T6_T7_T9_mT8_P12ihipStream_tbDpT10_ENKUlT_T0_E_clISt17integral_constantIbLb0EES1B_EEDaS16_S17_EUlS16_E_NS1_11comp_targetILNS1_3genE5ELNS1_11target_archE942ELNS1_3gpuE9ELNS1_3repE0EEENS1_30default_config_static_selectorELNS0_4arch9wavefront6targetE0EEEvT1_.num_agpr, 0
	.set _ZN7rocprim17ROCPRIM_400000_NS6detail17trampoline_kernelINS0_14default_configENS1_25partition_config_selectorILNS1_17partition_subalgoE5ElNS0_10empty_typeEbEEZZNS1_14partition_implILS5_5ELb0ES3_mN6hipcub16HIPCUB_304000_NS21CountingInputIteratorIllEEPS6_NSA_22TransformInputIteratorIbN2at6native12_GLOBAL__N_19NonZeroOpIiEEPKilEENS0_5tupleIJPlS6_EEENSN_IJSD_SD_EEES6_PiJS6_EEE10hipError_tPvRmT3_T4_T5_T6_T7_T9_mT8_P12ihipStream_tbDpT10_ENKUlT_T0_E_clISt17integral_constantIbLb0EES1B_EEDaS16_S17_EUlS16_E_NS1_11comp_targetILNS1_3genE5ELNS1_11target_archE942ELNS1_3gpuE9ELNS1_3repE0EEENS1_30default_config_static_selectorELNS0_4arch9wavefront6targetE0EEEvT1_.numbered_sgpr, 0
	.set _ZN7rocprim17ROCPRIM_400000_NS6detail17trampoline_kernelINS0_14default_configENS1_25partition_config_selectorILNS1_17partition_subalgoE5ElNS0_10empty_typeEbEEZZNS1_14partition_implILS5_5ELb0ES3_mN6hipcub16HIPCUB_304000_NS21CountingInputIteratorIllEEPS6_NSA_22TransformInputIteratorIbN2at6native12_GLOBAL__N_19NonZeroOpIiEEPKilEENS0_5tupleIJPlS6_EEENSN_IJSD_SD_EEES6_PiJS6_EEE10hipError_tPvRmT3_T4_T5_T6_T7_T9_mT8_P12ihipStream_tbDpT10_ENKUlT_T0_E_clISt17integral_constantIbLb0EES1B_EEDaS16_S17_EUlS16_E_NS1_11comp_targetILNS1_3genE5ELNS1_11target_archE942ELNS1_3gpuE9ELNS1_3repE0EEENS1_30default_config_static_selectorELNS0_4arch9wavefront6targetE0EEEvT1_.num_named_barrier, 0
	.set _ZN7rocprim17ROCPRIM_400000_NS6detail17trampoline_kernelINS0_14default_configENS1_25partition_config_selectorILNS1_17partition_subalgoE5ElNS0_10empty_typeEbEEZZNS1_14partition_implILS5_5ELb0ES3_mN6hipcub16HIPCUB_304000_NS21CountingInputIteratorIllEEPS6_NSA_22TransformInputIteratorIbN2at6native12_GLOBAL__N_19NonZeroOpIiEEPKilEENS0_5tupleIJPlS6_EEENSN_IJSD_SD_EEES6_PiJS6_EEE10hipError_tPvRmT3_T4_T5_T6_T7_T9_mT8_P12ihipStream_tbDpT10_ENKUlT_T0_E_clISt17integral_constantIbLb0EES1B_EEDaS16_S17_EUlS16_E_NS1_11comp_targetILNS1_3genE5ELNS1_11target_archE942ELNS1_3gpuE9ELNS1_3repE0EEENS1_30default_config_static_selectorELNS0_4arch9wavefront6targetE0EEEvT1_.private_seg_size, 0
	.set _ZN7rocprim17ROCPRIM_400000_NS6detail17trampoline_kernelINS0_14default_configENS1_25partition_config_selectorILNS1_17partition_subalgoE5ElNS0_10empty_typeEbEEZZNS1_14partition_implILS5_5ELb0ES3_mN6hipcub16HIPCUB_304000_NS21CountingInputIteratorIllEEPS6_NSA_22TransformInputIteratorIbN2at6native12_GLOBAL__N_19NonZeroOpIiEEPKilEENS0_5tupleIJPlS6_EEENSN_IJSD_SD_EEES6_PiJS6_EEE10hipError_tPvRmT3_T4_T5_T6_T7_T9_mT8_P12ihipStream_tbDpT10_ENKUlT_T0_E_clISt17integral_constantIbLb0EES1B_EEDaS16_S17_EUlS16_E_NS1_11comp_targetILNS1_3genE5ELNS1_11target_archE942ELNS1_3gpuE9ELNS1_3repE0EEENS1_30default_config_static_selectorELNS0_4arch9wavefront6targetE0EEEvT1_.uses_vcc, 0
	.set _ZN7rocprim17ROCPRIM_400000_NS6detail17trampoline_kernelINS0_14default_configENS1_25partition_config_selectorILNS1_17partition_subalgoE5ElNS0_10empty_typeEbEEZZNS1_14partition_implILS5_5ELb0ES3_mN6hipcub16HIPCUB_304000_NS21CountingInputIteratorIllEEPS6_NSA_22TransformInputIteratorIbN2at6native12_GLOBAL__N_19NonZeroOpIiEEPKilEENS0_5tupleIJPlS6_EEENSN_IJSD_SD_EEES6_PiJS6_EEE10hipError_tPvRmT3_T4_T5_T6_T7_T9_mT8_P12ihipStream_tbDpT10_ENKUlT_T0_E_clISt17integral_constantIbLb0EES1B_EEDaS16_S17_EUlS16_E_NS1_11comp_targetILNS1_3genE5ELNS1_11target_archE942ELNS1_3gpuE9ELNS1_3repE0EEENS1_30default_config_static_selectorELNS0_4arch9wavefront6targetE0EEEvT1_.uses_flat_scratch, 0
	.set _ZN7rocprim17ROCPRIM_400000_NS6detail17trampoline_kernelINS0_14default_configENS1_25partition_config_selectorILNS1_17partition_subalgoE5ElNS0_10empty_typeEbEEZZNS1_14partition_implILS5_5ELb0ES3_mN6hipcub16HIPCUB_304000_NS21CountingInputIteratorIllEEPS6_NSA_22TransformInputIteratorIbN2at6native12_GLOBAL__N_19NonZeroOpIiEEPKilEENS0_5tupleIJPlS6_EEENSN_IJSD_SD_EEES6_PiJS6_EEE10hipError_tPvRmT3_T4_T5_T6_T7_T9_mT8_P12ihipStream_tbDpT10_ENKUlT_T0_E_clISt17integral_constantIbLb0EES1B_EEDaS16_S17_EUlS16_E_NS1_11comp_targetILNS1_3genE5ELNS1_11target_archE942ELNS1_3gpuE9ELNS1_3repE0EEENS1_30default_config_static_selectorELNS0_4arch9wavefront6targetE0EEEvT1_.has_dyn_sized_stack, 0
	.set _ZN7rocprim17ROCPRIM_400000_NS6detail17trampoline_kernelINS0_14default_configENS1_25partition_config_selectorILNS1_17partition_subalgoE5ElNS0_10empty_typeEbEEZZNS1_14partition_implILS5_5ELb0ES3_mN6hipcub16HIPCUB_304000_NS21CountingInputIteratorIllEEPS6_NSA_22TransformInputIteratorIbN2at6native12_GLOBAL__N_19NonZeroOpIiEEPKilEENS0_5tupleIJPlS6_EEENSN_IJSD_SD_EEES6_PiJS6_EEE10hipError_tPvRmT3_T4_T5_T6_T7_T9_mT8_P12ihipStream_tbDpT10_ENKUlT_T0_E_clISt17integral_constantIbLb0EES1B_EEDaS16_S17_EUlS16_E_NS1_11comp_targetILNS1_3genE5ELNS1_11target_archE942ELNS1_3gpuE9ELNS1_3repE0EEENS1_30default_config_static_selectorELNS0_4arch9wavefront6targetE0EEEvT1_.has_recursion, 0
	.set _ZN7rocprim17ROCPRIM_400000_NS6detail17trampoline_kernelINS0_14default_configENS1_25partition_config_selectorILNS1_17partition_subalgoE5ElNS0_10empty_typeEbEEZZNS1_14partition_implILS5_5ELb0ES3_mN6hipcub16HIPCUB_304000_NS21CountingInputIteratorIllEEPS6_NSA_22TransformInputIteratorIbN2at6native12_GLOBAL__N_19NonZeroOpIiEEPKilEENS0_5tupleIJPlS6_EEENSN_IJSD_SD_EEES6_PiJS6_EEE10hipError_tPvRmT3_T4_T5_T6_T7_T9_mT8_P12ihipStream_tbDpT10_ENKUlT_T0_E_clISt17integral_constantIbLb0EES1B_EEDaS16_S17_EUlS16_E_NS1_11comp_targetILNS1_3genE5ELNS1_11target_archE942ELNS1_3gpuE9ELNS1_3repE0EEENS1_30default_config_static_selectorELNS0_4arch9wavefront6targetE0EEEvT1_.has_indirect_call, 0
	.section	.AMDGPU.csdata,"",@progbits
; Kernel info:
; codeLenInByte = 0
; TotalNumSgprs: 0
; NumVgprs: 0
; ScratchSize: 0
; MemoryBound: 0
; FloatMode: 240
; IeeeMode: 1
; LDSByteSize: 0 bytes/workgroup (compile time only)
; SGPRBlocks: 0
; VGPRBlocks: 0
; NumSGPRsForWavesPerEU: 1
; NumVGPRsForWavesPerEU: 1
; Occupancy: 16
; WaveLimiterHint : 0
; COMPUTE_PGM_RSRC2:SCRATCH_EN: 0
; COMPUTE_PGM_RSRC2:USER_SGPR: 2
; COMPUTE_PGM_RSRC2:TRAP_HANDLER: 0
; COMPUTE_PGM_RSRC2:TGID_X_EN: 1
; COMPUTE_PGM_RSRC2:TGID_Y_EN: 0
; COMPUTE_PGM_RSRC2:TGID_Z_EN: 0
; COMPUTE_PGM_RSRC2:TIDIG_COMP_CNT: 0
	.section	.text._ZN7rocprim17ROCPRIM_400000_NS6detail17trampoline_kernelINS0_14default_configENS1_25partition_config_selectorILNS1_17partition_subalgoE5ElNS0_10empty_typeEbEEZZNS1_14partition_implILS5_5ELb0ES3_mN6hipcub16HIPCUB_304000_NS21CountingInputIteratorIllEEPS6_NSA_22TransformInputIteratorIbN2at6native12_GLOBAL__N_19NonZeroOpIiEEPKilEENS0_5tupleIJPlS6_EEENSN_IJSD_SD_EEES6_PiJS6_EEE10hipError_tPvRmT3_T4_T5_T6_T7_T9_mT8_P12ihipStream_tbDpT10_ENKUlT_T0_E_clISt17integral_constantIbLb0EES1B_EEDaS16_S17_EUlS16_E_NS1_11comp_targetILNS1_3genE4ELNS1_11target_archE910ELNS1_3gpuE8ELNS1_3repE0EEENS1_30default_config_static_selectorELNS0_4arch9wavefront6targetE0EEEvT1_,"axG",@progbits,_ZN7rocprim17ROCPRIM_400000_NS6detail17trampoline_kernelINS0_14default_configENS1_25partition_config_selectorILNS1_17partition_subalgoE5ElNS0_10empty_typeEbEEZZNS1_14partition_implILS5_5ELb0ES3_mN6hipcub16HIPCUB_304000_NS21CountingInputIteratorIllEEPS6_NSA_22TransformInputIteratorIbN2at6native12_GLOBAL__N_19NonZeroOpIiEEPKilEENS0_5tupleIJPlS6_EEENSN_IJSD_SD_EEES6_PiJS6_EEE10hipError_tPvRmT3_T4_T5_T6_T7_T9_mT8_P12ihipStream_tbDpT10_ENKUlT_T0_E_clISt17integral_constantIbLb0EES1B_EEDaS16_S17_EUlS16_E_NS1_11comp_targetILNS1_3genE4ELNS1_11target_archE910ELNS1_3gpuE8ELNS1_3repE0EEENS1_30default_config_static_selectorELNS0_4arch9wavefront6targetE0EEEvT1_,comdat
	.globl	_ZN7rocprim17ROCPRIM_400000_NS6detail17trampoline_kernelINS0_14default_configENS1_25partition_config_selectorILNS1_17partition_subalgoE5ElNS0_10empty_typeEbEEZZNS1_14partition_implILS5_5ELb0ES3_mN6hipcub16HIPCUB_304000_NS21CountingInputIteratorIllEEPS6_NSA_22TransformInputIteratorIbN2at6native12_GLOBAL__N_19NonZeroOpIiEEPKilEENS0_5tupleIJPlS6_EEENSN_IJSD_SD_EEES6_PiJS6_EEE10hipError_tPvRmT3_T4_T5_T6_T7_T9_mT8_P12ihipStream_tbDpT10_ENKUlT_T0_E_clISt17integral_constantIbLb0EES1B_EEDaS16_S17_EUlS16_E_NS1_11comp_targetILNS1_3genE4ELNS1_11target_archE910ELNS1_3gpuE8ELNS1_3repE0EEENS1_30default_config_static_selectorELNS0_4arch9wavefront6targetE0EEEvT1_ ; -- Begin function _ZN7rocprim17ROCPRIM_400000_NS6detail17trampoline_kernelINS0_14default_configENS1_25partition_config_selectorILNS1_17partition_subalgoE5ElNS0_10empty_typeEbEEZZNS1_14partition_implILS5_5ELb0ES3_mN6hipcub16HIPCUB_304000_NS21CountingInputIteratorIllEEPS6_NSA_22TransformInputIteratorIbN2at6native12_GLOBAL__N_19NonZeroOpIiEEPKilEENS0_5tupleIJPlS6_EEENSN_IJSD_SD_EEES6_PiJS6_EEE10hipError_tPvRmT3_T4_T5_T6_T7_T9_mT8_P12ihipStream_tbDpT10_ENKUlT_T0_E_clISt17integral_constantIbLb0EES1B_EEDaS16_S17_EUlS16_E_NS1_11comp_targetILNS1_3genE4ELNS1_11target_archE910ELNS1_3gpuE8ELNS1_3repE0EEENS1_30default_config_static_selectorELNS0_4arch9wavefront6targetE0EEEvT1_
	.p2align	8
	.type	_ZN7rocprim17ROCPRIM_400000_NS6detail17trampoline_kernelINS0_14default_configENS1_25partition_config_selectorILNS1_17partition_subalgoE5ElNS0_10empty_typeEbEEZZNS1_14partition_implILS5_5ELb0ES3_mN6hipcub16HIPCUB_304000_NS21CountingInputIteratorIllEEPS6_NSA_22TransformInputIteratorIbN2at6native12_GLOBAL__N_19NonZeroOpIiEEPKilEENS0_5tupleIJPlS6_EEENSN_IJSD_SD_EEES6_PiJS6_EEE10hipError_tPvRmT3_T4_T5_T6_T7_T9_mT8_P12ihipStream_tbDpT10_ENKUlT_T0_E_clISt17integral_constantIbLb0EES1B_EEDaS16_S17_EUlS16_E_NS1_11comp_targetILNS1_3genE4ELNS1_11target_archE910ELNS1_3gpuE8ELNS1_3repE0EEENS1_30default_config_static_selectorELNS0_4arch9wavefront6targetE0EEEvT1_,@function
_ZN7rocprim17ROCPRIM_400000_NS6detail17trampoline_kernelINS0_14default_configENS1_25partition_config_selectorILNS1_17partition_subalgoE5ElNS0_10empty_typeEbEEZZNS1_14partition_implILS5_5ELb0ES3_mN6hipcub16HIPCUB_304000_NS21CountingInputIteratorIllEEPS6_NSA_22TransformInputIteratorIbN2at6native12_GLOBAL__N_19NonZeroOpIiEEPKilEENS0_5tupleIJPlS6_EEENSN_IJSD_SD_EEES6_PiJS6_EEE10hipError_tPvRmT3_T4_T5_T6_T7_T9_mT8_P12ihipStream_tbDpT10_ENKUlT_T0_E_clISt17integral_constantIbLb0EES1B_EEDaS16_S17_EUlS16_E_NS1_11comp_targetILNS1_3genE4ELNS1_11target_archE910ELNS1_3gpuE8ELNS1_3repE0EEENS1_30default_config_static_selectorELNS0_4arch9wavefront6targetE0EEEvT1_: ; @_ZN7rocprim17ROCPRIM_400000_NS6detail17trampoline_kernelINS0_14default_configENS1_25partition_config_selectorILNS1_17partition_subalgoE5ElNS0_10empty_typeEbEEZZNS1_14partition_implILS5_5ELb0ES3_mN6hipcub16HIPCUB_304000_NS21CountingInputIteratorIllEEPS6_NSA_22TransformInputIteratorIbN2at6native12_GLOBAL__N_19NonZeroOpIiEEPKilEENS0_5tupleIJPlS6_EEENSN_IJSD_SD_EEES6_PiJS6_EEE10hipError_tPvRmT3_T4_T5_T6_T7_T9_mT8_P12ihipStream_tbDpT10_ENKUlT_T0_E_clISt17integral_constantIbLb0EES1B_EEDaS16_S17_EUlS16_E_NS1_11comp_targetILNS1_3genE4ELNS1_11target_archE910ELNS1_3gpuE8ELNS1_3repE0EEENS1_30default_config_static_selectorELNS0_4arch9wavefront6targetE0EEEvT1_
; %bb.0:
	.section	.rodata,"a",@progbits
	.p2align	6, 0x0
	.amdhsa_kernel _ZN7rocprim17ROCPRIM_400000_NS6detail17trampoline_kernelINS0_14default_configENS1_25partition_config_selectorILNS1_17partition_subalgoE5ElNS0_10empty_typeEbEEZZNS1_14partition_implILS5_5ELb0ES3_mN6hipcub16HIPCUB_304000_NS21CountingInputIteratorIllEEPS6_NSA_22TransformInputIteratorIbN2at6native12_GLOBAL__N_19NonZeroOpIiEEPKilEENS0_5tupleIJPlS6_EEENSN_IJSD_SD_EEES6_PiJS6_EEE10hipError_tPvRmT3_T4_T5_T6_T7_T9_mT8_P12ihipStream_tbDpT10_ENKUlT_T0_E_clISt17integral_constantIbLb0EES1B_EEDaS16_S17_EUlS16_E_NS1_11comp_targetILNS1_3genE4ELNS1_11target_archE910ELNS1_3gpuE8ELNS1_3repE0EEENS1_30default_config_static_selectorELNS0_4arch9wavefront6targetE0EEEvT1_
		.amdhsa_group_segment_fixed_size 0
		.amdhsa_private_segment_fixed_size 0
		.amdhsa_kernarg_size 120
		.amdhsa_user_sgpr_count 2
		.amdhsa_user_sgpr_dispatch_ptr 0
		.amdhsa_user_sgpr_queue_ptr 0
		.amdhsa_user_sgpr_kernarg_segment_ptr 1
		.amdhsa_user_sgpr_dispatch_id 0
		.amdhsa_user_sgpr_private_segment_size 0
		.amdhsa_wavefront_size32 1
		.amdhsa_uses_dynamic_stack 0
		.amdhsa_enable_private_segment 0
		.amdhsa_system_sgpr_workgroup_id_x 1
		.amdhsa_system_sgpr_workgroup_id_y 0
		.amdhsa_system_sgpr_workgroup_id_z 0
		.amdhsa_system_sgpr_workgroup_info 0
		.amdhsa_system_vgpr_workitem_id 0
		.amdhsa_next_free_vgpr 1
		.amdhsa_next_free_sgpr 1
		.amdhsa_reserve_vcc 0
		.amdhsa_float_round_mode_32 0
		.amdhsa_float_round_mode_16_64 0
		.amdhsa_float_denorm_mode_32 3
		.amdhsa_float_denorm_mode_16_64 3
		.amdhsa_fp16_overflow 0
		.amdhsa_workgroup_processor_mode 1
		.amdhsa_memory_ordered 1
		.amdhsa_forward_progress 1
		.amdhsa_inst_pref_size 0
		.amdhsa_round_robin_scheduling 0
		.amdhsa_exception_fp_ieee_invalid_op 0
		.amdhsa_exception_fp_denorm_src 0
		.amdhsa_exception_fp_ieee_div_zero 0
		.amdhsa_exception_fp_ieee_overflow 0
		.amdhsa_exception_fp_ieee_underflow 0
		.amdhsa_exception_fp_ieee_inexact 0
		.amdhsa_exception_int_div_zero 0
	.end_amdhsa_kernel
	.section	.text._ZN7rocprim17ROCPRIM_400000_NS6detail17trampoline_kernelINS0_14default_configENS1_25partition_config_selectorILNS1_17partition_subalgoE5ElNS0_10empty_typeEbEEZZNS1_14partition_implILS5_5ELb0ES3_mN6hipcub16HIPCUB_304000_NS21CountingInputIteratorIllEEPS6_NSA_22TransformInputIteratorIbN2at6native12_GLOBAL__N_19NonZeroOpIiEEPKilEENS0_5tupleIJPlS6_EEENSN_IJSD_SD_EEES6_PiJS6_EEE10hipError_tPvRmT3_T4_T5_T6_T7_T9_mT8_P12ihipStream_tbDpT10_ENKUlT_T0_E_clISt17integral_constantIbLb0EES1B_EEDaS16_S17_EUlS16_E_NS1_11comp_targetILNS1_3genE4ELNS1_11target_archE910ELNS1_3gpuE8ELNS1_3repE0EEENS1_30default_config_static_selectorELNS0_4arch9wavefront6targetE0EEEvT1_,"axG",@progbits,_ZN7rocprim17ROCPRIM_400000_NS6detail17trampoline_kernelINS0_14default_configENS1_25partition_config_selectorILNS1_17partition_subalgoE5ElNS0_10empty_typeEbEEZZNS1_14partition_implILS5_5ELb0ES3_mN6hipcub16HIPCUB_304000_NS21CountingInputIteratorIllEEPS6_NSA_22TransformInputIteratorIbN2at6native12_GLOBAL__N_19NonZeroOpIiEEPKilEENS0_5tupleIJPlS6_EEENSN_IJSD_SD_EEES6_PiJS6_EEE10hipError_tPvRmT3_T4_T5_T6_T7_T9_mT8_P12ihipStream_tbDpT10_ENKUlT_T0_E_clISt17integral_constantIbLb0EES1B_EEDaS16_S17_EUlS16_E_NS1_11comp_targetILNS1_3genE4ELNS1_11target_archE910ELNS1_3gpuE8ELNS1_3repE0EEENS1_30default_config_static_selectorELNS0_4arch9wavefront6targetE0EEEvT1_,comdat
.Lfunc_end188:
	.size	_ZN7rocprim17ROCPRIM_400000_NS6detail17trampoline_kernelINS0_14default_configENS1_25partition_config_selectorILNS1_17partition_subalgoE5ElNS0_10empty_typeEbEEZZNS1_14partition_implILS5_5ELb0ES3_mN6hipcub16HIPCUB_304000_NS21CountingInputIteratorIllEEPS6_NSA_22TransformInputIteratorIbN2at6native12_GLOBAL__N_19NonZeroOpIiEEPKilEENS0_5tupleIJPlS6_EEENSN_IJSD_SD_EEES6_PiJS6_EEE10hipError_tPvRmT3_T4_T5_T6_T7_T9_mT8_P12ihipStream_tbDpT10_ENKUlT_T0_E_clISt17integral_constantIbLb0EES1B_EEDaS16_S17_EUlS16_E_NS1_11comp_targetILNS1_3genE4ELNS1_11target_archE910ELNS1_3gpuE8ELNS1_3repE0EEENS1_30default_config_static_selectorELNS0_4arch9wavefront6targetE0EEEvT1_, .Lfunc_end188-_ZN7rocprim17ROCPRIM_400000_NS6detail17trampoline_kernelINS0_14default_configENS1_25partition_config_selectorILNS1_17partition_subalgoE5ElNS0_10empty_typeEbEEZZNS1_14partition_implILS5_5ELb0ES3_mN6hipcub16HIPCUB_304000_NS21CountingInputIteratorIllEEPS6_NSA_22TransformInputIteratorIbN2at6native12_GLOBAL__N_19NonZeroOpIiEEPKilEENS0_5tupleIJPlS6_EEENSN_IJSD_SD_EEES6_PiJS6_EEE10hipError_tPvRmT3_T4_T5_T6_T7_T9_mT8_P12ihipStream_tbDpT10_ENKUlT_T0_E_clISt17integral_constantIbLb0EES1B_EEDaS16_S17_EUlS16_E_NS1_11comp_targetILNS1_3genE4ELNS1_11target_archE910ELNS1_3gpuE8ELNS1_3repE0EEENS1_30default_config_static_selectorELNS0_4arch9wavefront6targetE0EEEvT1_
                                        ; -- End function
	.set _ZN7rocprim17ROCPRIM_400000_NS6detail17trampoline_kernelINS0_14default_configENS1_25partition_config_selectorILNS1_17partition_subalgoE5ElNS0_10empty_typeEbEEZZNS1_14partition_implILS5_5ELb0ES3_mN6hipcub16HIPCUB_304000_NS21CountingInputIteratorIllEEPS6_NSA_22TransformInputIteratorIbN2at6native12_GLOBAL__N_19NonZeroOpIiEEPKilEENS0_5tupleIJPlS6_EEENSN_IJSD_SD_EEES6_PiJS6_EEE10hipError_tPvRmT3_T4_T5_T6_T7_T9_mT8_P12ihipStream_tbDpT10_ENKUlT_T0_E_clISt17integral_constantIbLb0EES1B_EEDaS16_S17_EUlS16_E_NS1_11comp_targetILNS1_3genE4ELNS1_11target_archE910ELNS1_3gpuE8ELNS1_3repE0EEENS1_30default_config_static_selectorELNS0_4arch9wavefront6targetE0EEEvT1_.num_vgpr, 0
	.set _ZN7rocprim17ROCPRIM_400000_NS6detail17trampoline_kernelINS0_14default_configENS1_25partition_config_selectorILNS1_17partition_subalgoE5ElNS0_10empty_typeEbEEZZNS1_14partition_implILS5_5ELb0ES3_mN6hipcub16HIPCUB_304000_NS21CountingInputIteratorIllEEPS6_NSA_22TransformInputIteratorIbN2at6native12_GLOBAL__N_19NonZeroOpIiEEPKilEENS0_5tupleIJPlS6_EEENSN_IJSD_SD_EEES6_PiJS6_EEE10hipError_tPvRmT3_T4_T5_T6_T7_T9_mT8_P12ihipStream_tbDpT10_ENKUlT_T0_E_clISt17integral_constantIbLb0EES1B_EEDaS16_S17_EUlS16_E_NS1_11comp_targetILNS1_3genE4ELNS1_11target_archE910ELNS1_3gpuE8ELNS1_3repE0EEENS1_30default_config_static_selectorELNS0_4arch9wavefront6targetE0EEEvT1_.num_agpr, 0
	.set _ZN7rocprim17ROCPRIM_400000_NS6detail17trampoline_kernelINS0_14default_configENS1_25partition_config_selectorILNS1_17partition_subalgoE5ElNS0_10empty_typeEbEEZZNS1_14partition_implILS5_5ELb0ES3_mN6hipcub16HIPCUB_304000_NS21CountingInputIteratorIllEEPS6_NSA_22TransformInputIteratorIbN2at6native12_GLOBAL__N_19NonZeroOpIiEEPKilEENS0_5tupleIJPlS6_EEENSN_IJSD_SD_EEES6_PiJS6_EEE10hipError_tPvRmT3_T4_T5_T6_T7_T9_mT8_P12ihipStream_tbDpT10_ENKUlT_T0_E_clISt17integral_constantIbLb0EES1B_EEDaS16_S17_EUlS16_E_NS1_11comp_targetILNS1_3genE4ELNS1_11target_archE910ELNS1_3gpuE8ELNS1_3repE0EEENS1_30default_config_static_selectorELNS0_4arch9wavefront6targetE0EEEvT1_.numbered_sgpr, 0
	.set _ZN7rocprim17ROCPRIM_400000_NS6detail17trampoline_kernelINS0_14default_configENS1_25partition_config_selectorILNS1_17partition_subalgoE5ElNS0_10empty_typeEbEEZZNS1_14partition_implILS5_5ELb0ES3_mN6hipcub16HIPCUB_304000_NS21CountingInputIteratorIllEEPS6_NSA_22TransformInputIteratorIbN2at6native12_GLOBAL__N_19NonZeroOpIiEEPKilEENS0_5tupleIJPlS6_EEENSN_IJSD_SD_EEES6_PiJS6_EEE10hipError_tPvRmT3_T4_T5_T6_T7_T9_mT8_P12ihipStream_tbDpT10_ENKUlT_T0_E_clISt17integral_constantIbLb0EES1B_EEDaS16_S17_EUlS16_E_NS1_11comp_targetILNS1_3genE4ELNS1_11target_archE910ELNS1_3gpuE8ELNS1_3repE0EEENS1_30default_config_static_selectorELNS0_4arch9wavefront6targetE0EEEvT1_.num_named_barrier, 0
	.set _ZN7rocprim17ROCPRIM_400000_NS6detail17trampoline_kernelINS0_14default_configENS1_25partition_config_selectorILNS1_17partition_subalgoE5ElNS0_10empty_typeEbEEZZNS1_14partition_implILS5_5ELb0ES3_mN6hipcub16HIPCUB_304000_NS21CountingInputIteratorIllEEPS6_NSA_22TransformInputIteratorIbN2at6native12_GLOBAL__N_19NonZeroOpIiEEPKilEENS0_5tupleIJPlS6_EEENSN_IJSD_SD_EEES6_PiJS6_EEE10hipError_tPvRmT3_T4_T5_T6_T7_T9_mT8_P12ihipStream_tbDpT10_ENKUlT_T0_E_clISt17integral_constantIbLb0EES1B_EEDaS16_S17_EUlS16_E_NS1_11comp_targetILNS1_3genE4ELNS1_11target_archE910ELNS1_3gpuE8ELNS1_3repE0EEENS1_30default_config_static_selectorELNS0_4arch9wavefront6targetE0EEEvT1_.private_seg_size, 0
	.set _ZN7rocprim17ROCPRIM_400000_NS6detail17trampoline_kernelINS0_14default_configENS1_25partition_config_selectorILNS1_17partition_subalgoE5ElNS0_10empty_typeEbEEZZNS1_14partition_implILS5_5ELb0ES3_mN6hipcub16HIPCUB_304000_NS21CountingInputIteratorIllEEPS6_NSA_22TransformInputIteratorIbN2at6native12_GLOBAL__N_19NonZeroOpIiEEPKilEENS0_5tupleIJPlS6_EEENSN_IJSD_SD_EEES6_PiJS6_EEE10hipError_tPvRmT3_T4_T5_T6_T7_T9_mT8_P12ihipStream_tbDpT10_ENKUlT_T0_E_clISt17integral_constantIbLb0EES1B_EEDaS16_S17_EUlS16_E_NS1_11comp_targetILNS1_3genE4ELNS1_11target_archE910ELNS1_3gpuE8ELNS1_3repE0EEENS1_30default_config_static_selectorELNS0_4arch9wavefront6targetE0EEEvT1_.uses_vcc, 0
	.set _ZN7rocprim17ROCPRIM_400000_NS6detail17trampoline_kernelINS0_14default_configENS1_25partition_config_selectorILNS1_17partition_subalgoE5ElNS0_10empty_typeEbEEZZNS1_14partition_implILS5_5ELb0ES3_mN6hipcub16HIPCUB_304000_NS21CountingInputIteratorIllEEPS6_NSA_22TransformInputIteratorIbN2at6native12_GLOBAL__N_19NonZeroOpIiEEPKilEENS0_5tupleIJPlS6_EEENSN_IJSD_SD_EEES6_PiJS6_EEE10hipError_tPvRmT3_T4_T5_T6_T7_T9_mT8_P12ihipStream_tbDpT10_ENKUlT_T0_E_clISt17integral_constantIbLb0EES1B_EEDaS16_S17_EUlS16_E_NS1_11comp_targetILNS1_3genE4ELNS1_11target_archE910ELNS1_3gpuE8ELNS1_3repE0EEENS1_30default_config_static_selectorELNS0_4arch9wavefront6targetE0EEEvT1_.uses_flat_scratch, 0
	.set _ZN7rocprim17ROCPRIM_400000_NS6detail17trampoline_kernelINS0_14default_configENS1_25partition_config_selectorILNS1_17partition_subalgoE5ElNS0_10empty_typeEbEEZZNS1_14partition_implILS5_5ELb0ES3_mN6hipcub16HIPCUB_304000_NS21CountingInputIteratorIllEEPS6_NSA_22TransformInputIteratorIbN2at6native12_GLOBAL__N_19NonZeroOpIiEEPKilEENS0_5tupleIJPlS6_EEENSN_IJSD_SD_EEES6_PiJS6_EEE10hipError_tPvRmT3_T4_T5_T6_T7_T9_mT8_P12ihipStream_tbDpT10_ENKUlT_T0_E_clISt17integral_constantIbLb0EES1B_EEDaS16_S17_EUlS16_E_NS1_11comp_targetILNS1_3genE4ELNS1_11target_archE910ELNS1_3gpuE8ELNS1_3repE0EEENS1_30default_config_static_selectorELNS0_4arch9wavefront6targetE0EEEvT1_.has_dyn_sized_stack, 0
	.set _ZN7rocprim17ROCPRIM_400000_NS6detail17trampoline_kernelINS0_14default_configENS1_25partition_config_selectorILNS1_17partition_subalgoE5ElNS0_10empty_typeEbEEZZNS1_14partition_implILS5_5ELb0ES3_mN6hipcub16HIPCUB_304000_NS21CountingInputIteratorIllEEPS6_NSA_22TransformInputIteratorIbN2at6native12_GLOBAL__N_19NonZeroOpIiEEPKilEENS0_5tupleIJPlS6_EEENSN_IJSD_SD_EEES6_PiJS6_EEE10hipError_tPvRmT3_T4_T5_T6_T7_T9_mT8_P12ihipStream_tbDpT10_ENKUlT_T0_E_clISt17integral_constantIbLb0EES1B_EEDaS16_S17_EUlS16_E_NS1_11comp_targetILNS1_3genE4ELNS1_11target_archE910ELNS1_3gpuE8ELNS1_3repE0EEENS1_30default_config_static_selectorELNS0_4arch9wavefront6targetE0EEEvT1_.has_recursion, 0
	.set _ZN7rocprim17ROCPRIM_400000_NS6detail17trampoline_kernelINS0_14default_configENS1_25partition_config_selectorILNS1_17partition_subalgoE5ElNS0_10empty_typeEbEEZZNS1_14partition_implILS5_5ELb0ES3_mN6hipcub16HIPCUB_304000_NS21CountingInputIteratorIllEEPS6_NSA_22TransformInputIteratorIbN2at6native12_GLOBAL__N_19NonZeroOpIiEEPKilEENS0_5tupleIJPlS6_EEENSN_IJSD_SD_EEES6_PiJS6_EEE10hipError_tPvRmT3_T4_T5_T6_T7_T9_mT8_P12ihipStream_tbDpT10_ENKUlT_T0_E_clISt17integral_constantIbLb0EES1B_EEDaS16_S17_EUlS16_E_NS1_11comp_targetILNS1_3genE4ELNS1_11target_archE910ELNS1_3gpuE8ELNS1_3repE0EEENS1_30default_config_static_selectorELNS0_4arch9wavefront6targetE0EEEvT1_.has_indirect_call, 0
	.section	.AMDGPU.csdata,"",@progbits
; Kernel info:
; codeLenInByte = 0
; TotalNumSgprs: 0
; NumVgprs: 0
; ScratchSize: 0
; MemoryBound: 0
; FloatMode: 240
; IeeeMode: 1
; LDSByteSize: 0 bytes/workgroup (compile time only)
; SGPRBlocks: 0
; VGPRBlocks: 0
; NumSGPRsForWavesPerEU: 1
; NumVGPRsForWavesPerEU: 1
; Occupancy: 16
; WaveLimiterHint : 0
; COMPUTE_PGM_RSRC2:SCRATCH_EN: 0
; COMPUTE_PGM_RSRC2:USER_SGPR: 2
; COMPUTE_PGM_RSRC2:TRAP_HANDLER: 0
; COMPUTE_PGM_RSRC2:TGID_X_EN: 1
; COMPUTE_PGM_RSRC2:TGID_Y_EN: 0
; COMPUTE_PGM_RSRC2:TGID_Z_EN: 0
; COMPUTE_PGM_RSRC2:TIDIG_COMP_CNT: 0
	.section	.text._ZN7rocprim17ROCPRIM_400000_NS6detail17trampoline_kernelINS0_14default_configENS1_25partition_config_selectorILNS1_17partition_subalgoE5ElNS0_10empty_typeEbEEZZNS1_14partition_implILS5_5ELb0ES3_mN6hipcub16HIPCUB_304000_NS21CountingInputIteratorIllEEPS6_NSA_22TransformInputIteratorIbN2at6native12_GLOBAL__N_19NonZeroOpIiEEPKilEENS0_5tupleIJPlS6_EEENSN_IJSD_SD_EEES6_PiJS6_EEE10hipError_tPvRmT3_T4_T5_T6_T7_T9_mT8_P12ihipStream_tbDpT10_ENKUlT_T0_E_clISt17integral_constantIbLb0EES1B_EEDaS16_S17_EUlS16_E_NS1_11comp_targetILNS1_3genE3ELNS1_11target_archE908ELNS1_3gpuE7ELNS1_3repE0EEENS1_30default_config_static_selectorELNS0_4arch9wavefront6targetE0EEEvT1_,"axG",@progbits,_ZN7rocprim17ROCPRIM_400000_NS6detail17trampoline_kernelINS0_14default_configENS1_25partition_config_selectorILNS1_17partition_subalgoE5ElNS0_10empty_typeEbEEZZNS1_14partition_implILS5_5ELb0ES3_mN6hipcub16HIPCUB_304000_NS21CountingInputIteratorIllEEPS6_NSA_22TransformInputIteratorIbN2at6native12_GLOBAL__N_19NonZeroOpIiEEPKilEENS0_5tupleIJPlS6_EEENSN_IJSD_SD_EEES6_PiJS6_EEE10hipError_tPvRmT3_T4_T5_T6_T7_T9_mT8_P12ihipStream_tbDpT10_ENKUlT_T0_E_clISt17integral_constantIbLb0EES1B_EEDaS16_S17_EUlS16_E_NS1_11comp_targetILNS1_3genE3ELNS1_11target_archE908ELNS1_3gpuE7ELNS1_3repE0EEENS1_30default_config_static_selectorELNS0_4arch9wavefront6targetE0EEEvT1_,comdat
	.globl	_ZN7rocprim17ROCPRIM_400000_NS6detail17trampoline_kernelINS0_14default_configENS1_25partition_config_selectorILNS1_17partition_subalgoE5ElNS0_10empty_typeEbEEZZNS1_14partition_implILS5_5ELb0ES3_mN6hipcub16HIPCUB_304000_NS21CountingInputIteratorIllEEPS6_NSA_22TransformInputIteratorIbN2at6native12_GLOBAL__N_19NonZeroOpIiEEPKilEENS0_5tupleIJPlS6_EEENSN_IJSD_SD_EEES6_PiJS6_EEE10hipError_tPvRmT3_T4_T5_T6_T7_T9_mT8_P12ihipStream_tbDpT10_ENKUlT_T0_E_clISt17integral_constantIbLb0EES1B_EEDaS16_S17_EUlS16_E_NS1_11comp_targetILNS1_3genE3ELNS1_11target_archE908ELNS1_3gpuE7ELNS1_3repE0EEENS1_30default_config_static_selectorELNS0_4arch9wavefront6targetE0EEEvT1_ ; -- Begin function _ZN7rocprim17ROCPRIM_400000_NS6detail17trampoline_kernelINS0_14default_configENS1_25partition_config_selectorILNS1_17partition_subalgoE5ElNS0_10empty_typeEbEEZZNS1_14partition_implILS5_5ELb0ES3_mN6hipcub16HIPCUB_304000_NS21CountingInputIteratorIllEEPS6_NSA_22TransformInputIteratorIbN2at6native12_GLOBAL__N_19NonZeroOpIiEEPKilEENS0_5tupleIJPlS6_EEENSN_IJSD_SD_EEES6_PiJS6_EEE10hipError_tPvRmT3_T4_T5_T6_T7_T9_mT8_P12ihipStream_tbDpT10_ENKUlT_T0_E_clISt17integral_constantIbLb0EES1B_EEDaS16_S17_EUlS16_E_NS1_11comp_targetILNS1_3genE3ELNS1_11target_archE908ELNS1_3gpuE7ELNS1_3repE0EEENS1_30default_config_static_selectorELNS0_4arch9wavefront6targetE0EEEvT1_
	.p2align	8
	.type	_ZN7rocprim17ROCPRIM_400000_NS6detail17trampoline_kernelINS0_14default_configENS1_25partition_config_selectorILNS1_17partition_subalgoE5ElNS0_10empty_typeEbEEZZNS1_14partition_implILS5_5ELb0ES3_mN6hipcub16HIPCUB_304000_NS21CountingInputIteratorIllEEPS6_NSA_22TransformInputIteratorIbN2at6native12_GLOBAL__N_19NonZeroOpIiEEPKilEENS0_5tupleIJPlS6_EEENSN_IJSD_SD_EEES6_PiJS6_EEE10hipError_tPvRmT3_T4_T5_T6_T7_T9_mT8_P12ihipStream_tbDpT10_ENKUlT_T0_E_clISt17integral_constantIbLb0EES1B_EEDaS16_S17_EUlS16_E_NS1_11comp_targetILNS1_3genE3ELNS1_11target_archE908ELNS1_3gpuE7ELNS1_3repE0EEENS1_30default_config_static_selectorELNS0_4arch9wavefront6targetE0EEEvT1_,@function
_ZN7rocprim17ROCPRIM_400000_NS6detail17trampoline_kernelINS0_14default_configENS1_25partition_config_selectorILNS1_17partition_subalgoE5ElNS0_10empty_typeEbEEZZNS1_14partition_implILS5_5ELb0ES3_mN6hipcub16HIPCUB_304000_NS21CountingInputIteratorIllEEPS6_NSA_22TransformInputIteratorIbN2at6native12_GLOBAL__N_19NonZeroOpIiEEPKilEENS0_5tupleIJPlS6_EEENSN_IJSD_SD_EEES6_PiJS6_EEE10hipError_tPvRmT3_T4_T5_T6_T7_T9_mT8_P12ihipStream_tbDpT10_ENKUlT_T0_E_clISt17integral_constantIbLb0EES1B_EEDaS16_S17_EUlS16_E_NS1_11comp_targetILNS1_3genE3ELNS1_11target_archE908ELNS1_3gpuE7ELNS1_3repE0EEENS1_30default_config_static_selectorELNS0_4arch9wavefront6targetE0EEEvT1_: ; @_ZN7rocprim17ROCPRIM_400000_NS6detail17trampoline_kernelINS0_14default_configENS1_25partition_config_selectorILNS1_17partition_subalgoE5ElNS0_10empty_typeEbEEZZNS1_14partition_implILS5_5ELb0ES3_mN6hipcub16HIPCUB_304000_NS21CountingInputIteratorIllEEPS6_NSA_22TransformInputIteratorIbN2at6native12_GLOBAL__N_19NonZeroOpIiEEPKilEENS0_5tupleIJPlS6_EEENSN_IJSD_SD_EEES6_PiJS6_EEE10hipError_tPvRmT3_T4_T5_T6_T7_T9_mT8_P12ihipStream_tbDpT10_ENKUlT_T0_E_clISt17integral_constantIbLb0EES1B_EEDaS16_S17_EUlS16_E_NS1_11comp_targetILNS1_3genE3ELNS1_11target_archE908ELNS1_3gpuE7ELNS1_3repE0EEENS1_30default_config_static_selectorELNS0_4arch9wavefront6targetE0EEEvT1_
; %bb.0:
	.section	.rodata,"a",@progbits
	.p2align	6, 0x0
	.amdhsa_kernel _ZN7rocprim17ROCPRIM_400000_NS6detail17trampoline_kernelINS0_14default_configENS1_25partition_config_selectorILNS1_17partition_subalgoE5ElNS0_10empty_typeEbEEZZNS1_14partition_implILS5_5ELb0ES3_mN6hipcub16HIPCUB_304000_NS21CountingInputIteratorIllEEPS6_NSA_22TransformInputIteratorIbN2at6native12_GLOBAL__N_19NonZeroOpIiEEPKilEENS0_5tupleIJPlS6_EEENSN_IJSD_SD_EEES6_PiJS6_EEE10hipError_tPvRmT3_T4_T5_T6_T7_T9_mT8_P12ihipStream_tbDpT10_ENKUlT_T0_E_clISt17integral_constantIbLb0EES1B_EEDaS16_S17_EUlS16_E_NS1_11comp_targetILNS1_3genE3ELNS1_11target_archE908ELNS1_3gpuE7ELNS1_3repE0EEENS1_30default_config_static_selectorELNS0_4arch9wavefront6targetE0EEEvT1_
		.amdhsa_group_segment_fixed_size 0
		.amdhsa_private_segment_fixed_size 0
		.amdhsa_kernarg_size 120
		.amdhsa_user_sgpr_count 2
		.amdhsa_user_sgpr_dispatch_ptr 0
		.amdhsa_user_sgpr_queue_ptr 0
		.amdhsa_user_sgpr_kernarg_segment_ptr 1
		.amdhsa_user_sgpr_dispatch_id 0
		.amdhsa_user_sgpr_private_segment_size 0
		.amdhsa_wavefront_size32 1
		.amdhsa_uses_dynamic_stack 0
		.amdhsa_enable_private_segment 0
		.amdhsa_system_sgpr_workgroup_id_x 1
		.amdhsa_system_sgpr_workgroup_id_y 0
		.amdhsa_system_sgpr_workgroup_id_z 0
		.amdhsa_system_sgpr_workgroup_info 0
		.amdhsa_system_vgpr_workitem_id 0
		.amdhsa_next_free_vgpr 1
		.amdhsa_next_free_sgpr 1
		.amdhsa_reserve_vcc 0
		.amdhsa_float_round_mode_32 0
		.amdhsa_float_round_mode_16_64 0
		.amdhsa_float_denorm_mode_32 3
		.amdhsa_float_denorm_mode_16_64 3
		.amdhsa_fp16_overflow 0
		.amdhsa_workgroup_processor_mode 1
		.amdhsa_memory_ordered 1
		.amdhsa_forward_progress 1
		.amdhsa_inst_pref_size 0
		.amdhsa_round_robin_scheduling 0
		.amdhsa_exception_fp_ieee_invalid_op 0
		.amdhsa_exception_fp_denorm_src 0
		.amdhsa_exception_fp_ieee_div_zero 0
		.amdhsa_exception_fp_ieee_overflow 0
		.amdhsa_exception_fp_ieee_underflow 0
		.amdhsa_exception_fp_ieee_inexact 0
		.amdhsa_exception_int_div_zero 0
	.end_amdhsa_kernel
	.section	.text._ZN7rocprim17ROCPRIM_400000_NS6detail17trampoline_kernelINS0_14default_configENS1_25partition_config_selectorILNS1_17partition_subalgoE5ElNS0_10empty_typeEbEEZZNS1_14partition_implILS5_5ELb0ES3_mN6hipcub16HIPCUB_304000_NS21CountingInputIteratorIllEEPS6_NSA_22TransformInputIteratorIbN2at6native12_GLOBAL__N_19NonZeroOpIiEEPKilEENS0_5tupleIJPlS6_EEENSN_IJSD_SD_EEES6_PiJS6_EEE10hipError_tPvRmT3_T4_T5_T6_T7_T9_mT8_P12ihipStream_tbDpT10_ENKUlT_T0_E_clISt17integral_constantIbLb0EES1B_EEDaS16_S17_EUlS16_E_NS1_11comp_targetILNS1_3genE3ELNS1_11target_archE908ELNS1_3gpuE7ELNS1_3repE0EEENS1_30default_config_static_selectorELNS0_4arch9wavefront6targetE0EEEvT1_,"axG",@progbits,_ZN7rocprim17ROCPRIM_400000_NS6detail17trampoline_kernelINS0_14default_configENS1_25partition_config_selectorILNS1_17partition_subalgoE5ElNS0_10empty_typeEbEEZZNS1_14partition_implILS5_5ELb0ES3_mN6hipcub16HIPCUB_304000_NS21CountingInputIteratorIllEEPS6_NSA_22TransformInputIteratorIbN2at6native12_GLOBAL__N_19NonZeroOpIiEEPKilEENS0_5tupleIJPlS6_EEENSN_IJSD_SD_EEES6_PiJS6_EEE10hipError_tPvRmT3_T4_T5_T6_T7_T9_mT8_P12ihipStream_tbDpT10_ENKUlT_T0_E_clISt17integral_constantIbLb0EES1B_EEDaS16_S17_EUlS16_E_NS1_11comp_targetILNS1_3genE3ELNS1_11target_archE908ELNS1_3gpuE7ELNS1_3repE0EEENS1_30default_config_static_selectorELNS0_4arch9wavefront6targetE0EEEvT1_,comdat
.Lfunc_end189:
	.size	_ZN7rocprim17ROCPRIM_400000_NS6detail17trampoline_kernelINS0_14default_configENS1_25partition_config_selectorILNS1_17partition_subalgoE5ElNS0_10empty_typeEbEEZZNS1_14partition_implILS5_5ELb0ES3_mN6hipcub16HIPCUB_304000_NS21CountingInputIteratorIllEEPS6_NSA_22TransformInputIteratorIbN2at6native12_GLOBAL__N_19NonZeroOpIiEEPKilEENS0_5tupleIJPlS6_EEENSN_IJSD_SD_EEES6_PiJS6_EEE10hipError_tPvRmT3_T4_T5_T6_T7_T9_mT8_P12ihipStream_tbDpT10_ENKUlT_T0_E_clISt17integral_constantIbLb0EES1B_EEDaS16_S17_EUlS16_E_NS1_11comp_targetILNS1_3genE3ELNS1_11target_archE908ELNS1_3gpuE7ELNS1_3repE0EEENS1_30default_config_static_selectorELNS0_4arch9wavefront6targetE0EEEvT1_, .Lfunc_end189-_ZN7rocprim17ROCPRIM_400000_NS6detail17trampoline_kernelINS0_14default_configENS1_25partition_config_selectorILNS1_17partition_subalgoE5ElNS0_10empty_typeEbEEZZNS1_14partition_implILS5_5ELb0ES3_mN6hipcub16HIPCUB_304000_NS21CountingInputIteratorIllEEPS6_NSA_22TransformInputIteratorIbN2at6native12_GLOBAL__N_19NonZeroOpIiEEPKilEENS0_5tupleIJPlS6_EEENSN_IJSD_SD_EEES6_PiJS6_EEE10hipError_tPvRmT3_T4_T5_T6_T7_T9_mT8_P12ihipStream_tbDpT10_ENKUlT_T0_E_clISt17integral_constantIbLb0EES1B_EEDaS16_S17_EUlS16_E_NS1_11comp_targetILNS1_3genE3ELNS1_11target_archE908ELNS1_3gpuE7ELNS1_3repE0EEENS1_30default_config_static_selectorELNS0_4arch9wavefront6targetE0EEEvT1_
                                        ; -- End function
	.set _ZN7rocprim17ROCPRIM_400000_NS6detail17trampoline_kernelINS0_14default_configENS1_25partition_config_selectorILNS1_17partition_subalgoE5ElNS0_10empty_typeEbEEZZNS1_14partition_implILS5_5ELb0ES3_mN6hipcub16HIPCUB_304000_NS21CountingInputIteratorIllEEPS6_NSA_22TransformInputIteratorIbN2at6native12_GLOBAL__N_19NonZeroOpIiEEPKilEENS0_5tupleIJPlS6_EEENSN_IJSD_SD_EEES6_PiJS6_EEE10hipError_tPvRmT3_T4_T5_T6_T7_T9_mT8_P12ihipStream_tbDpT10_ENKUlT_T0_E_clISt17integral_constantIbLb0EES1B_EEDaS16_S17_EUlS16_E_NS1_11comp_targetILNS1_3genE3ELNS1_11target_archE908ELNS1_3gpuE7ELNS1_3repE0EEENS1_30default_config_static_selectorELNS0_4arch9wavefront6targetE0EEEvT1_.num_vgpr, 0
	.set _ZN7rocprim17ROCPRIM_400000_NS6detail17trampoline_kernelINS0_14default_configENS1_25partition_config_selectorILNS1_17partition_subalgoE5ElNS0_10empty_typeEbEEZZNS1_14partition_implILS5_5ELb0ES3_mN6hipcub16HIPCUB_304000_NS21CountingInputIteratorIllEEPS6_NSA_22TransformInputIteratorIbN2at6native12_GLOBAL__N_19NonZeroOpIiEEPKilEENS0_5tupleIJPlS6_EEENSN_IJSD_SD_EEES6_PiJS6_EEE10hipError_tPvRmT3_T4_T5_T6_T7_T9_mT8_P12ihipStream_tbDpT10_ENKUlT_T0_E_clISt17integral_constantIbLb0EES1B_EEDaS16_S17_EUlS16_E_NS1_11comp_targetILNS1_3genE3ELNS1_11target_archE908ELNS1_3gpuE7ELNS1_3repE0EEENS1_30default_config_static_selectorELNS0_4arch9wavefront6targetE0EEEvT1_.num_agpr, 0
	.set _ZN7rocprim17ROCPRIM_400000_NS6detail17trampoline_kernelINS0_14default_configENS1_25partition_config_selectorILNS1_17partition_subalgoE5ElNS0_10empty_typeEbEEZZNS1_14partition_implILS5_5ELb0ES3_mN6hipcub16HIPCUB_304000_NS21CountingInputIteratorIllEEPS6_NSA_22TransformInputIteratorIbN2at6native12_GLOBAL__N_19NonZeroOpIiEEPKilEENS0_5tupleIJPlS6_EEENSN_IJSD_SD_EEES6_PiJS6_EEE10hipError_tPvRmT3_T4_T5_T6_T7_T9_mT8_P12ihipStream_tbDpT10_ENKUlT_T0_E_clISt17integral_constantIbLb0EES1B_EEDaS16_S17_EUlS16_E_NS1_11comp_targetILNS1_3genE3ELNS1_11target_archE908ELNS1_3gpuE7ELNS1_3repE0EEENS1_30default_config_static_selectorELNS0_4arch9wavefront6targetE0EEEvT1_.numbered_sgpr, 0
	.set _ZN7rocprim17ROCPRIM_400000_NS6detail17trampoline_kernelINS0_14default_configENS1_25partition_config_selectorILNS1_17partition_subalgoE5ElNS0_10empty_typeEbEEZZNS1_14partition_implILS5_5ELb0ES3_mN6hipcub16HIPCUB_304000_NS21CountingInputIteratorIllEEPS6_NSA_22TransformInputIteratorIbN2at6native12_GLOBAL__N_19NonZeroOpIiEEPKilEENS0_5tupleIJPlS6_EEENSN_IJSD_SD_EEES6_PiJS6_EEE10hipError_tPvRmT3_T4_T5_T6_T7_T9_mT8_P12ihipStream_tbDpT10_ENKUlT_T0_E_clISt17integral_constantIbLb0EES1B_EEDaS16_S17_EUlS16_E_NS1_11comp_targetILNS1_3genE3ELNS1_11target_archE908ELNS1_3gpuE7ELNS1_3repE0EEENS1_30default_config_static_selectorELNS0_4arch9wavefront6targetE0EEEvT1_.num_named_barrier, 0
	.set _ZN7rocprim17ROCPRIM_400000_NS6detail17trampoline_kernelINS0_14default_configENS1_25partition_config_selectorILNS1_17partition_subalgoE5ElNS0_10empty_typeEbEEZZNS1_14partition_implILS5_5ELb0ES3_mN6hipcub16HIPCUB_304000_NS21CountingInputIteratorIllEEPS6_NSA_22TransformInputIteratorIbN2at6native12_GLOBAL__N_19NonZeroOpIiEEPKilEENS0_5tupleIJPlS6_EEENSN_IJSD_SD_EEES6_PiJS6_EEE10hipError_tPvRmT3_T4_T5_T6_T7_T9_mT8_P12ihipStream_tbDpT10_ENKUlT_T0_E_clISt17integral_constantIbLb0EES1B_EEDaS16_S17_EUlS16_E_NS1_11comp_targetILNS1_3genE3ELNS1_11target_archE908ELNS1_3gpuE7ELNS1_3repE0EEENS1_30default_config_static_selectorELNS0_4arch9wavefront6targetE0EEEvT1_.private_seg_size, 0
	.set _ZN7rocprim17ROCPRIM_400000_NS6detail17trampoline_kernelINS0_14default_configENS1_25partition_config_selectorILNS1_17partition_subalgoE5ElNS0_10empty_typeEbEEZZNS1_14partition_implILS5_5ELb0ES3_mN6hipcub16HIPCUB_304000_NS21CountingInputIteratorIllEEPS6_NSA_22TransformInputIteratorIbN2at6native12_GLOBAL__N_19NonZeroOpIiEEPKilEENS0_5tupleIJPlS6_EEENSN_IJSD_SD_EEES6_PiJS6_EEE10hipError_tPvRmT3_T4_T5_T6_T7_T9_mT8_P12ihipStream_tbDpT10_ENKUlT_T0_E_clISt17integral_constantIbLb0EES1B_EEDaS16_S17_EUlS16_E_NS1_11comp_targetILNS1_3genE3ELNS1_11target_archE908ELNS1_3gpuE7ELNS1_3repE0EEENS1_30default_config_static_selectorELNS0_4arch9wavefront6targetE0EEEvT1_.uses_vcc, 0
	.set _ZN7rocprim17ROCPRIM_400000_NS6detail17trampoline_kernelINS0_14default_configENS1_25partition_config_selectorILNS1_17partition_subalgoE5ElNS0_10empty_typeEbEEZZNS1_14partition_implILS5_5ELb0ES3_mN6hipcub16HIPCUB_304000_NS21CountingInputIteratorIllEEPS6_NSA_22TransformInputIteratorIbN2at6native12_GLOBAL__N_19NonZeroOpIiEEPKilEENS0_5tupleIJPlS6_EEENSN_IJSD_SD_EEES6_PiJS6_EEE10hipError_tPvRmT3_T4_T5_T6_T7_T9_mT8_P12ihipStream_tbDpT10_ENKUlT_T0_E_clISt17integral_constantIbLb0EES1B_EEDaS16_S17_EUlS16_E_NS1_11comp_targetILNS1_3genE3ELNS1_11target_archE908ELNS1_3gpuE7ELNS1_3repE0EEENS1_30default_config_static_selectorELNS0_4arch9wavefront6targetE0EEEvT1_.uses_flat_scratch, 0
	.set _ZN7rocprim17ROCPRIM_400000_NS6detail17trampoline_kernelINS0_14default_configENS1_25partition_config_selectorILNS1_17partition_subalgoE5ElNS0_10empty_typeEbEEZZNS1_14partition_implILS5_5ELb0ES3_mN6hipcub16HIPCUB_304000_NS21CountingInputIteratorIllEEPS6_NSA_22TransformInputIteratorIbN2at6native12_GLOBAL__N_19NonZeroOpIiEEPKilEENS0_5tupleIJPlS6_EEENSN_IJSD_SD_EEES6_PiJS6_EEE10hipError_tPvRmT3_T4_T5_T6_T7_T9_mT8_P12ihipStream_tbDpT10_ENKUlT_T0_E_clISt17integral_constantIbLb0EES1B_EEDaS16_S17_EUlS16_E_NS1_11comp_targetILNS1_3genE3ELNS1_11target_archE908ELNS1_3gpuE7ELNS1_3repE0EEENS1_30default_config_static_selectorELNS0_4arch9wavefront6targetE0EEEvT1_.has_dyn_sized_stack, 0
	.set _ZN7rocprim17ROCPRIM_400000_NS6detail17trampoline_kernelINS0_14default_configENS1_25partition_config_selectorILNS1_17partition_subalgoE5ElNS0_10empty_typeEbEEZZNS1_14partition_implILS5_5ELb0ES3_mN6hipcub16HIPCUB_304000_NS21CountingInputIteratorIllEEPS6_NSA_22TransformInputIteratorIbN2at6native12_GLOBAL__N_19NonZeroOpIiEEPKilEENS0_5tupleIJPlS6_EEENSN_IJSD_SD_EEES6_PiJS6_EEE10hipError_tPvRmT3_T4_T5_T6_T7_T9_mT8_P12ihipStream_tbDpT10_ENKUlT_T0_E_clISt17integral_constantIbLb0EES1B_EEDaS16_S17_EUlS16_E_NS1_11comp_targetILNS1_3genE3ELNS1_11target_archE908ELNS1_3gpuE7ELNS1_3repE0EEENS1_30default_config_static_selectorELNS0_4arch9wavefront6targetE0EEEvT1_.has_recursion, 0
	.set _ZN7rocprim17ROCPRIM_400000_NS6detail17trampoline_kernelINS0_14default_configENS1_25partition_config_selectorILNS1_17partition_subalgoE5ElNS0_10empty_typeEbEEZZNS1_14partition_implILS5_5ELb0ES3_mN6hipcub16HIPCUB_304000_NS21CountingInputIteratorIllEEPS6_NSA_22TransformInputIteratorIbN2at6native12_GLOBAL__N_19NonZeroOpIiEEPKilEENS0_5tupleIJPlS6_EEENSN_IJSD_SD_EEES6_PiJS6_EEE10hipError_tPvRmT3_T4_T5_T6_T7_T9_mT8_P12ihipStream_tbDpT10_ENKUlT_T0_E_clISt17integral_constantIbLb0EES1B_EEDaS16_S17_EUlS16_E_NS1_11comp_targetILNS1_3genE3ELNS1_11target_archE908ELNS1_3gpuE7ELNS1_3repE0EEENS1_30default_config_static_selectorELNS0_4arch9wavefront6targetE0EEEvT1_.has_indirect_call, 0
	.section	.AMDGPU.csdata,"",@progbits
; Kernel info:
; codeLenInByte = 0
; TotalNumSgprs: 0
; NumVgprs: 0
; ScratchSize: 0
; MemoryBound: 0
; FloatMode: 240
; IeeeMode: 1
; LDSByteSize: 0 bytes/workgroup (compile time only)
; SGPRBlocks: 0
; VGPRBlocks: 0
; NumSGPRsForWavesPerEU: 1
; NumVGPRsForWavesPerEU: 1
; Occupancy: 16
; WaveLimiterHint : 0
; COMPUTE_PGM_RSRC2:SCRATCH_EN: 0
; COMPUTE_PGM_RSRC2:USER_SGPR: 2
; COMPUTE_PGM_RSRC2:TRAP_HANDLER: 0
; COMPUTE_PGM_RSRC2:TGID_X_EN: 1
; COMPUTE_PGM_RSRC2:TGID_Y_EN: 0
; COMPUTE_PGM_RSRC2:TGID_Z_EN: 0
; COMPUTE_PGM_RSRC2:TIDIG_COMP_CNT: 0
	.section	.text._ZN7rocprim17ROCPRIM_400000_NS6detail17trampoline_kernelINS0_14default_configENS1_25partition_config_selectorILNS1_17partition_subalgoE5ElNS0_10empty_typeEbEEZZNS1_14partition_implILS5_5ELb0ES3_mN6hipcub16HIPCUB_304000_NS21CountingInputIteratorIllEEPS6_NSA_22TransformInputIteratorIbN2at6native12_GLOBAL__N_19NonZeroOpIiEEPKilEENS0_5tupleIJPlS6_EEENSN_IJSD_SD_EEES6_PiJS6_EEE10hipError_tPvRmT3_T4_T5_T6_T7_T9_mT8_P12ihipStream_tbDpT10_ENKUlT_T0_E_clISt17integral_constantIbLb0EES1B_EEDaS16_S17_EUlS16_E_NS1_11comp_targetILNS1_3genE2ELNS1_11target_archE906ELNS1_3gpuE6ELNS1_3repE0EEENS1_30default_config_static_selectorELNS0_4arch9wavefront6targetE0EEEvT1_,"axG",@progbits,_ZN7rocprim17ROCPRIM_400000_NS6detail17trampoline_kernelINS0_14default_configENS1_25partition_config_selectorILNS1_17partition_subalgoE5ElNS0_10empty_typeEbEEZZNS1_14partition_implILS5_5ELb0ES3_mN6hipcub16HIPCUB_304000_NS21CountingInputIteratorIllEEPS6_NSA_22TransformInputIteratorIbN2at6native12_GLOBAL__N_19NonZeroOpIiEEPKilEENS0_5tupleIJPlS6_EEENSN_IJSD_SD_EEES6_PiJS6_EEE10hipError_tPvRmT3_T4_T5_T6_T7_T9_mT8_P12ihipStream_tbDpT10_ENKUlT_T0_E_clISt17integral_constantIbLb0EES1B_EEDaS16_S17_EUlS16_E_NS1_11comp_targetILNS1_3genE2ELNS1_11target_archE906ELNS1_3gpuE6ELNS1_3repE0EEENS1_30default_config_static_selectorELNS0_4arch9wavefront6targetE0EEEvT1_,comdat
	.globl	_ZN7rocprim17ROCPRIM_400000_NS6detail17trampoline_kernelINS0_14default_configENS1_25partition_config_selectorILNS1_17partition_subalgoE5ElNS0_10empty_typeEbEEZZNS1_14partition_implILS5_5ELb0ES3_mN6hipcub16HIPCUB_304000_NS21CountingInputIteratorIllEEPS6_NSA_22TransformInputIteratorIbN2at6native12_GLOBAL__N_19NonZeroOpIiEEPKilEENS0_5tupleIJPlS6_EEENSN_IJSD_SD_EEES6_PiJS6_EEE10hipError_tPvRmT3_T4_T5_T6_T7_T9_mT8_P12ihipStream_tbDpT10_ENKUlT_T0_E_clISt17integral_constantIbLb0EES1B_EEDaS16_S17_EUlS16_E_NS1_11comp_targetILNS1_3genE2ELNS1_11target_archE906ELNS1_3gpuE6ELNS1_3repE0EEENS1_30default_config_static_selectorELNS0_4arch9wavefront6targetE0EEEvT1_ ; -- Begin function _ZN7rocprim17ROCPRIM_400000_NS6detail17trampoline_kernelINS0_14default_configENS1_25partition_config_selectorILNS1_17partition_subalgoE5ElNS0_10empty_typeEbEEZZNS1_14partition_implILS5_5ELb0ES3_mN6hipcub16HIPCUB_304000_NS21CountingInputIteratorIllEEPS6_NSA_22TransformInputIteratorIbN2at6native12_GLOBAL__N_19NonZeroOpIiEEPKilEENS0_5tupleIJPlS6_EEENSN_IJSD_SD_EEES6_PiJS6_EEE10hipError_tPvRmT3_T4_T5_T6_T7_T9_mT8_P12ihipStream_tbDpT10_ENKUlT_T0_E_clISt17integral_constantIbLb0EES1B_EEDaS16_S17_EUlS16_E_NS1_11comp_targetILNS1_3genE2ELNS1_11target_archE906ELNS1_3gpuE6ELNS1_3repE0EEENS1_30default_config_static_selectorELNS0_4arch9wavefront6targetE0EEEvT1_
	.p2align	8
	.type	_ZN7rocprim17ROCPRIM_400000_NS6detail17trampoline_kernelINS0_14default_configENS1_25partition_config_selectorILNS1_17partition_subalgoE5ElNS0_10empty_typeEbEEZZNS1_14partition_implILS5_5ELb0ES3_mN6hipcub16HIPCUB_304000_NS21CountingInputIteratorIllEEPS6_NSA_22TransformInputIteratorIbN2at6native12_GLOBAL__N_19NonZeroOpIiEEPKilEENS0_5tupleIJPlS6_EEENSN_IJSD_SD_EEES6_PiJS6_EEE10hipError_tPvRmT3_T4_T5_T6_T7_T9_mT8_P12ihipStream_tbDpT10_ENKUlT_T0_E_clISt17integral_constantIbLb0EES1B_EEDaS16_S17_EUlS16_E_NS1_11comp_targetILNS1_3genE2ELNS1_11target_archE906ELNS1_3gpuE6ELNS1_3repE0EEENS1_30default_config_static_selectorELNS0_4arch9wavefront6targetE0EEEvT1_,@function
_ZN7rocprim17ROCPRIM_400000_NS6detail17trampoline_kernelINS0_14default_configENS1_25partition_config_selectorILNS1_17partition_subalgoE5ElNS0_10empty_typeEbEEZZNS1_14partition_implILS5_5ELb0ES3_mN6hipcub16HIPCUB_304000_NS21CountingInputIteratorIllEEPS6_NSA_22TransformInputIteratorIbN2at6native12_GLOBAL__N_19NonZeroOpIiEEPKilEENS0_5tupleIJPlS6_EEENSN_IJSD_SD_EEES6_PiJS6_EEE10hipError_tPvRmT3_T4_T5_T6_T7_T9_mT8_P12ihipStream_tbDpT10_ENKUlT_T0_E_clISt17integral_constantIbLb0EES1B_EEDaS16_S17_EUlS16_E_NS1_11comp_targetILNS1_3genE2ELNS1_11target_archE906ELNS1_3gpuE6ELNS1_3repE0EEENS1_30default_config_static_selectorELNS0_4arch9wavefront6targetE0EEEvT1_: ; @_ZN7rocprim17ROCPRIM_400000_NS6detail17trampoline_kernelINS0_14default_configENS1_25partition_config_selectorILNS1_17partition_subalgoE5ElNS0_10empty_typeEbEEZZNS1_14partition_implILS5_5ELb0ES3_mN6hipcub16HIPCUB_304000_NS21CountingInputIteratorIllEEPS6_NSA_22TransformInputIteratorIbN2at6native12_GLOBAL__N_19NonZeroOpIiEEPKilEENS0_5tupleIJPlS6_EEENSN_IJSD_SD_EEES6_PiJS6_EEE10hipError_tPvRmT3_T4_T5_T6_T7_T9_mT8_P12ihipStream_tbDpT10_ENKUlT_T0_E_clISt17integral_constantIbLb0EES1B_EEDaS16_S17_EUlS16_E_NS1_11comp_targetILNS1_3genE2ELNS1_11target_archE906ELNS1_3gpuE6ELNS1_3repE0EEENS1_30default_config_static_selectorELNS0_4arch9wavefront6targetE0EEEvT1_
; %bb.0:
	.section	.rodata,"a",@progbits
	.p2align	6, 0x0
	.amdhsa_kernel _ZN7rocprim17ROCPRIM_400000_NS6detail17trampoline_kernelINS0_14default_configENS1_25partition_config_selectorILNS1_17partition_subalgoE5ElNS0_10empty_typeEbEEZZNS1_14partition_implILS5_5ELb0ES3_mN6hipcub16HIPCUB_304000_NS21CountingInputIteratorIllEEPS6_NSA_22TransformInputIteratorIbN2at6native12_GLOBAL__N_19NonZeroOpIiEEPKilEENS0_5tupleIJPlS6_EEENSN_IJSD_SD_EEES6_PiJS6_EEE10hipError_tPvRmT3_T4_T5_T6_T7_T9_mT8_P12ihipStream_tbDpT10_ENKUlT_T0_E_clISt17integral_constantIbLb0EES1B_EEDaS16_S17_EUlS16_E_NS1_11comp_targetILNS1_3genE2ELNS1_11target_archE906ELNS1_3gpuE6ELNS1_3repE0EEENS1_30default_config_static_selectorELNS0_4arch9wavefront6targetE0EEEvT1_
		.amdhsa_group_segment_fixed_size 0
		.amdhsa_private_segment_fixed_size 0
		.amdhsa_kernarg_size 120
		.amdhsa_user_sgpr_count 2
		.amdhsa_user_sgpr_dispatch_ptr 0
		.amdhsa_user_sgpr_queue_ptr 0
		.amdhsa_user_sgpr_kernarg_segment_ptr 1
		.amdhsa_user_sgpr_dispatch_id 0
		.amdhsa_user_sgpr_private_segment_size 0
		.amdhsa_wavefront_size32 1
		.amdhsa_uses_dynamic_stack 0
		.amdhsa_enable_private_segment 0
		.amdhsa_system_sgpr_workgroup_id_x 1
		.amdhsa_system_sgpr_workgroup_id_y 0
		.amdhsa_system_sgpr_workgroup_id_z 0
		.amdhsa_system_sgpr_workgroup_info 0
		.amdhsa_system_vgpr_workitem_id 0
		.amdhsa_next_free_vgpr 1
		.amdhsa_next_free_sgpr 1
		.amdhsa_reserve_vcc 0
		.amdhsa_float_round_mode_32 0
		.amdhsa_float_round_mode_16_64 0
		.amdhsa_float_denorm_mode_32 3
		.amdhsa_float_denorm_mode_16_64 3
		.amdhsa_fp16_overflow 0
		.amdhsa_workgroup_processor_mode 1
		.amdhsa_memory_ordered 1
		.amdhsa_forward_progress 1
		.amdhsa_inst_pref_size 0
		.amdhsa_round_robin_scheduling 0
		.amdhsa_exception_fp_ieee_invalid_op 0
		.amdhsa_exception_fp_denorm_src 0
		.amdhsa_exception_fp_ieee_div_zero 0
		.amdhsa_exception_fp_ieee_overflow 0
		.amdhsa_exception_fp_ieee_underflow 0
		.amdhsa_exception_fp_ieee_inexact 0
		.amdhsa_exception_int_div_zero 0
	.end_amdhsa_kernel
	.section	.text._ZN7rocprim17ROCPRIM_400000_NS6detail17trampoline_kernelINS0_14default_configENS1_25partition_config_selectorILNS1_17partition_subalgoE5ElNS0_10empty_typeEbEEZZNS1_14partition_implILS5_5ELb0ES3_mN6hipcub16HIPCUB_304000_NS21CountingInputIteratorIllEEPS6_NSA_22TransformInputIteratorIbN2at6native12_GLOBAL__N_19NonZeroOpIiEEPKilEENS0_5tupleIJPlS6_EEENSN_IJSD_SD_EEES6_PiJS6_EEE10hipError_tPvRmT3_T4_T5_T6_T7_T9_mT8_P12ihipStream_tbDpT10_ENKUlT_T0_E_clISt17integral_constantIbLb0EES1B_EEDaS16_S17_EUlS16_E_NS1_11comp_targetILNS1_3genE2ELNS1_11target_archE906ELNS1_3gpuE6ELNS1_3repE0EEENS1_30default_config_static_selectorELNS0_4arch9wavefront6targetE0EEEvT1_,"axG",@progbits,_ZN7rocprim17ROCPRIM_400000_NS6detail17trampoline_kernelINS0_14default_configENS1_25partition_config_selectorILNS1_17partition_subalgoE5ElNS0_10empty_typeEbEEZZNS1_14partition_implILS5_5ELb0ES3_mN6hipcub16HIPCUB_304000_NS21CountingInputIteratorIllEEPS6_NSA_22TransformInputIteratorIbN2at6native12_GLOBAL__N_19NonZeroOpIiEEPKilEENS0_5tupleIJPlS6_EEENSN_IJSD_SD_EEES6_PiJS6_EEE10hipError_tPvRmT3_T4_T5_T6_T7_T9_mT8_P12ihipStream_tbDpT10_ENKUlT_T0_E_clISt17integral_constantIbLb0EES1B_EEDaS16_S17_EUlS16_E_NS1_11comp_targetILNS1_3genE2ELNS1_11target_archE906ELNS1_3gpuE6ELNS1_3repE0EEENS1_30default_config_static_selectorELNS0_4arch9wavefront6targetE0EEEvT1_,comdat
.Lfunc_end190:
	.size	_ZN7rocprim17ROCPRIM_400000_NS6detail17trampoline_kernelINS0_14default_configENS1_25partition_config_selectorILNS1_17partition_subalgoE5ElNS0_10empty_typeEbEEZZNS1_14partition_implILS5_5ELb0ES3_mN6hipcub16HIPCUB_304000_NS21CountingInputIteratorIllEEPS6_NSA_22TransformInputIteratorIbN2at6native12_GLOBAL__N_19NonZeroOpIiEEPKilEENS0_5tupleIJPlS6_EEENSN_IJSD_SD_EEES6_PiJS6_EEE10hipError_tPvRmT3_T4_T5_T6_T7_T9_mT8_P12ihipStream_tbDpT10_ENKUlT_T0_E_clISt17integral_constantIbLb0EES1B_EEDaS16_S17_EUlS16_E_NS1_11comp_targetILNS1_3genE2ELNS1_11target_archE906ELNS1_3gpuE6ELNS1_3repE0EEENS1_30default_config_static_selectorELNS0_4arch9wavefront6targetE0EEEvT1_, .Lfunc_end190-_ZN7rocprim17ROCPRIM_400000_NS6detail17trampoline_kernelINS0_14default_configENS1_25partition_config_selectorILNS1_17partition_subalgoE5ElNS0_10empty_typeEbEEZZNS1_14partition_implILS5_5ELb0ES3_mN6hipcub16HIPCUB_304000_NS21CountingInputIteratorIllEEPS6_NSA_22TransformInputIteratorIbN2at6native12_GLOBAL__N_19NonZeroOpIiEEPKilEENS0_5tupleIJPlS6_EEENSN_IJSD_SD_EEES6_PiJS6_EEE10hipError_tPvRmT3_T4_T5_T6_T7_T9_mT8_P12ihipStream_tbDpT10_ENKUlT_T0_E_clISt17integral_constantIbLb0EES1B_EEDaS16_S17_EUlS16_E_NS1_11comp_targetILNS1_3genE2ELNS1_11target_archE906ELNS1_3gpuE6ELNS1_3repE0EEENS1_30default_config_static_selectorELNS0_4arch9wavefront6targetE0EEEvT1_
                                        ; -- End function
	.set _ZN7rocprim17ROCPRIM_400000_NS6detail17trampoline_kernelINS0_14default_configENS1_25partition_config_selectorILNS1_17partition_subalgoE5ElNS0_10empty_typeEbEEZZNS1_14partition_implILS5_5ELb0ES3_mN6hipcub16HIPCUB_304000_NS21CountingInputIteratorIllEEPS6_NSA_22TransformInputIteratorIbN2at6native12_GLOBAL__N_19NonZeroOpIiEEPKilEENS0_5tupleIJPlS6_EEENSN_IJSD_SD_EEES6_PiJS6_EEE10hipError_tPvRmT3_T4_T5_T6_T7_T9_mT8_P12ihipStream_tbDpT10_ENKUlT_T0_E_clISt17integral_constantIbLb0EES1B_EEDaS16_S17_EUlS16_E_NS1_11comp_targetILNS1_3genE2ELNS1_11target_archE906ELNS1_3gpuE6ELNS1_3repE0EEENS1_30default_config_static_selectorELNS0_4arch9wavefront6targetE0EEEvT1_.num_vgpr, 0
	.set _ZN7rocprim17ROCPRIM_400000_NS6detail17trampoline_kernelINS0_14default_configENS1_25partition_config_selectorILNS1_17partition_subalgoE5ElNS0_10empty_typeEbEEZZNS1_14partition_implILS5_5ELb0ES3_mN6hipcub16HIPCUB_304000_NS21CountingInputIteratorIllEEPS6_NSA_22TransformInputIteratorIbN2at6native12_GLOBAL__N_19NonZeroOpIiEEPKilEENS0_5tupleIJPlS6_EEENSN_IJSD_SD_EEES6_PiJS6_EEE10hipError_tPvRmT3_T4_T5_T6_T7_T9_mT8_P12ihipStream_tbDpT10_ENKUlT_T0_E_clISt17integral_constantIbLb0EES1B_EEDaS16_S17_EUlS16_E_NS1_11comp_targetILNS1_3genE2ELNS1_11target_archE906ELNS1_3gpuE6ELNS1_3repE0EEENS1_30default_config_static_selectorELNS0_4arch9wavefront6targetE0EEEvT1_.num_agpr, 0
	.set _ZN7rocprim17ROCPRIM_400000_NS6detail17trampoline_kernelINS0_14default_configENS1_25partition_config_selectorILNS1_17partition_subalgoE5ElNS0_10empty_typeEbEEZZNS1_14partition_implILS5_5ELb0ES3_mN6hipcub16HIPCUB_304000_NS21CountingInputIteratorIllEEPS6_NSA_22TransformInputIteratorIbN2at6native12_GLOBAL__N_19NonZeroOpIiEEPKilEENS0_5tupleIJPlS6_EEENSN_IJSD_SD_EEES6_PiJS6_EEE10hipError_tPvRmT3_T4_T5_T6_T7_T9_mT8_P12ihipStream_tbDpT10_ENKUlT_T0_E_clISt17integral_constantIbLb0EES1B_EEDaS16_S17_EUlS16_E_NS1_11comp_targetILNS1_3genE2ELNS1_11target_archE906ELNS1_3gpuE6ELNS1_3repE0EEENS1_30default_config_static_selectorELNS0_4arch9wavefront6targetE0EEEvT1_.numbered_sgpr, 0
	.set _ZN7rocprim17ROCPRIM_400000_NS6detail17trampoline_kernelINS0_14default_configENS1_25partition_config_selectorILNS1_17partition_subalgoE5ElNS0_10empty_typeEbEEZZNS1_14partition_implILS5_5ELb0ES3_mN6hipcub16HIPCUB_304000_NS21CountingInputIteratorIllEEPS6_NSA_22TransformInputIteratorIbN2at6native12_GLOBAL__N_19NonZeroOpIiEEPKilEENS0_5tupleIJPlS6_EEENSN_IJSD_SD_EEES6_PiJS6_EEE10hipError_tPvRmT3_T4_T5_T6_T7_T9_mT8_P12ihipStream_tbDpT10_ENKUlT_T0_E_clISt17integral_constantIbLb0EES1B_EEDaS16_S17_EUlS16_E_NS1_11comp_targetILNS1_3genE2ELNS1_11target_archE906ELNS1_3gpuE6ELNS1_3repE0EEENS1_30default_config_static_selectorELNS0_4arch9wavefront6targetE0EEEvT1_.num_named_barrier, 0
	.set _ZN7rocprim17ROCPRIM_400000_NS6detail17trampoline_kernelINS0_14default_configENS1_25partition_config_selectorILNS1_17partition_subalgoE5ElNS0_10empty_typeEbEEZZNS1_14partition_implILS5_5ELb0ES3_mN6hipcub16HIPCUB_304000_NS21CountingInputIteratorIllEEPS6_NSA_22TransformInputIteratorIbN2at6native12_GLOBAL__N_19NonZeroOpIiEEPKilEENS0_5tupleIJPlS6_EEENSN_IJSD_SD_EEES6_PiJS6_EEE10hipError_tPvRmT3_T4_T5_T6_T7_T9_mT8_P12ihipStream_tbDpT10_ENKUlT_T0_E_clISt17integral_constantIbLb0EES1B_EEDaS16_S17_EUlS16_E_NS1_11comp_targetILNS1_3genE2ELNS1_11target_archE906ELNS1_3gpuE6ELNS1_3repE0EEENS1_30default_config_static_selectorELNS0_4arch9wavefront6targetE0EEEvT1_.private_seg_size, 0
	.set _ZN7rocprim17ROCPRIM_400000_NS6detail17trampoline_kernelINS0_14default_configENS1_25partition_config_selectorILNS1_17partition_subalgoE5ElNS0_10empty_typeEbEEZZNS1_14partition_implILS5_5ELb0ES3_mN6hipcub16HIPCUB_304000_NS21CountingInputIteratorIllEEPS6_NSA_22TransformInputIteratorIbN2at6native12_GLOBAL__N_19NonZeroOpIiEEPKilEENS0_5tupleIJPlS6_EEENSN_IJSD_SD_EEES6_PiJS6_EEE10hipError_tPvRmT3_T4_T5_T6_T7_T9_mT8_P12ihipStream_tbDpT10_ENKUlT_T0_E_clISt17integral_constantIbLb0EES1B_EEDaS16_S17_EUlS16_E_NS1_11comp_targetILNS1_3genE2ELNS1_11target_archE906ELNS1_3gpuE6ELNS1_3repE0EEENS1_30default_config_static_selectorELNS0_4arch9wavefront6targetE0EEEvT1_.uses_vcc, 0
	.set _ZN7rocprim17ROCPRIM_400000_NS6detail17trampoline_kernelINS0_14default_configENS1_25partition_config_selectorILNS1_17partition_subalgoE5ElNS0_10empty_typeEbEEZZNS1_14partition_implILS5_5ELb0ES3_mN6hipcub16HIPCUB_304000_NS21CountingInputIteratorIllEEPS6_NSA_22TransformInputIteratorIbN2at6native12_GLOBAL__N_19NonZeroOpIiEEPKilEENS0_5tupleIJPlS6_EEENSN_IJSD_SD_EEES6_PiJS6_EEE10hipError_tPvRmT3_T4_T5_T6_T7_T9_mT8_P12ihipStream_tbDpT10_ENKUlT_T0_E_clISt17integral_constantIbLb0EES1B_EEDaS16_S17_EUlS16_E_NS1_11comp_targetILNS1_3genE2ELNS1_11target_archE906ELNS1_3gpuE6ELNS1_3repE0EEENS1_30default_config_static_selectorELNS0_4arch9wavefront6targetE0EEEvT1_.uses_flat_scratch, 0
	.set _ZN7rocprim17ROCPRIM_400000_NS6detail17trampoline_kernelINS0_14default_configENS1_25partition_config_selectorILNS1_17partition_subalgoE5ElNS0_10empty_typeEbEEZZNS1_14partition_implILS5_5ELb0ES3_mN6hipcub16HIPCUB_304000_NS21CountingInputIteratorIllEEPS6_NSA_22TransformInputIteratorIbN2at6native12_GLOBAL__N_19NonZeroOpIiEEPKilEENS0_5tupleIJPlS6_EEENSN_IJSD_SD_EEES6_PiJS6_EEE10hipError_tPvRmT3_T4_T5_T6_T7_T9_mT8_P12ihipStream_tbDpT10_ENKUlT_T0_E_clISt17integral_constantIbLb0EES1B_EEDaS16_S17_EUlS16_E_NS1_11comp_targetILNS1_3genE2ELNS1_11target_archE906ELNS1_3gpuE6ELNS1_3repE0EEENS1_30default_config_static_selectorELNS0_4arch9wavefront6targetE0EEEvT1_.has_dyn_sized_stack, 0
	.set _ZN7rocprim17ROCPRIM_400000_NS6detail17trampoline_kernelINS0_14default_configENS1_25partition_config_selectorILNS1_17partition_subalgoE5ElNS0_10empty_typeEbEEZZNS1_14partition_implILS5_5ELb0ES3_mN6hipcub16HIPCUB_304000_NS21CountingInputIteratorIllEEPS6_NSA_22TransformInputIteratorIbN2at6native12_GLOBAL__N_19NonZeroOpIiEEPKilEENS0_5tupleIJPlS6_EEENSN_IJSD_SD_EEES6_PiJS6_EEE10hipError_tPvRmT3_T4_T5_T6_T7_T9_mT8_P12ihipStream_tbDpT10_ENKUlT_T0_E_clISt17integral_constantIbLb0EES1B_EEDaS16_S17_EUlS16_E_NS1_11comp_targetILNS1_3genE2ELNS1_11target_archE906ELNS1_3gpuE6ELNS1_3repE0EEENS1_30default_config_static_selectorELNS0_4arch9wavefront6targetE0EEEvT1_.has_recursion, 0
	.set _ZN7rocprim17ROCPRIM_400000_NS6detail17trampoline_kernelINS0_14default_configENS1_25partition_config_selectorILNS1_17partition_subalgoE5ElNS0_10empty_typeEbEEZZNS1_14partition_implILS5_5ELb0ES3_mN6hipcub16HIPCUB_304000_NS21CountingInputIteratorIllEEPS6_NSA_22TransformInputIteratorIbN2at6native12_GLOBAL__N_19NonZeroOpIiEEPKilEENS0_5tupleIJPlS6_EEENSN_IJSD_SD_EEES6_PiJS6_EEE10hipError_tPvRmT3_T4_T5_T6_T7_T9_mT8_P12ihipStream_tbDpT10_ENKUlT_T0_E_clISt17integral_constantIbLb0EES1B_EEDaS16_S17_EUlS16_E_NS1_11comp_targetILNS1_3genE2ELNS1_11target_archE906ELNS1_3gpuE6ELNS1_3repE0EEENS1_30default_config_static_selectorELNS0_4arch9wavefront6targetE0EEEvT1_.has_indirect_call, 0
	.section	.AMDGPU.csdata,"",@progbits
; Kernel info:
; codeLenInByte = 0
; TotalNumSgprs: 0
; NumVgprs: 0
; ScratchSize: 0
; MemoryBound: 0
; FloatMode: 240
; IeeeMode: 1
; LDSByteSize: 0 bytes/workgroup (compile time only)
; SGPRBlocks: 0
; VGPRBlocks: 0
; NumSGPRsForWavesPerEU: 1
; NumVGPRsForWavesPerEU: 1
; Occupancy: 16
; WaveLimiterHint : 0
; COMPUTE_PGM_RSRC2:SCRATCH_EN: 0
; COMPUTE_PGM_RSRC2:USER_SGPR: 2
; COMPUTE_PGM_RSRC2:TRAP_HANDLER: 0
; COMPUTE_PGM_RSRC2:TGID_X_EN: 1
; COMPUTE_PGM_RSRC2:TGID_Y_EN: 0
; COMPUTE_PGM_RSRC2:TGID_Z_EN: 0
; COMPUTE_PGM_RSRC2:TIDIG_COMP_CNT: 0
	.section	.text._ZN7rocprim17ROCPRIM_400000_NS6detail17trampoline_kernelINS0_14default_configENS1_25partition_config_selectorILNS1_17partition_subalgoE5ElNS0_10empty_typeEbEEZZNS1_14partition_implILS5_5ELb0ES3_mN6hipcub16HIPCUB_304000_NS21CountingInputIteratorIllEEPS6_NSA_22TransformInputIteratorIbN2at6native12_GLOBAL__N_19NonZeroOpIiEEPKilEENS0_5tupleIJPlS6_EEENSN_IJSD_SD_EEES6_PiJS6_EEE10hipError_tPvRmT3_T4_T5_T6_T7_T9_mT8_P12ihipStream_tbDpT10_ENKUlT_T0_E_clISt17integral_constantIbLb0EES1B_EEDaS16_S17_EUlS16_E_NS1_11comp_targetILNS1_3genE10ELNS1_11target_archE1200ELNS1_3gpuE4ELNS1_3repE0EEENS1_30default_config_static_selectorELNS0_4arch9wavefront6targetE0EEEvT1_,"axG",@progbits,_ZN7rocprim17ROCPRIM_400000_NS6detail17trampoline_kernelINS0_14default_configENS1_25partition_config_selectorILNS1_17partition_subalgoE5ElNS0_10empty_typeEbEEZZNS1_14partition_implILS5_5ELb0ES3_mN6hipcub16HIPCUB_304000_NS21CountingInputIteratorIllEEPS6_NSA_22TransformInputIteratorIbN2at6native12_GLOBAL__N_19NonZeroOpIiEEPKilEENS0_5tupleIJPlS6_EEENSN_IJSD_SD_EEES6_PiJS6_EEE10hipError_tPvRmT3_T4_T5_T6_T7_T9_mT8_P12ihipStream_tbDpT10_ENKUlT_T0_E_clISt17integral_constantIbLb0EES1B_EEDaS16_S17_EUlS16_E_NS1_11comp_targetILNS1_3genE10ELNS1_11target_archE1200ELNS1_3gpuE4ELNS1_3repE0EEENS1_30default_config_static_selectorELNS0_4arch9wavefront6targetE0EEEvT1_,comdat
	.globl	_ZN7rocprim17ROCPRIM_400000_NS6detail17trampoline_kernelINS0_14default_configENS1_25partition_config_selectorILNS1_17partition_subalgoE5ElNS0_10empty_typeEbEEZZNS1_14partition_implILS5_5ELb0ES3_mN6hipcub16HIPCUB_304000_NS21CountingInputIteratorIllEEPS6_NSA_22TransformInputIteratorIbN2at6native12_GLOBAL__N_19NonZeroOpIiEEPKilEENS0_5tupleIJPlS6_EEENSN_IJSD_SD_EEES6_PiJS6_EEE10hipError_tPvRmT3_T4_T5_T6_T7_T9_mT8_P12ihipStream_tbDpT10_ENKUlT_T0_E_clISt17integral_constantIbLb0EES1B_EEDaS16_S17_EUlS16_E_NS1_11comp_targetILNS1_3genE10ELNS1_11target_archE1200ELNS1_3gpuE4ELNS1_3repE0EEENS1_30default_config_static_selectorELNS0_4arch9wavefront6targetE0EEEvT1_ ; -- Begin function _ZN7rocprim17ROCPRIM_400000_NS6detail17trampoline_kernelINS0_14default_configENS1_25partition_config_selectorILNS1_17partition_subalgoE5ElNS0_10empty_typeEbEEZZNS1_14partition_implILS5_5ELb0ES3_mN6hipcub16HIPCUB_304000_NS21CountingInputIteratorIllEEPS6_NSA_22TransformInputIteratorIbN2at6native12_GLOBAL__N_19NonZeroOpIiEEPKilEENS0_5tupleIJPlS6_EEENSN_IJSD_SD_EEES6_PiJS6_EEE10hipError_tPvRmT3_T4_T5_T6_T7_T9_mT8_P12ihipStream_tbDpT10_ENKUlT_T0_E_clISt17integral_constantIbLb0EES1B_EEDaS16_S17_EUlS16_E_NS1_11comp_targetILNS1_3genE10ELNS1_11target_archE1200ELNS1_3gpuE4ELNS1_3repE0EEENS1_30default_config_static_selectorELNS0_4arch9wavefront6targetE0EEEvT1_
	.p2align	8
	.type	_ZN7rocprim17ROCPRIM_400000_NS6detail17trampoline_kernelINS0_14default_configENS1_25partition_config_selectorILNS1_17partition_subalgoE5ElNS0_10empty_typeEbEEZZNS1_14partition_implILS5_5ELb0ES3_mN6hipcub16HIPCUB_304000_NS21CountingInputIteratorIllEEPS6_NSA_22TransformInputIteratorIbN2at6native12_GLOBAL__N_19NonZeroOpIiEEPKilEENS0_5tupleIJPlS6_EEENSN_IJSD_SD_EEES6_PiJS6_EEE10hipError_tPvRmT3_T4_T5_T6_T7_T9_mT8_P12ihipStream_tbDpT10_ENKUlT_T0_E_clISt17integral_constantIbLb0EES1B_EEDaS16_S17_EUlS16_E_NS1_11comp_targetILNS1_3genE10ELNS1_11target_archE1200ELNS1_3gpuE4ELNS1_3repE0EEENS1_30default_config_static_selectorELNS0_4arch9wavefront6targetE0EEEvT1_,@function
_ZN7rocprim17ROCPRIM_400000_NS6detail17trampoline_kernelINS0_14default_configENS1_25partition_config_selectorILNS1_17partition_subalgoE5ElNS0_10empty_typeEbEEZZNS1_14partition_implILS5_5ELb0ES3_mN6hipcub16HIPCUB_304000_NS21CountingInputIteratorIllEEPS6_NSA_22TransformInputIteratorIbN2at6native12_GLOBAL__N_19NonZeroOpIiEEPKilEENS0_5tupleIJPlS6_EEENSN_IJSD_SD_EEES6_PiJS6_EEE10hipError_tPvRmT3_T4_T5_T6_T7_T9_mT8_P12ihipStream_tbDpT10_ENKUlT_T0_E_clISt17integral_constantIbLb0EES1B_EEDaS16_S17_EUlS16_E_NS1_11comp_targetILNS1_3genE10ELNS1_11target_archE1200ELNS1_3gpuE4ELNS1_3repE0EEENS1_30default_config_static_selectorELNS0_4arch9wavefront6targetE0EEEvT1_: ; @_ZN7rocprim17ROCPRIM_400000_NS6detail17trampoline_kernelINS0_14default_configENS1_25partition_config_selectorILNS1_17partition_subalgoE5ElNS0_10empty_typeEbEEZZNS1_14partition_implILS5_5ELb0ES3_mN6hipcub16HIPCUB_304000_NS21CountingInputIteratorIllEEPS6_NSA_22TransformInputIteratorIbN2at6native12_GLOBAL__N_19NonZeroOpIiEEPKilEENS0_5tupleIJPlS6_EEENSN_IJSD_SD_EEES6_PiJS6_EEE10hipError_tPvRmT3_T4_T5_T6_T7_T9_mT8_P12ihipStream_tbDpT10_ENKUlT_T0_E_clISt17integral_constantIbLb0EES1B_EEDaS16_S17_EUlS16_E_NS1_11comp_targetILNS1_3genE10ELNS1_11target_archE1200ELNS1_3gpuE4ELNS1_3repE0EEENS1_30default_config_static_selectorELNS0_4arch9wavefront6targetE0EEEvT1_
; %bb.0:
	s_clause 0x3
	s_load_b128 s[8:11], s[0:1], 0x48
	s_load_b32 s16, s[0:1], 0x70
	s_load_b128 s[4:7], s[0:1], 0x8
	s_load_b64 s[2:3], s[0:1], 0x58
	s_mov_b32 s13, 0
	s_lshl_b32 s12, ttmp9, 10
	s_mov_b32 s15, s13
	v_lshrrev_b32_e32 v12, 2, v0
	v_or_b32_e32 v9, 0x200, v0
	v_or_b32_e32 v10, 0x300, v0
	v_and_b32_e32 v11, 0xf8, v0
	s_mov_b32 s19, -1
	s_wait_kmcnt 0x0
	s_load_b64 s[10:11], s[10:11], 0x0
	s_lshl_b32 s14, s16, 10
	s_add_co_i32 s16, s16, -1
	s_add_nc_u64 s[14:15], s[6:7], s[14:15]
	s_lshl_b32 s17, s16, 10
	v_cmp_le_u64_e64 s14, s[2:3], s[14:15]
	s_add_co_i32 s3, s6, s17
	s_cmp_eq_u32 ttmp9, s16
	s_add_nc_u64 s[4:5], s[6:7], s[4:5]
	s_cselect_b32 s16, -1, 0
	s_delay_alu instid0(SALU_CYCLE_1) | instskip(SKIP_2) | instid1(SALU_CYCLE_1)
	s_and_b32 s14, s16, s14
	s_wait_alu 0xfffe
	s_xor_b32 s17, s14, -1
	s_and_b32 vcc_lo, exec_lo, s17
	s_cbranch_vccz .LBB191_2
; %bb.1:
	v_or_b32_e32 v7, 0x100, v0
	v_or_b32_e32 v1, s12, v0
	v_lshrrev_b32_e32 v8, 2, v9
	v_lshrrev_b32_e32 v13, 2, v10
	v_and_b32_e32 v14, 56, v12
	v_lshrrev_b32_e32 v7, 2, v7
	v_add_co_u32 v1, s14, s4, v1
	s_wait_alu 0xf1ff
	v_add_co_ci_u32_e64 v2, null, s5, 0, s14
	v_lshlrev_b32_e32 v15, 3, v0
	v_and_b32_e32 v16, 0x78, v7
	v_add_co_u32 v3, vcc_lo, 0x100, v1
	v_and_b32_e32 v17, 0xb8, v8
	v_and_b32_e32 v13, 0xf8, v13
	v_add_co_ci_u32_e64 v4, null, 0, v2, vcc_lo
	v_add_co_u32 v5, vcc_lo, 0x200, v1
	v_add_nc_u32_e32 v14, v14, v15
	s_wait_alu 0xfffd
	v_add_co_ci_u32_e64 v6, null, 0, v2, vcc_lo
	v_add_co_u32 v7, vcc_lo, 0x300, v1
	v_add_nc_u32_e32 v16, v16, v15
	v_add_nc_u32_e32 v17, v17, v15
	s_wait_alu 0xfffd
	v_add_co_ci_u32_e64 v8, null, 0, v2, vcc_lo
	v_add_nc_u32_e32 v13, v13, v15
	ds_store_b64 v14, v[1:2]
	ds_store_b64 v16, v[3:4] offset:2048
	ds_store_b64 v17, v[5:6] offset:4096
	ds_store_b64 v13, v[7:8] offset:6144
	v_lshl_add_u32 v1, v0, 5, v11
	s_wait_dscnt 0x0
	s_barrier_signal -1
	s_barrier_wait -1
	global_inv scope:SCOPE_SE
	ds_load_2addr_b64 v[5:8], v1 offset1:1
	ds_load_2addr_b64 v[1:4], v1 offset0:2 offset1:3
	s_mov_b32 s19, s13
	s_branch .LBB191_3
.LBB191_2:
                                        ; implicit-def: $vgpr3_vgpr4
                                        ; implicit-def: $vgpr7_vgpr8
.LBB191_3:
	s_load_b64 s[14:15], s[0:1], 0x20
	s_sub_co_i32 s18, s2, s3
	s_and_not1_b32 vcc_lo, exec_lo, s19
	v_cmp_gt_u32_e64 s2, s18, v0
	s_wait_alu 0xfffe
	s_cbranch_vccnz .LBB191_5
; %bb.4:
	s_wait_dscnt 0x1
	v_or_b32_e32 v7, 0x100, v0
	s_add_nc_u64 s[4:5], s[4:5], s[12:13]
	v_lshrrev_b32_e32 v14, 2, v9
	s_wait_dscnt 0x0
	s_wait_alu 0xfffe
	v_add_co_u32 v1, s3, s4, v0
	s_wait_alu 0xf1ff
	v_add_co_ci_u32_e64 v2, null, s5, 0, s3
	v_add_co_u32 v3, s3, s4, v7
	s_wait_alu 0xf1ff
	v_add_co_ci_u32_e64 v4, null, s5, 0, s3
	v_cmp_gt_u32_e32 vcc_lo, s18, v7
	v_add_co_u32 v13, s3, s4, v10
	s_wait_alu 0xf1ff
	v_add_co_ci_u32_e64 v8, null, s5, 0, s3
	s_wait_alu 0xfffd
	v_dual_cndmask_b32 v4, 0, v4 :: v_dual_cndmask_b32 v3, 0, v3
	v_cmp_gt_u32_e32 vcc_lo, s18, v10
	v_lshrrev_b32_e32 v7, 2, v7
	v_lshrrev_b32_e32 v15, 2, v10
	v_cndmask_b32_e64 v2, 0, v2, s2
	v_cndmask_b32_e64 v1, 0, v1, s2
	v_add_co_u32 v5, s2, s4, v9
	v_and_b32_e32 v12, 56, v12
	v_lshlrev_b32_e32 v16, 3, v0
	s_wait_alu 0xfffd
	v_dual_cndmask_b32 v8, 0, v8 :: v_dual_and_b32 v17, 0x78, v7
	s_wait_alu 0xf1ff
	v_add_co_ci_u32_e64 v6, null, s5, 0, s2
	v_cmp_gt_u32_e64 s2, s18, v9
	v_and_b32_e32 v14, 0xb8, v14
	v_and_b32_e32 v15, 0xf8, v15
	v_dual_cndmask_b32 v7, 0, v13 :: v_dual_add_nc_u32 v12, v12, v16
	v_add_nc_u32_e32 v13, v17, v16
	s_wait_alu 0xf1ff
	v_cndmask_b32_e64 v6, 0, v6, s2
	v_cndmask_b32_e64 v5, 0, v5, s2
	v_add_nc_u32_e32 v14, v14, v16
	v_add_nc_u32_e32 v15, v15, v16
	ds_store_b64 v12, v[1:2]
	ds_store_b64 v13, v[3:4] offset:2048
	ds_store_b64 v14, v[5:6] offset:4096
	;; [unrolled: 1-line block ×3, first 2 shown]
	v_lshl_add_u32 v1, v0, 5, v11
	s_wait_loadcnt_dscnt 0x0
	s_barrier_signal -1
	s_barrier_wait -1
	global_inv scope:SCOPE_SE
	ds_load_2addr_b64 v[5:8], v1 offset1:1
	ds_load_2addr_b64 v[1:4], v1 offset0:2 offset1:3
.LBB191_5:
	s_lshl_b64 s[2:3], s[6:7], 2
	v_lshlrev_b32_e32 v11, 2, v0
	v_lshrrev_b32_e32 v26, 5, v0
	s_wait_kmcnt 0x0
	s_wait_alu 0xfffe
	s_add_nc_u64 s[2:3], s[14:15], s[2:3]
	s_lshl_b64 s[4:5], s[12:13], 2
	s_and_b32 vcc_lo, exec_lo, s17
	s_wait_alu 0xfffe
	s_add_nc_u64 s[2:3], s[2:3], s[4:5]
	s_mov_b32 s4, -1
	s_wait_loadcnt_dscnt 0x0
	s_barrier_signal -1
	s_barrier_wait -1
	global_inv scope:SCOPE_SE
	s_cbranch_vccz .LBB191_7
; %bb.6:
	s_clause 0x3
	global_load_b32 v12, v11, s[2:3]
	global_load_b32 v13, v11, s[2:3] offset:1024
	global_load_b32 v14, v11, s[2:3] offset:2048
	;; [unrolled: 1-line block ×3, first 2 shown]
	v_or_b32_e32 v16, 0x100, v0
	v_lshrrev_b32_e32 v17, 5, v9
	v_lshrrev_b32_e32 v18, 5, v10
	v_and_b32_e32 v19, 4, v26
	s_mov_b32 s4, 0
	v_lshrrev_b32_e32 v16, 5, v16
	v_and_b32_e32 v17, 20, v17
	v_and_b32_e32 v18, 28, v18
	v_add_nc_u32_e32 v19, v19, v0
	s_delay_alu instid0(VALU_DEP_4) | instskip(NEXT) | instid1(VALU_DEP_4)
	v_and_b32_e32 v16, 12, v16
	v_add_nc_u32_e32 v17, v17, v0
	s_delay_alu instid0(VALU_DEP_4) | instskip(NEXT) | instid1(VALU_DEP_3)
	v_add_nc_u32_e32 v18, v18, v0
	v_add_nc_u32_e32 v16, v16, v0
	s_wait_loadcnt 0x3
	v_cmp_ne_u32_e32 vcc_lo, 0, v12
	s_wait_alu 0xfffd
	v_cndmask_b32_e64 v12, 0, 1, vcc_lo
	s_wait_loadcnt 0x2
	v_cmp_ne_u32_e32 vcc_lo, 0, v13
	s_wait_alu 0xfffd
	v_cndmask_b32_e64 v13, 0, 1, vcc_lo
	;; [unrolled: 4-line block ×4, first 2 shown]
	ds_store_b8 v19, v12
	ds_store_b8 v16, v13 offset:256
	ds_store_b8 v17, v14 offset:512
	;; [unrolled: 1-line block ×3, first 2 shown]
	s_wait_dscnt 0x0
	s_barrier_signal -1
	s_barrier_wait -1
.LBB191_7:
	s_wait_alu 0xfffe
	s_and_not1_b32 vcc_lo, exec_lo, s4
	s_wait_alu 0xfffe
	s_cbranch_vccnz .LBB191_15
; %bb.8:
	v_dual_mov_b32 v12, 0 :: v_dual_mov_b32 v13, 0
	s_mov_b32 s4, exec_lo
	v_cmpx_gt_u32_e64 s18, v0
	s_cbranch_execz .LBB191_10
; %bb.9:
	global_load_b32 v12, v11, s[2:3]
	s_wait_loadcnt 0x0
	v_cmp_ne_u32_e32 vcc_lo, 0, v12
	s_wait_alu 0xfffd
	v_cndmask_b32_e64 v12, 0, 1, vcc_lo
	v_cndmask_b32_e64 v13, 0, 1, vcc_lo
.LBB191_10:
	s_wait_alu 0xfffe
	s_or_b32 exec_lo, exec_lo, s4
	v_or_b32_e32 v14, 0x100, v0
	s_mov_b32 s4, exec_lo
	s_delay_alu instid0(VALU_DEP_1)
	v_cmpx_gt_u32_e64 s18, v14
	s_cbranch_execnz .LBB191_129
; %bb.11:
	s_wait_alu 0xfffe
	s_or_b32 exec_lo, exec_lo, s4
	s_delay_alu instid0(SALU_CYCLE_1)
	s_mov_b32 s4, exec_lo
	v_cmpx_gt_u32_e64 s18, v9
	s_cbranch_execnz .LBB191_130
.LBB191_12:
	s_wait_alu 0xfffe
	s_or_b32 exec_lo, exec_lo, s4
	s_delay_alu instid0(SALU_CYCLE_1)
	s_mov_b32 s4, exec_lo
	v_cmpx_gt_u32_e64 s18, v10
	s_cbranch_execz .LBB191_14
.LBB191_13:
	global_load_b32 v11, v11, s[2:3] offset:3072
	v_lshrrev_b32_e32 v15, 16, v13
	s_wait_loadcnt 0x0
	v_cmp_ne_u32_e32 vcc_lo, 0, v11
	s_wait_alu 0xfffd
	v_cndmask_b32_e64 v11, 0, 1, vcc_lo
	s_delay_alu instid0(VALU_DEP_1) | instskip(NEXT) | instid1(VALU_DEP_1)
	v_lshlrev_b16 v11, 8, v11
	v_or_b32_e32 v11, v15, v11
	s_delay_alu instid0(VALU_DEP_1) | instskip(NEXT) | instid1(VALU_DEP_1)
	v_lshlrev_b32_e32 v11, 16, v11
	v_and_or_b32 v13, 0xffff, v13, v11
.LBB191_14:
	s_wait_alu 0xfffe
	s_or_b32 exec_lo, exec_lo, s4
	v_lshrrev_b32_e32 v11, 5, v14
	v_lshrrev_b32_e32 v9, 5, v9
	;; [unrolled: 1-line block ×3, first 2 shown]
	v_and_b32_e32 v14, 4, v26
	v_lshrrev_b32_e32 v15, 8, v13
	v_and_b32_e32 v11, 12, v11
	v_and_b32_e32 v9, 28, v9
	;; [unrolled: 1-line block ×3, first 2 shown]
	v_add_nc_u32_e32 v14, v14, v0
	v_lshrrev_b32_e32 v16, 24, v13
	v_add_nc_u32_e32 v11, v11, v0
	v_add_nc_u32_e32 v9, v9, v0
	v_add_nc_u32_e32 v10, v10, v0
	ds_store_b8 v14, v12
	ds_store_b8 v11, v15 offset:256
	ds_store_b8_d16_hi v9, v13 offset:512
	ds_store_b8 v10, v16 offset:768
	s_wait_loadcnt_dscnt 0x0
	s_barrier_signal -1
	s_barrier_wait -1
.LBB191_15:
	v_lshrrev_b32_e32 v9, 3, v0
	s_wait_loadcnt 0x0
	global_inv scope:SCOPE_SE
	s_load_b64 s[6:7], s[0:1], 0x68
	v_mbcnt_lo_u32_b32 v31, -1, 0
	s_cmp_lg_u32 ttmp9, 0
	v_dual_mov_b32 v10, 0 :: v_dual_and_b32 v9, 28, v9
	s_mov_b32 s3, -1
	s_delay_alu instid0(VALU_DEP_2) | instskip(NEXT) | instid1(VALU_DEP_2)
	v_and_b32_e32 v32, 15, v31
	v_lshl_add_u32 v9, v0, 2, v9
	ds_load_b32 v27, v9
	s_wait_loadcnt_dscnt 0x0
	s_barrier_signal -1
	s_barrier_wait -1
	global_inv scope:SCOPE_SE
	v_and_b32_e32 v30, 0xff, v27
	v_bfe_u32 v29, v27, 8, 8
	v_bfe_u32 v28, v27, 16, 8
	v_lshrrev_b32_e32 v25, 24, v27
	s_delay_alu instid0(VALU_DEP_2) | instskip(NEXT) | instid1(VALU_DEP_1)
	v_add3_u32 v9, v29, v30, v28
	v_add_co_u32 v17, s2, v9, v25
	s_wait_alu 0xf1ff
	v_add_co_ci_u32_e64 v18, null, 0, 0, s2
	v_cmp_ne_u32_e64 s2, 0, v32
	s_cbranch_scc0 .LBB191_72
; %bb.16:
	v_mov_b32_e32 v11, v17
	v_mov_b32_dpp v9, v17 row_shr:1 row_mask:0xf bank_mask:0xf
	v_mov_b32_dpp v14, v10 row_shr:1 row_mask:0xf bank_mask:0xf
	v_dual_mov_b32 v13, v17 :: v_dual_mov_b32 v12, v18
	s_and_saveexec_b32 s3, s2
; %bb.17:
	s_delay_alu instid0(VALU_DEP_3) | instskip(SKIP_2) | instid1(VALU_DEP_2)
	v_add_co_u32 v13, vcc_lo, v17, v9
	s_wait_alu 0xfffd
	v_add_co_ci_u32_e64 v10, null, 0, v18, vcc_lo
	v_add_co_u32 v9, vcc_lo, 0, v13
	s_wait_alu 0xfffd
	s_delay_alu instid0(VALU_DEP_2) | instskip(NEXT) | instid1(VALU_DEP_1)
	v_add_co_ci_u32_e64 v10, null, v14, v10, vcc_lo
	v_dual_mov_b32 v12, v10 :: v_dual_mov_b32 v11, v9
; %bb.18:
	s_wait_alu 0xfffe
	s_or_b32 exec_lo, exec_lo, s3
	v_mov_b32_dpp v9, v13 row_shr:2 row_mask:0xf bank_mask:0xf
	v_mov_b32_dpp v14, v10 row_shr:2 row_mask:0xf bank_mask:0xf
	s_mov_b32 s3, exec_lo
	v_cmpx_lt_u32_e32 1, v32
; %bb.19:
	s_delay_alu instid0(VALU_DEP_3) | instskip(SKIP_2) | instid1(VALU_DEP_2)
	v_add_co_u32 v13, vcc_lo, v11, v9
	s_wait_alu 0xfffd
	v_add_co_ci_u32_e64 v10, null, 0, v12, vcc_lo
	v_add_co_u32 v9, vcc_lo, 0, v13
	s_wait_alu 0xfffd
	s_delay_alu instid0(VALU_DEP_2) | instskip(NEXT) | instid1(VALU_DEP_1)
	v_add_co_ci_u32_e64 v10, null, v14, v10, vcc_lo
	v_dual_mov_b32 v12, v10 :: v_dual_mov_b32 v11, v9
; %bb.20:
	s_wait_alu 0xfffe
	s_or_b32 exec_lo, exec_lo, s3
	v_mov_b32_dpp v9, v13 row_shr:4 row_mask:0xf bank_mask:0xf
	v_mov_b32_dpp v14, v10 row_shr:4 row_mask:0xf bank_mask:0xf
	s_mov_b32 s3, exec_lo
	v_cmpx_lt_u32_e32 3, v32
	;; [unrolled: 17-line block ×3, first 2 shown]
; %bb.23:
	s_delay_alu instid0(VALU_DEP_3) | instskip(SKIP_2) | instid1(VALU_DEP_2)
	v_add_co_u32 v13, vcc_lo, v11, v14
	s_wait_alu 0xfffd
	v_add_co_ci_u32_e64 v10, null, 0, v12, vcc_lo
	v_add_co_u32 v11, vcc_lo, 0, v13
	s_wait_alu 0xfffd
	s_delay_alu instid0(VALU_DEP_2) | instskip(NEXT) | instid1(VALU_DEP_1)
	v_add_co_ci_u32_e64 v12, null, v9, v10, vcc_lo
	v_mov_b32_e32 v10, v12
; %bb.24:
	s_wait_alu 0xfffe
	s_or_b32 exec_lo, exec_lo, s3
	ds_swizzle_b32 v9, v13 offset:swizzle(BROADCAST,32,15)
	ds_swizzle_b32 v14, v10 offset:swizzle(BROADCAST,32,15)
	v_and_b32_e32 v15, 16, v31
	s_mov_b32 s3, exec_lo
	s_delay_alu instid0(VALU_DEP_1)
	v_cmpx_ne_u32_e32 0, v15
	s_cbranch_execz .LBB191_26
; %bb.25:
	s_wait_dscnt 0x1
	v_add_co_u32 v13, vcc_lo, v11, v9
	s_wait_alu 0xfffd
	v_add_co_ci_u32_e64 v10, null, 0, v12, vcc_lo
	s_delay_alu instid0(VALU_DEP_2) | instskip(SKIP_2) | instid1(VALU_DEP_2)
	v_add_co_u32 v9, vcc_lo, 0, v13
	s_wait_dscnt 0x0
	s_wait_alu 0xfffd
	v_add_co_ci_u32_e64 v10, null, v14, v10, vcc_lo
	s_delay_alu instid0(VALU_DEP_1)
	v_dual_mov_b32 v12, v10 :: v_dual_mov_b32 v11, v9
.LBB191_26:
	s_wait_alu 0xfffe
	s_or_b32 exec_lo, exec_lo, s3
	s_wait_dscnt 0x1
	v_or_b32_e32 v9, 31, v0
	s_mov_b32 s3, exec_lo
	s_delay_alu instid0(VALU_DEP_1)
	v_cmpx_eq_u32_e64 v0, v9
; %bb.27:
	v_lshlrev_b32_e32 v9, 3, v26
	ds_store_b64 v9, v[11:12]
; %bb.28:
	s_wait_alu 0xfffe
	s_or_b32 exec_lo, exec_lo, s3
	s_delay_alu instid0(SALU_CYCLE_1)
	s_mov_b32 s3, exec_lo
	s_wait_loadcnt_dscnt 0x0
	s_barrier_signal -1
	s_barrier_wait -1
	global_inv scope:SCOPE_SE
	v_cmpx_gt_u32_e32 8, v0
	s_cbranch_execz .LBB191_36
; %bb.29:
	v_lshlrev_b32_e32 v9, 3, v0
	s_mov_b32 s4, exec_lo
	ds_load_b64 v[11:12], v9
	s_wait_dscnt 0x0
	v_dual_mov_b32 v15, v11 :: v_dual_and_b32 v14, 7, v31
	v_mov_b32_dpp v19, v11 row_shr:1 row_mask:0xf bank_mask:0xf
	v_mov_b32_dpp v16, v12 row_shr:1 row_mask:0xf bank_mask:0xf
	s_delay_alu instid0(VALU_DEP_3)
	v_cmpx_ne_u32_e32 0, v14
; %bb.30:
	s_delay_alu instid0(VALU_DEP_3) | instskip(SKIP_2) | instid1(VALU_DEP_2)
	v_add_co_u32 v15, vcc_lo, v11, v19
	s_wait_alu 0xfffd
	v_add_co_ci_u32_e64 v12, null, 0, v12, vcc_lo
	v_add_co_u32 v11, vcc_lo, 0, v15
	s_wait_alu 0xfffd
	s_delay_alu instid0(VALU_DEP_2)
	v_add_co_ci_u32_e64 v12, null, v16, v12, vcc_lo
; %bb.31:
	s_wait_alu 0xfffe
	s_or_b32 exec_lo, exec_lo, s4
	v_mov_b32_dpp v19, v15 row_shr:2 row_mask:0xf bank_mask:0xf
	s_delay_alu instid0(VALU_DEP_2)
	v_mov_b32_dpp v16, v12 row_shr:2 row_mask:0xf bank_mask:0xf
	s_mov_b32 s4, exec_lo
	v_cmpx_lt_u32_e32 1, v14
; %bb.32:
	s_delay_alu instid0(VALU_DEP_3) | instskip(SKIP_2) | instid1(VALU_DEP_2)
	v_add_co_u32 v15, vcc_lo, v11, v19
	s_wait_alu 0xfffd
	v_add_co_ci_u32_e64 v12, null, 0, v12, vcc_lo
	v_add_co_u32 v11, vcc_lo, 0, v15
	s_wait_alu 0xfffd
	s_delay_alu instid0(VALU_DEP_2)
	v_add_co_ci_u32_e64 v12, null, v16, v12, vcc_lo
; %bb.33:
	s_wait_alu 0xfffe
	s_or_b32 exec_lo, exec_lo, s4
	v_mov_b32_dpp v16, v15 row_shr:4 row_mask:0xf bank_mask:0xf
	s_delay_alu instid0(VALU_DEP_2)
	v_mov_b32_dpp v15, v12 row_shr:4 row_mask:0xf bank_mask:0xf
	s_mov_b32 s4, exec_lo
	v_cmpx_lt_u32_e32 3, v14
; %bb.34:
	s_delay_alu instid0(VALU_DEP_3) | instskip(SKIP_2) | instid1(VALU_DEP_2)
	v_add_co_u32 v11, vcc_lo, v11, v16
	s_wait_alu 0xfffd
	v_add_co_ci_u32_e64 v12, null, 0, v12, vcc_lo
	v_add_co_u32 v11, vcc_lo, v11, 0
	s_wait_alu 0xfffd
	s_delay_alu instid0(VALU_DEP_2)
	v_add_co_ci_u32_e64 v12, null, v12, v15, vcc_lo
; %bb.35:
	s_wait_alu 0xfffe
	s_or_b32 exec_lo, exec_lo, s4
	ds_store_b64 v9, v[11:12]
.LBB191_36:
	s_wait_alu 0xfffe
	s_or_b32 exec_lo, exec_lo, s3
	s_delay_alu instid0(SALU_CYCLE_1)
	s_mov_b32 s4, exec_lo
	v_cmp_gt_u32_e32 vcc_lo, 32, v0
	s_wait_loadcnt_dscnt 0x0
	s_barrier_signal -1
	s_barrier_wait -1
	global_inv scope:SCOPE_SE
                                        ; implicit-def: $vgpr19_vgpr20
	v_cmpx_lt_u32_e32 31, v0
	s_cbranch_execz .LBB191_38
; %bb.37:
	v_lshl_add_u32 v9, v26, 3, -8
	ds_load_b64 v[19:20], v9
	s_wait_dscnt 0x0
	v_add_co_u32 v13, s3, v13, v19
	s_wait_alu 0xf1ff
	v_add_co_ci_u32_e64 v10, null, v10, v20, s3
.LBB191_38:
	s_wait_alu 0xfffe
	s_or_b32 exec_lo, exec_lo, s4
	v_sub_co_u32 v9, s3, v31, 1
	s_delay_alu instid0(VALU_DEP_1) | instskip(SKIP_1) | instid1(VALU_DEP_1)
	v_cmp_gt_i32_e64 s4, 0, v9
	s_wait_alu 0xf1ff
	v_cndmask_b32_e64 v9, v9, v31, s4
	s_delay_alu instid0(VALU_DEP_1)
	v_lshlrev_b32_e32 v9, 2, v9
	ds_bpermute_b32 v33, v9, v13
	ds_bpermute_b32 v34, v9, v10
	s_and_saveexec_b32 s4, vcc_lo
	s_cbranch_execz .LBB191_77
; %bb.39:
	v_mov_b32_e32 v12, 0
	ds_load_b64 v[9:10], v12 offset:56
	s_and_saveexec_b32 s5, s3
	s_cbranch_execz .LBB191_41
; %bb.40:
	s_add_co_i32 s12, ttmp9, 32
	s_wait_alu 0xfffe
	s_lshl_b64 s[12:13], s[12:13], 4
	s_wait_kmcnt 0x0
	s_wait_alu 0xfffe
	s_add_nc_u64 s[12:13], s[6:7], s[12:13]
	s_wait_alu 0xfffe
	v_dual_mov_b32 v11, 1 :: v_dual_mov_b32 v14, s13
	v_mov_b32_e32 v13, s12
	s_wait_dscnt 0x0
	;;#ASMSTART
	global_store_b128 v[13:14], v[9:12] off scope:SCOPE_DEV	
s_wait_storecnt 0x0
	;;#ASMEND
.LBB191_41:
	s_wait_alu 0xfffe
	s_or_b32 exec_lo, exec_lo, s5
	v_xad_u32 v21, v31, -1, ttmp9
	s_mov_b32 s12, 0
	s_mov_b32 s5, exec_lo
	s_delay_alu instid0(VALU_DEP_1) | instskip(NEXT) | instid1(VALU_DEP_1)
	v_add_nc_u32_e32 v11, 32, v21
	v_lshlrev_b64_e32 v[11:12], 4, v[11:12]
	s_wait_kmcnt 0x0
	s_delay_alu instid0(VALU_DEP_1) | instskip(SKIP_1) | instid1(VALU_DEP_2)
	v_add_co_u32 v11, vcc_lo, s6, v11
	s_wait_alu 0xfffd
	v_add_co_ci_u32_e64 v12, null, s7, v12, vcc_lo
	;;#ASMSTART
	global_load_b128 v[13:16], v[11:12] off scope:SCOPE_DEV	
s_wait_loadcnt 0x0
	;;#ASMEND
	v_and_b32_e32 v16, 0xff, v15
	s_delay_alu instid0(VALU_DEP_1)
	v_cmpx_eq_u16_e32 0, v16
	s_cbranch_execz .LBB191_44
.LBB191_42:                             ; =>This Inner Loop Header: Depth=1
	;;#ASMSTART
	global_load_b128 v[13:16], v[11:12] off scope:SCOPE_DEV	
s_wait_loadcnt 0x0
	;;#ASMEND
	v_and_b32_e32 v16, 0xff, v15
	s_delay_alu instid0(VALU_DEP_1)
	v_cmp_ne_u16_e32 vcc_lo, 0, v16
	s_wait_alu 0xfffe
	s_or_b32 s12, vcc_lo, s12
	s_wait_alu 0xfffe
	s_and_not1_b32 exec_lo, exec_lo, s12
	s_cbranch_execnz .LBB191_42
; %bb.43:
	s_or_b32 exec_lo, exec_lo, s12
.LBB191_44:
	s_wait_alu 0xfffe
	s_or_b32 exec_lo, exec_lo, s5
	v_cmp_ne_u32_e32 vcc_lo, 31, v31
	v_and_b32_e32 v12, 0xff, v15
	v_lshlrev_b32_e64 v36, v31, -1
	s_mov_b32 s5, exec_lo
	s_wait_alu 0xfffd
	v_add_co_ci_u32_e64 v11, null, 0, v31, vcc_lo
	v_cmp_eq_u16_e32 vcc_lo, 2, v12
	s_delay_alu instid0(VALU_DEP_2)
	v_dual_mov_b32 v12, v13 :: v_dual_lshlrev_b32 v35, 2, v11
	s_wait_alu 0xfffd
	v_and_or_b32 v11, vcc_lo, v36, 0x80000000
	ds_bpermute_b32 v22, v35, v13
	ds_bpermute_b32 v16, v35, v14
	v_ctz_i32_b32_e32 v11, v11
	s_delay_alu instid0(VALU_DEP_1)
	v_cmpx_lt_u32_e64 v31, v11
	s_cbranch_execz .LBB191_46
; %bb.45:
	s_wait_dscnt 0x1
	v_add_co_u32 v12, vcc_lo, v13, v22
	s_wait_alu 0xfffd
	v_add_co_ci_u32_e64 v14, null, 0, v14, vcc_lo
	s_delay_alu instid0(VALU_DEP_2) | instskip(SKIP_2) | instid1(VALU_DEP_2)
	v_add_co_u32 v13, vcc_lo, 0, v12
	s_wait_dscnt 0x0
	s_wait_alu 0xfffd
	v_add_co_ci_u32_e64 v14, null, v16, v14, vcc_lo
.LBB191_46:
	s_wait_alu 0xfffe
	s_or_b32 exec_lo, exec_lo, s5
	v_cmp_gt_u32_e32 vcc_lo, 30, v31
	v_add_nc_u32_e32 v38, 2, v31
	s_mov_b32 s5, exec_lo
	s_wait_dscnt 0x0
	s_wait_alu 0xfffd
	v_cndmask_b32_e64 v16, 0, 2, vcc_lo
	s_delay_alu instid0(VALU_DEP_1)
	v_add_lshl_u32 v37, v16, v31, 2
	ds_bpermute_b32 v22, v37, v12
	ds_bpermute_b32 v16, v37, v14
	v_cmpx_le_u32_e64 v38, v11
	s_cbranch_execz .LBB191_48
; %bb.47:
	s_wait_dscnt 0x1
	v_add_co_u32 v12, vcc_lo, v13, v22
	s_wait_alu 0xfffd
	v_add_co_ci_u32_e64 v14, null, 0, v14, vcc_lo
	s_delay_alu instid0(VALU_DEP_2) | instskip(SKIP_2) | instid1(VALU_DEP_2)
	v_add_co_u32 v13, vcc_lo, 0, v12
	s_wait_dscnt 0x0
	s_wait_alu 0xfffd
	v_add_co_ci_u32_e64 v14, null, v16, v14, vcc_lo
.LBB191_48:
	s_wait_alu 0xfffe
	s_or_b32 exec_lo, exec_lo, s5
	v_cmp_gt_u32_e32 vcc_lo, 28, v31
	v_add_nc_u32_e32 v40, 4, v31
	s_mov_b32 s5, exec_lo
	s_wait_dscnt 0x0
	s_wait_alu 0xfffd
	v_cndmask_b32_e64 v16, 0, 4, vcc_lo
	s_delay_alu instid0(VALU_DEP_1)
	v_add_lshl_u32 v39, v16, v31, 2
	ds_bpermute_b32 v22, v39, v12
	ds_bpermute_b32 v16, v39, v14
	v_cmpx_le_u32_e64 v40, v11
	;; [unrolled: 25-line block ×3, first 2 shown]
	s_cbranch_execz .LBB191_52
; %bb.51:
	s_wait_dscnt 0x1
	v_add_co_u32 v12, vcc_lo, v13, v22
	s_wait_alu 0xfffd
	v_add_co_ci_u32_e64 v14, null, 0, v14, vcc_lo
	s_delay_alu instid0(VALU_DEP_2) | instskip(SKIP_2) | instid1(VALU_DEP_2)
	v_add_co_u32 v13, vcc_lo, 0, v12
	s_wait_dscnt 0x0
	s_wait_alu 0xfffd
	v_add_co_ci_u32_e64 v14, null, v16, v14, vcc_lo
.LBB191_52:
	s_wait_alu 0xfffe
	s_or_b32 exec_lo, exec_lo, s5
	v_lshl_or_b32 v43, v31, 2, 64
	v_add_nc_u32_e32 v44, 16, v31
	s_mov_b32 s5, exec_lo
	s_wait_dscnt 0x0
	ds_bpermute_b32 v16, v43, v12
	ds_bpermute_b32 v12, v43, v14
	v_cmpx_le_u32_e64 v44, v11
	s_cbranch_execz .LBB191_54
; %bb.53:
	s_wait_dscnt 0x1
	v_add_co_u32 v11, vcc_lo, v13, v16
	s_wait_alu 0xfffd
	v_add_co_ci_u32_e64 v14, null, 0, v14, vcc_lo
	s_delay_alu instid0(VALU_DEP_2) | instskip(SKIP_2) | instid1(VALU_DEP_2)
	v_add_co_u32 v13, vcc_lo, v11, 0
	s_wait_dscnt 0x0
	s_wait_alu 0xfffd
	v_add_co_ci_u32_e64 v14, null, v14, v12, vcc_lo
.LBB191_54:
	s_wait_alu 0xfffe
	s_or_b32 exec_lo, exec_lo, s5
	v_mov_b32_e32 v22, 0
	s_branch .LBB191_57
.LBB191_55:                             ;   in Loop: Header=BB191_57 Depth=1
	s_wait_alu 0xfffe
	s_or_b32 exec_lo, exec_lo, s5
	v_add_co_u32 v13, vcc_lo, v13, v11
	v_subrev_nc_u32_e32 v21, 32, v21
	s_wait_alu 0xfffd
	v_add_co_ci_u32_e64 v14, null, v14, v12, vcc_lo
	s_mov_b32 s5, 0
.LBB191_56:                             ;   in Loop: Header=BB191_57 Depth=1
	s_wait_alu 0xfffe
	s_and_b32 vcc_lo, exec_lo, s5
	s_wait_alu 0xfffe
	s_cbranch_vccnz .LBB191_73
.LBB191_57:                             ; =>This Loop Header: Depth=1
                                        ;     Child Loop BB191_60 Depth 2
	v_and_b32_e32 v11, 0xff, v15
	s_mov_b32 s5, -1
	s_delay_alu instid0(VALU_DEP_1)
	v_cmp_ne_u16_e32 vcc_lo, 2, v11
	s_wait_dscnt 0x0
	v_dual_mov_b32 v11, v13 :: v_dual_mov_b32 v12, v14
                                        ; implicit-def: $vgpr13_vgpr14
	s_cmp_lg_u32 vcc_lo, exec_lo
	s_cbranch_scc1 .LBB191_56
; %bb.58:                               ;   in Loop: Header=BB191_57 Depth=1
	v_lshlrev_b64_e32 v[13:14], 4, v[21:22]
	s_mov_b32 s5, exec_lo
	s_delay_alu instid0(VALU_DEP_1) | instskip(SKIP_1) | instid1(VALU_DEP_2)
	v_add_co_u32 v23, vcc_lo, s6, v13
	s_wait_alu 0xfffd
	v_add_co_ci_u32_e64 v24, null, s7, v14, vcc_lo
	;;#ASMSTART
	global_load_b128 v[13:16], v[23:24] off scope:SCOPE_DEV	
s_wait_loadcnt 0x0
	;;#ASMEND
	v_and_b32_e32 v16, 0xff, v15
	s_delay_alu instid0(VALU_DEP_1)
	v_cmpx_eq_u16_e32 0, v16
	s_cbranch_execz .LBB191_62
; %bb.59:                               ;   in Loop: Header=BB191_57 Depth=1
	s_mov_b32 s12, 0
.LBB191_60:                             ;   Parent Loop BB191_57 Depth=1
                                        ; =>  This Inner Loop Header: Depth=2
	;;#ASMSTART
	global_load_b128 v[13:16], v[23:24] off scope:SCOPE_DEV	
s_wait_loadcnt 0x0
	;;#ASMEND
	v_and_b32_e32 v16, 0xff, v15
	s_delay_alu instid0(VALU_DEP_1)
	v_cmp_ne_u16_e32 vcc_lo, 0, v16
	s_wait_alu 0xfffe
	s_or_b32 s12, vcc_lo, s12
	s_wait_alu 0xfffe
	s_and_not1_b32 exec_lo, exec_lo, s12
	s_cbranch_execnz .LBB191_60
; %bb.61:                               ;   in Loop: Header=BB191_57 Depth=1
	s_or_b32 exec_lo, exec_lo, s12
.LBB191_62:                             ;   in Loop: Header=BB191_57 Depth=1
	s_wait_alu 0xfffe
	s_or_b32 exec_lo, exec_lo, s5
	v_dual_mov_b32 v23, v13 :: v_dual_and_b32 v16, 0xff, v15
	ds_bpermute_b32 v45, v35, v13
	ds_bpermute_b32 v24, v35, v14
	s_mov_b32 s5, exec_lo
	v_cmp_eq_u16_e32 vcc_lo, 2, v16
	s_wait_alu 0xfffd
	v_and_or_b32 v16, vcc_lo, v36, 0x80000000
	s_delay_alu instid0(VALU_DEP_1) | instskip(NEXT) | instid1(VALU_DEP_1)
	v_ctz_i32_b32_e32 v16, v16
	v_cmpx_lt_u32_e64 v31, v16
	s_cbranch_execz .LBB191_64
; %bb.63:                               ;   in Loop: Header=BB191_57 Depth=1
	s_wait_dscnt 0x1
	v_add_co_u32 v23, vcc_lo, v13, v45
	s_wait_alu 0xfffd
	v_add_co_ci_u32_e64 v14, null, 0, v14, vcc_lo
	s_delay_alu instid0(VALU_DEP_2) | instskip(SKIP_2) | instid1(VALU_DEP_2)
	v_add_co_u32 v13, vcc_lo, 0, v23
	s_wait_dscnt 0x0
	s_wait_alu 0xfffd
	v_add_co_ci_u32_e64 v14, null, v24, v14, vcc_lo
.LBB191_64:                             ;   in Loop: Header=BB191_57 Depth=1
	s_wait_alu 0xfffe
	s_or_b32 exec_lo, exec_lo, s5
	s_wait_dscnt 0x1
	ds_bpermute_b32 v45, v37, v23
	s_wait_dscnt 0x1
	ds_bpermute_b32 v24, v37, v14
	s_mov_b32 s5, exec_lo
	v_cmpx_le_u32_e64 v38, v16
	s_cbranch_execz .LBB191_66
; %bb.65:                               ;   in Loop: Header=BB191_57 Depth=1
	s_wait_dscnt 0x1
	v_add_co_u32 v23, vcc_lo, v13, v45
	s_wait_alu 0xfffd
	v_add_co_ci_u32_e64 v14, null, 0, v14, vcc_lo
	s_delay_alu instid0(VALU_DEP_2) | instskip(SKIP_2) | instid1(VALU_DEP_2)
	v_add_co_u32 v13, vcc_lo, 0, v23
	s_wait_dscnt 0x0
	s_wait_alu 0xfffd
	v_add_co_ci_u32_e64 v14, null, v24, v14, vcc_lo
.LBB191_66:                             ;   in Loop: Header=BB191_57 Depth=1
	s_wait_alu 0xfffe
	s_or_b32 exec_lo, exec_lo, s5
	s_wait_dscnt 0x1
	ds_bpermute_b32 v45, v39, v23
	s_wait_dscnt 0x1
	ds_bpermute_b32 v24, v39, v14
	s_mov_b32 s5, exec_lo
	v_cmpx_le_u32_e64 v40, v16
	;; [unrolled: 20-line block ×3, first 2 shown]
	s_cbranch_execz .LBB191_70
; %bb.69:                               ;   in Loop: Header=BB191_57 Depth=1
	s_wait_dscnt 0x1
	v_add_co_u32 v23, vcc_lo, v13, v45
	s_wait_alu 0xfffd
	v_add_co_ci_u32_e64 v14, null, 0, v14, vcc_lo
	s_delay_alu instid0(VALU_DEP_2) | instskip(SKIP_2) | instid1(VALU_DEP_2)
	v_add_co_u32 v13, vcc_lo, 0, v23
	s_wait_dscnt 0x0
	s_wait_alu 0xfffd
	v_add_co_ci_u32_e64 v14, null, v24, v14, vcc_lo
.LBB191_70:                             ;   in Loop: Header=BB191_57 Depth=1
	s_wait_alu 0xfffe
	s_or_b32 exec_lo, exec_lo, s5
	s_wait_dscnt 0x0
	ds_bpermute_b32 v24, v43, v23
	ds_bpermute_b32 v23, v43, v14
	s_mov_b32 s5, exec_lo
	v_cmpx_le_u32_e64 v44, v16
	s_cbranch_execz .LBB191_55
; %bb.71:                               ;   in Loop: Header=BB191_57 Depth=1
	s_wait_dscnt 0x1
	v_add_co_u32 v13, vcc_lo, v13, v24
	s_wait_alu 0xfffd
	v_add_co_ci_u32_e64 v14, null, 0, v14, vcc_lo
	s_delay_alu instid0(VALU_DEP_2) | instskip(SKIP_2) | instid1(VALU_DEP_2)
	v_add_co_u32 v13, vcc_lo, v13, 0
	s_wait_dscnt 0x0
	s_wait_alu 0xfffd
	v_add_co_ci_u32_e64 v14, null, v14, v23, vcc_lo
	s_branch .LBB191_55
.LBB191_72:
                                        ; implicit-def: $vgpr15_vgpr16
                                        ; implicit-def: $vgpr13_vgpr14
                                        ; implicit-def: $vgpr19_vgpr20
                                        ; implicit-def: $vgpr21_vgpr22
                                        ; implicit-def: $vgpr11_vgpr12
	s_load_b64 s[4:5], s[0:1], 0x30
	s_and_b32 vcc_lo, exec_lo, s3
	s_wait_alu 0xfffe
	s_cbranch_vccnz .LBB191_78
	s_branch .LBB191_103
.LBB191_73:
	s_and_saveexec_b32 s5, s3
	s_cbranch_execz .LBB191_75
; %bb.74:
	s_add_co_i32 s12, ttmp9, 32
	s_mov_b32 s13, 0
	v_add_co_u32 v13, vcc_lo, v11, v9
	s_wait_alu 0xfffe
	s_lshl_b64 s[12:13], s[12:13], 4
	v_dual_mov_b32 v15, 2 :: v_dual_mov_b32 v16, 0
	s_wait_alu 0xfffe
	s_add_nc_u64 s[12:13], s[6:7], s[12:13]
	s_wait_alu 0xfffd
	v_add_co_ci_u32_e64 v14, null, v12, v10, vcc_lo
	s_wait_alu 0xfffe
	v_dual_mov_b32 v22, s13 :: v_dual_mov_b32 v21, s12
	;;#ASMSTART
	global_store_b128 v[21:22], v[13:16] off scope:SCOPE_DEV	
s_wait_storecnt 0x0
	;;#ASMEND
	ds_store_b128 v16, v[9:12] offset:8448
.LBB191_75:
	s_wait_alu 0xfffe
	s_or_b32 exec_lo, exec_lo, s5
	v_cmp_eq_u32_e32 vcc_lo, 0, v0
	s_and_b32 exec_lo, exec_lo, vcc_lo
; %bb.76:
	v_mov_b32_e32 v9, 0
	ds_store_b64 v9, v[11:12] offset:56
.LBB191_77:
	s_wait_alu 0xfffe
	s_or_b32 exec_lo, exec_lo, s4
	s_wait_dscnt 0x1
	v_cndmask_b32_e64 v10, v33, v19, s3
	v_cmp_ne_u32_e32 vcc_lo, 0, v0
	v_mov_b32_e32 v9, 0
	s_wait_loadcnt_dscnt 0x0
	s_barrier_signal -1
	s_barrier_wait -1
	global_inv scope:SCOPE_SE
	s_wait_alu 0xfffd
	v_cndmask_b32_e32 v16, 0, v10, vcc_lo
	ds_load_b64 v[13:14], v9 offset:56
	v_cndmask_b32_e64 v11, v34, v20, s3
	s_wait_loadcnt_dscnt 0x0
	s_barrier_signal -1
	s_barrier_wait -1
	global_inv scope:SCOPE_SE
	v_cndmask_b32_e32 v15, 0, v11, vcc_lo
	ds_load_b128 v[9:12], v9 offset:8448
	v_add_co_u32 v21, vcc_lo, v13, v16
	s_wait_alu 0xfffd
	v_add_co_ci_u32_e64 v22, null, v14, v15, vcc_lo
	s_delay_alu instid0(VALU_DEP_2) | instskip(SKIP_1) | instid1(VALU_DEP_2)
	v_add_co_u32 v19, vcc_lo, v21, v30
	s_wait_alu 0xfffd
	v_add_co_ci_u32_e64 v20, null, 0, v22, vcc_lo
	s_delay_alu instid0(VALU_DEP_2) | instskip(SKIP_1) | instid1(VALU_DEP_2)
	;; [unrolled: 4-line block ×3, first 2 shown]
	v_add_co_u32 v15, vcc_lo, v13, v28
	s_wait_alu 0xfffd
	v_add_co_ci_u32_e64 v16, null, 0, v14, vcc_lo
	s_load_b64 s[4:5], s[0:1], 0x30
	s_branch .LBB191_103
.LBB191_78:
	s_wait_dscnt 0x0
	v_dual_mov_b32 v10, 0 :: v_dual_mov_b32 v11, v17
	v_mov_b32_dpp v12, v17 row_shr:1 row_mask:0xf bank_mask:0xf
	s_delay_alu instid0(VALU_DEP_2)
	v_mov_b32_dpp v9, v10 row_shr:1 row_mask:0xf bank_mask:0xf
	s_and_saveexec_b32 s0, s2
; %bb.79:
	s_delay_alu instid0(VALU_DEP_2) | instskip(SKIP_2) | instid1(VALU_DEP_2)
	v_add_co_u32 v11, vcc_lo, v17, v12
	s_wait_alu 0xfffd
	v_add_co_ci_u32_e64 v10, null, 0, v18, vcc_lo
	v_add_co_u32 v17, vcc_lo, 0, v11
	s_wait_alu 0xfffd
	s_delay_alu instid0(VALU_DEP_2) | instskip(NEXT) | instid1(VALU_DEP_1)
	v_add_co_ci_u32_e64 v18, null, v9, v10, vcc_lo
	v_mov_b32_e32 v10, v18
; %bb.80:
	s_or_b32 exec_lo, exec_lo, s0
	v_mov_b32_dpp v9, v11 row_shr:2 row_mask:0xf bank_mask:0xf
	s_delay_alu instid0(VALU_DEP_2)
	v_mov_b32_dpp v12, v10 row_shr:2 row_mask:0xf bank_mask:0xf
	s_mov_b32 s0, exec_lo
	v_cmpx_lt_u32_e32 1, v32
; %bb.81:
	s_delay_alu instid0(VALU_DEP_3) | instskip(SKIP_2) | instid1(VALU_DEP_2)
	v_add_co_u32 v11, vcc_lo, v17, v9
	s_wait_alu 0xfffd
	v_add_co_ci_u32_e64 v10, null, 0, v18, vcc_lo
	v_add_co_u32 v9, vcc_lo, 0, v11
	s_wait_alu 0xfffd
	s_delay_alu instid0(VALU_DEP_2) | instskip(NEXT) | instid1(VALU_DEP_1)
	v_add_co_ci_u32_e64 v10, null, v12, v10, vcc_lo
	v_dual_mov_b32 v18, v10 :: v_dual_mov_b32 v17, v9
; %bb.82:
	s_or_b32 exec_lo, exec_lo, s0
	v_mov_b32_dpp v9, v11 row_shr:4 row_mask:0xf bank_mask:0xf
	v_mov_b32_dpp v12, v10 row_shr:4 row_mask:0xf bank_mask:0xf
	s_mov_b32 s0, exec_lo
	v_cmpx_lt_u32_e32 3, v32
; %bb.83:
	s_delay_alu instid0(VALU_DEP_3) | instskip(SKIP_2) | instid1(VALU_DEP_2)
	v_add_co_u32 v11, vcc_lo, v17, v9
	s_wait_alu 0xfffd
	v_add_co_ci_u32_e64 v10, null, 0, v18, vcc_lo
	v_add_co_u32 v9, vcc_lo, 0, v11
	s_wait_alu 0xfffd
	s_delay_alu instid0(VALU_DEP_2) | instskip(NEXT) | instid1(VALU_DEP_1)
	v_add_co_ci_u32_e64 v10, null, v12, v10, vcc_lo
	v_dual_mov_b32 v18, v10 :: v_dual_mov_b32 v17, v9
; %bb.84:
	s_or_b32 exec_lo, exec_lo, s0
	v_mov_b32_dpp v12, v11 row_shr:8 row_mask:0xf bank_mask:0xf
	v_mov_b32_dpp v9, v10 row_shr:8 row_mask:0xf bank_mask:0xf
	s_mov_b32 s0, exec_lo
	v_cmpx_lt_u32_e32 7, v32
; %bb.85:
	s_delay_alu instid0(VALU_DEP_3) | instskip(SKIP_2) | instid1(VALU_DEP_2)
	v_add_co_u32 v11, vcc_lo, v17, v12
	s_wait_alu 0xfffd
	v_add_co_ci_u32_e64 v10, null, 0, v18, vcc_lo
	v_add_co_u32 v17, vcc_lo, 0, v11
	s_wait_alu 0xfffd
	s_delay_alu instid0(VALU_DEP_2) | instskip(NEXT) | instid1(VALU_DEP_1)
	v_add_co_ci_u32_e64 v18, null, v9, v10, vcc_lo
	v_mov_b32_e32 v10, v18
; %bb.86:
	s_or_b32 exec_lo, exec_lo, s0
	ds_swizzle_b32 v11, v11 offset:swizzle(BROADCAST,32,15)
	ds_swizzle_b32 v9, v10 offset:swizzle(BROADCAST,32,15)
	v_and_b32_e32 v10, 16, v31
	s_mov_b32 s0, exec_lo
	s_delay_alu instid0(VALU_DEP_1)
	v_cmpx_ne_u32_e32 0, v10
	s_cbranch_execz .LBB191_88
; %bb.87:
	s_wait_dscnt 0x1
	v_add_co_u32 v10, vcc_lo, v17, v11
	s_wait_alu 0xfffd
	v_add_co_ci_u32_e64 v11, null, 0, v18, vcc_lo
	s_delay_alu instid0(VALU_DEP_2) | instskip(SKIP_2) | instid1(VALU_DEP_2)
	v_add_co_u32 v17, vcc_lo, v10, 0
	s_wait_dscnt 0x0
	s_wait_alu 0xfffd
	v_add_co_ci_u32_e64 v18, null, v11, v9, vcc_lo
.LBB191_88:
	s_or_b32 exec_lo, exec_lo, s0
	s_wait_dscnt 0x0
	v_or_b32_e32 v9, 31, v0
	s_mov_b32 s0, exec_lo
	s_delay_alu instid0(VALU_DEP_1)
	v_cmpx_eq_u32_e64 v0, v9
; %bb.89:
	v_lshlrev_b32_e32 v9, 3, v26
	ds_store_b64 v9, v[17:18]
; %bb.90:
	s_or_b32 exec_lo, exec_lo, s0
	s_delay_alu instid0(SALU_CYCLE_1)
	s_mov_b32 s0, exec_lo
	s_wait_loadcnt_dscnt 0x0
	s_barrier_signal -1
	s_barrier_wait -1
	global_inv scope:SCOPE_SE
	v_cmpx_gt_u32_e32 8, v0
	s_cbranch_execz .LBB191_98
; %bb.91:
	v_lshlrev_b32_e32 v11, 3, v0
	s_mov_b32 s1, exec_lo
	ds_load_b64 v[9:10], v11
	s_wait_dscnt 0x0
	v_dual_mov_b32 v13, v9 :: v_dual_and_b32 v12, 7, v31
	v_mov_b32_dpp v15, v9 row_shr:1 row_mask:0xf bank_mask:0xf
	v_mov_b32_dpp v14, v10 row_shr:1 row_mask:0xf bank_mask:0xf
	s_delay_alu instid0(VALU_DEP_3)
	v_cmpx_ne_u32_e32 0, v12
; %bb.92:
	s_delay_alu instid0(VALU_DEP_3) | instskip(SKIP_2) | instid1(VALU_DEP_2)
	v_add_co_u32 v13, vcc_lo, v9, v15
	s_wait_alu 0xfffd
	v_add_co_ci_u32_e64 v10, null, 0, v10, vcc_lo
	v_add_co_u32 v9, vcc_lo, 0, v13
	s_wait_alu 0xfffd
	s_delay_alu instid0(VALU_DEP_2)
	v_add_co_ci_u32_e64 v10, null, v14, v10, vcc_lo
; %bb.93:
	s_or_b32 exec_lo, exec_lo, s1
	v_mov_b32_dpp v15, v13 row_shr:2 row_mask:0xf bank_mask:0xf
	s_delay_alu instid0(VALU_DEP_2)
	v_mov_b32_dpp v14, v10 row_shr:2 row_mask:0xf bank_mask:0xf
	s_mov_b32 s1, exec_lo
	v_cmpx_lt_u32_e32 1, v12
; %bb.94:
	s_delay_alu instid0(VALU_DEP_3) | instskip(SKIP_2) | instid1(VALU_DEP_2)
	v_add_co_u32 v13, vcc_lo, v9, v15
	s_wait_alu 0xfffd
	v_add_co_ci_u32_e64 v10, null, 0, v10, vcc_lo
	v_add_co_u32 v9, vcc_lo, 0, v13
	s_wait_alu 0xfffd
	s_delay_alu instid0(VALU_DEP_2)
	v_add_co_ci_u32_e64 v10, null, v14, v10, vcc_lo
; %bb.95:
	s_or_b32 exec_lo, exec_lo, s1
	v_mov_b32_dpp v14, v13 row_shr:4 row_mask:0xf bank_mask:0xf
	s_delay_alu instid0(VALU_DEP_2)
	v_mov_b32_dpp v13, v10 row_shr:4 row_mask:0xf bank_mask:0xf
	s_mov_b32 s1, exec_lo
	v_cmpx_lt_u32_e32 3, v12
; %bb.96:
	s_delay_alu instid0(VALU_DEP_3) | instskip(SKIP_2) | instid1(VALU_DEP_2)
	v_add_co_u32 v9, vcc_lo, v9, v14
	s_wait_alu 0xfffd
	v_add_co_ci_u32_e64 v10, null, 0, v10, vcc_lo
	v_add_co_u32 v9, vcc_lo, v9, 0
	s_wait_alu 0xfffd
	s_delay_alu instid0(VALU_DEP_2)
	v_add_co_ci_u32_e64 v10, null, v10, v13, vcc_lo
; %bb.97:
	s_or_b32 exec_lo, exec_lo, s1
	ds_store_b64 v11, v[9:10]
.LBB191_98:
	s_or_b32 exec_lo, exec_lo, s0
	v_mov_b32_e32 v13, 0
	v_mov_b32_e32 v14, 0
	s_mov_b32 s0, exec_lo
	s_wait_loadcnt_dscnt 0x0
	s_barrier_signal -1
	s_barrier_wait -1
	global_inv scope:SCOPE_SE
	v_cmpx_lt_u32_e32 31, v0
; %bb.99:
	v_lshl_add_u32 v9, v26, 3, -8
	ds_load_b64 v[13:14], v9
; %bb.100:
	s_or_b32 exec_lo, exec_lo, s0
	v_sub_co_u32 v9, vcc_lo, v31, 1
	v_mov_b32_e32 v12, 0
	s_delay_alu instid0(VALU_DEP_2) | instskip(NEXT) | instid1(VALU_DEP_1)
	v_cmp_gt_i32_e64 s0, 0, v9
	v_cndmask_b32_e64 v9, v9, v31, s0
	s_wait_dscnt 0x0
	v_add_co_u32 v10, s0, v13, v17
	s_wait_alu 0xf1ff
	v_add_co_ci_u32_e64 v11, null, v14, v18, s0
	v_lshlrev_b32_e32 v9, 2, v9
	v_cmp_eq_u32_e64 s0, 0, v0
	ds_bpermute_b32 v15, v9, v10
	ds_bpermute_b32 v16, v9, v11
	ds_load_b64 v[9:10], v12 offset:56
	s_and_saveexec_b32 s1, s0
	s_cbranch_execz .LBB191_102
; %bb.101:
	s_wait_kmcnt 0x0
	s_add_nc_u64 s[2:3], s[6:7], 0x200
	s_wait_alu 0xfffe
	v_dual_mov_b32 v11, 2 :: v_dual_mov_b32 v18, s3
	v_mov_b32_e32 v17, s2
	s_wait_dscnt 0x0
	;;#ASMSTART
	global_store_b128 v[17:18], v[9:12] off scope:SCOPE_DEV	
s_wait_storecnt 0x0
	;;#ASMEND
.LBB191_102:
	s_wait_alu 0xfffe
	s_or_b32 exec_lo, exec_lo, s1
	s_wait_dscnt 0x1
	s_wait_alu 0xfffd
	v_dual_cndmask_b32 v11, v15, v13 :: v_dual_cndmask_b32 v12, v16, v14
	s_wait_loadcnt_dscnt 0x0
	s_barrier_signal -1
	s_barrier_wait -1
	s_delay_alu instid0(VALU_DEP_1)
	v_cndmask_b32_e64 v21, v11, 0, s0
	v_cndmask_b32_e64 v22, v12, 0, s0
	v_mov_b32_e32 v11, 0
	v_mov_b32_e32 v12, 0
	global_inv scope:SCOPE_SE
	v_add_co_u32 v19, vcc_lo, v21, v30
	s_wait_alu 0xfffd
	v_add_co_ci_u32_e64 v20, null, 0, v22, vcc_lo
	s_delay_alu instid0(VALU_DEP_2) | instskip(SKIP_1) | instid1(VALU_DEP_2)
	v_add_co_u32 v13, vcc_lo, v19, v29
	s_wait_alu 0xfffd
	v_add_co_ci_u32_e64 v14, null, 0, v20, vcc_lo
	s_delay_alu instid0(VALU_DEP_2) | instskip(SKIP_1) | instid1(VALU_DEP_2)
	v_add_co_u32 v15, vcc_lo, v13, v28
	s_wait_alu 0xfffd
	v_add_co_ci_u32_e64 v16, null, 0, v14, vcc_lo
.LBB191_103:
	v_and_b32_e32 v26, 1, v27
	s_wait_dscnt 0x0
	v_cmp_gt_u64_e32 vcc_lo, 0x101, v[9:10]
	v_lshrrev_b32_e32 v23, 16, v27
	v_lshrrev_b32_e32 v24, 8, v27
	s_mov_b32 s1, -1
	v_cmp_eq_u32_e64 s0, 1, v26
	s_cbranch_vccnz .LBB191_107
; %bb.104:
	s_wait_alu 0xfffe
	s_and_b32 vcc_lo, exec_lo, s1
	s_wait_alu 0xfffe
	s_cbranch_vccnz .LBB191_116
.LBB191_105:
	v_cmp_eq_u32_e32 vcc_lo, 0, v0
	s_and_b32 s0, vcc_lo, s16
	s_wait_alu 0xfffe
	s_and_saveexec_b32 s1, s0
	s_cbranch_execnz .LBB191_128
.LBB191_106:
	s_endpgm
.LBB191_107:
	v_add_co_u32 v17, vcc_lo, v11, v9
	s_wait_alu 0xfffd
	v_add_co_ci_u32_e64 v18, null, v12, v10, vcc_lo
	s_delay_alu instid0(VALU_DEP_1)
	v_cmp_lt_u64_e32 vcc_lo, v[21:22], v[17:18]
	s_or_b32 s1, s17, vcc_lo
	s_wait_alu 0xfffe
	s_and_b32 s1, s1, s0
	s_wait_alu 0xfffe
	s_and_saveexec_b32 s0, s1
	s_cbranch_execz .LBB191_109
; %bb.108:
	v_lshlrev_b64_e32 v[27:28], 3, v[21:22]
	s_lshl_b64 s[2:3], s[10:11], 3
	s_wait_kmcnt 0x0
	s_wait_alu 0xfffe
	s_add_nc_u64 s[2:3], s[4:5], s[2:3]
	s_wait_alu 0xfffe
	v_add_co_u32 v27, vcc_lo, s2, v27
	s_wait_alu 0xfffd
	v_add_co_ci_u32_e64 v28, null, s3, v28, vcc_lo
	global_store_b64 v[27:28], v[5:6], off
.LBB191_109:
	s_wait_alu 0xfffe
	s_or_b32 exec_lo, exec_lo, s0
	v_and_b32_e32 v22, 1, v24
	v_cmp_lt_u64_e32 vcc_lo, v[19:20], v[17:18]
	s_delay_alu instid0(VALU_DEP_2)
	v_cmp_eq_u32_e64 s0, 1, v22
	s_or_b32 s1, s17, vcc_lo
	s_wait_alu 0xfffe
	s_and_b32 s1, s1, s0
	s_wait_alu 0xfffe
	s_and_saveexec_b32 s0, s1
	s_cbranch_execz .LBB191_111
; %bb.110:
	v_lshlrev_b64_e32 v[27:28], 3, v[19:20]
	s_lshl_b64 s[2:3], s[10:11], 3
	s_wait_kmcnt 0x0
	s_wait_alu 0xfffe
	s_add_nc_u64 s[2:3], s[4:5], s[2:3]
	s_wait_alu 0xfffe
	v_add_co_u32 v27, vcc_lo, s2, v27
	s_wait_alu 0xfffd
	v_add_co_ci_u32_e64 v28, null, s3, v28, vcc_lo
	global_store_b64 v[27:28], v[7:8], off
.LBB191_111:
	s_wait_alu 0xfffe
	s_or_b32 exec_lo, exec_lo, s0
	v_and_b32_e32 v20, 1, v23
	v_cmp_lt_u64_e32 vcc_lo, v[13:14], v[17:18]
	s_delay_alu instid0(VALU_DEP_2)
	v_cmp_eq_u32_e64 s0, 1, v20
	;; [unrolled: 24-line block ×3, first 2 shown]
	s_or_b32 s1, s17, vcc_lo
	s_wait_alu 0xfffe
	s_and_b32 s1, s1, s0
	s_wait_alu 0xfffe
	s_and_saveexec_b32 s0, s1
	s_cbranch_execz .LBB191_115
; %bb.114:
	v_lshlrev_b64_e32 v[16:17], 3, v[15:16]
	s_lshl_b64 s[2:3], s[10:11], 3
	s_wait_kmcnt 0x0
	s_wait_alu 0xfffe
	s_add_nc_u64 s[2:3], s[4:5], s[2:3]
	s_wait_alu 0xfffe
	v_add_co_u32 v16, vcc_lo, s2, v16
	s_wait_alu 0xfffd
	v_add_co_ci_u32_e64 v17, null, s3, v17, vcc_lo
	global_store_b64 v[16:17], v[3:4], off
.LBB191_115:
	s_wait_alu 0xfffe
	s_or_b32 exec_lo, exec_lo, s0
	s_branch .LBB191_105
.LBB191_116:
	s_mov_b32 s0, exec_lo
	v_cmpx_eq_u32_e32 1, v26
; %bb.117:
	v_sub_nc_u32_e32 v14, v21, v11
	s_delay_alu instid0(VALU_DEP_1)
	v_lshlrev_b32_e32 v14, 3, v14
	ds_store_b64 v14, v[5:6]
; %bb.118:
	s_wait_alu 0xfffe
	s_or_b32 exec_lo, exec_lo, s0
	v_and_b32_e32 v5, 1, v24
	s_mov_b32 s0, exec_lo
	s_delay_alu instid0(VALU_DEP_1)
	v_cmpx_eq_u32_e32 1, v5
; %bb.119:
	v_sub_nc_u32_e32 v5, v19, v11
	s_delay_alu instid0(VALU_DEP_1)
	v_lshlrev_b32_e32 v5, 3, v5
	ds_store_b64 v5, v[7:8]
; %bb.120:
	s_wait_alu 0xfffe
	s_or_b32 exec_lo, exec_lo, s0
	v_and_b32_e32 v5, 1, v23
	s_mov_b32 s0, exec_lo
	s_delay_alu instid0(VALU_DEP_1)
	;; [unrolled: 12-line block ×3, first 2 shown]
	v_cmpx_eq_u32_e32 1, v1
; %bb.123:
	v_sub_nc_u32_e32 v1, v15, v11
	s_delay_alu instid0(VALU_DEP_1)
	v_lshlrev_b32_e32 v1, 3, v1
	ds_store_b64 v1, v[3:4]
; %bb.124:
	s_wait_alu 0xfffe
	s_or_b32 exec_lo, exec_lo, s0
	v_mov_b32_e32 v3, 0
	s_mov_b32 s1, exec_lo
	s_wait_storecnt 0x0
	s_wait_loadcnt_dscnt 0x0
	s_barrier_signal -1
	s_barrier_wait -1
	v_mov_b32_e32 v1, v3
	global_inv scope:SCOPE_SE
	v_cmpx_gt_u64_e64 v[9:10], v[0:1]
	s_cbranch_execz .LBB191_127
; %bb.125:
	v_lshlrev_b64_e32 v[4:5], 3, v[11:12]
	s_lshl_b64 s[2:3], s[10:11], 3
	v_or_b32_e32 v2, 0x100, v0
	s_wait_kmcnt 0x0
	s_delay_alu instid0(VALU_DEP_2) | instskip(SKIP_3) | instid1(VALU_DEP_2)
	v_add_co_u32 v4, vcc_lo, s4, v4
	s_wait_alu 0xfffd
	v_add_co_ci_u32_e64 v5, null, s5, v5, vcc_lo
	s_wait_alu 0xfffe
	v_add_co_u32 v6, vcc_lo, v4, s2
	s_wait_alu 0xfffd
	s_delay_alu instid0(VALU_DEP_2)
	v_add_co_ci_u32_e64 v7, null, s3, v5, vcc_lo
	v_dual_mov_b32 v5, v1 :: v_dual_mov_b32 v4, v0
	s_mov_b32 s2, 0
.LBB191_126:                            ; =>This Inner Loop Header: Depth=1
	s_delay_alu instid0(VALU_DEP_1) | instskip(NEXT) | instid1(VALU_DEP_2)
	v_lshlrev_b32_e32 v1, 3, v4
	v_lshlrev_b64_e32 v[15:16], 3, v[4:5]
	v_dual_mov_b32 v5, v3 :: v_dual_mov_b32 v4, v2
	v_cmp_le_u64_e32 vcc_lo, v[9:10], v[2:3]
	ds_load_b64 v[13:14], v1
	v_add_nc_u32_e32 v2, 0x100, v2
	v_add_co_u32 v15, s0, v6, v15
	s_wait_alu 0xf1ff
	v_add_co_ci_u32_e64 v16, null, v7, v16, s0
	s_wait_alu 0xfffe
	s_or_b32 s2, vcc_lo, s2
	s_wait_dscnt 0x0
	global_store_b64 v[15:16], v[13:14], off
	s_wait_alu 0xfffe
	s_and_not1_b32 exec_lo, exec_lo, s2
	s_cbranch_execnz .LBB191_126
.LBB191_127:
	s_wait_alu 0xfffe
	s_or_b32 exec_lo, exec_lo, s1
	v_cmp_eq_u32_e32 vcc_lo, 0, v0
	s_and_b32 s0, vcc_lo, s16
	s_wait_alu 0xfffe
	s_and_saveexec_b32 s1, s0
	s_cbranch_execz .LBB191_106
.LBB191_128:
	v_add_co_u32 v0, vcc_lo, v11, v9
	s_wait_alu 0xfffd
	v_add_co_ci_u32_e64 v1, null, v12, v10, vcc_lo
	v_mov_b32_e32 v2, 0
	s_delay_alu instid0(VALU_DEP_3) | instskip(SKIP_1) | instid1(VALU_DEP_3)
	v_add_co_u32 v0, vcc_lo, v0, s10
	s_wait_alu 0xfffd
	v_add_co_ci_u32_e64 v1, null, s11, v1, vcc_lo
	global_store_b64 v2, v[0:1], s[8:9]
	s_endpgm
.LBB191_129:
	global_load_b32 v15, v11, s[2:3] offset:1024
	s_wait_loadcnt 0x0
	v_cmp_ne_u32_e32 vcc_lo, 0, v15
	s_wait_alu 0xfffd
	v_cndmask_b32_e64 v15, 0, 1, vcc_lo
	s_delay_alu instid0(VALU_DEP_1) | instskip(NEXT) | instid1(VALU_DEP_1)
	v_lshlrev_b16 v15, 8, v15
	v_or_b32_e32 v13, v13, v15
	s_delay_alu instid0(VALU_DEP_1) | instskip(SKIP_2) | instid1(SALU_CYCLE_1)
	v_and_b32_e32 v13, 0xffff, v13
	s_wait_alu 0xfffe
	s_or_b32 exec_lo, exec_lo, s4
	s_mov_b32 s4, exec_lo
	v_cmpx_gt_u32_e64 s18, v9
	s_cbranch_execz .LBB191_12
.LBB191_130:
	global_load_b32 v15, v11, s[2:3] offset:2048
	s_wait_loadcnt 0x0
	v_cmp_ne_u32_e32 vcc_lo, 0, v15
	s_wait_alu 0xfffd
	v_cndmask_b32_e64 v15, 0, 1, vcc_lo
	s_delay_alu instid0(VALU_DEP_1) | instskip(SKIP_2) | instid1(SALU_CYCLE_1)
	v_lshl_or_b32 v13, v15, 16, v13
	s_wait_alu 0xfffe
	s_or_b32 exec_lo, exec_lo, s4
	s_mov_b32 s4, exec_lo
	v_cmpx_gt_u32_e64 s18, v10
	s_cbranch_execnz .LBB191_13
	s_branch .LBB191_14
	.section	.rodata,"a",@progbits
	.p2align	6, 0x0
	.amdhsa_kernel _ZN7rocprim17ROCPRIM_400000_NS6detail17trampoline_kernelINS0_14default_configENS1_25partition_config_selectorILNS1_17partition_subalgoE5ElNS0_10empty_typeEbEEZZNS1_14partition_implILS5_5ELb0ES3_mN6hipcub16HIPCUB_304000_NS21CountingInputIteratorIllEEPS6_NSA_22TransformInputIteratorIbN2at6native12_GLOBAL__N_19NonZeroOpIiEEPKilEENS0_5tupleIJPlS6_EEENSN_IJSD_SD_EEES6_PiJS6_EEE10hipError_tPvRmT3_T4_T5_T6_T7_T9_mT8_P12ihipStream_tbDpT10_ENKUlT_T0_E_clISt17integral_constantIbLb0EES1B_EEDaS16_S17_EUlS16_E_NS1_11comp_targetILNS1_3genE10ELNS1_11target_archE1200ELNS1_3gpuE4ELNS1_3repE0EEENS1_30default_config_static_selectorELNS0_4arch9wavefront6targetE0EEEvT1_
		.amdhsa_group_segment_fixed_size 8464
		.amdhsa_private_segment_fixed_size 0
		.amdhsa_kernarg_size 120
		.amdhsa_user_sgpr_count 2
		.amdhsa_user_sgpr_dispatch_ptr 0
		.amdhsa_user_sgpr_queue_ptr 0
		.amdhsa_user_sgpr_kernarg_segment_ptr 1
		.amdhsa_user_sgpr_dispatch_id 0
		.amdhsa_user_sgpr_private_segment_size 0
		.amdhsa_wavefront_size32 1
		.amdhsa_uses_dynamic_stack 0
		.amdhsa_enable_private_segment 0
		.amdhsa_system_sgpr_workgroup_id_x 1
		.amdhsa_system_sgpr_workgroup_id_y 0
		.amdhsa_system_sgpr_workgroup_id_z 0
		.amdhsa_system_sgpr_workgroup_info 0
		.amdhsa_system_vgpr_workitem_id 0
		.amdhsa_next_free_vgpr 46
		.amdhsa_next_free_sgpr 20
		.amdhsa_reserve_vcc 1
		.amdhsa_float_round_mode_32 0
		.amdhsa_float_round_mode_16_64 0
		.amdhsa_float_denorm_mode_32 3
		.amdhsa_float_denorm_mode_16_64 3
		.amdhsa_fp16_overflow 0
		.amdhsa_workgroup_processor_mode 1
		.amdhsa_memory_ordered 1
		.amdhsa_forward_progress 1
		.amdhsa_inst_pref_size 54
		.amdhsa_round_robin_scheduling 0
		.amdhsa_exception_fp_ieee_invalid_op 0
		.amdhsa_exception_fp_denorm_src 0
		.amdhsa_exception_fp_ieee_div_zero 0
		.amdhsa_exception_fp_ieee_overflow 0
		.amdhsa_exception_fp_ieee_underflow 0
		.amdhsa_exception_fp_ieee_inexact 0
		.amdhsa_exception_int_div_zero 0
	.end_amdhsa_kernel
	.section	.text._ZN7rocprim17ROCPRIM_400000_NS6detail17trampoline_kernelINS0_14default_configENS1_25partition_config_selectorILNS1_17partition_subalgoE5ElNS0_10empty_typeEbEEZZNS1_14partition_implILS5_5ELb0ES3_mN6hipcub16HIPCUB_304000_NS21CountingInputIteratorIllEEPS6_NSA_22TransformInputIteratorIbN2at6native12_GLOBAL__N_19NonZeroOpIiEEPKilEENS0_5tupleIJPlS6_EEENSN_IJSD_SD_EEES6_PiJS6_EEE10hipError_tPvRmT3_T4_T5_T6_T7_T9_mT8_P12ihipStream_tbDpT10_ENKUlT_T0_E_clISt17integral_constantIbLb0EES1B_EEDaS16_S17_EUlS16_E_NS1_11comp_targetILNS1_3genE10ELNS1_11target_archE1200ELNS1_3gpuE4ELNS1_3repE0EEENS1_30default_config_static_selectorELNS0_4arch9wavefront6targetE0EEEvT1_,"axG",@progbits,_ZN7rocprim17ROCPRIM_400000_NS6detail17trampoline_kernelINS0_14default_configENS1_25partition_config_selectorILNS1_17partition_subalgoE5ElNS0_10empty_typeEbEEZZNS1_14partition_implILS5_5ELb0ES3_mN6hipcub16HIPCUB_304000_NS21CountingInputIteratorIllEEPS6_NSA_22TransformInputIteratorIbN2at6native12_GLOBAL__N_19NonZeroOpIiEEPKilEENS0_5tupleIJPlS6_EEENSN_IJSD_SD_EEES6_PiJS6_EEE10hipError_tPvRmT3_T4_T5_T6_T7_T9_mT8_P12ihipStream_tbDpT10_ENKUlT_T0_E_clISt17integral_constantIbLb0EES1B_EEDaS16_S17_EUlS16_E_NS1_11comp_targetILNS1_3genE10ELNS1_11target_archE1200ELNS1_3gpuE4ELNS1_3repE0EEENS1_30default_config_static_selectorELNS0_4arch9wavefront6targetE0EEEvT1_,comdat
.Lfunc_end191:
	.size	_ZN7rocprim17ROCPRIM_400000_NS6detail17trampoline_kernelINS0_14default_configENS1_25partition_config_selectorILNS1_17partition_subalgoE5ElNS0_10empty_typeEbEEZZNS1_14partition_implILS5_5ELb0ES3_mN6hipcub16HIPCUB_304000_NS21CountingInputIteratorIllEEPS6_NSA_22TransformInputIteratorIbN2at6native12_GLOBAL__N_19NonZeroOpIiEEPKilEENS0_5tupleIJPlS6_EEENSN_IJSD_SD_EEES6_PiJS6_EEE10hipError_tPvRmT3_T4_T5_T6_T7_T9_mT8_P12ihipStream_tbDpT10_ENKUlT_T0_E_clISt17integral_constantIbLb0EES1B_EEDaS16_S17_EUlS16_E_NS1_11comp_targetILNS1_3genE10ELNS1_11target_archE1200ELNS1_3gpuE4ELNS1_3repE0EEENS1_30default_config_static_selectorELNS0_4arch9wavefront6targetE0EEEvT1_, .Lfunc_end191-_ZN7rocprim17ROCPRIM_400000_NS6detail17trampoline_kernelINS0_14default_configENS1_25partition_config_selectorILNS1_17partition_subalgoE5ElNS0_10empty_typeEbEEZZNS1_14partition_implILS5_5ELb0ES3_mN6hipcub16HIPCUB_304000_NS21CountingInputIteratorIllEEPS6_NSA_22TransformInputIteratorIbN2at6native12_GLOBAL__N_19NonZeroOpIiEEPKilEENS0_5tupleIJPlS6_EEENSN_IJSD_SD_EEES6_PiJS6_EEE10hipError_tPvRmT3_T4_T5_T6_T7_T9_mT8_P12ihipStream_tbDpT10_ENKUlT_T0_E_clISt17integral_constantIbLb0EES1B_EEDaS16_S17_EUlS16_E_NS1_11comp_targetILNS1_3genE10ELNS1_11target_archE1200ELNS1_3gpuE4ELNS1_3repE0EEENS1_30default_config_static_selectorELNS0_4arch9wavefront6targetE0EEEvT1_
                                        ; -- End function
	.set _ZN7rocprim17ROCPRIM_400000_NS6detail17trampoline_kernelINS0_14default_configENS1_25partition_config_selectorILNS1_17partition_subalgoE5ElNS0_10empty_typeEbEEZZNS1_14partition_implILS5_5ELb0ES3_mN6hipcub16HIPCUB_304000_NS21CountingInputIteratorIllEEPS6_NSA_22TransformInputIteratorIbN2at6native12_GLOBAL__N_19NonZeroOpIiEEPKilEENS0_5tupleIJPlS6_EEENSN_IJSD_SD_EEES6_PiJS6_EEE10hipError_tPvRmT3_T4_T5_T6_T7_T9_mT8_P12ihipStream_tbDpT10_ENKUlT_T0_E_clISt17integral_constantIbLb0EES1B_EEDaS16_S17_EUlS16_E_NS1_11comp_targetILNS1_3genE10ELNS1_11target_archE1200ELNS1_3gpuE4ELNS1_3repE0EEENS1_30default_config_static_selectorELNS0_4arch9wavefront6targetE0EEEvT1_.num_vgpr, 46
	.set _ZN7rocprim17ROCPRIM_400000_NS6detail17trampoline_kernelINS0_14default_configENS1_25partition_config_selectorILNS1_17partition_subalgoE5ElNS0_10empty_typeEbEEZZNS1_14partition_implILS5_5ELb0ES3_mN6hipcub16HIPCUB_304000_NS21CountingInputIteratorIllEEPS6_NSA_22TransformInputIteratorIbN2at6native12_GLOBAL__N_19NonZeroOpIiEEPKilEENS0_5tupleIJPlS6_EEENSN_IJSD_SD_EEES6_PiJS6_EEE10hipError_tPvRmT3_T4_T5_T6_T7_T9_mT8_P12ihipStream_tbDpT10_ENKUlT_T0_E_clISt17integral_constantIbLb0EES1B_EEDaS16_S17_EUlS16_E_NS1_11comp_targetILNS1_3genE10ELNS1_11target_archE1200ELNS1_3gpuE4ELNS1_3repE0EEENS1_30default_config_static_selectorELNS0_4arch9wavefront6targetE0EEEvT1_.num_agpr, 0
	.set _ZN7rocprim17ROCPRIM_400000_NS6detail17trampoline_kernelINS0_14default_configENS1_25partition_config_selectorILNS1_17partition_subalgoE5ElNS0_10empty_typeEbEEZZNS1_14partition_implILS5_5ELb0ES3_mN6hipcub16HIPCUB_304000_NS21CountingInputIteratorIllEEPS6_NSA_22TransformInputIteratorIbN2at6native12_GLOBAL__N_19NonZeroOpIiEEPKilEENS0_5tupleIJPlS6_EEENSN_IJSD_SD_EEES6_PiJS6_EEE10hipError_tPvRmT3_T4_T5_T6_T7_T9_mT8_P12ihipStream_tbDpT10_ENKUlT_T0_E_clISt17integral_constantIbLb0EES1B_EEDaS16_S17_EUlS16_E_NS1_11comp_targetILNS1_3genE10ELNS1_11target_archE1200ELNS1_3gpuE4ELNS1_3repE0EEENS1_30default_config_static_selectorELNS0_4arch9wavefront6targetE0EEEvT1_.numbered_sgpr, 20
	.set _ZN7rocprim17ROCPRIM_400000_NS6detail17trampoline_kernelINS0_14default_configENS1_25partition_config_selectorILNS1_17partition_subalgoE5ElNS0_10empty_typeEbEEZZNS1_14partition_implILS5_5ELb0ES3_mN6hipcub16HIPCUB_304000_NS21CountingInputIteratorIllEEPS6_NSA_22TransformInputIteratorIbN2at6native12_GLOBAL__N_19NonZeroOpIiEEPKilEENS0_5tupleIJPlS6_EEENSN_IJSD_SD_EEES6_PiJS6_EEE10hipError_tPvRmT3_T4_T5_T6_T7_T9_mT8_P12ihipStream_tbDpT10_ENKUlT_T0_E_clISt17integral_constantIbLb0EES1B_EEDaS16_S17_EUlS16_E_NS1_11comp_targetILNS1_3genE10ELNS1_11target_archE1200ELNS1_3gpuE4ELNS1_3repE0EEENS1_30default_config_static_selectorELNS0_4arch9wavefront6targetE0EEEvT1_.num_named_barrier, 0
	.set _ZN7rocprim17ROCPRIM_400000_NS6detail17trampoline_kernelINS0_14default_configENS1_25partition_config_selectorILNS1_17partition_subalgoE5ElNS0_10empty_typeEbEEZZNS1_14partition_implILS5_5ELb0ES3_mN6hipcub16HIPCUB_304000_NS21CountingInputIteratorIllEEPS6_NSA_22TransformInputIteratorIbN2at6native12_GLOBAL__N_19NonZeroOpIiEEPKilEENS0_5tupleIJPlS6_EEENSN_IJSD_SD_EEES6_PiJS6_EEE10hipError_tPvRmT3_T4_T5_T6_T7_T9_mT8_P12ihipStream_tbDpT10_ENKUlT_T0_E_clISt17integral_constantIbLb0EES1B_EEDaS16_S17_EUlS16_E_NS1_11comp_targetILNS1_3genE10ELNS1_11target_archE1200ELNS1_3gpuE4ELNS1_3repE0EEENS1_30default_config_static_selectorELNS0_4arch9wavefront6targetE0EEEvT1_.private_seg_size, 0
	.set _ZN7rocprim17ROCPRIM_400000_NS6detail17trampoline_kernelINS0_14default_configENS1_25partition_config_selectorILNS1_17partition_subalgoE5ElNS0_10empty_typeEbEEZZNS1_14partition_implILS5_5ELb0ES3_mN6hipcub16HIPCUB_304000_NS21CountingInputIteratorIllEEPS6_NSA_22TransformInputIteratorIbN2at6native12_GLOBAL__N_19NonZeroOpIiEEPKilEENS0_5tupleIJPlS6_EEENSN_IJSD_SD_EEES6_PiJS6_EEE10hipError_tPvRmT3_T4_T5_T6_T7_T9_mT8_P12ihipStream_tbDpT10_ENKUlT_T0_E_clISt17integral_constantIbLb0EES1B_EEDaS16_S17_EUlS16_E_NS1_11comp_targetILNS1_3genE10ELNS1_11target_archE1200ELNS1_3gpuE4ELNS1_3repE0EEENS1_30default_config_static_selectorELNS0_4arch9wavefront6targetE0EEEvT1_.uses_vcc, 1
	.set _ZN7rocprim17ROCPRIM_400000_NS6detail17trampoline_kernelINS0_14default_configENS1_25partition_config_selectorILNS1_17partition_subalgoE5ElNS0_10empty_typeEbEEZZNS1_14partition_implILS5_5ELb0ES3_mN6hipcub16HIPCUB_304000_NS21CountingInputIteratorIllEEPS6_NSA_22TransformInputIteratorIbN2at6native12_GLOBAL__N_19NonZeroOpIiEEPKilEENS0_5tupleIJPlS6_EEENSN_IJSD_SD_EEES6_PiJS6_EEE10hipError_tPvRmT3_T4_T5_T6_T7_T9_mT8_P12ihipStream_tbDpT10_ENKUlT_T0_E_clISt17integral_constantIbLb0EES1B_EEDaS16_S17_EUlS16_E_NS1_11comp_targetILNS1_3genE10ELNS1_11target_archE1200ELNS1_3gpuE4ELNS1_3repE0EEENS1_30default_config_static_selectorELNS0_4arch9wavefront6targetE0EEEvT1_.uses_flat_scratch, 0
	.set _ZN7rocprim17ROCPRIM_400000_NS6detail17trampoline_kernelINS0_14default_configENS1_25partition_config_selectorILNS1_17partition_subalgoE5ElNS0_10empty_typeEbEEZZNS1_14partition_implILS5_5ELb0ES3_mN6hipcub16HIPCUB_304000_NS21CountingInputIteratorIllEEPS6_NSA_22TransformInputIteratorIbN2at6native12_GLOBAL__N_19NonZeroOpIiEEPKilEENS0_5tupleIJPlS6_EEENSN_IJSD_SD_EEES6_PiJS6_EEE10hipError_tPvRmT3_T4_T5_T6_T7_T9_mT8_P12ihipStream_tbDpT10_ENKUlT_T0_E_clISt17integral_constantIbLb0EES1B_EEDaS16_S17_EUlS16_E_NS1_11comp_targetILNS1_3genE10ELNS1_11target_archE1200ELNS1_3gpuE4ELNS1_3repE0EEENS1_30default_config_static_selectorELNS0_4arch9wavefront6targetE0EEEvT1_.has_dyn_sized_stack, 0
	.set _ZN7rocprim17ROCPRIM_400000_NS6detail17trampoline_kernelINS0_14default_configENS1_25partition_config_selectorILNS1_17partition_subalgoE5ElNS0_10empty_typeEbEEZZNS1_14partition_implILS5_5ELb0ES3_mN6hipcub16HIPCUB_304000_NS21CountingInputIteratorIllEEPS6_NSA_22TransformInputIteratorIbN2at6native12_GLOBAL__N_19NonZeroOpIiEEPKilEENS0_5tupleIJPlS6_EEENSN_IJSD_SD_EEES6_PiJS6_EEE10hipError_tPvRmT3_T4_T5_T6_T7_T9_mT8_P12ihipStream_tbDpT10_ENKUlT_T0_E_clISt17integral_constantIbLb0EES1B_EEDaS16_S17_EUlS16_E_NS1_11comp_targetILNS1_3genE10ELNS1_11target_archE1200ELNS1_3gpuE4ELNS1_3repE0EEENS1_30default_config_static_selectorELNS0_4arch9wavefront6targetE0EEEvT1_.has_recursion, 0
	.set _ZN7rocprim17ROCPRIM_400000_NS6detail17trampoline_kernelINS0_14default_configENS1_25partition_config_selectorILNS1_17partition_subalgoE5ElNS0_10empty_typeEbEEZZNS1_14partition_implILS5_5ELb0ES3_mN6hipcub16HIPCUB_304000_NS21CountingInputIteratorIllEEPS6_NSA_22TransformInputIteratorIbN2at6native12_GLOBAL__N_19NonZeroOpIiEEPKilEENS0_5tupleIJPlS6_EEENSN_IJSD_SD_EEES6_PiJS6_EEE10hipError_tPvRmT3_T4_T5_T6_T7_T9_mT8_P12ihipStream_tbDpT10_ENKUlT_T0_E_clISt17integral_constantIbLb0EES1B_EEDaS16_S17_EUlS16_E_NS1_11comp_targetILNS1_3genE10ELNS1_11target_archE1200ELNS1_3gpuE4ELNS1_3repE0EEENS1_30default_config_static_selectorELNS0_4arch9wavefront6targetE0EEEvT1_.has_indirect_call, 0
	.section	.AMDGPU.csdata,"",@progbits
; Kernel info:
; codeLenInByte = 6812
; TotalNumSgprs: 22
; NumVgprs: 46
; ScratchSize: 0
; MemoryBound: 0
; FloatMode: 240
; IeeeMode: 1
; LDSByteSize: 8464 bytes/workgroup (compile time only)
; SGPRBlocks: 0
; VGPRBlocks: 5
; NumSGPRsForWavesPerEU: 22
; NumVGPRsForWavesPerEU: 46
; Occupancy: 16
; WaveLimiterHint : 1
; COMPUTE_PGM_RSRC2:SCRATCH_EN: 0
; COMPUTE_PGM_RSRC2:USER_SGPR: 2
; COMPUTE_PGM_RSRC2:TRAP_HANDLER: 0
; COMPUTE_PGM_RSRC2:TGID_X_EN: 1
; COMPUTE_PGM_RSRC2:TGID_Y_EN: 0
; COMPUTE_PGM_RSRC2:TGID_Z_EN: 0
; COMPUTE_PGM_RSRC2:TIDIG_COMP_CNT: 0
	.section	.text._ZN7rocprim17ROCPRIM_400000_NS6detail17trampoline_kernelINS0_14default_configENS1_25partition_config_selectorILNS1_17partition_subalgoE5ElNS0_10empty_typeEbEEZZNS1_14partition_implILS5_5ELb0ES3_mN6hipcub16HIPCUB_304000_NS21CountingInputIteratorIllEEPS6_NSA_22TransformInputIteratorIbN2at6native12_GLOBAL__N_19NonZeroOpIiEEPKilEENS0_5tupleIJPlS6_EEENSN_IJSD_SD_EEES6_PiJS6_EEE10hipError_tPvRmT3_T4_T5_T6_T7_T9_mT8_P12ihipStream_tbDpT10_ENKUlT_T0_E_clISt17integral_constantIbLb0EES1B_EEDaS16_S17_EUlS16_E_NS1_11comp_targetILNS1_3genE9ELNS1_11target_archE1100ELNS1_3gpuE3ELNS1_3repE0EEENS1_30default_config_static_selectorELNS0_4arch9wavefront6targetE0EEEvT1_,"axG",@progbits,_ZN7rocprim17ROCPRIM_400000_NS6detail17trampoline_kernelINS0_14default_configENS1_25partition_config_selectorILNS1_17partition_subalgoE5ElNS0_10empty_typeEbEEZZNS1_14partition_implILS5_5ELb0ES3_mN6hipcub16HIPCUB_304000_NS21CountingInputIteratorIllEEPS6_NSA_22TransformInputIteratorIbN2at6native12_GLOBAL__N_19NonZeroOpIiEEPKilEENS0_5tupleIJPlS6_EEENSN_IJSD_SD_EEES6_PiJS6_EEE10hipError_tPvRmT3_T4_T5_T6_T7_T9_mT8_P12ihipStream_tbDpT10_ENKUlT_T0_E_clISt17integral_constantIbLb0EES1B_EEDaS16_S17_EUlS16_E_NS1_11comp_targetILNS1_3genE9ELNS1_11target_archE1100ELNS1_3gpuE3ELNS1_3repE0EEENS1_30default_config_static_selectorELNS0_4arch9wavefront6targetE0EEEvT1_,comdat
	.globl	_ZN7rocprim17ROCPRIM_400000_NS6detail17trampoline_kernelINS0_14default_configENS1_25partition_config_selectorILNS1_17partition_subalgoE5ElNS0_10empty_typeEbEEZZNS1_14partition_implILS5_5ELb0ES3_mN6hipcub16HIPCUB_304000_NS21CountingInputIteratorIllEEPS6_NSA_22TransformInputIteratorIbN2at6native12_GLOBAL__N_19NonZeroOpIiEEPKilEENS0_5tupleIJPlS6_EEENSN_IJSD_SD_EEES6_PiJS6_EEE10hipError_tPvRmT3_T4_T5_T6_T7_T9_mT8_P12ihipStream_tbDpT10_ENKUlT_T0_E_clISt17integral_constantIbLb0EES1B_EEDaS16_S17_EUlS16_E_NS1_11comp_targetILNS1_3genE9ELNS1_11target_archE1100ELNS1_3gpuE3ELNS1_3repE0EEENS1_30default_config_static_selectorELNS0_4arch9wavefront6targetE0EEEvT1_ ; -- Begin function _ZN7rocprim17ROCPRIM_400000_NS6detail17trampoline_kernelINS0_14default_configENS1_25partition_config_selectorILNS1_17partition_subalgoE5ElNS0_10empty_typeEbEEZZNS1_14partition_implILS5_5ELb0ES3_mN6hipcub16HIPCUB_304000_NS21CountingInputIteratorIllEEPS6_NSA_22TransformInputIteratorIbN2at6native12_GLOBAL__N_19NonZeroOpIiEEPKilEENS0_5tupleIJPlS6_EEENSN_IJSD_SD_EEES6_PiJS6_EEE10hipError_tPvRmT3_T4_T5_T6_T7_T9_mT8_P12ihipStream_tbDpT10_ENKUlT_T0_E_clISt17integral_constantIbLb0EES1B_EEDaS16_S17_EUlS16_E_NS1_11comp_targetILNS1_3genE9ELNS1_11target_archE1100ELNS1_3gpuE3ELNS1_3repE0EEENS1_30default_config_static_selectorELNS0_4arch9wavefront6targetE0EEEvT1_
	.p2align	8
	.type	_ZN7rocprim17ROCPRIM_400000_NS6detail17trampoline_kernelINS0_14default_configENS1_25partition_config_selectorILNS1_17partition_subalgoE5ElNS0_10empty_typeEbEEZZNS1_14partition_implILS5_5ELb0ES3_mN6hipcub16HIPCUB_304000_NS21CountingInputIteratorIllEEPS6_NSA_22TransformInputIteratorIbN2at6native12_GLOBAL__N_19NonZeroOpIiEEPKilEENS0_5tupleIJPlS6_EEENSN_IJSD_SD_EEES6_PiJS6_EEE10hipError_tPvRmT3_T4_T5_T6_T7_T9_mT8_P12ihipStream_tbDpT10_ENKUlT_T0_E_clISt17integral_constantIbLb0EES1B_EEDaS16_S17_EUlS16_E_NS1_11comp_targetILNS1_3genE9ELNS1_11target_archE1100ELNS1_3gpuE3ELNS1_3repE0EEENS1_30default_config_static_selectorELNS0_4arch9wavefront6targetE0EEEvT1_,@function
_ZN7rocprim17ROCPRIM_400000_NS6detail17trampoline_kernelINS0_14default_configENS1_25partition_config_selectorILNS1_17partition_subalgoE5ElNS0_10empty_typeEbEEZZNS1_14partition_implILS5_5ELb0ES3_mN6hipcub16HIPCUB_304000_NS21CountingInputIteratorIllEEPS6_NSA_22TransformInputIteratorIbN2at6native12_GLOBAL__N_19NonZeroOpIiEEPKilEENS0_5tupleIJPlS6_EEENSN_IJSD_SD_EEES6_PiJS6_EEE10hipError_tPvRmT3_T4_T5_T6_T7_T9_mT8_P12ihipStream_tbDpT10_ENKUlT_T0_E_clISt17integral_constantIbLb0EES1B_EEDaS16_S17_EUlS16_E_NS1_11comp_targetILNS1_3genE9ELNS1_11target_archE1100ELNS1_3gpuE3ELNS1_3repE0EEENS1_30default_config_static_selectorELNS0_4arch9wavefront6targetE0EEEvT1_: ; @_ZN7rocprim17ROCPRIM_400000_NS6detail17trampoline_kernelINS0_14default_configENS1_25partition_config_selectorILNS1_17partition_subalgoE5ElNS0_10empty_typeEbEEZZNS1_14partition_implILS5_5ELb0ES3_mN6hipcub16HIPCUB_304000_NS21CountingInputIteratorIllEEPS6_NSA_22TransformInputIteratorIbN2at6native12_GLOBAL__N_19NonZeroOpIiEEPKilEENS0_5tupleIJPlS6_EEENSN_IJSD_SD_EEES6_PiJS6_EEE10hipError_tPvRmT3_T4_T5_T6_T7_T9_mT8_P12ihipStream_tbDpT10_ENKUlT_T0_E_clISt17integral_constantIbLb0EES1B_EEDaS16_S17_EUlS16_E_NS1_11comp_targetILNS1_3genE9ELNS1_11target_archE1100ELNS1_3gpuE3ELNS1_3repE0EEENS1_30default_config_static_selectorELNS0_4arch9wavefront6targetE0EEEvT1_
; %bb.0:
	.section	.rodata,"a",@progbits
	.p2align	6, 0x0
	.amdhsa_kernel _ZN7rocprim17ROCPRIM_400000_NS6detail17trampoline_kernelINS0_14default_configENS1_25partition_config_selectorILNS1_17partition_subalgoE5ElNS0_10empty_typeEbEEZZNS1_14partition_implILS5_5ELb0ES3_mN6hipcub16HIPCUB_304000_NS21CountingInputIteratorIllEEPS6_NSA_22TransformInputIteratorIbN2at6native12_GLOBAL__N_19NonZeroOpIiEEPKilEENS0_5tupleIJPlS6_EEENSN_IJSD_SD_EEES6_PiJS6_EEE10hipError_tPvRmT3_T4_T5_T6_T7_T9_mT8_P12ihipStream_tbDpT10_ENKUlT_T0_E_clISt17integral_constantIbLb0EES1B_EEDaS16_S17_EUlS16_E_NS1_11comp_targetILNS1_3genE9ELNS1_11target_archE1100ELNS1_3gpuE3ELNS1_3repE0EEENS1_30default_config_static_selectorELNS0_4arch9wavefront6targetE0EEEvT1_
		.amdhsa_group_segment_fixed_size 0
		.amdhsa_private_segment_fixed_size 0
		.amdhsa_kernarg_size 120
		.amdhsa_user_sgpr_count 2
		.amdhsa_user_sgpr_dispatch_ptr 0
		.amdhsa_user_sgpr_queue_ptr 0
		.amdhsa_user_sgpr_kernarg_segment_ptr 1
		.amdhsa_user_sgpr_dispatch_id 0
		.amdhsa_user_sgpr_private_segment_size 0
		.amdhsa_wavefront_size32 1
		.amdhsa_uses_dynamic_stack 0
		.amdhsa_enable_private_segment 0
		.amdhsa_system_sgpr_workgroup_id_x 1
		.amdhsa_system_sgpr_workgroup_id_y 0
		.amdhsa_system_sgpr_workgroup_id_z 0
		.amdhsa_system_sgpr_workgroup_info 0
		.amdhsa_system_vgpr_workitem_id 0
		.amdhsa_next_free_vgpr 1
		.amdhsa_next_free_sgpr 1
		.amdhsa_reserve_vcc 0
		.amdhsa_float_round_mode_32 0
		.amdhsa_float_round_mode_16_64 0
		.amdhsa_float_denorm_mode_32 3
		.amdhsa_float_denorm_mode_16_64 3
		.amdhsa_fp16_overflow 0
		.amdhsa_workgroup_processor_mode 1
		.amdhsa_memory_ordered 1
		.amdhsa_forward_progress 1
		.amdhsa_inst_pref_size 0
		.amdhsa_round_robin_scheduling 0
		.amdhsa_exception_fp_ieee_invalid_op 0
		.amdhsa_exception_fp_denorm_src 0
		.amdhsa_exception_fp_ieee_div_zero 0
		.amdhsa_exception_fp_ieee_overflow 0
		.amdhsa_exception_fp_ieee_underflow 0
		.amdhsa_exception_fp_ieee_inexact 0
		.amdhsa_exception_int_div_zero 0
	.end_amdhsa_kernel
	.section	.text._ZN7rocprim17ROCPRIM_400000_NS6detail17trampoline_kernelINS0_14default_configENS1_25partition_config_selectorILNS1_17partition_subalgoE5ElNS0_10empty_typeEbEEZZNS1_14partition_implILS5_5ELb0ES3_mN6hipcub16HIPCUB_304000_NS21CountingInputIteratorIllEEPS6_NSA_22TransformInputIteratorIbN2at6native12_GLOBAL__N_19NonZeroOpIiEEPKilEENS0_5tupleIJPlS6_EEENSN_IJSD_SD_EEES6_PiJS6_EEE10hipError_tPvRmT3_T4_T5_T6_T7_T9_mT8_P12ihipStream_tbDpT10_ENKUlT_T0_E_clISt17integral_constantIbLb0EES1B_EEDaS16_S17_EUlS16_E_NS1_11comp_targetILNS1_3genE9ELNS1_11target_archE1100ELNS1_3gpuE3ELNS1_3repE0EEENS1_30default_config_static_selectorELNS0_4arch9wavefront6targetE0EEEvT1_,"axG",@progbits,_ZN7rocprim17ROCPRIM_400000_NS6detail17trampoline_kernelINS0_14default_configENS1_25partition_config_selectorILNS1_17partition_subalgoE5ElNS0_10empty_typeEbEEZZNS1_14partition_implILS5_5ELb0ES3_mN6hipcub16HIPCUB_304000_NS21CountingInputIteratorIllEEPS6_NSA_22TransformInputIteratorIbN2at6native12_GLOBAL__N_19NonZeroOpIiEEPKilEENS0_5tupleIJPlS6_EEENSN_IJSD_SD_EEES6_PiJS6_EEE10hipError_tPvRmT3_T4_T5_T6_T7_T9_mT8_P12ihipStream_tbDpT10_ENKUlT_T0_E_clISt17integral_constantIbLb0EES1B_EEDaS16_S17_EUlS16_E_NS1_11comp_targetILNS1_3genE9ELNS1_11target_archE1100ELNS1_3gpuE3ELNS1_3repE0EEENS1_30default_config_static_selectorELNS0_4arch9wavefront6targetE0EEEvT1_,comdat
.Lfunc_end192:
	.size	_ZN7rocprim17ROCPRIM_400000_NS6detail17trampoline_kernelINS0_14default_configENS1_25partition_config_selectorILNS1_17partition_subalgoE5ElNS0_10empty_typeEbEEZZNS1_14partition_implILS5_5ELb0ES3_mN6hipcub16HIPCUB_304000_NS21CountingInputIteratorIllEEPS6_NSA_22TransformInputIteratorIbN2at6native12_GLOBAL__N_19NonZeroOpIiEEPKilEENS0_5tupleIJPlS6_EEENSN_IJSD_SD_EEES6_PiJS6_EEE10hipError_tPvRmT3_T4_T5_T6_T7_T9_mT8_P12ihipStream_tbDpT10_ENKUlT_T0_E_clISt17integral_constantIbLb0EES1B_EEDaS16_S17_EUlS16_E_NS1_11comp_targetILNS1_3genE9ELNS1_11target_archE1100ELNS1_3gpuE3ELNS1_3repE0EEENS1_30default_config_static_selectorELNS0_4arch9wavefront6targetE0EEEvT1_, .Lfunc_end192-_ZN7rocprim17ROCPRIM_400000_NS6detail17trampoline_kernelINS0_14default_configENS1_25partition_config_selectorILNS1_17partition_subalgoE5ElNS0_10empty_typeEbEEZZNS1_14partition_implILS5_5ELb0ES3_mN6hipcub16HIPCUB_304000_NS21CountingInputIteratorIllEEPS6_NSA_22TransformInputIteratorIbN2at6native12_GLOBAL__N_19NonZeroOpIiEEPKilEENS0_5tupleIJPlS6_EEENSN_IJSD_SD_EEES6_PiJS6_EEE10hipError_tPvRmT3_T4_T5_T6_T7_T9_mT8_P12ihipStream_tbDpT10_ENKUlT_T0_E_clISt17integral_constantIbLb0EES1B_EEDaS16_S17_EUlS16_E_NS1_11comp_targetILNS1_3genE9ELNS1_11target_archE1100ELNS1_3gpuE3ELNS1_3repE0EEENS1_30default_config_static_selectorELNS0_4arch9wavefront6targetE0EEEvT1_
                                        ; -- End function
	.set _ZN7rocprim17ROCPRIM_400000_NS6detail17trampoline_kernelINS0_14default_configENS1_25partition_config_selectorILNS1_17partition_subalgoE5ElNS0_10empty_typeEbEEZZNS1_14partition_implILS5_5ELb0ES3_mN6hipcub16HIPCUB_304000_NS21CountingInputIteratorIllEEPS6_NSA_22TransformInputIteratorIbN2at6native12_GLOBAL__N_19NonZeroOpIiEEPKilEENS0_5tupleIJPlS6_EEENSN_IJSD_SD_EEES6_PiJS6_EEE10hipError_tPvRmT3_T4_T5_T6_T7_T9_mT8_P12ihipStream_tbDpT10_ENKUlT_T0_E_clISt17integral_constantIbLb0EES1B_EEDaS16_S17_EUlS16_E_NS1_11comp_targetILNS1_3genE9ELNS1_11target_archE1100ELNS1_3gpuE3ELNS1_3repE0EEENS1_30default_config_static_selectorELNS0_4arch9wavefront6targetE0EEEvT1_.num_vgpr, 0
	.set _ZN7rocprim17ROCPRIM_400000_NS6detail17trampoline_kernelINS0_14default_configENS1_25partition_config_selectorILNS1_17partition_subalgoE5ElNS0_10empty_typeEbEEZZNS1_14partition_implILS5_5ELb0ES3_mN6hipcub16HIPCUB_304000_NS21CountingInputIteratorIllEEPS6_NSA_22TransformInputIteratorIbN2at6native12_GLOBAL__N_19NonZeroOpIiEEPKilEENS0_5tupleIJPlS6_EEENSN_IJSD_SD_EEES6_PiJS6_EEE10hipError_tPvRmT3_T4_T5_T6_T7_T9_mT8_P12ihipStream_tbDpT10_ENKUlT_T0_E_clISt17integral_constantIbLb0EES1B_EEDaS16_S17_EUlS16_E_NS1_11comp_targetILNS1_3genE9ELNS1_11target_archE1100ELNS1_3gpuE3ELNS1_3repE0EEENS1_30default_config_static_selectorELNS0_4arch9wavefront6targetE0EEEvT1_.num_agpr, 0
	.set _ZN7rocprim17ROCPRIM_400000_NS6detail17trampoline_kernelINS0_14default_configENS1_25partition_config_selectorILNS1_17partition_subalgoE5ElNS0_10empty_typeEbEEZZNS1_14partition_implILS5_5ELb0ES3_mN6hipcub16HIPCUB_304000_NS21CountingInputIteratorIllEEPS6_NSA_22TransformInputIteratorIbN2at6native12_GLOBAL__N_19NonZeroOpIiEEPKilEENS0_5tupleIJPlS6_EEENSN_IJSD_SD_EEES6_PiJS6_EEE10hipError_tPvRmT3_T4_T5_T6_T7_T9_mT8_P12ihipStream_tbDpT10_ENKUlT_T0_E_clISt17integral_constantIbLb0EES1B_EEDaS16_S17_EUlS16_E_NS1_11comp_targetILNS1_3genE9ELNS1_11target_archE1100ELNS1_3gpuE3ELNS1_3repE0EEENS1_30default_config_static_selectorELNS0_4arch9wavefront6targetE0EEEvT1_.numbered_sgpr, 0
	.set _ZN7rocprim17ROCPRIM_400000_NS6detail17trampoline_kernelINS0_14default_configENS1_25partition_config_selectorILNS1_17partition_subalgoE5ElNS0_10empty_typeEbEEZZNS1_14partition_implILS5_5ELb0ES3_mN6hipcub16HIPCUB_304000_NS21CountingInputIteratorIllEEPS6_NSA_22TransformInputIteratorIbN2at6native12_GLOBAL__N_19NonZeroOpIiEEPKilEENS0_5tupleIJPlS6_EEENSN_IJSD_SD_EEES6_PiJS6_EEE10hipError_tPvRmT3_T4_T5_T6_T7_T9_mT8_P12ihipStream_tbDpT10_ENKUlT_T0_E_clISt17integral_constantIbLb0EES1B_EEDaS16_S17_EUlS16_E_NS1_11comp_targetILNS1_3genE9ELNS1_11target_archE1100ELNS1_3gpuE3ELNS1_3repE0EEENS1_30default_config_static_selectorELNS0_4arch9wavefront6targetE0EEEvT1_.num_named_barrier, 0
	.set _ZN7rocprim17ROCPRIM_400000_NS6detail17trampoline_kernelINS0_14default_configENS1_25partition_config_selectorILNS1_17partition_subalgoE5ElNS0_10empty_typeEbEEZZNS1_14partition_implILS5_5ELb0ES3_mN6hipcub16HIPCUB_304000_NS21CountingInputIteratorIllEEPS6_NSA_22TransformInputIteratorIbN2at6native12_GLOBAL__N_19NonZeroOpIiEEPKilEENS0_5tupleIJPlS6_EEENSN_IJSD_SD_EEES6_PiJS6_EEE10hipError_tPvRmT3_T4_T5_T6_T7_T9_mT8_P12ihipStream_tbDpT10_ENKUlT_T0_E_clISt17integral_constantIbLb0EES1B_EEDaS16_S17_EUlS16_E_NS1_11comp_targetILNS1_3genE9ELNS1_11target_archE1100ELNS1_3gpuE3ELNS1_3repE0EEENS1_30default_config_static_selectorELNS0_4arch9wavefront6targetE0EEEvT1_.private_seg_size, 0
	.set _ZN7rocprim17ROCPRIM_400000_NS6detail17trampoline_kernelINS0_14default_configENS1_25partition_config_selectorILNS1_17partition_subalgoE5ElNS0_10empty_typeEbEEZZNS1_14partition_implILS5_5ELb0ES3_mN6hipcub16HIPCUB_304000_NS21CountingInputIteratorIllEEPS6_NSA_22TransformInputIteratorIbN2at6native12_GLOBAL__N_19NonZeroOpIiEEPKilEENS0_5tupleIJPlS6_EEENSN_IJSD_SD_EEES6_PiJS6_EEE10hipError_tPvRmT3_T4_T5_T6_T7_T9_mT8_P12ihipStream_tbDpT10_ENKUlT_T0_E_clISt17integral_constantIbLb0EES1B_EEDaS16_S17_EUlS16_E_NS1_11comp_targetILNS1_3genE9ELNS1_11target_archE1100ELNS1_3gpuE3ELNS1_3repE0EEENS1_30default_config_static_selectorELNS0_4arch9wavefront6targetE0EEEvT1_.uses_vcc, 0
	.set _ZN7rocprim17ROCPRIM_400000_NS6detail17trampoline_kernelINS0_14default_configENS1_25partition_config_selectorILNS1_17partition_subalgoE5ElNS0_10empty_typeEbEEZZNS1_14partition_implILS5_5ELb0ES3_mN6hipcub16HIPCUB_304000_NS21CountingInputIteratorIllEEPS6_NSA_22TransformInputIteratorIbN2at6native12_GLOBAL__N_19NonZeroOpIiEEPKilEENS0_5tupleIJPlS6_EEENSN_IJSD_SD_EEES6_PiJS6_EEE10hipError_tPvRmT3_T4_T5_T6_T7_T9_mT8_P12ihipStream_tbDpT10_ENKUlT_T0_E_clISt17integral_constantIbLb0EES1B_EEDaS16_S17_EUlS16_E_NS1_11comp_targetILNS1_3genE9ELNS1_11target_archE1100ELNS1_3gpuE3ELNS1_3repE0EEENS1_30default_config_static_selectorELNS0_4arch9wavefront6targetE0EEEvT1_.uses_flat_scratch, 0
	.set _ZN7rocprim17ROCPRIM_400000_NS6detail17trampoline_kernelINS0_14default_configENS1_25partition_config_selectorILNS1_17partition_subalgoE5ElNS0_10empty_typeEbEEZZNS1_14partition_implILS5_5ELb0ES3_mN6hipcub16HIPCUB_304000_NS21CountingInputIteratorIllEEPS6_NSA_22TransformInputIteratorIbN2at6native12_GLOBAL__N_19NonZeroOpIiEEPKilEENS0_5tupleIJPlS6_EEENSN_IJSD_SD_EEES6_PiJS6_EEE10hipError_tPvRmT3_T4_T5_T6_T7_T9_mT8_P12ihipStream_tbDpT10_ENKUlT_T0_E_clISt17integral_constantIbLb0EES1B_EEDaS16_S17_EUlS16_E_NS1_11comp_targetILNS1_3genE9ELNS1_11target_archE1100ELNS1_3gpuE3ELNS1_3repE0EEENS1_30default_config_static_selectorELNS0_4arch9wavefront6targetE0EEEvT1_.has_dyn_sized_stack, 0
	.set _ZN7rocprim17ROCPRIM_400000_NS6detail17trampoline_kernelINS0_14default_configENS1_25partition_config_selectorILNS1_17partition_subalgoE5ElNS0_10empty_typeEbEEZZNS1_14partition_implILS5_5ELb0ES3_mN6hipcub16HIPCUB_304000_NS21CountingInputIteratorIllEEPS6_NSA_22TransformInputIteratorIbN2at6native12_GLOBAL__N_19NonZeroOpIiEEPKilEENS0_5tupleIJPlS6_EEENSN_IJSD_SD_EEES6_PiJS6_EEE10hipError_tPvRmT3_T4_T5_T6_T7_T9_mT8_P12ihipStream_tbDpT10_ENKUlT_T0_E_clISt17integral_constantIbLb0EES1B_EEDaS16_S17_EUlS16_E_NS1_11comp_targetILNS1_3genE9ELNS1_11target_archE1100ELNS1_3gpuE3ELNS1_3repE0EEENS1_30default_config_static_selectorELNS0_4arch9wavefront6targetE0EEEvT1_.has_recursion, 0
	.set _ZN7rocprim17ROCPRIM_400000_NS6detail17trampoline_kernelINS0_14default_configENS1_25partition_config_selectorILNS1_17partition_subalgoE5ElNS0_10empty_typeEbEEZZNS1_14partition_implILS5_5ELb0ES3_mN6hipcub16HIPCUB_304000_NS21CountingInputIteratorIllEEPS6_NSA_22TransformInputIteratorIbN2at6native12_GLOBAL__N_19NonZeroOpIiEEPKilEENS0_5tupleIJPlS6_EEENSN_IJSD_SD_EEES6_PiJS6_EEE10hipError_tPvRmT3_T4_T5_T6_T7_T9_mT8_P12ihipStream_tbDpT10_ENKUlT_T0_E_clISt17integral_constantIbLb0EES1B_EEDaS16_S17_EUlS16_E_NS1_11comp_targetILNS1_3genE9ELNS1_11target_archE1100ELNS1_3gpuE3ELNS1_3repE0EEENS1_30default_config_static_selectorELNS0_4arch9wavefront6targetE0EEEvT1_.has_indirect_call, 0
	.section	.AMDGPU.csdata,"",@progbits
; Kernel info:
; codeLenInByte = 0
; TotalNumSgprs: 0
; NumVgprs: 0
; ScratchSize: 0
; MemoryBound: 0
; FloatMode: 240
; IeeeMode: 1
; LDSByteSize: 0 bytes/workgroup (compile time only)
; SGPRBlocks: 0
; VGPRBlocks: 0
; NumSGPRsForWavesPerEU: 1
; NumVGPRsForWavesPerEU: 1
; Occupancy: 16
; WaveLimiterHint : 0
; COMPUTE_PGM_RSRC2:SCRATCH_EN: 0
; COMPUTE_PGM_RSRC2:USER_SGPR: 2
; COMPUTE_PGM_RSRC2:TRAP_HANDLER: 0
; COMPUTE_PGM_RSRC2:TGID_X_EN: 1
; COMPUTE_PGM_RSRC2:TGID_Y_EN: 0
; COMPUTE_PGM_RSRC2:TGID_Z_EN: 0
; COMPUTE_PGM_RSRC2:TIDIG_COMP_CNT: 0
	.section	.text._ZN7rocprim17ROCPRIM_400000_NS6detail17trampoline_kernelINS0_14default_configENS1_25partition_config_selectorILNS1_17partition_subalgoE5ElNS0_10empty_typeEbEEZZNS1_14partition_implILS5_5ELb0ES3_mN6hipcub16HIPCUB_304000_NS21CountingInputIteratorIllEEPS6_NSA_22TransformInputIteratorIbN2at6native12_GLOBAL__N_19NonZeroOpIiEEPKilEENS0_5tupleIJPlS6_EEENSN_IJSD_SD_EEES6_PiJS6_EEE10hipError_tPvRmT3_T4_T5_T6_T7_T9_mT8_P12ihipStream_tbDpT10_ENKUlT_T0_E_clISt17integral_constantIbLb0EES1B_EEDaS16_S17_EUlS16_E_NS1_11comp_targetILNS1_3genE8ELNS1_11target_archE1030ELNS1_3gpuE2ELNS1_3repE0EEENS1_30default_config_static_selectorELNS0_4arch9wavefront6targetE0EEEvT1_,"axG",@progbits,_ZN7rocprim17ROCPRIM_400000_NS6detail17trampoline_kernelINS0_14default_configENS1_25partition_config_selectorILNS1_17partition_subalgoE5ElNS0_10empty_typeEbEEZZNS1_14partition_implILS5_5ELb0ES3_mN6hipcub16HIPCUB_304000_NS21CountingInputIteratorIllEEPS6_NSA_22TransformInputIteratorIbN2at6native12_GLOBAL__N_19NonZeroOpIiEEPKilEENS0_5tupleIJPlS6_EEENSN_IJSD_SD_EEES6_PiJS6_EEE10hipError_tPvRmT3_T4_T5_T6_T7_T9_mT8_P12ihipStream_tbDpT10_ENKUlT_T0_E_clISt17integral_constantIbLb0EES1B_EEDaS16_S17_EUlS16_E_NS1_11comp_targetILNS1_3genE8ELNS1_11target_archE1030ELNS1_3gpuE2ELNS1_3repE0EEENS1_30default_config_static_selectorELNS0_4arch9wavefront6targetE0EEEvT1_,comdat
	.globl	_ZN7rocprim17ROCPRIM_400000_NS6detail17trampoline_kernelINS0_14default_configENS1_25partition_config_selectorILNS1_17partition_subalgoE5ElNS0_10empty_typeEbEEZZNS1_14partition_implILS5_5ELb0ES3_mN6hipcub16HIPCUB_304000_NS21CountingInputIteratorIllEEPS6_NSA_22TransformInputIteratorIbN2at6native12_GLOBAL__N_19NonZeroOpIiEEPKilEENS0_5tupleIJPlS6_EEENSN_IJSD_SD_EEES6_PiJS6_EEE10hipError_tPvRmT3_T4_T5_T6_T7_T9_mT8_P12ihipStream_tbDpT10_ENKUlT_T0_E_clISt17integral_constantIbLb0EES1B_EEDaS16_S17_EUlS16_E_NS1_11comp_targetILNS1_3genE8ELNS1_11target_archE1030ELNS1_3gpuE2ELNS1_3repE0EEENS1_30default_config_static_selectorELNS0_4arch9wavefront6targetE0EEEvT1_ ; -- Begin function _ZN7rocprim17ROCPRIM_400000_NS6detail17trampoline_kernelINS0_14default_configENS1_25partition_config_selectorILNS1_17partition_subalgoE5ElNS0_10empty_typeEbEEZZNS1_14partition_implILS5_5ELb0ES3_mN6hipcub16HIPCUB_304000_NS21CountingInputIteratorIllEEPS6_NSA_22TransformInputIteratorIbN2at6native12_GLOBAL__N_19NonZeroOpIiEEPKilEENS0_5tupleIJPlS6_EEENSN_IJSD_SD_EEES6_PiJS6_EEE10hipError_tPvRmT3_T4_T5_T6_T7_T9_mT8_P12ihipStream_tbDpT10_ENKUlT_T0_E_clISt17integral_constantIbLb0EES1B_EEDaS16_S17_EUlS16_E_NS1_11comp_targetILNS1_3genE8ELNS1_11target_archE1030ELNS1_3gpuE2ELNS1_3repE0EEENS1_30default_config_static_selectorELNS0_4arch9wavefront6targetE0EEEvT1_
	.p2align	8
	.type	_ZN7rocprim17ROCPRIM_400000_NS6detail17trampoline_kernelINS0_14default_configENS1_25partition_config_selectorILNS1_17partition_subalgoE5ElNS0_10empty_typeEbEEZZNS1_14partition_implILS5_5ELb0ES3_mN6hipcub16HIPCUB_304000_NS21CountingInputIteratorIllEEPS6_NSA_22TransformInputIteratorIbN2at6native12_GLOBAL__N_19NonZeroOpIiEEPKilEENS0_5tupleIJPlS6_EEENSN_IJSD_SD_EEES6_PiJS6_EEE10hipError_tPvRmT3_T4_T5_T6_T7_T9_mT8_P12ihipStream_tbDpT10_ENKUlT_T0_E_clISt17integral_constantIbLb0EES1B_EEDaS16_S17_EUlS16_E_NS1_11comp_targetILNS1_3genE8ELNS1_11target_archE1030ELNS1_3gpuE2ELNS1_3repE0EEENS1_30default_config_static_selectorELNS0_4arch9wavefront6targetE0EEEvT1_,@function
_ZN7rocprim17ROCPRIM_400000_NS6detail17trampoline_kernelINS0_14default_configENS1_25partition_config_selectorILNS1_17partition_subalgoE5ElNS0_10empty_typeEbEEZZNS1_14partition_implILS5_5ELb0ES3_mN6hipcub16HIPCUB_304000_NS21CountingInputIteratorIllEEPS6_NSA_22TransformInputIteratorIbN2at6native12_GLOBAL__N_19NonZeroOpIiEEPKilEENS0_5tupleIJPlS6_EEENSN_IJSD_SD_EEES6_PiJS6_EEE10hipError_tPvRmT3_T4_T5_T6_T7_T9_mT8_P12ihipStream_tbDpT10_ENKUlT_T0_E_clISt17integral_constantIbLb0EES1B_EEDaS16_S17_EUlS16_E_NS1_11comp_targetILNS1_3genE8ELNS1_11target_archE1030ELNS1_3gpuE2ELNS1_3repE0EEENS1_30default_config_static_selectorELNS0_4arch9wavefront6targetE0EEEvT1_: ; @_ZN7rocprim17ROCPRIM_400000_NS6detail17trampoline_kernelINS0_14default_configENS1_25partition_config_selectorILNS1_17partition_subalgoE5ElNS0_10empty_typeEbEEZZNS1_14partition_implILS5_5ELb0ES3_mN6hipcub16HIPCUB_304000_NS21CountingInputIteratorIllEEPS6_NSA_22TransformInputIteratorIbN2at6native12_GLOBAL__N_19NonZeroOpIiEEPKilEENS0_5tupleIJPlS6_EEENSN_IJSD_SD_EEES6_PiJS6_EEE10hipError_tPvRmT3_T4_T5_T6_T7_T9_mT8_P12ihipStream_tbDpT10_ENKUlT_T0_E_clISt17integral_constantIbLb0EES1B_EEDaS16_S17_EUlS16_E_NS1_11comp_targetILNS1_3genE8ELNS1_11target_archE1030ELNS1_3gpuE2ELNS1_3repE0EEENS1_30default_config_static_selectorELNS0_4arch9wavefront6targetE0EEEvT1_
; %bb.0:
	.section	.rodata,"a",@progbits
	.p2align	6, 0x0
	.amdhsa_kernel _ZN7rocprim17ROCPRIM_400000_NS6detail17trampoline_kernelINS0_14default_configENS1_25partition_config_selectorILNS1_17partition_subalgoE5ElNS0_10empty_typeEbEEZZNS1_14partition_implILS5_5ELb0ES3_mN6hipcub16HIPCUB_304000_NS21CountingInputIteratorIllEEPS6_NSA_22TransformInputIteratorIbN2at6native12_GLOBAL__N_19NonZeroOpIiEEPKilEENS0_5tupleIJPlS6_EEENSN_IJSD_SD_EEES6_PiJS6_EEE10hipError_tPvRmT3_T4_T5_T6_T7_T9_mT8_P12ihipStream_tbDpT10_ENKUlT_T0_E_clISt17integral_constantIbLb0EES1B_EEDaS16_S17_EUlS16_E_NS1_11comp_targetILNS1_3genE8ELNS1_11target_archE1030ELNS1_3gpuE2ELNS1_3repE0EEENS1_30default_config_static_selectorELNS0_4arch9wavefront6targetE0EEEvT1_
		.amdhsa_group_segment_fixed_size 0
		.amdhsa_private_segment_fixed_size 0
		.amdhsa_kernarg_size 120
		.amdhsa_user_sgpr_count 2
		.amdhsa_user_sgpr_dispatch_ptr 0
		.amdhsa_user_sgpr_queue_ptr 0
		.amdhsa_user_sgpr_kernarg_segment_ptr 1
		.amdhsa_user_sgpr_dispatch_id 0
		.amdhsa_user_sgpr_private_segment_size 0
		.amdhsa_wavefront_size32 1
		.amdhsa_uses_dynamic_stack 0
		.amdhsa_enable_private_segment 0
		.amdhsa_system_sgpr_workgroup_id_x 1
		.amdhsa_system_sgpr_workgroup_id_y 0
		.amdhsa_system_sgpr_workgroup_id_z 0
		.amdhsa_system_sgpr_workgroup_info 0
		.amdhsa_system_vgpr_workitem_id 0
		.amdhsa_next_free_vgpr 1
		.amdhsa_next_free_sgpr 1
		.amdhsa_reserve_vcc 0
		.amdhsa_float_round_mode_32 0
		.amdhsa_float_round_mode_16_64 0
		.amdhsa_float_denorm_mode_32 3
		.amdhsa_float_denorm_mode_16_64 3
		.amdhsa_fp16_overflow 0
		.amdhsa_workgroup_processor_mode 1
		.amdhsa_memory_ordered 1
		.amdhsa_forward_progress 1
		.amdhsa_inst_pref_size 0
		.amdhsa_round_robin_scheduling 0
		.amdhsa_exception_fp_ieee_invalid_op 0
		.amdhsa_exception_fp_denorm_src 0
		.amdhsa_exception_fp_ieee_div_zero 0
		.amdhsa_exception_fp_ieee_overflow 0
		.amdhsa_exception_fp_ieee_underflow 0
		.amdhsa_exception_fp_ieee_inexact 0
		.amdhsa_exception_int_div_zero 0
	.end_amdhsa_kernel
	.section	.text._ZN7rocprim17ROCPRIM_400000_NS6detail17trampoline_kernelINS0_14default_configENS1_25partition_config_selectorILNS1_17partition_subalgoE5ElNS0_10empty_typeEbEEZZNS1_14partition_implILS5_5ELb0ES3_mN6hipcub16HIPCUB_304000_NS21CountingInputIteratorIllEEPS6_NSA_22TransformInputIteratorIbN2at6native12_GLOBAL__N_19NonZeroOpIiEEPKilEENS0_5tupleIJPlS6_EEENSN_IJSD_SD_EEES6_PiJS6_EEE10hipError_tPvRmT3_T4_T5_T6_T7_T9_mT8_P12ihipStream_tbDpT10_ENKUlT_T0_E_clISt17integral_constantIbLb0EES1B_EEDaS16_S17_EUlS16_E_NS1_11comp_targetILNS1_3genE8ELNS1_11target_archE1030ELNS1_3gpuE2ELNS1_3repE0EEENS1_30default_config_static_selectorELNS0_4arch9wavefront6targetE0EEEvT1_,"axG",@progbits,_ZN7rocprim17ROCPRIM_400000_NS6detail17trampoline_kernelINS0_14default_configENS1_25partition_config_selectorILNS1_17partition_subalgoE5ElNS0_10empty_typeEbEEZZNS1_14partition_implILS5_5ELb0ES3_mN6hipcub16HIPCUB_304000_NS21CountingInputIteratorIllEEPS6_NSA_22TransformInputIteratorIbN2at6native12_GLOBAL__N_19NonZeroOpIiEEPKilEENS0_5tupleIJPlS6_EEENSN_IJSD_SD_EEES6_PiJS6_EEE10hipError_tPvRmT3_T4_T5_T6_T7_T9_mT8_P12ihipStream_tbDpT10_ENKUlT_T0_E_clISt17integral_constantIbLb0EES1B_EEDaS16_S17_EUlS16_E_NS1_11comp_targetILNS1_3genE8ELNS1_11target_archE1030ELNS1_3gpuE2ELNS1_3repE0EEENS1_30default_config_static_selectorELNS0_4arch9wavefront6targetE0EEEvT1_,comdat
.Lfunc_end193:
	.size	_ZN7rocprim17ROCPRIM_400000_NS6detail17trampoline_kernelINS0_14default_configENS1_25partition_config_selectorILNS1_17partition_subalgoE5ElNS0_10empty_typeEbEEZZNS1_14partition_implILS5_5ELb0ES3_mN6hipcub16HIPCUB_304000_NS21CountingInputIteratorIllEEPS6_NSA_22TransformInputIteratorIbN2at6native12_GLOBAL__N_19NonZeroOpIiEEPKilEENS0_5tupleIJPlS6_EEENSN_IJSD_SD_EEES6_PiJS6_EEE10hipError_tPvRmT3_T4_T5_T6_T7_T9_mT8_P12ihipStream_tbDpT10_ENKUlT_T0_E_clISt17integral_constantIbLb0EES1B_EEDaS16_S17_EUlS16_E_NS1_11comp_targetILNS1_3genE8ELNS1_11target_archE1030ELNS1_3gpuE2ELNS1_3repE0EEENS1_30default_config_static_selectorELNS0_4arch9wavefront6targetE0EEEvT1_, .Lfunc_end193-_ZN7rocprim17ROCPRIM_400000_NS6detail17trampoline_kernelINS0_14default_configENS1_25partition_config_selectorILNS1_17partition_subalgoE5ElNS0_10empty_typeEbEEZZNS1_14partition_implILS5_5ELb0ES3_mN6hipcub16HIPCUB_304000_NS21CountingInputIteratorIllEEPS6_NSA_22TransformInputIteratorIbN2at6native12_GLOBAL__N_19NonZeroOpIiEEPKilEENS0_5tupleIJPlS6_EEENSN_IJSD_SD_EEES6_PiJS6_EEE10hipError_tPvRmT3_T4_T5_T6_T7_T9_mT8_P12ihipStream_tbDpT10_ENKUlT_T0_E_clISt17integral_constantIbLb0EES1B_EEDaS16_S17_EUlS16_E_NS1_11comp_targetILNS1_3genE8ELNS1_11target_archE1030ELNS1_3gpuE2ELNS1_3repE0EEENS1_30default_config_static_selectorELNS0_4arch9wavefront6targetE0EEEvT1_
                                        ; -- End function
	.set _ZN7rocprim17ROCPRIM_400000_NS6detail17trampoline_kernelINS0_14default_configENS1_25partition_config_selectorILNS1_17partition_subalgoE5ElNS0_10empty_typeEbEEZZNS1_14partition_implILS5_5ELb0ES3_mN6hipcub16HIPCUB_304000_NS21CountingInputIteratorIllEEPS6_NSA_22TransformInputIteratorIbN2at6native12_GLOBAL__N_19NonZeroOpIiEEPKilEENS0_5tupleIJPlS6_EEENSN_IJSD_SD_EEES6_PiJS6_EEE10hipError_tPvRmT3_T4_T5_T6_T7_T9_mT8_P12ihipStream_tbDpT10_ENKUlT_T0_E_clISt17integral_constantIbLb0EES1B_EEDaS16_S17_EUlS16_E_NS1_11comp_targetILNS1_3genE8ELNS1_11target_archE1030ELNS1_3gpuE2ELNS1_3repE0EEENS1_30default_config_static_selectorELNS0_4arch9wavefront6targetE0EEEvT1_.num_vgpr, 0
	.set _ZN7rocprim17ROCPRIM_400000_NS6detail17trampoline_kernelINS0_14default_configENS1_25partition_config_selectorILNS1_17partition_subalgoE5ElNS0_10empty_typeEbEEZZNS1_14partition_implILS5_5ELb0ES3_mN6hipcub16HIPCUB_304000_NS21CountingInputIteratorIllEEPS6_NSA_22TransformInputIteratorIbN2at6native12_GLOBAL__N_19NonZeroOpIiEEPKilEENS0_5tupleIJPlS6_EEENSN_IJSD_SD_EEES6_PiJS6_EEE10hipError_tPvRmT3_T4_T5_T6_T7_T9_mT8_P12ihipStream_tbDpT10_ENKUlT_T0_E_clISt17integral_constantIbLb0EES1B_EEDaS16_S17_EUlS16_E_NS1_11comp_targetILNS1_3genE8ELNS1_11target_archE1030ELNS1_3gpuE2ELNS1_3repE0EEENS1_30default_config_static_selectorELNS0_4arch9wavefront6targetE0EEEvT1_.num_agpr, 0
	.set _ZN7rocprim17ROCPRIM_400000_NS6detail17trampoline_kernelINS0_14default_configENS1_25partition_config_selectorILNS1_17partition_subalgoE5ElNS0_10empty_typeEbEEZZNS1_14partition_implILS5_5ELb0ES3_mN6hipcub16HIPCUB_304000_NS21CountingInputIteratorIllEEPS6_NSA_22TransformInputIteratorIbN2at6native12_GLOBAL__N_19NonZeroOpIiEEPKilEENS0_5tupleIJPlS6_EEENSN_IJSD_SD_EEES6_PiJS6_EEE10hipError_tPvRmT3_T4_T5_T6_T7_T9_mT8_P12ihipStream_tbDpT10_ENKUlT_T0_E_clISt17integral_constantIbLb0EES1B_EEDaS16_S17_EUlS16_E_NS1_11comp_targetILNS1_3genE8ELNS1_11target_archE1030ELNS1_3gpuE2ELNS1_3repE0EEENS1_30default_config_static_selectorELNS0_4arch9wavefront6targetE0EEEvT1_.numbered_sgpr, 0
	.set _ZN7rocprim17ROCPRIM_400000_NS6detail17trampoline_kernelINS0_14default_configENS1_25partition_config_selectorILNS1_17partition_subalgoE5ElNS0_10empty_typeEbEEZZNS1_14partition_implILS5_5ELb0ES3_mN6hipcub16HIPCUB_304000_NS21CountingInputIteratorIllEEPS6_NSA_22TransformInputIteratorIbN2at6native12_GLOBAL__N_19NonZeroOpIiEEPKilEENS0_5tupleIJPlS6_EEENSN_IJSD_SD_EEES6_PiJS6_EEE10hipError_tPvRmT3_T4_T5_T6_T7_T9_mT8_P12ihipStream_tbDpT10_ENKUlT_T0_E_clISt17integral_constantIbLb0EES1B_EEDaS16_S17_EUlS16_E_NS1_11comp_targetILNS1_3genE8ELNS1_11target_archE1030ELNS1_3gpuE2ELNS1_3repE0EEENS1_30default_config_static_selectorELNS0_4arch9wavefront6targetE0EEEvT1_.num_named_barrier, 0
	.set _ZN7rocprim17ROCPRIM_400000_NS6detail17trampoline_kernelINS0_14default_configENS1_25partition_config_selectorILNS1_17partition_subalgoE5ElNS0_10empty_typeEbEEZZNS1_14partition_implILS5_5ELb0ES3_mN6hipcub16HIPCUB_304000_NS21CountingInputIteratorIllEEPS6_NSA_22TransformInputIteratorIbN2at6native12_GLOBAL__N_19NonZeroOpIiEEPKilEENS0_5tupleIJPlS6_EEENSN_IJSD_SD_EEES6_PiJS6_EEE10hipError_tPvRmT3_T4_T5_T6_T7_T9_mT8_P12ihipStream_tbDpT10_ENKUlT_T0_E_clISt17integral_constantIbLb0EES1B_EEDaS16_S17_EUlS16_E_NS1_11comp_targetILNS1_3genE8ELNS1_11target_archE1030ELNS1_3gpuE2ELNS1_3repE0EEENS1_30default_config_static_selectorELNS0_4arch9wavefront6targetE0EEEvT1_.private_seg_size, 0
	.set _ZN7rocprim17ROCPRIM_400000_NS6detail17trampoline_kernelINS0_14default_configENS1_25partition_config_selectorILNS1_17partition_subalgoE5ElNS0_10empty_typeEbEEZZNS1_14partition_implILS5_5ELb0ES3_mN6hipcub16HIPCUB_304000_NS21CountingInputIteratorIllEEPS6_NSA_22TransformInputIteratorIbN2at6native12_GLOBAL__N_19NonZeroOpIiEEPKilEENS0_5tupleIJPlS6_EEENSN_IJSD_SD_EEES6_PiJS6_EEE10hipError_tPvRmT3_T4_T5_T6_T7_T9_mT8_P12ihipStream_tbDpT10_ENKUlT_T0_E_clISt17integral_constantIbLb0EES1B_EEDaS16_S17_EUlS16_E_NS1_11comp_targetILNS1_3genE8ELNS1_11target_archE1030ELNS1_3gpuE2ELNS1_3repE0EEENS1_30default_config_static_selectorELNS0_4arch9wavefront6targetE0EEEvT1_.uses_vcc, 0
	.set _ZN7rocprim17ROCPRIM_400000_NS6detail17trampoline_kernelINS0_14default_configENS1_25partition_config_selectorILNS1_17partition_subalgoE5ElNS0_10empty_typeEbEEZZNS1_14partition_implILS5_5ELb0ES3_mN6hipcub16HIPCUB_304000_NS21CountingInputIteratorIllEEPS6_NSA_22TransformInputIteratorIbN2at6native12_GLOBAL__N_19NonZeroOpIiEEPKilEENS0_5tupleIJPlS6_EEENSN_IJSD_SD_EEES6_PiJS6_EEE10hipError_tPvRmT3_T4_T5_T6_T7_T9_mT8_P12ihipStream_tbDpT10_ENKUlT_T0_E_clISt17integral_constantIbLb0EES1B_EEDaS16_S17_EUlS16_E_NS1_11comp_targetILNS1_3genE8ELNS1_11target_archE1030ELNS1_3gpuE2ELNS1_3repE0EEENS1_30default_config_static_selectorELNS0_4arch9wavefront6targetE0EEEvT1_.uses_flat_scratch, 0
	.set _ZN7rocprim17ROCPRIM_400000_NS6detail17trampoline_kernelINS0_14default_configENS1_25partition_config_selectorILNS1_17partition_subalgoE5ElNS0_10empty_typeEbEEZZNS1_14partition_implILS5_5ELb0ES3_mN6hipcub16HIPCUB_304000_NS21CountingInputIteratorIllEEPS6_NSA_22TransformInputIteratorIbN2at6native12_GLOBAL__N_19NonZeroOpIiEEPKilEENS0_5tupleIJPlS6_EEENSN_IJSD_SD_EEES6_PiJS6_EEE10hipError_tPvRmT3_T4_T5_T6_T7_T9_mT8_P12ihipStream_tbDpT10_ENKUlT_T0_E_clISt17integral_constantIbLb0EES1B_EEDaS16_S17_EUlS16_E_NS1_11comp_targetILNS1_3genE8ELNS1_11target_archE1030ELNS1_3gpuE2ELNS1_3repE0EEENS1_30default_config_static_selectorELNS0_4arch9wavefront6targetE0EEEvT1_.has_dyn_sized_stack, 0
	.set _ZN7rocprim17ROCPRIM_400000_NS6detail17trampoline_kernelINS0_14default_configENS1_25partition_config_selectorILNS1_17partition_subalgoE5ElNS0_10empty_typeEbEEZZNS1_14partition_implILS5_5ELb0ES3_mN6hipcub16HIPCUB_304000_NS21CountingInputIteratorIllEEPS6_NSA_22TransformInputIteratorIbN2at6native12_GLOBAL__N_19NonZeroOpIiEEPKilEENS0_5tupleIJPlS6_EEENSN_IJSD_SD_EEES6_PiJS6_EEE10hipError_tPvRmT3_T4_T5_T6_T7_T9_mT8_P12ihipStream_tbDpT10_ENKUlT_T0_E_clISt17integral_constantIbLb0EES1B_EEDaS16_S17_EUlS16_E_NS1_11comp_targetILNS1_3genE8ELNS1_11target_archE1030ELNS1_3gpuE2ELNS1_3repE0EEENS1_30default_config_static_selectorELNS0_4arch9wavefront6targetE0EEEvT1_.has_recursion, 0
	.set _ZN7rocprim17ROCPRIM_400000_NS6detail17trampoline_kernelINS0_14default_configENS1_25partition_config_selectorILNS1_17partition_subalgoE5ElNS0_10empty_typeEbEEZZNS1_14partition_implILS5_5ELb0ES3_mN6hipcub16HIPCUB_304000_NS21CountingInputIteratorIllEEPS6_NSA_22TransformInputIteratorIbN2at6native12_GLOBAL__N_19NonZeroOpIiEEPKilEENS0_5tupleIJPlS6_EEENSN_IJSD_SD_EEES6_PiJS6_EEE10hipError_tPvRmT3_T4_T5_T6_T7_T9_mT8_P12ihipStream_tbDpT10_ENKUlT_T0_E_clISt17integral_constantIbLb0EES1B_EEDaS16_S17_EUlS16_E_NS1_11comp_targetILNS1_3genE8ELNS1_11target_archE1030ELNS1_3gpuE2ELNS1_3repE0EEENS1_30default_config_static_selectorELNS0_4arch9wavefront6targetE0EEEvT1_.has_indirect_call, 0
	.section	.AMDGPU.csdata,"",@progbits
; Kernel info:
; codeLenInByte = 0
; TotalNumSgprs: 0
; NumVgprs: 0
; ScratchSize: 0
; MemoryBound: 0
; FloatMode: 240
; IeeeMode: 1
; LDSByteSize: 0 bytes/workgroup (compile time only)
; SGPRBlocks: 0
; VGPRBlocks: 0
; NumSGPRsForWavesPerEU: 1
; NumVGPRsForWavesPerEU: 1
; Occupancy: 16
; WaveLimiterHint : 0
; COMPUTE_PGM_RSRC2:SCRATCH_EN: 0
; COMPUTE_PGM_RSRC2:USER_SGPR: 2
; COMPUTE_PGM_RSRC2:TRAP_HANDLER: 0
; COMPUTE_PGM_RSRC2:TGID_X_EN: 1
; COMPUTE_PGM_RSRC2:TGID_Y_EN: 0
; COMPUTE_PGM_RSRC2:TGID_Z_EN: 0
; COMPUTE_PGM_RSRC2:TIDIG_COMP_CNT: 0
	.section	.text._ZN7rocprim17ROCPRIM_400000_NS6detail17trampoline_kernelINS0_14default_configENS1_25partition_config_selectorILNS1_17partition_subalgoE5ElNS0_10empty_typeEbEEZZNS1_14partition_implILS5_5ELb0ES3_mN6hipcub16HIPCUB_304000_NS21CountingInputIteratorIllEEPS6_NSA_22TransformInputIteratorIbN2at6native12_GLOBAL__N_19NonZeroOpIiEEPKilEENS0_5tupleIJPlS6_EEENSN_IJSD_SD_EEES6_PiJS6_EEE10hipError_tPvRmT3_T4_T5_T6_T7_T9_mT8_P12ihipStream_tbDpT10_ENKUlT_T0_E_clISt17integral_constantIbLb1EES1B_EEDaS16_S17_EUlS16_E_NS1_11comp_targetILNS1_3genE0ELNS1_11target_archE4294967295ELNS1_3gpuE0ELNS1_3repE0EEENS1_30default_config_static_selectorELNS0_4arch9wavefront6targetE0EEEvT1_,"axG",@progbits,_ZN7rocprim17ROCPRIM_400000_NS6detail17trampoline_kernelINS0_14default_configENS1_25partition_config_selectorILNS1_17partition_subalgoE5ElNS0_10empty_typeEbEEZZNS1_14partition_implILS5_5ELb0ES3_mN6hipcub16HIPCUB_304000_NS21CountingInputIteratorIllEEPS6_NSA_22TransformInputIteratorIbN2at6native12_GLOBAL__N_19NonZeroOpIiEEPKilEENS0_5tupleIJPlS6_EEENSN_IJSD_SD_EEES6_PiJS6_EEE10hipError_tPvRmT3_T4_T5_T6_T7_T9_mT8_P12ihipStream_tbDpT10_ENKUlT_T0_E_clISt17integral_constantIbLb1EES1B_EEDaS16_S17_EUlS16_E_NS1_11comp_targetILNS1_3genE0ELNS1_11target_archE4294967295ELNS1_3gpuE0ELNS1_3repE0EEENS1_30default_config_static_selectorELNS0_4arch9wavefront6targetE0EEEvT1_,comdat
	.globl	_ZN7rocprim17ROCPRIM_400000_NS6detail17trampoline_kernelINS0_14default_configENS1_25partition_config_selectorILNS1_17partition_subalgoE5ElNS0_10empty_typeEbEEZZNS1_14partition_implILS5_5ELb0ES3_mN6hipcub16HIPCUB_304000_NS21CountingInputIteratorIllEEPS6_NSA_22TransformInputIteratorIbN2at6native12_GLOBAL__N_19NonZeroOpIiEEPKilEENS0_5tupleIJPlS6_EEENSN_IJSD_SD_EEES6_PiJS6_EEE10hipError_tPvRmT3_T4_T5_T6_T7_T9_mT8_P12ihipStream_tbDpT10_ENKUlT_T0_E_clISt17integral_constantIbLb1EES1B_EEDaS16_S17_EUlS16_E_NS1_11comp_targetILNS1_3genE0ELNS1_11target_archE4294967295ELNS1_3gpuE0ELNS1_3repE0EEENS1_30default_config_static_selectorELNS0_4arch9wavefront6targetE0EEEvT1_ ; -- Begin function _ZN7rocprim17ROCPRIM_400000_NS6detail17trampoline_kernelINS0_14default_configENS1_25partition_config_selectorILNS1_17partition_subalgoE5ElNS0_10empty_typeEbEEZZNS1_14partition_implILS5_5ELb0ES3_mN6hipcub16HIPCUB_304000_NS21CountingInputIteratorIllEEPS6_NSA_22TransformInputIteratorIbN2at6native12_GLOBAL__N_19NonZeroOpIiEEPKilEENS0_5tupleIJPlS6_EEENSN_IJSD_SD_EEES6_PiJS6_EEE10hipError_tPvRmT3_T4_T5_T6_T7_T9_mT8_P12ihipStream_tbDpT10_ENKUlT_T0_E_clISt17integral_constantIbLb1EES1B_EEDaS16_S17_EUlS16_E_NS1_11comp_targetILNS1_3genE0ELNS1_11target_archE4294967295ELNS1_3gpuE0ELNS1_3repE0EEENS1_30default_config_static_selectorELNS0_4arch9wavefront6targetE0EEEvT1_
	.p2align	8
	.type	_ZN7rocprim17ROCPRIM_400000_NS6detail17trampoline_kernelINS0_14default_configENS1_25partition_config_selectorILNS1_17partition_subalgoE5ElNS0_10empty_typeEbEEZZNS1_14partition_implILS5_5ELb0ES3_mN6hipcub16HIPCUB_304000_NS21CountingInputIteratorIllEEPS6_NSA_22TransformInputIteratorIbN2at6native12_GLOBAL__N_19NonZeroOpIiEEPKilEENS0_5tupleIJPlS6_EEENSN_IJSD_SD_EEES6_PiJS6_EEE10hipError_tPvRmT3_T4_T5_T6_T7_T9_mT8_P12ihipStream_tbDpT10_ENKUlT_T0_E_clISt17integral_constantIbLb1EES1B_EEDaS16_S17_EUlS16_E_NS1_11comp_targetILNS1_3genE0ELNS1_11target_archE4294967295ELNS1_3gpuE0ELNS1_3repE0EEENS1_30default_config_static_selectorELNS0_4arch9wavefront6targetE0EEEvT1_,@function
_ZN7rocprim17ROCPRIM_400000_NS6detail17trampoline_kernelINS0_14default_configENS1_25partition_config_selectorILNS1_17partition_subalgoE5ElNS0_10empty_typeEbEEZZNS1_14partition_implILS5_5ELb0ES3_mN6hipcub16HIPCUB_304000_NS21CountingInputIteratorIllEEPS6_NSA_22TransformInputIteratorIbN2at6native12_GLOBAL__N_19NonZeroOpIiEEPKilEENS0_5tupleIJPlS6_EEENSN_IJSD_SD_EEES6_PiJS6_EEE10hipError_tPvRmT3_T4_T5_T6_T7_T9_mT8_P12ihipStream_tbDpT10_ENKUlT_T0_E_clISt17integral_constantIbLb1EES1B_EEDaS16_S17_EUlS16_E_NS1_11comp_targetILNS1_3genE0ELNS1_11target_archE4294967295ELNS1_3gpuE0ELNS1_3repE0EEENS1_30default_config_static_selectorELNS0_4arch9wavefront6targetE0EEEvT1_: ; @_ZN7rocprim17ROCPRIM_400000_NS6detail17trampoline_kernelINS0_14default_configENS1_25partition_config_selectorILNS1_17partition_subalgoE5ElNS0_10empty_typeEbEEZZNS1_14partition_implILS5_5ELb0ES3_mN6hipcub16HIPCUB_304000_NS21CountingInputIteratorIllEEPS6_NSA_22TransformInputIteratorIbN2at6native12_GLOBAL__N_19NonZeroOpIiEEPKilEENS0_5tupleIJPlS6_EEENSN_IJSD_SD_EEES6_PiJS6_EEE10hipError_tPvRmT3_T4_T5_T6_T7_T9_mT8_P12ihipStream_tbDpT10_ENKUlT_T0_E_clISt17integral_constantIbLb1EES1B_EEDaS16_S17_EUlS16_E_NS1_11comp_targetILNS1_3genE0ELNS1_11target_archE4294967295ELNS1_3gpuE0ELNS1_3repE0EEENS1_30default_config_static_selectorELNS0_4arch9wavefront6targetE0EEEvT1_
; %bb.0:
	.section	.rodata,"a",@progbits
	.p2align	6, 0x0
	.amdhsa_kernel _ZN7rocprim17ROCPRIM_400000_NS6detail17trampoline_kernelINS0_14default_configENS1_25partition_config_selectorILNS1_17partition_subalgoE5ElNS0_10empty_typeEbEEZZNS1_14partition_implILS5_5ELb0ES3_mN6hipcub16HIPCUB_304000_NS21CountingInputIteratorIllEEPS6_NSA_22TransformInputIteratorIbN2at6native12_GLOBAL__N_19NonZeroOpIiEEPKilEENS0_5tupleIJPlS6_EEENSN_IJSD_SD_EEES6_PiJS6_EEE10hipError_tPvRmT3_T4_T5_T6_T7_T9_mT8_P12ihipStream_tbDpT10_ENKUlT_T0_E_clISt17integral_constantIbLb1EES1B_EEDaS16_S17_EUlS16_E_NS1_11comp_targetILNS1_3genE0ELNS1_11target_archE4294967295ELNS1_3gpuE0ELNS1_3repE0EEENS1_30default_config_static_selectorELNS0_4arch9wavefront6targetE0EEEvT1_
		.amdhsa_group_segment_fixed_size 0
		.amdhsa_private_segment_fixed_size 0
		.amdhsa_kernarg_size 136
		.amdhsa_user_sgpr_count 2
		.amdhsa_user_sgpr_dispatch_ptr 0
		.amdhsa_user_sgpr_queue_ptr 0
		.amdhsa_user_sgpr_kernarg_segment_ptr 1
		.amdhsa_user_sgpr_dispatch_id 0
		.amdhsa_user_sgpr_private_segment_size 0
		.amdhsa_wavefront_size32 1
		.amdhsa_uses_dynamic_stack 0
		.amdhsa_enable_private_segment 0
		.amdhsa_system_sgpr_workgroup_id_x 1
		.amdhsa_system_sgpr_workgroup_id_y 0
		.amdhsa_system_sgpr_workgroup_id_z 0
		.amdhsa_system_sgpr_workgroup_info 0
		.amdhsa_system_vgpr_workitem_id 0
		.amdhsa_next_free_vgpr 1
		.amdhsa_next_free_sgpr 1
		.amdhsa_reserve_vcc 0
		.amdhsa_float_round_mode_32 0
		.amdhsa_float_round_mode_16_64 0
		.amdhsa_float_denorm_mode_32 3
		.amdhsa_float_denorm_mode_16_64 3
		.amdhsa_fp16_overflow 0
		.amdhsa_workgroup_processor_mode 1
		.amdhsa_memory_ordered 1
		.amdhsa_forward_progress 1
		.amdhsa_inst_pref_size 0
		.amdhsa_round_robin_scheduling 0
		.amdhsa_exception_fp_ieee_invalid_op 0
		.amdhsa_exception_fp_denorm_src 0
		.amdhsa_exception_fp_ieee_div_zero 0
		.amdhsa_exception_fp_ieee_overflow 0
		.amdhsa_exception_fp_ieee_underflow 0
		.amdhsa_exception_fp_ieee_inexact 0
		.amdhsa_exception_int_div_zero 0
	.end_amdhsa_kernel
	.section	.text._ZN7rocprim17ROCPRIM_400000_NS6detail17trampoline_kernelINS0_14default_configENS1_25partition_config_selectorILNS1_17partition_subalgoE5ElNS0_10empty_typeEbEEZZNS1_14partition_implILS5_5ELb0ES3_mN6hipcub16HIPCUB_304000_NS21CountingInputIteratorIllEEPS6_NSA_22TransformInputIteratorIbN2at6native12_GLOBAL__N_19NonZeroOpIiEEPKilEENS0_5tupleIJPlS6_EEENSN_IJSD_SD_EEES6_PiJS6_EEE10hipError_tPvRmT3_T4_T5_T6_T7_T9_mT8_P12ihipStream_tbDpT10_ENKUlT_T0_E_clISt17integral_constantIbLb1EES1B_EEDaS16_S17_EUlS16_E_NS1_11comp_targetILNS1_3genE0ELNS1_11target_archE4294967295ELNS1_3gpuE0ELNS1_3repE0EEENS1_30default_config_static_selectorELNS0_4arch9wavefront6targetE0EEEvT1_,"axG",@progbits,_ZN7rocprim17ROCPRIM_400000_NS6detail17trampoline_kernelINS0_14default_configENS1_25partition_config_selectorILNS1_17partition_subalgoE5ElNS0_10empty_typeEbEEZZNS1_14partition_implILS5_5ELb0ES3_mN6hipcub16HIPCUB_304000_NS21CountingInputIteratorIllEEPS6_NSA_22TransformInputIteratorIbN2at6native12_GLOBAL__N_19NonZeroOpIiEEPKilEENS0_5tupleIJPlS6_EEENSN_IJSD_SD_EEES6_PiJS6_EEE10hipError_tPvRmT3_T4_T5_T6_T7_T9_mT8_P12ihipStream_tbDpT10_ENKUlT_T0_E_clISt17integral_constantIbLb1EES1B_EEDaS16_S17_EUlS16_E_NS1_11comp_targetILNS1_3genE0ELNS1_11target_archE4294967295ELNS1_3gpuE0ELNS1_3repE0EEENS1_30default_config_static_selectorELNS0_4arch9wavefront6targetE0EEEvT1_,comdat
.Lfunc_end194:
	.size	_ZN7rocprim17ROCPRIM_400000_NS6detail17trampoline_kernelINS0_14default_configENS1_25partition_config_selectorILNS1_17partition_subalgoE5ElNS0_10empty_typeEbEEZZNS1_14partition_implILS5_5ELb0ES3_mN6hipcub16HIPCUB_304000_NS21CountingInputIteratorIllEEPS6_NSA_22TransformInputIteratorIbN2at6native12_GLOBAL__N_19NonZeroOpIiEEPKilEENS0_5tupleIJPlS6_EEENSN_IJSD_SD_EEES6_PiJS6_EEE10hipError_tPvRmT3_T4_T5_T6_T7_T9_mT8_P12ihipStream_tbDpT10_ENKUlT_T0_E_clISt17integral_constantIbLb1EES1B_EEDaS16_S17_EUlS16_E_NS1_11comp_targetILNS1_3genE0ELNS1_11target_archE4294967295ELNS1_3gpuE0ELNS1_3repE0EEENS1_30default_config_static_selectorELNS0_4arch9wavefront6targetE0EEEvT1_, .Lfunc_end194-_ZN7rocprim17ROCPRIM_400000_NS6detail17trampoline_kernelINS0_14default_configENS1_25partition_config_selectorILNS1_17partition_subalgoE5ElNS0_10empty_typeEbEEZZNS1_14partition_implILS5_5ELb0ES3_mN6hipcub16HIPCUB_304000_NS21CountingInputIteratorIllEEPS6_NSA_22TransformInputIteratorIbN2at6native12_GLOBAL__N_19NonZeroOpIiEEPKilEENS0_5tupleIJPlS6_EEENSN_IJSD_SD_EEES6_PiJS6_EEE10hipError_tPvRmT3_T4_T5_T6_T7_T9_mT8_P12ihipStream_tbDpT10_ENKUlT_T0_E_clISt17integral_constantIbLb1EES1B_EEDaS16_S17_EUlS16_E_NS1_11comp_targetILNS1_3genE0ELNS1_11target_archE4294967295ELNS1_3gpuE0ELNS1_3repE0EEENS1_30default_config_static_selectorELNS0_4arch9wavefront6targetE0EEEvT1_
                                        ; -- End function
	.set _ZN7rocprim17ROCPRIM_400000_NS6detail17trampoline_kernelINS0_14default_configENS1_25partition_config_selectorILNS1_17partition_subalgoE5ElNS0_10empty_typeEbEEZZNS1_14partition_implILS5_5ELb0ES3_mN6hipcub16HIPCUB_304000_NS21CountingInputIteratorIllEEPS6_NSA_22TransformInputIteratorIbN2at6native12_GLOBAL__N_19NonZeroOpIiEEPKilEENS0_5tupleIJPlS6_EEENSN_IJSD_SD_EEES6_PiJS6_EEE10hipError_tPvRmT3_T4_T5_T6_T7_T9_mT8_P12ihipStream_tbDpT10_ENKUlT_T0_E_clISt17integral_constantIbLb1EES1B_EEDaS16_S17_EUlS16_E_NS1_11comp_targetILNS1_3genE0ELNS1_11target_archE4294967295ELNS1_3gpuE0ELNS1_3repE0EEENS1_30default_config_static_selectorELNS0_4arch9wavefront6targetE0EEEvT1_.num_vgpr, 0
	.set _ZN7rocprim17ROCPRIM_400000_NS6detail17trampoline_kernelINS0_14default_configENS1_25partition_config_selectorILNS1_17partition_subalgoE5ElNS0_10empty_typeEbEEZZNS1_14partition_implILS5_5ELb0ES3_mN6hipcub16HIPCUB_304000_NS21CountingInputIteratorIllEEPS6_NSA_22TransformInputIteratorIbN2at6native12_GLOBAL__N_19NonZeroOpIiEEPKilEENS0_5tupleIJPlS6_EEENSN_IJSD_SD_EEES6_PiJS6_EEE10hipError_tPvRmT3_T4_T5_T6_T7_T9_mT8_P12ihipStream_tbDpT10_ENKUlT_T0_E_clISt17integral_constantIbLb1EES1B_EEDaS16_S17_EUlS16_E_NS1_11comp_targetILNS1_3genE0ELNS1_11target_archE4294967295ELNS1_3gpuE0ELNS1_3repE0EEENS1_30default_config_static_selectorELNS0_4arch9wavefront6targetE0EEEvT1_.num_agpr, 0
	.set _ZN7rocprim17ROCPRIM_400000_NS6detail17trampoline_kernelINS0_14default_configENS1_25partition_config_selectorILNS1_17partition_subalgoE5ElNS0_10empty_typeEbEEZZNS1_14partition_implILS5_5ELb0ES3_mN6hipcub16HIPCUB_304000_NS21CountingInputIteratorIllEEPS6_NSA_22TransformInputIteratorIbN2at6native12_GLOBAL__N_19NonZeroOpIiEEPKilEENS0_5tupleIJPlS6_EEENSN_IJSD_SD_EEES6_PiJS6_EEE10hipError_tPvRmT3_T4_T5_T6_T7_T9_mT8_P12ihipStream_tbDpT10_ENKUlT_T0_E_clISt17integral_constantIbLb1EES1B_EEDaS16_S17_EUlS16_E_NS1_11comp_targetILNS1_3genE0ELNS1_11target_archE4294967295ELNS1_3gpuE0ELNS1_3repE0EEENS1_30default_config_static_selectorELNS0_4arch9wavefront6targetE0EEEvT1_.numbered_sgpr, 0
	.set _ZN7rocprim17ROCPRIM_400000_NS6detail17trampoline_kernelINS0_14default_configENS1_25partition_config_selectorILNS1_17partition_subalgoE5ElNS0_10empty_typeEbEEZZNS1_14partition_implILS5_5ELb0ES3_mN6hipcub16HIPCUB_304000_NS21CountingInputIteratorIllEEPS6_NSA_22TransformInputIteratorIbN2at6native12_GLOBAL__N_19NonZeroOpIiEEPKilEENS0_5tupleIJPlS6_EEENSN_IJSD_SD_EEES6_PiJS6_EEE10hipError_tPvRmT3_T4_T5_T6_T7_T9_mT8_P12ihipStream_tbDpT10_ENKUlT_T0_E_clISt17integral_constantIbLb1EES1B_EEDaS16_S17_EUlS16_E_NS1_11comp_targetILNS1_3genE0ELNS1_11target_archE4294967295ELNS1_3gpuE0ELNS1_3repE0EEENS1_30default_config_static_selectorELNS0_4arch9wavefront6targetE0EEEvT1_.num_named_barrier, 0
	.set _ZN7rocprim17ROCPRIM_400000_NS6detail17trampoline_kernelINS0_14default_configENS1_25partition_config_selectorILNS1_17partition_subalgoE5ElNS0_10empty_typeEbEEZZNS1_14partition_implILS5_5ELb0ES3_mN6hipcub16HIPCUB_304000_NS21CountingInputIteratorIllEEPS6_NSA_22TransformInputIteratorIbN2at6native12_GLOBAL__N_19NonZeroOpIiEEPKilEENS0_5tupleIJPlS6_EEENSN_IJSD_SD_EEES6_PiJS6_EEE10hipError_tPvRmT3_T4_T5_T6_T7_T9_mT8_P12ihipStream_tbDpT10_ENKUlT_T0_E_clISt17integral_constantIbLb1EES1B_EEDaS16_S17_EUlS16_E_NS1_11comp_targetILNS1_3genE0ELNS1_11target_archE4294967295ELNS1_3gpuE0ELNS1_3repE0EEENS1_30default_config_static_selectorELNS0_4arch9wavefront6targetE0EEEvT1_.private_seg_size, 0
	.set _ZN7rocprim17ROCPRIM_400000_NS6detail17trampoline_kernelINS0_14default_configENS1_25partition_config_selectorILNS1_17partition_subalgoE5ElNS0_10empty_typeEbEEZZNS1_14partition_implILS5_5ELb0ES3_mN6hipcub16HIPCUB_304000_NS21CountingInputIteratorIllEEPS6_NSA_22TransformInputIteratorIbN2at6native12_GLOBAL__N_19NonZeroOpIiEEPKilEENS0_5tupleIJPlS6_EEENSN_IJSD_SD_EEES6_PiJS6_EEE10hipError_tPvRmT3_T4_T5_T6_T7_T9_mT8_P12ihipStream_tbDpT10_ENKUlT_T0_E_clISt17integral_constantIbLb1EES1B_EEDaS16_S17_EUlS16_E_NS1_11comp_targetILNS1_3genE0ELNS1_11target_archE4294967295ELNS1_3gpuE0ELNS1_3repE0EEENS1_30default_config_static_selectorELNS0_4arch9wavefront6targetE0EEEvT1_.uses_vcc, 0
	.set _ZN7rocprim17ROCPRIM_400000_NS6detail17trampoline_kernelINS0_14default_configENS1_25partition_config_selectorILNS1_17partition_subalgoE5ElNS0_10empty_typeEbEEZZNS1_14partition_implILS5_5ELb0ES3_mN6hipcub16HIPCUB_304000_NS21CountingInputIteratorIllEEPS6_NSA_22TransformInputIteratorIbN2at6native12_GLOBAL__N_19NonZeroOpIiEEPKilEENS0_5tupleIJPlS6_EEENSN_IJSD_SD_EEES6_PiJS6_EEE10hipError_tPvRmT3_T4_T5_T6_T7_T9_mT8_P12ihipStream_tbDpT10_ENKUlT_T0_E_clISt17integral_constantIbLb1EES1B_EEDaS16_S17_EUlS16_E_NS1_11comp_targetILNS1_3genE0ELNS1_11target_archE4294967295ELNS1_3gpuE0ELNS1_3repE0EEENS1_30default_config_static_selectorELNS0_4arch9wavefront6targetE0EEEvT1_.uses_flat_scratch, 0
	.set _ZN7rocprim17ROCPRIM_400000_NS6detail17trampoline_kernelINS0_14default_configENS1_25partition_config_selectorILNS1_17partition_subalgoE5ElNS0_10empty_typeEbEEZZNS1_14partition_implILS5_5ELb0ES3_mN6hipcub16HIPCUB_304000_NS21CountingInputIteratorIllEEPS6_NSA_22TransformInputIteratorIbN2at6native12_GLOBAL__N_19NonZeroOpIiEEPKilEENS0_5tupleIJPlS6_EEENSN_IJSD_SD_EEES6_PiJS6_EEE10hipError_tPvRmT3_T4_T5_T6_T7_T9_mT8_P12ihipStream_tbDpT10_ENKUlT_T0_E_clISt17integral_constantIbLb1EES1B_EEDaS16_S17_EUlS16_E_NS1_11comp_targetILNS1_3genE0ELNS1_11target_archE4294967295ELNS1_3gpuE0ELNS1_3repE0EEENS1_30default_config_static_selectorELNS0_4arch9wavefront6targetE0EEEvT1_.has_dyn_sized_stack, 0
	.set _ZN7rocprim17ROCPRIM_400000_NS6detail17trampoline_kernelINS0_14default_configENS1_25partition_config_selectorILNS1_17partition_subalgoE5ElNS0_10empty_typeEbEEZZNS1_14partition_implILS5_5ELb0ES3_mN6hipcub16HIPCUB_304000_NS21CountingInputIteratorIllEEPS6_NSA_22TransformInputIteratorIbN2at6native12_GLOBAL__N_19NonZeroOpIiEEPKilEENS0_5tupleIJPlS6_EEENSN_IJSD_SD_EEES6_PiJS6_EEE10hipError_tPvRmT3_T4_T5_T6_T7_T9_mT8_P12ihipStream_tbDpT10_ENKUlT_T0_E_clISt17integral_constantIbLb1EES1B_EEDaS16_S17_EUlS16_E_NS1_11comp_targetILNS1_3genE0ELNS1_11target_archE4294967295ELNS1_3gpuE0ELNS1_3repE0EEENS1_30default_config_static_selectorELNS0_4arch9wavefront6targetE0EEEvT1_.has_recursion, 0
	.set _ZN7rocprim17ROCPRIM_400000_NS6detail17trampoline_kernelINS0_14default_configENS1_25partition_config_selectorILNS1_17partition_subalgoE5ElNS0_10empty_typeEbEEZZNS1_14partition_implILS5_5ELb0ES3_mN6hipcub16HIPCUB_304000_NS21CountingInputIteratorIllEEPS6_NSA_22TransformInputIteratorIbN2at6native12_GLOBAL__N_19NonZeroOpIiEEPKilEENS0_5tupleIJPlS6_EEENSN_IJSD_SD_EEES6_PiJS6_EEE10hipError_tPvRmT3_T4_T5_T6_T7_T9_mT8_P12ihipStream_tbDpT10_ENKUlT_T0_E_clISt17integral_constantIbLb1EES1B_EEDaS16_S17_EUlS16_E_NS1_11comp_targetILNS1_3genE0ELNS1_11target_archE4294967295ELNS1_3gpuE0ELNS1_3repE0EEENS1_30default_config_static_selectorELNS0_4arch9wavefront6targetE0EEEvT1_.has_indirect_call, 0
	.section	.AMDGPU.csdata,"",@progbits
; Kernel info:
; codeLenInByte = 0
; TotalNumSgprs: 0
; NumVgprs: 0
; ScratchSize: 0
; MemoryBound: 0
; FloatMode: 240
; IeeeMode: 1
; LDSByteSize: 0 bytes/workgroup (compile time only)
; SGPRBlocks: 0
; VGPRBlocks: 0
; NumSGPRsForWavesPerEU: 1
; NumVGPRsForWavesPerEU: 1
; Occupancy: 16
; WaveLimiterHint : 0
; COMPUTE_PGM_RSRC2:SCRATCH_EN: 0
; COMPUTE_PGM_RSRC2:USER_SGPR: 2
; COMPUTE_PGM_RSRC2:TRAP_HANDLER: 0
; COMPUTE_PGM_RSRC2:TGID_X_EN: 1
; COMPUTE_PGM_RSRC2:TGID_Y_EN: 0
; COMPUTE_PGM_RSRC2:TGID_Z_EN: 0
; COMPUTE_PGM_RSRC2:TIDIG_COMP_CNT: 0
	.section	.text._ZN7rocprim17ROCPRIM_400000_NS6detail17trampoline_kernelINS0_14default_configENS1_25partition_config_selectorILNS1_17partition_subalgoE5ElNS0_10empty_typeEbEEZZNS1_14partition_implILS5_5ELb0ES3_mN6hipcub16HIPCUB_304000_NS21CountingInputIteratorIllEEPS6_NSA_22TransformInputIteratorIbN2at6native12_GLOBAL__N_19NonZeroOpIiEEPKilEENS0_5tupleIJPlS6_EEENSN_IJSD_SD_EEES6_PiJS6_EEE10hipError_tPvRmT3_T4_T5_T6_T7_T9_mT8_P12ihipStream_tbDpT10_ENKUlT_T0_E_clISt17integral_constantIbLb1EES1B_EEDaS16_S17_EUlS16_E_NS1_11comp_targetILNS1_3genE5ELNS1_11target_archE942ELNS1_3gpuE9ELNS1_3repE0EEENS1_30default_config_static_selectorELNS0_4arch9wavefront6targetE0EEEvT1_,"axG",@progbits,_ZN7rocprim17ROCPRIM_400000_NS6detail17trampoline_kernelINS0_14default_configENS1_25partition_config_selectorILNS1_17partition_subalgoE5ElNS0_10empty_typeEbEEZZNS1_14partition_implILS5_5ELb0ES3_mN6hipcub16HIPCUB_304000_NS21CountingInputIteratorIllEEPS6_NSA_22TransformInputIteratorIbN2at6native12_GLOBAL__N_19NonZeroOpIiEEPKilEENS0_5tupleIJPlS6_EEENSN_IJSD_SD_EEES6_PiJS6_EEE10hipError_tPvRmT3_T4_T5_T6_T7_T9_mT8_P12ihipStream_tbDpT10_ENKUlT_T0_E_clISt17integral_constantIbLb1EES1B_EEDaS16_S17_EUlS16_E_NS1_11comp_targetILNS1_3genE5ELNS1_11target_archE942ELNS1_3gpuE9ELNS1_3repE0EEENS1_30default_config_static_selectorELNS0_4arch9wavefront6targetE0EEEvT1_,comdat
	.globl	_ZN7rocprim17ROCPRIM_400000_NS6detail17trampoline_kernelINS0_14default_configENS1_25partition_config_selectorILNS1_17partition_subalgoE5ElNS0_10empty_typeEbEEZZNS1_14partition_implILS5_5ELb0ES3_mN6hipcub16HIPCUB_304000_NS21CountingInputIteratorIllEEPS6_NSA_22TransformInputIteratorIbN2at6native12_GLOBAL__N_19NonZeroOpIiEEPKilEENS0_5tupleIJPlS6_EEENSN_IJSD_SD_EEES6_PiJS6_EEE10hipError_tPvRmT3_T4_T5_T6_T7_T9_mT8_P12ihipStream_tbDpT10_ENKUlT_T0_E_clISt17integral_constantIbLb1EES1B_EEDaS16_S17_EUlS16_E_NS1_11comp_targetILNS1_3genE5ELNS1_11target_archE942ELNS1_3gpuE9ELNS1_3repE0EEENS1_30default_config_static_selectorELNS0_4arch9wavefront6targetE0EEEvT1_ ; -- Begin function _ZN7rocprim17ROCPRIM_400000_NS6detail17trampoline_kernelINS0_14default_configENS1_25partition_config_selectorILNS1_17partition_subalgoE5ElNS0_10empty_typeEbEEZZNS1_14partition_implILS5_5ELb0ES3_mN6hipcub16HIPCUB_304000_NS21CountingInputIteratorIllEEPS6_NSA_22TransformInputIteratorIbN2at6native12_GLOBAL__N_19NonZeroOpIiEEPKilEENS0_5tupleIJPlS6_EEENSN_IJSD_SD_EEES6_PiJS6_EEE10hipError_tPvRmT3_T4_T5_T6_T7_T9_mT8_P12ihipStream_tbDpT10_ENKUlT_T0_E_clISt17integral_constantIbLb1EES1B_EEDaS16_S17_EUlS16_E_NS1_11comp_targetILNS1_3genE5ELNS1_11target_archE942ELNS1_3gpuE9ELNS1_3repE0EEENS1_30default_config_static_selectorELNS0_4arch9wavefront6targetE0EEEvT1_
	.p2align	8
	.type	_ZN7rocprim17ROCPRIM_400000_NS6detail17trampoline_kernelINS0_14default_configENS1_25partition_config_selectorILNS1_17partition_subalgoE5ElNS0_10empty_typeEbEEZZNS1_14partition_implILS5_5ELb0ES3_mN6hipcub16HIPCUB_304000_NS21CountingInputIteratorIllEEPS6_NSA_22TransformInputIteratorIbN2at6native12_GLOBAL__N_19NonZeroOpIiEEPKilEENS0_5tupleIJPlS6_EEENSN_IJSD_SD_EEES6_PiJS6_EEE10hipError_tPvRmT3_T4_T5_T6_T7_T9_mT8_P12ihipStream_tbDpT10_ENKUlT_T0_E_clISt17integral_constantIbLb1EES1B_EEDaS16_S17_EUlS16_E_NS1_11comp_targetILNS1_3genE5ELNS1_11target_archE942ELNS1_3gpuE9ELNS1_3repE0EEENS1_30default_config_static_selectorELNS0_4arch9wavefront6targetE0EEEvT1_,@function
_ZN7rocprim17ROCPRIM_400000_NS6detail17trampoline_kernelINS0_14default_configENS1_25partition_config_selectorILNS1_17partition_subalgoE5ElNS0_10empty_typeEbEEZZNS1_14partition_implILS5_5ELb0ES3_mN6hipcub16HIPCUB_304000_NS21CountingInputIteratorIllEEPS6_NSA_22TransformInputIteratorIbN2at6native12_GLOBAL__N_19NonZeroOpIiEEPKilEENS0_5tupleIJPlS6_EEENSN_IJSD_SD_EEES6_PiJS6_EEE10hipError_tPvRmT3_T4_T5_T6_T7_T9_mT8_P12ihipStream_tbDpT10_ENKUlT_T0_E_clISt17integral_constantIbLb1EES1B_EEDaS16_S17_EUlS16_E_NS1_11comp_targetILNS1_3genE5ELNS1_11target_archE942ELNS1_3gpuE9ELNS1_3repE0EEENS1_30default_config_static_selectorELNS0_4arch9wavefront6targetE0EEEvT1_: ; @_ZN7rocprim17ROCPRIM_400000_NS6detail17trampoline_kernelINS0_14default_configENS1_25partition_config_selectorILNS1_17partition_subalgoE5ElNS0_10empty_typeEbEEZZNS1_14partition_implILS5_5ELb0ES3_mN6hipcub16HIPCUB_304000_NS21CountingInputIteratorIllEEPS6_NSA_22TransformInputIteratorIbN2at6native12_GLOBAL__N_19NonZeroOpIiEEPKilEENS0_5tupleIJPlS6_EEENSN_IJSD_SD_EEES6_PiJS6_EEE10hipError_tPvRmT3_T4_T5_T6_T7_T9_mT8_P12ihipStream_tbDpT10_ENKUlT_T0_E_clISt17integral_constantIbLb1EES1B_EEDaS16_S17_EUlS16_E_NS1_11comp_targetILNS1_3genE5ELNS1_11target_archE942ELNS1_3gpuE9ELNS1_3repE0EEENS1_30default_config_static_selectorELNS0_4arch9wavefront6targetE0EEEvT1_
; %bb.0:
	.section	.rodata,"a",@progbits
	.p2align	6, 0x0
	.amdhsa_kernel _ZN7rocprim17ROCPRIM_400000_NS6detail17trampoline_kernelINS0_14default_configENS1_25partition_config_selectorILNS1_17partition_subalgoE5ElNS0_10empty_typeEbEEZZNS1_14partition_implILS5_5ELb0ES3_mN6hipcub16HIPCUB_304000_NS21CountingInputIteratorIllEEPS6_NSA_22TransformInputIteratorIbN2at6native12_GLOBAL__N_19NonZeroOpIiEEPKilEENS0_5tupleIJPlS6_EEENSN_IJSD_SD_EEES6_PiJS6_EEE10hipError_tPvRmT3_T4_T5_T6_T7_T9_mT8_P12ihipStream_tbDpT10_ENKUlT_T0_E_clISt17integral_constantIbLb1EES1B_EEDaS16_S17_EUlS16_E_NS1_11comp_targetILNS1_3genE5ELNS1_11target_archE942ELNS1_3gpuE9ELNS1_3repE0EEENS1_30default_config_static_selectorELNS0_4arch9wavefront6targetE0EEEvT1_
		.amdhsa_group_segment_fixed_size 0
		.amdhsa_private_segment_fixed_size 0
		.amdhsa_kernarg_size 136
		.amdhsa_user_sgpr_count 2
		.amdhsa_user_sgpr_dispatch_ptr 0
		.amdhsa_user_sgpr_queue_ptr 0
		.amdhsa_user_sgpr_kernarg_segment_ptr 1
		.amdhsa_user_sgpr_dispatch_id 0
		.amdhsa_user_sgpr_private_segment_size 0
		.amdhsa_wavefront_size32 1
		.amdhsa_uses_dynamic_stack 0
		.amdhsa_enable_private_segment 0
		.amdhsa_system_sgpr_workgroup_id_x 1
		.amdhsa_system_sgpr_workgroup_id_y 0
		.amdhsa_system_sgpr_workgroup_id_z 0
		.amdhsa_system_sgpr_workgroup_info 0
		.amdhsa_system_vgpr_workitem_id 0
		.amdhsa_next_free_vgpr 1
		.amdhsa_next_free_sgpr 1
		.amdhsa_reserve_vcc 0
		.amdhsa_float_round_mode_32 0
		.amdhsa_float_round_mode_16_64 0
		.amdhsa_float_denorm_mode_32 3
		.amdhsa_float_denorm_mode_16_64 3
		.amdhsa_fp16_overflow 0
		.amdhsa_workgroup_processor_mode 1
		.amdhsa_memory_ordered 1
		.amdhsa_forward_progress 1
		.amdhsa_inst_pref_size 0
		.amdhsa_round_robin_scheduling 0
		.amdhsa_exception_fp_ieee_invalid_op 0
		.amdhsa_exception_fp_denorm_src 0
		.amdhsa_exception_fp_ieee_div_zero 0
		.amdhsa_exception_fp_ieee_overflow 0
		.amdhsa_exception_fp_ieee_underflow 0
		.amdhsa_exception_fp_ieee_inexact 0
		.amdhsa_exception_int_div_zero 0
	.end_amdhsa_kernel
	.section	.text._ZN7rocprim17ROCPRIM_400000_NS6detail17trampoline_kernelINS0_14default_configENS1_25partition_config_selectorILNS1_17partition_subalgoE5ElNS0_10empty_typeEbEEZZNS1_14partition_implILS5_5ELb0ES3_mN6hipcub16HIPCUB_304000_NS21CountingInputIteratorIllEEPS6_NSA_22TransformInputIteratorIbN2at6native12_GLOBAL__N_19NonZeroOpIiEEPKilEENS0_5tupleIJPlS6_EEENSN_IJSD_SD_EEES6_PiJS6_EEE10hipError_tPvRmT3_T4_T5_T6_T7_T9_mT8_P12ihipStream_tbDpT10_ENKUlT_T0_E_clISt17integral_constantIbLb1EES1B_EEDaS16_S17_EUlS16_E_NS1_11comp_targetILNS1_3genE5ELNS1_11target_archE942ELNS1_3gpuE9ELNS1_3repE0EEENS1_30default_config_static_selectorELNS0_4arch9wavefront6targetE0EEEvT1_,"axG",@progbits,_ZN7rocprim17ROCPRIM_400000_NS6detail17trampoline_kernelINS0_14default_configENS1_25partition_config_selectorILNS1_17partition_subalgoE5ElNS0_10empty_typeEbEEZZNS1_14partition_implILS5_5ELb0ES3_mN6hipcub16HIPCUB_304000_NS21CountingInputIteratorIllEEPS6_NSA_22TransformInputIteratorIbN2at6native12_GLOBAL__N_19NonZeroOpIiEEPKilEENS0_5tupleIJPlS6_EEENSN_IJSD_SD_EEES6_PiJS6_EEE10hipError_tPvRmT3_T4_T5_T6_T7_T9_mT8_P12ihipStream_tbDpT10_ENKUlT_T0_E_clISt17integral_constantIbLb1EES1B_EEDaS16_S17_EUlS16_E_NS1_11comp_targetILNS1_3genE5ELNS1_11target_archE942ELNS1_3gpuE9ELNS1_3repE0EEENS1_30default_config_static_selectorELNS0_4arch9wavefront6targetE0EEEvT1_,comdat
.Lfunc_end195:
	.size	_ZN7rocprim17ROCPRIM_400000_NS6detail17trampoline_kernelINS0_14default_configENS1_25partition_config_selectorILNS1_17partition_subalgoE5ElNS0_10empty_typeEbEEZZNS1_14partition_implILS5_5ELb0ES3_mN6hipcub16HIPCUB_304000_NS21CountingInputIteratorIllEEPS6_NSA_22TransformInputIteratorIbN2at6native12_GLOBAL__N_19NonZeroOpIiEEPKilEENS0_5tupleIJPlS6_EEENSN_IJSD_SD_EEES6_PiJS6_EEE10hipError_tPvRmT3_T4_T5_T6_T7_T9_mT8_P12ihipStream_tbDpT10_ENKUlT_T0_E_clISt17integral_constantIbLb1EES1B_EEDaS16_S17_EUlS16_E_NS1_11comp_targetILNS1_3genE5ELNS1_11target_archE942ELNS1_3gpuE9ELNS1_3repE0EEENS1_30default_config_static_selectorELNS0_4arch9wavefront6targetE0EEEvT1_, .Lfunc_end195-_ZN7rocprim17ROCPRIM_400000_NS6detail17trampoline_kernelINS0_14default_configENS1_25partition_config_selectorILNS1_17partition_subalgoE5ElNS0_10empty_typeEbEEZZNS1_14partition_implILS5_5ELb0ES3_mN6hipcub16HIPCUB_304000_NS21CountingInputIteratorIllEEPS6_NSA_22TransformInputIteratorIbN2at6native12_GLOBAL__N_19NonZeroOpIiEEPKilEENS0_5tupleIJPlS6_EEENSN_IJSD_SD_EEES6_PiJS6_EEE10hipError_tPvRmT3_T4_T5_T6_T7_T9_mT8_P12ihipStream_tbDpT10_ENKUlT_T0_E_clISt17integral_constantIbLb1EES1B_EEDaS16_S17_EUlS16_E_NS1_11comp_targetILNS1_3genE5ELNS1_11target_archE942ELNS1_3gpuE9ELNS1_3repE0EEENS1_30default_config_static_selectorELNS0_4arch9wavefront6targetE0EEEvT1_
                                        ; -- End function
	.set _ZN7rocprim17ROCPRIM_400000_NS6detail17trampoline_kernelINS0_14default_configENS1_25partition_config_selectorILNS1_17partition_subalgoE5ElNS0_10empty_typeEbEEZZNS1_14partition_implILS5_5ELb0ES3_mN6hipcub16HIPCUB_304000_NS21CountingInputIteratorIllEEPS6_NSA_22TransformInputIteratorIbN2at6native12_GLOBAL__N_19NonZeroOpIiEEPKilEENS0_5tupleIJPlS6_EEENSN_IJSD_SD_EEES6_PiJS6_EEE10hipError_tPvRmT3_T4_T5_T6_T7_T9_mT8_P12ihipStream_tbDpT10_ENKUlT_T0_E_clISt17integral_constantIbLb1EES1B_EEDaS16_S17_EUlS16_E_NS1_11comp_targetILNS1_3genE5ELNS1_11target_archE942ELNS1_3gpuE9ELNS1_3repE0EEENS1_30default_config_static_selectorELNS0_4arch9wavefront6targetE0EEEvT1_.num_vgpr, 0
	.set _ZN7rocprim17ROCPRIM_400000_NS6detail17trampoline_kernelINS0_14default_configENS1_25partition_config_selectorILNS1_17partition_subalgoE5ElNS0_10empty_typeEbEEZZNS1_14partition_implILS5_5ELb0ES3_mN6hipcub16HIPCUB_304000_NS21CountingInputIteratorIllEEPS6_NSA_22TransformInputIteratorIbN2at6native12_GLOBAL__N_19NonZeroOpIiEEPKilEENS0_5tupleIJPlS6_EEENSN_IJSD_SD_EEES6_PiJS6_EEE10hipError_tPvRmT3_T4_T5_T6_T7_T9_mT8_P12ihipStream_tbDpT10_ENKUlT_T0_E_clISt17integral_constantIbLb1EES1B_EEDaS16_S17_EUlS16_E_NS1_11comp_targetILNS1_3genE5ELNS1_11target_archE942ELNS1_3gpuE9ELNS1_3repE0EEENS1_30default_config_static_selectorELNS0_4arch9wavefront6targetE0EEEvT1_.num_agpr, 0
	.set _ZN7rocprim17ROCPRIM_400000_NS6detail17trampoline_kernelINS0_14default_configENS1_25partition_config_selectorILNS1_17partition_subalgoE5ElNS0_10empty_typeEbEEZZNS1_14partition_implILS5_5ELb0ES3_mN6hipcub16HIPCUB_304000_NS21CountingInputIteratorIllEEPS6_NSA_22TransformInputIteratorIbN2at6native12_GLOBAL__N_19NonZeroOpIiEEPKilEENS0_5tupleIJPlS6_EEENSN_IJSD_SD_EEES6_PiJS6_EEE10hipError_tPvRmT3_T4_T5_T6_T7_T9_mT8_P12ihipStream_tbDpT10_ENKUlT_T0_E_clISt17integral_constantIbLb1EES1B_EEDaS16_S17_EUlS16_E_NS1_11comp_targetILNS1_3genE5ELNS1_11target_archE942ELNS1_3gpuE9ELNS1_3repE0EEENS1_30default_config_static_selectorELNS0_4arch9wavefront6targetE0EEEvT1_.numbered_sgpr, 0
	.set _ZN7rocprim17ROCPRIM_400000_NS6detail17trampoline_kernelINS0_14default_configENS1_25partition_config_selectorILNS1_17partition_subalgoE5ElNS0_10empty_typeEbEEZZNS1_14partition_implILS5_5ELb0ES3_mN6hipcub16HIPCUB_304000_NS21CountingInputIteratorIllEEPS6_NSA_22TransformInputIteratorIbN2at6native12_GLOBAL__N_19NonZeroOpIiEEPKilEENS0_5tupleIJPlS6_EEENSN_IJSD_SD_EEES6_PiJS6_EEE10hipError_tPvRmT3_T4_T5_T6_T7_T9_mT8_P12ihipStream_tbDpT10_ENKUlT_T0_E_clISt17integral_constantIbLb1EES1B_EEDaS16_S17_EUlS16_E_NS1_11comp_targetILNS1_3genE5ELNS1_11target_archE942ELNS1_3gpuE9ELNS1_3repE0EEENS1_30default_config_static_selectorELNS0_4arch9wavefront6targetE0EEEvT1_.num_named_barrier, 0
	.set _ZN7rocprim17ROCPRIM_400000_NS6detail17trampoline_kernelINS0_14default_configENS1_25partition_config_selectorILNS1_17partition_subalgoE5ElNS0_10empty_typeEbEEZZNS1_14partition_implILS5_5ELb0ES3_mN6hipcub16HIPCUB_304000_NS21CountingInputIteratorIllEEPS6_NSA_22TransformInputIteratorIbN2at6native12_GLOBAL__N_19NonZeroOpIiEEPKilEENS0_5tupleIJPlS6_EEENSN_IJSD_SD_EEES6_PiJS6_EEE10hipError_tPvRmT3_T4_T5_T6_T7_T9_mT8_P12ihipStream_tbDpT10_ENKUlT_T0_E_clISt17integral_constantIbLb1EES1B_EEDaS16_S17_EUlS16_E_NS1_11comp_targetILNS1_3genE5ELNS1_11target_archE942ELNS1_3gpuE9ELNS1_3repE0EEENS1_30default_config_static_selectorELNS0_4arch9wavefront6targetE0EEEvT1_.private_seg_size, 0
	.set _ZN7rocprim17ROCPRIM_400000_NS6detail17trampoline_kernelINS0_14default_configENS1_25partition_config_selectorILNS1_17partition_subalgoE5ElNS0_10empty_typeEbEEZZNS1_14partition_implILS5_5ELb0ES3_mN6hipcub16HIPCUB_304000_NS21CountingInputIteratorIllEEPS6_NSA_22TransformInputIteratorIbN2at6native12_GLOBAL__N_19NonZeroOpIiEEPKilEENS0_5tupleIJPlS6_EEENSN_IJSD_SD_EEES6_PiJS6_EEE10hipError_tPvRmT3_T4_T5_T6_T7_T9_mT8_P12ihipStream_tbDpT10_ENKUlT_T0_E_clISt17integral_constantIbLb1EES1B_EEDaS16_S17_EUlS16_E_NS1_11comp_targetILNS1_3genE5ELNS1_11target_archE942ELNS1_3gpuE9ELNS1_3repE0EEENS1_30default_config_static_selectorELNS0_4arch9wavefront6targetE0EEEvT1_.uses_vcc, 0
	.set _ZN7rocprim17ROCPRIM_400000_NS6detail17trampoline_kernelINS0_14default_configENS1_25partition_config_selectorILNS1_17partition_subalgoE5ElNS0_10empty_typeEbEEZZNS1_14partition_implILS5_5ELb0ES3_mN6hipcub16HIPCUB_304000_NS21CountingInputIteratorIllEEPS6_NSA_22TransformInputIteratorIbN2at6native12_GLOBAL__N_19NonZeroOpIiEEPKilEENS0_5tupleIJPlS6_EEENSN_IJSD_SD_EEES6_PiJS6_EEE10hipError_tPvRmT3_T4_T5_T6_T7_T9_mT8_P12ihipStream_tbDpT10_ENKUlT_T0_E_clISt17integral_constantIbLb1EES1B_EEDaS16_S17_EUlS16_E_NS1_11comp_targetILNS1_3genE5ELNS1_11target_archE942ELNS1_3gpuE9ELNS1_3repE0EEENS1_30default_config_static_selectorELNS0_4arch9wavefront6targetE0EEEvT1_.uses_flat_scratch, 0
	.set _ZN7rocprim17ROCPRIM_400000_NS6detail17trampoline_kernelINS0_14default_configENS1_25partition_config_selectorILNS1_17partition_subalgoE5ElNS0_10empty_typeEbEEZZNS1_14partition_implILS5_5ELb0ES3_mN6hipcub16HIPCUB_304000_NS21CountingInputIteratorIllEEPS6_NSA_22TransformInputIteratorIbN2at6native12_GLOBAL__N_19NonZeroOpIiEEPKilEENS0_5tupleIJPlS6_EEENSN_IJSD_SD_EEES6_PiJS6_EEE10hipError_tPvRmT3_T4_T5_T6_T7_T9_mT8_P12ihipStream_tbDpT10_ENKUlT_T0_E_clISt17integral_constantIbLb1EES1B_EEDaS16_S17_EUlS16_E_NS1_11comp_targetILNS1_3genE5ELNS1_11target_archE942ELNS1_3gpuE9ELNS1_3repE0EEENS1_30default_config_static_selectorELNS0_4arch9wavefront6targetE0EEEvT1_.has_dyn_sized_stack, 0
	.set _ZN7rocprim17ROCPRIM_400000_NS6detail17trampoline_kernelINS0_14default_configENS1_25partition_config_selectorILNS1_17partition_subalgoE5ElNS0_10empty_typeEbEEZZNS1_14partition_implILS5_5ELb0ES3_mN6hipcub16HIPCUB_304000_NS21CountingInputIteratorIllEEPS6_NSA_22TransformInputIteratorIbN2at6native12_GLOBAL__N_19NonZeroOpIiEEPKilEENS0_5tupleIJPlS6_EEENSN_IJSD_SD_EEES6_PiJS6_EEE10hipError_tPvRmT3_T4_T5_T6_T7_T9_mT8_P12ihipStream_tbDpT10_ENKUlT_T0_E_clISt17integral_constantIbLb1EES1B_EEDaS16_S17_EUlS16_E_NS1_11comp_targetILNS1_3genE5ELNS1_11target_archE942ELNS1_3gpuE9ELNS1_3repE0EEENS1_30default_config_static_selectorELNS0_4arch9wavefront6targetE0EEEvT1_.has_recursion, 0
	.set _ZN7rocprim17ROCPRIM_400000_NS6detail17trampoline_kernelINS0_14default_configENS1_25partition_config_selectorILNS1_17partition_subalgoE5ElNS0_10empty_typeEbEEZZNS1_14partition_implILS5_5ELb0ES3_mN6hipcub16HIPCUB_304000_NS21CountingInputIteratorIllEEPS6_NSA_22TransformInputIteratorIbN2at6native12_GLOBAL__N_19NonZeroOpIiEEPKilEENS0_5tupleIJPlS6_EEENSN_IJSD_SD_EEES6_PiJS6_EEE10hipError_tPvRmT3_T4_T5_T6_T7_T9_mT8_P12ihipStream_tbDpT10_ENKUlT_T0_E_clISt17integral_constantIbLb1EES1B_EEDaS16_S17_EUlS16_E_NS1_11comp_targetILNS1_3genE5ELNS1_11target_archE942ELNS1_3gpuE9ELNS1_3repE0EEENS1_30default_config_static_selectorELNS0_4arch9wavefront6targetE0EEEvT1_.has_indirect_call, 0
	.section	.AMDGPU.csdata,"",@progbits
; Kernel info:
; codeLenInByte = 0
; TotalNumSgprs: 0
; NumVgprs: 0
; ScratchSize: 0
; MemoryBound: 0
; FloatMode: 240
; IeeeMode: 1
; LDSByteSize: 0 bytes/workgroup (compile time only)
; SGPRBlocks: 0
; VGPRBlocks: 0
; NumSGPRsForWavesPerEU: 1
; NumVGPRsForWavesPerEU: 1
; Occupancy: 16
; WaveLimiterHint : 0
; COMPUTE_PGM_RSRC2:SCRATCH_EN: 0
; COMPUTE_PGM_RSRC2:USER_SGPR: 2
; COMPUTE_PGM_RSRC2:TRAP_HANDLER: 0
; COMPUTE_PGM_RSRC2:TGID_X_EN: 1
; COMPUTE_PGM_RSRC2:TGID_Y_EN: 0
; COMPUTE_PGM_RSRC2:TGID_Z_EN: 0
; COMPUTE_PGM_RSRC2:TIDIG_COMP_CNT: 0
	.section	.text._ZN7rocprim17ROCPRIM_400000_NS6detail17trampoline_kernelINS0_14default_configENS1_25partition_config_selectorILNS1_17partition_subalgoE5ElNS0_10empty_typeEbEEZZNS1_14partition_implILS5_5ELb0ES3_mN6hipcub16HIPCUB_304000_NS21CountingInputIteratorIllEEPS6_NSA_22TransformInputIteratorIbN2at6native12_GLOBAL__N_19NonZeroOpIiEEPKilEENS0_5tupleIJPlS6_EEENSN_IJSD_SD_EEES6_PiJS6_EEE10hipError_tPvRmT3_T4_T5_T6_T7_T9_mT8_P12ihipStream_tbDpT10_ENKUlT_T0_E_clISt17integral_constantIbLb1EES1B_EEDaS16_S17_EUlS16_E_NS1_11comp_targetILNS1_3genE4ELNS1_11target_archE910ELNS1_3gpuE8ELNS1_3repE0EEENS1_30default_config_static_selectorELNS0_4arch9wavefront6targetE0EEEvT1_,"axG",@progbits,_ZN7rocprim17ROCPRIM_400000_NS6detail17trampoline_kernelINS0_14default_configENS1_25partition_config_selectorILNS1_17partition_subalgoE5ElNS0_10empty_typeEbEEZZNS1_14partition_implILS5_5ELb0ES3_mN6hipcub16HIPCUB_304000_NS21CountingInputIteratorIllEEPS6_NSA_22TransformInputIteratorIbN2at6native12_GLOBAL__N_19NonZeroOpIiEEPKilEENS0_5tupleIJPlS6_EEENSN_IJSD_SD_EEES6_PiJS6_EEE10hipError_tPvRmT3_T4_T5_T6_T7_T9_mT8_P12ihipStream_tbDpT10_ENKUlT_T0_E_clISt17integral_constantIbLb1EES1B_EEDaS16_S17_EUlS16_E_NS1_11comp_targetILNS1_3genE4ELNS1_11target_archE910ELNS1_3gpuE8ELNS1_3repE0EEENS1_30default_config_static_selectorELNS0_4arch9wavefront6targetE0EEEvT1_,comdat
	.globl	_ZN7rocprim17ROCPRIM_400000_NS6detail17trampoline_kernelINS0_14default_configENS1_25partition_config_selectorILNS1_17partition_subalgoE5ElNS0_10empty_typeEbEEZZNS1_14partition_implILS5_5ELb0ES3_mN6hipcub16HIPCUB_304000_NS21CountingInputIteratorIllEEPS6_NSA_22TransformInputIteratorIbN2at6native12_GLOBAL__N_19NonZeroOpIiEEPKilEENS0_5tupleIJPlS6_EEENSN_IJSD_SD_EEES6_PiJS6_EEE10hipError_tPvRmT3_T4_T5_T6_T7_T9_mT8_P12ihipStream_tbDpT10_ENKUlT_T0_E_clISt17integral_constantIbLb1EES1B_EEDaS16_S17_EUlS16_E_NS1_11comp_targetILNS1_3genE4ELNS1_11target_archE910ELNS1_3gpuE8ELNS1_3repE0EEENS1_30default_config_static_selectorELNS0_4arch9wavefront6targetE0EEEvT1_ ; -- Begin function _ZN7rocprim17ROCPRIM_400000_NS6detail17trampoline_kernelINS0_14default_configENS1_25partition_config_selectorILNS1_17partition_subalgoE5ElNS0_10empty_typeEbEEZZNS1_14partition_implILS5_5ELb0ES3_mN6hipcub16HIPCUB_304000_NS21CountingInputIteratorIllEEPS6_NSA_22TransformInputIteratorIbN2at6native12_GLOBAL__N_19NonZeroOpIiEEPKilEENS0_5tupleIJPlS6_EEENSN_IJSD_SD_EEES6_PiJS6_EEE10hipError_tPvRmT3_T4_T5_T6_T7_T9_mT8_P12ihipStream_tbDpT10_ENKUlT_T0_E_clISt17integral_constantIbLb1EES1B_EEDaS16_S17_EUlS16_E_NS1_11comp_targetILNS1_3genE4ELNS1_11target_archE910ELNS1_3gpuE8ELNS1_3repE0EEENS1_30default_config_static_selectorELNS0_4arch9wavefront6targetE0EEEvT1_
	.p2align	8
	.type	_ZN7rocprim17ROCPRIM_400000_NS6detail17trampoline_kernelINS0_14default_configENS1_25partition_config_selectorILNS1_17partition_subalgoE5ElNS0_10empty_typeEbEEZZNS1_14partition_implILS5_5ELb0ES3_mN6hipcub16HIPCUB_304000_NS21CountingInputIteratorIllEEPS6_NSA_22TransformInputIteratorIbN2at6native12_GLOBAL__N_19NonZeroOpIiEEPKilEENS0_5tupleIJPlS6_EEENSN_IJSD_SD_EEES6_PiJS6_EEE10hipError_tPvRmT3_T4_T5_T6_T7_T9_mT8_P12ihipStream_tbDpT10_ENKUlT_T0_E_clISt17integral_constantIbLb1EES1B_EEDaS16_S17_EUlS16_E_NS1_11comp_targetILNS1_3genE4ELNS1_11target_archE910ELNS1_3gpuE8ELNS1_3repE0EEENS1_30default_config_static_selectorELNS0_4arch9wavefront6targetE0EEEvT1_,@function
_ZN7rocprim17ROCPRIM_400000_NS6detail17trampoline_kernelINS0_14default_configENS1_25partition_config_selectorILNS1_17partition_subalgoE5ElNS0_10empty_typeEbEEZZNS1_14partition_implILS5_5ELb0ES3_mN6hipcub16HIPCUB_304000_NS21CountingInputIteratorIllEEPS6_NSA_22TransformInputIteratorIbN2at6native12_GLOBAL__N_19NonZeroOpIiEEPKilEENS0_5tupleIJPlS6_EEENSN_IJSD_SD_EEES6_PiJS6_EEE10hipError_tPvRmT3_T4_T5_T6_T7_T9_mT8_P12ihipStream_tbDpT10_ENKUlT_T0_E_clISt17integral_constantIbLb1EES1B_EEDaS16_S17_EUlS16_E_NS1_11comp_targetILNS1_3genE4ELNS1_11target_archE910ELNS1_3gpuE8ELNS1_3repE0EEENS1_30default_config_static_selectorELNS0_4arch9wavefront6targetE0EEEvT1_: ; @_ZN7rocprim17ROCPRIM_400000_NS6detail17trampoline_kernelINS0_14default_configENS1_25partition_config_selectorILNS1_17partition_subalgoE5ElNS0_10empty_typeEbEEZZNS1_14partition_implILS5_5ELb0ES3_mN6hipcub16HIPCUB_304000_NS21CountingInputIteratorIllEEPS6_NSA_22TransformInputIteratorIbN2at6native12_GLOBAL__N_19NonZeroOpIiEEPKilEENS0_5tupleIJPlS6_EEENSN_IJSD_SD_EEES6_PiJS6_EEE10hipError_tPvRmT3_T4_T5_T6_T7_T9_mT8_P12ihipStream_tbDpT10_ENKUlT_T0_E_clISt17integral_constantIbLb1EES1B_EEDaS16_S17_EUlS16_E_NS1_11comp_targetILNS1_3genE4ELNS1_11target_archE910ELNS1_3gpuE8ELNS1_3repE0EEENS1_30default_config_static_selectorELNS0_4arch9wavefront6targetE0EEEvT1_
; %bb.0:
	.section	.rodata,"a",@progbits
	.p2align	6, 0x0
	.amdhsa_kernel _ZN7rocprim17ROCPRIM_400000_NS6detail17trampoline_kernelINS0_14default_configENS1_25partition_config_selectorILNS1_17partition_subalgoE5ElNS0_10empty_typeEbEEZZNS1_14partition_implILS5_5ELb0ES3_mN6hipcub16HIPCUB_304000_NS21CountingInputIteratorIllEEPS6_NSA_22TransformInputIteratorIbN2at6native12_GLOBAL__N_19NonZeroOpIiEEPKilEENS0_5tupleIJPlS6_EEENSN_IJSD_SD_EEES6_PiJS6_EEE10hipError_tPvRmT3_T4_T5_T6_T7_T9_mT8_P12ihipStream_tbDpT10_ENKUlT_T0_E_clISt17integral_constantIbLb1EES1B_EEDaS16_S17_EUlS16_E_NS1_11comp_targetILNS1_3genE4ELNS1_11target_archE910ELNS1_3gpuE8ELNS1_3repE0EEENS1_30default_config_static_selectorELNS0_4arch9wavefront6targetE0EEEvT1_
		.amdhsa_group_segment_fixed_size 0
		.amdhsa_private_segment_fixed_size 0
		.amdhsa_kernarg_size 136
		.amdhsa_user_sgpr_count 2
		.amdhsa_user_sgpr_dispatch_ptr 0
		.amdhsa_user_sgpr_queue_ptr 0
		.amdhsa_user_sgpr_kernarg_segment_ptr 1
		.amdhsa_user_sgpr_dispatch_id 0
		.amdhsa_user_sgpr_private_segment_size 0
		.amdhsa_wavefront_size32 1
		.amdhsa_uses_dynamic_stack 0
		.amdhsa_enable_private_segment 0
		.amdhsa_system_sgpr_workgroup_id_x 1
		.amdhsa_system_sgpr_workgroup_id_y 0
		.amdhsa_system_sgpr_workgroup_id_z 0
		.amdhsa_system_sgpr_workgroup_info 0
		.amdhsa_system_vgpr_workitem_id 0
		.amdhsa_next_free_vgpr 1
		.amdhsa_next_free_sgpr 1
		.amdhsa_reserve_vcc 0
		.amdhsa_float_round_mode_32 0
		.amdhsa_float_round_mode_16_64 0
		.amdhsa_float_denorm_mode_32 3
		.amdhsa_float_denorm_mode_16_64 3
		.amdhsa_fp16_overflow 0
		.amdhsa_workgroup_processor_mode 1
		.amdhsa_memory_ordered 1
		.amdhsa_forward_progress 1
		.amdhsa_inst_pref_size 0
		.amdhsa_round_robin_scheduling 0
		.amdhsa_exception_fp_ieee_invalid_op 0
		.amdhsa_exception_fp_denorm_src 0
		.amdhsa_exception_fp_ieee_div_zero 0
		.amdhsa_exception_fp_ieee_overflow 0
		.amdhsa_exception_fp_ieee_underflow 0
		.amdhsa_exception_fp_ieee_inexact 0
		.amdhsa_exception_int_div_zero 0
	.end_amdhsa_kernel
	.section	.text._ZN7rocprim17ROCPRIM_400000_NS6detail17trampoline_kernelINS0_14default_configENS1_25partition_config_selectorILNS1_17partition_subalgoE5ElNS0_10empty_typeEbEEZZNS1_14partition_implILS5_5ELb0ES3_mN6hipcub16HIPCUB_304000_NS21CountingInputIteratorIllEEPS6_NSA_22TransformInputIteratorIbN2at6native12_GLOBAL__N_19NonZeroOpIiEEPKilEENS0_5tupleIJPlS6_EEENSN_IJSD_SD_EEES6_PiJS6_EEE10hipError_tPvRmT3_T4_T5_T6_T7_T9_mT8_P12ihipStream_tbDpT10_ENKUlT_T0_E_clISt17integral_constantIbLb1EES1B_EEDaS16_S17_EUlS16_E_NS1_11comp_targetILNS1_3genE4ELNS1_11target_archE910ELNS1_3gpuE8ELNS1_3repE0EEENS1_30default_config_static_selectorELNS0_4arch9wavefront6targetE0EEEvT1_,"axG",@progbits,_ZN7rocprim17ROCPRIM_400000_NS6detail17trampoline_kernelINS0_14default_configENS1_25partition_config_selectorILNS1_17partition_subalgoE5ElNS0_10empty_typeEbEEZZNS1_14partition_implILS5_5ELb0ES3_mN6hipcub16HIPCUB_304000_NS21CountingInputIteratorIllEEPS6_NSA_22TransformInputIteratorIbN2at6native12_GLOBAL__N_19NonZeroOpIiEEPKilEENS0_5tupleIJPlS6_EEENSN_IJSD_SD_EEES6_PiJS6_EEE10hipError_tPvRmT3_T4_T5_T6_T7_T9_mT8_P12ihipStream_tbDpT10_ENKUlT_T0_E_clISt17integral_constantIbLb1EES1B_EEDaS16_S17_EUlS16_E_NS1_11comp_targetILNS1_3genE4ELNS1_11target_archE910ELNS1_3gpuE8ELNS1_3repE0EEENS1_30default_config_static_selectorELNS0_4arch9wavefront6targetE0EEEvT1_,comdat
.Lfunc_end196:
	.size	_ZN7rocprim17ROCPRIM_400000_NS6detail17trampoline_kernelINS0_14default_configENS1_25partition_config_selectorILNS1_17partition_subalgoE5ElNS0_10empty_typeEbEEZZNS1_14partition_implILS5_5ELb0ES3_mN6hipcub16HIPCUB_304000_NS21CountingInputIteratorIllEEPS6_NSA_22TransformInputIteratorIbN2at6native12_GLOBAL__N_19NonZeroOpIiEEPKilEENS0_5tupleIJPlS6_EEENSN_IJSD_SD_EEES6_PiJS6_EEE10hipError_tPvRmT3_T4_T5_T6_T7_T9_mT8_P12ihipStream_tbDpT10_ENKUlT_T0_E_clISt17integral_constantIbLb1EES1B_EEDaS16_S17_EUlS16_E_NS1_11comp_targetILNS1_3genE4ELNS1_11target_archE910ELNS1_3gpuE8ELNS1_3repE0EEENS1_30default_config_static_selectorELNS0_4arch9wavefront6targetE0EEEvT1_, .Lfunc_end196-_ZN7rocprim17ROCPRIM_400000_NS6detail17trampoline_kernelINS0_14default_configENS1_25partition_config_selectorILNS1_17partition_subalgoE5ElNS0_10empty_typeEbEEZZNS1_14partition_implILS5_5ELb0ES3_mN6hipcub16HIPCUB_304000_NS21CountingInputIteratorIllEEPS6_NSA_22TransformInputIteratorIbN2at6native12_GLOBAL__N_19NonZeroOpIiEEPKilEENS0_5tupleIJPlS6_EEENSN_IJSD_SD_EEES6_PiJS6_EEE10hipError_tPvRmT3_T4_T5_T6_T7_T9_mT8_P12ihipStream_tbDpT10_ENKUlT_T0_E_clISt17integral_constantIbLb1EES1B_EEDaS16_S17_EUlS16_E_NS1_11comp_targetILNS1_3genE4ELNS1_11target_archE910ELNS1_3gpuE8ELNS1_3repE0EEENS1_30default_config_static_selectorELNS0_4arch9wavefront6targetE0EEEvT1_
                                        ; -- End function
	.set _ZN7rocprim17ROCPRIM_400000_NS6detail17trampoline_kernelINS0_14default_configENS1_25partition_config_selectorILNS1_17partition_subalgoE5ElNS0_10empty_typeEbEEZZNS1_14partition_implILS5_5ELb0ES3_mN6hipcub16HIPCUB_304000_NS21CountingInputIteratorIllEEPS6_NSA_22TransformInputIteratorIbN2at6native12_GLOBAL__N_19NonZeroOpIiEEPKilEENS0_5tupleIJPlS6_EEENSN_IJSD_SD_EEES6_PiJS6_EEE10hipError_tPvRmT3_T4_T5_T6_T7_T9_mT8_P12ihipStream_tbDpT10_ENKUlT_T0_E_clISt17integral_constantIbLb1EES1B_EEDaS16_S17_EUlS16_E_NS1_11comp_targetILNS1_3genE4ELNS1_11target_archE910ELNS1_3gpuE8ELNS1_3repE0EEENS1_30default_config_static_selectorELNS0_4arch9wavefront6targetE0EEEvT1_.num_vgpr, 0
	.set _ZN7rocprim17ROCPRIM_400000_NS6detail17trampoline_kernelINS0_14default_configENS1_25partition_config_selectorILNS1_17partition_subalgoE5ElNS0_10empty_typeEbEEZZNS1_14partition_implILS5_5ELb0ES3_mN6hipcub16HIPCUB_304000_NS21CountingInputIteratorIllEEPS6_NSA_22TransformInputIteratorIbN2at6native12_GLOBAL__N_19NonZeroOpIiEEPKilEENS0_5tupleIJPlS6_EEENSN_IJSD_SD_EEES6_PiJS6_EEE10hipError_tPvRmT3_T4_T5_T6_T7_T9_mT8_P12ihipStream_tbDpT10_ENKUlT_T0_E_clISt17integral_constantIbLb1EES1B_EEDaS16_S17_EUlS16_E_NS1_11comp_targetILNS1_3genE4ELNS1_11target_archE910ELNS1_3gpuE8ELNS1_3repE0EEENS1_30default_config_static_selectorELNS0_4arch9wavefront6targetE0EEEvT1_.num_agpr, 0
	.set _ZN7rocprim17ROCPRIM_400000_NS6detail17trampoline_kernelINS0_14default_configENS1_25partition_config_selectorILNS1_17partition_subalgoE5ElNS0_10empty_typeEbEEZZNS1_14partition_implILS5_5ELb0ES3_mN6hipcub16HIPCUB_304000_NS21CountingInputIteratorIllEEPS6_NSA_22TransformInputIteratorIbN2at6native12_GLOBAL__N_19NonZeroOpIiEEPKilEENS0_5tupleIJPlS6_EEENSN_IJSD_SD_EEES6_PiJS6_EEE10hipError_tPvRmT3_T4_T5_T6_T7_T9_mT8_P12ihipStream_tbDpT10_ENKUlT_T0_E_clISt17integral_constantIbLb1EES1B_EEDaS16_S17_EUlS16_E_NS1_11comp_targetILNS1_3genE4ELNS1_11target_archE910ELNS1_3gpuE8ELNS1_3repE0EEENS1_30default_config_static_selectorELNS0_4arch9wavefront6targetE0EEEvT1_.numbered_sgpr, 0
	.set _ZN7rocprim17ROCPRIM_400000_NS6detail17trampoline_kernelINS0_14default_configENS1_25partition_config_selectorILNS1_17partition_subalgoE5ElNS0_10empty_typeEbEEZZNS1_14partition_implILS5_5ELb0ES3_mN6hipcub16HIPCUB_304000_NS21CountingInputIteratorIllEEPS6_NSA_22TransformInputIteratorIbN2at6native12_GLOBAL__N_19NonZeroOpIiEEPKilEENS0_5tupleIJPlS6_EEENSN_IJSD_SD_EEES6_PiJS6_EEE10hipError_tPvRmT3_T4_T5_T6_T7_T9_mT8_P12ihipStream_tbDpT10_ENKUlT_T0_E_clISt17integral_constantIbLb1EES1B_EEDaS16_S17_EUlS16_E_NS1_11comp_targetILNS1_3genE4ELNS1_11target_archE910ELNS1_3gpuE8ELNS1_3repE0EEENS1_30default_config_static_selectorELNS0_4arch9wavefront6targetE0EEEvT1_.num_named_barrier, 0
	.set _ZN7rocprim17ROCPRIM_400000_NS6detail17trampoline_kernelINS0_14default_configENS1_25partition_config_selectorILNS1_17partition_subalgoE5ElNS0_10empty_typeEbEEZZNS1_14partition_implILS5_5ELb0ES3_mN6hipcub16HIPCUB_304000_NS21CountingInputIteratorIllEEPS6_NSA_22TransformInputIteratorIbN2at6native12_GLOBAL__N_19NonZeroOpIiEEPKilEENS0_5tupleIJPlS6_EEENSN_IJSD_SD_EEES6_PiJS6_EEE10hipError_tPvRmT3_T4_T5_T6_T7_T9_mT8_P12ihipStream_tbDpT10_ENKUlT_T0_E_clISt17integral_constantIbLb1EES1B_EEDaS16_S17_EUlS16_E_NS1_11comp_targetILNS1_3genE4ELNS1_11target_archE910ELNS1_3gpuE8ELNS1_3repE0EEENS1_30default_config_static_selectorELNS0_4arch9wavefront6targetE0EEEvT1_.private_seg_size, 0
	.set _ZN7rocprim17ROCPRIM_400000_NS6detail17trampoline_kernelINS0_14default_configENS1_25partition_config_selectorILNS1_17partition_subalgoE5ElNS0_10empty_typeEbEEZZNS1_14partition_implILS5_5ELb0ES3_mN6hipcub16HIPCUB_304000_NS21CountingInputIteratorIllEEPS6_NSA_22TransformInputIteratorIbN2at6native12_GLOBAL__N_19NonZeroOpIiEEPKilEENS0_5tupleIJPlS6_EEENSN_IJSD_SD_EEES6_PiJS6_EEE10hipError_tPvRmT3_T4_T5_T6_T7_T9_mT8_P12ihipStream_tbDpT10_ENKUlT_T0_E_clISt17integral_constantIbLb1EES1B_EEDaS16_S17_EUlS16_E_NS1_11comp_targetILNS1_3genE4ELNS1_11target_archE910ELNS1_3gpuE8ELNS1_3repE0EEENS1_30default_config_static_selectorELNS0_4arch9wavefront6targetE0EEEvT1_.uses_vcc, 0
	.set _ZN7rocprim17ROCPRIM_400000_NS6detail17trampoline_kernelINS0_14default_configENS1_25partition_config_selectorILNS1_17partition_subalgoE5ElNS0_10empty_typeEbEEZZNS1_14partition_implILS5_5ELb0ES3_mN6hipcub16HIPCUB_304000_NS21CountingInputIteratorIllEEPS6_NSA_22TransformInputIteratorIbN2at6native12_GLOBAL__N_19NonZeroOpIiEEPKilEENS0_5tupleIJPlS6_EEENSN_IJSD_SD_EEES6_PiJS6_EEE10hipError_tPvRmT3_T4_T5_T6_T7_T9_mT8_P12ihipStream_tbDpT10_ENKUlT_T0_E_clISt17integral_constantIbLb1EES1B_EEDaS16_S17_EUlS16_E_NS1_11comp_targetILNS1_3genE4ELNS1_11target_archE910ELNS1_3gpuE8ELNS1_3repE0EEENS1_30default_config_static_selectorELNS0_4arch9wavefront6targetE0EEEvT1_.uses_flat_scratch, 0
	.set _ZN7rocprim17ROCPRIM_400000_NS6detail17trampoline_kernelINS0_14default_configENS1_25partition_config_selectorILNS1_17partition_subalgoE5ElNS0_10empty_typeEbEEZZNS1_14partition_implILS5_5ELb0ES3_mN6hipcub16HIPCUB_304000_NS21CountingInputIteratorIllEEPS6_NSA_22TransformInputIteratorIbN2at6native12_GLOBAL__N_19NonZeroOpIiEEPKilEENS0_5tupleIJPlS6_EEENSN_IJSD_SD_EEES6_PiJS6_EEE10hipError_tPvRmT3_T4_T5_T6_T7_T9_mT8_P12ihipStream_tbDpT10_ENKUlT_T0_E_clISt17integral_constantIbLb1EES1B_EEDaS16_S17_EUlS16_E_NS1_11comp_targetILNS1_3genE4ELNS1_11target_archE910ELNS1_3gpuE8ELNS1_3repE0EEENS1_30default_config_static_selectorELNS0_4arch9wavefront6targetE0EEEvT1_.has_dyn_sized_stack, 0
	.set _ZN7rocprim17ROCPRIM_400000_NS6detail17trampoline_kernelINS0_14default_configENS1_25partition_config_selectorILNS1_17partition_subalgoE5ElNS0_10empty_typeEbEEZZNS1_14partition_implILS5_5ELb0ES3_mN6hipcub16HIPCUB_304000_NS21CountingInputIteratorIllEEPS6_NSA_22TransformInputIteratorIbN2at6native12_GLOBAL__N_19NonZeroOpIiEEPKilEENS0_5tupleIJPlS6_EEENSN_IJSD_SD_EEES6_PiJS6_EEE10hipError_tPvRmT3_T4_T5_T6_T7_T9_mT8_P12ihipStream_tbDpT10_ENKUlT_T0_E_clISt17integral_constantIbLb1EES1B_EEDaS16_S17_EUlS16_E_NS1_11comp_targetILNS1_3genE4ELNS1_11target_archE910ELNS1_3gpuE8ELNS1_3repE0EEENS1_30default_config_static_selectorELNS0_4arch9wavefront6targetE0EEEvT1_.has_recursion, 0
	.set _ZN7rocprim17ROCPRIM_400000_NS6detail17trampoline_kernelINS0_14default_configENS1_25partition_config_selectorILNS1_17partition_subalgoE5ElNS0_10empty_typeEbEEZZNS1_14partition_implILS5_5ELb0ES3_mN6hipcub16HIPCUB_304000_NS21CountingInputIteratorIllEEPS6_NSA_22TransformInputIteratorIbN2at6native12_GLOBAL__N_19NonZeroOpIiEEPKilEENS0_5tupleIJPlS6_EEENSN_IJSD_SD_EEES6_PiJS6_EEE10hipError_tPvRmT3_T4_T5_T6_T7_T9_mT8_P12ihipStream_tbDpT10_ENKUlT_T0_E_clISt17integral_constantIbLb1EES1B_EEDaS16_S17_EUlS16_E_NS1_11comp_targetILNS1_3genE4ELNS1_11target_archE910ELNS1_3gpuE8ELNS1_3repE0EEENS1_30default_config_static_selectorELNS0_4arch9wavefront6targetE0EEEvT1_.has_indirect_call, 0
	.section	.AMDGPU.csdata,"",@progbits
; Kernel info:
; codeLenInByte = 0
; TotalNumSgprs: 0
; NumVgprs: 0
; ScratchSize: 0
; MemoryBound: 0
; FloatMode: 240
; IeeeMode: 1
; LDSByteSize: 0 bytes/workgroup (compile time only)
; SGPRBlocks: 0
; VGPRBlocks: 0
; NumSGPRsForWavesPerEU: 1
; NumVGPRsForWavesPerEU: 1
; Occupancy: 16
; WaveLimiterHint : 0
; COMPUTE_PGM_RSRC2:SCRATCH_EN: 0
; COMPUTE_PGM_RSRC2:USER_SGPR: 2
; COMPUTE_PGM_RSRC2:TRAP_HANDLER: 0
; COMPUTE_PGM_RSRC2:TGID_X_EN: 1
; COMPUTE_PGM_RSRC2:TGID_Y_EN: 0
; COMPUTE_PGM_RSRC2:TGID_Z_EN: 0
; COMPUTE_PGM_RSRC2:TIDIG_COMP_CNT: 0
	.section	.text._ZN7rocprim17ROCPRIM_400000_NS6detail17trampoline_kernelINS0_14default_configENS1_25partition_config_selectorILNS1_17partition_subalgoE5ElNS0_10empty_typeEbEEZZNS1_14partition_implILS5_5ELb0ES3_mN6hipcub16HIPCUB_304000_NS21CountingInputIteratorIllEEPS6_NSA_22TransformInputIteratorIbN2at6native12_GLOBAL__N_19NonZeroOpIiEEPKilEENS0_5tupleIJPlS6_EEENSN_IJSD_SD_EEES6_PiJS6_EEE10hipError_tPvRmT3_T4_T5_T6_T7_T9_mT8_P12ihipStream_tbDpT10_ENKUlT_T0_E_clISt17integral_constantIbLb1EES1B_EEDaS16_S17_EUlS16_E_NS1_11comp_targetILNS1_3genE3ELNS1_11target_archE908ELNS1_3gpuE7ELNS1_3repE0EEENS1_30default_config_static_selectorELNS0_4arch9wavefront6targetE0EEEvT1_,"axG",@progbits,_ZN7rocprim17ROCPRIM_400000_NS6detail17trampoline_kernelINS0_14default_configENS1_25partition_config_selectorILNS1_17partition_subalgoE5ElNS0_10empty_typeEbEEZZNS1_14partition_implILS5_5ELb0ES3_mN6hipcub16HIPCUB_304000_NS21CountingInputIteratorIllEEPS6_NSA_22TransformInputIteratorIbN2at6native12_GLOBAL__N_19NonZeroOpIiEEPKilEENS0_5tupleIJPlS6_EEENSN_IJSD_SD_EEES6_PiJS6_EEE10hipError_tPvRmT3_T4_T5_T6_T7_T9_mT8_P12ihipStream_tbDpT10_ENKUlT_T0_E_clISt17integral_constantIbLb1EES1B_EEDaS16_S17_EUlS16_E_NS1_11comp_targetILNS1_3genE3ELNS1_11target_archE908ELNS1_3gpuE7ELNS1_3repE0EEENS1_30default_config_static_selectorELNS0_4arch9wavefront6targetE0EEEvT1_,comdat
	.globl	_ZN7rocprim17ROCPRIM_400000_NS6detail17trampoline_kernelINS0_14default_configENS1_25partition_config_selectorILNS1_17partition_subalgoE5ElNS0_10empty_typeEbEEZZNS1_14partition_implILS5_5ELb0ES3_mN6hipcub16HIPCUB_304000_NS21CountingInputIteratorIllEEPS6_NSA_22TransformInputIteratorIbN2at6native12_GLOBAL__N_19NonZeroOpIiEEPKilEENS0_5tupleIJPlS6_EEENSN_IJSD_SD_EEES6_PiJS6_EEE10hipError_tPvRmT3_T4_T5_T6_T7_T9_mT8_P12ihipStream_tbDpT10_ENKUlT_T0_E_clISt17integral_constantIbLb1EES1B_EEDaS16_S17_EUlS16_E_NS1_11comp_targetILNS1_3genE3ELNS1_11target_archE908ELNS1_3gpuE7ELNS1_3repE0EEENS1_30default_config_static_selectorELNS0_4arch9wavefront6targetE0EEEvT1_ ; -- Begin function _ZN7rocprim17ROCPRIM_400000_NS6detail17trampoline_kernelINS0_14default_configENS1_25partition_config_selectorILNS1_17partition_subalgoE5ElNS0_10empty_typeEbEEZZNS1_14partition_implILS5_5ELb0ES3_mN6hipcub16HIPCUB_304000_NS21CountingInputIteratorIllEEPS6_NSA_22TransformInputIteratorIbN2at6native12_GLOBAL__N_19NonZeroOpIiEEPKilEENS0_5tupleIJPlS6_EEENSN_IJSD_SD_EEES6_PiJS6_EEE10hipError_tPvRmT3_T4_T5_T6_T7_T9_mT8_P12ihipStream_tbDpT10_ENKUlT_T0_E_clISt17integral_constantIbLb1EES1B_EEDaS16_S17_EUlS16_E_NS1_11comp_targetILNS1_3genE3ELNS1_11target_archE908ELNS1_3gpuE7ELNS1_3repE0EEENS1_30default_config_static_selectorELNS0_4arch9wavefront6targetE0EEEvT1_
	.p2align	8
	.type	_ZN7rocprim17ROCPRIM_400000_NS6detail17trampoline_kernelINS0_14default_configENS1_25partition_config_selectorILNS1_17partition_subalgoE5ElNS0_10empty_typeEbEEZZNS1_14partition_implILS5_5ELb0ES3_mN6hipcub16HIPCUB_304000_NS21CountingInputIteratorIllEEPS6_NSA_22TransformInputIteratorIbN2at6native12_GLOBAL__N_19NonZeroOpIiEEPKilEENS0_5tupleIJPlS6_EEENSN_IJSD_SD_EEES6_PiJS6_EEE10hipError_tPvRmT3_T4_T5_T6_T7_T9_mT8_P12ihipStream_tbDpT10_ENKUlT_T0_E_clISt17integral_constantIbLb1EES1B_EEDaS16_S17_EUlS16_E_NS1_11comp_targetILNS1_3genE3ELNS1_11target_archE908ELNS1_3gpuE7ELNS1_3repE0EEENS1_30default_config_static_selectorELNS0_4arch9wavefront6targetE0EEEvT1_,@function
_ZN7rocprim17ROCPRIM_400000_NS6detail17trampoline_kernelINS0_14default_configENS1_25partition_config_selectorILNS1_17partition_subalgoE5ElNS0_10empty_typeEbEEZZNS1_14partition_implILS5_5ELb0ES3_mN6hipcub16HIPCUB_304000_NS21CountingInputIteratorIllEEPS6_NSA_22TransformInputIteratorIbN2at6native12_GLOBAL__N_19NonZeroOpIiEEPKilEENS0_5tupleIJPlS6_EEENSN_IJSD_SD_EEES6_PiJS6_EEE10hipError_tPvRmT3_T4_T5_T6_T7_T9_mT8_P12ihipStream_tbDpT10_ENKUlT_T0_E_clISt17integral_constantIbLb1EES1B_EEDaS16_S17_EUlS16_E_NS1_11comp_targetILNS1_3genE3ELNS1_11target_archE908ELNS1_3gpuE7ELNS1_3repE0EEENS1_30default_config_static_selectorELNS0_4arch9wavefront6targetE0EEEvT1_: ; @_ZN7rocprim17ROCPRIM_400000_NS6detail17trampoline_kernelINS0_14default_configENS1_25partition_config_selectorILNS1_17partition_subalgoE5ElNS0_10empty_typeEbEEZZNS1_14partition_implILS5_5ELb0ES3_mN6hipcub16HIPCUB_304000_NS21CountingInputIteratorIllEEPS6_NSA_22TransformInputIteratorIbN2at6native12_GLOBAL__N_19NonZeroOpIiEEPKilEENS0_5tupleIJPlS6_EEENSN_IJSD_SD_EEES6_PiJS6_EEE10hipError_tPvRmT3_T4_T5_T6_T7_T9_mT8_P12ihipStream_tbDpT10_ENKUlT_T0_E_clISt17integral_constantIbLb1EES1B_EEDaS16_S17_EUlS16_E_NS1_11comp_targetILNS1_3genE3ELNS1_11target_archE908ELNS1_3gpuE7ELNS1_3repE0EEENS1_30default_config_static_selectorELNS0_4arch9wavefront6targetE0EEEvT1_
; %bb.0:
	.section	.rodata,"a",@progbits
	.p2align	6, 0x0
	.amdhsa_kernel _ZN7rocprim17ROCPRIM_400000_NS6detail17trampoline_kernelINS0_14default_configENS1_25partition_config_selectorILNS1_17partition_subalgoE5ElNS0_10empty_typeEbEEZZNS1_14partition_implILS5_5ELb0ES3_mN6hipcub16HIPCUB_304000_NS21CountingInputIteratorIllEEPS6_NSA_22TransformInputIteratorIbN2at6native12_GLOBAL__N_19NonZeroOpIiEEPKilEENS0_5tupleIJPlS6_EEENSN_IJSD_SD_EEES6_PiJS6_EEE10hipError_tPvRmT3_T4_T5_T6_T7_T9_mT8_P12ihipStream_tbDpT10_ENKUlT_T0_E_clISt17integral_constantIbLb1EES1B_EEDaS16_S17_EUlS16_E_NS1_11comp_targetILNS1_3genE3ELNS1_11target_archE908ELNS1_3gpuE7ELNS1_3repE0EEENS1_30default_config_static_selectorELNS0_4arch9wavefront6targetE0EEEvT1_
		.amdhsa_group_segment_fixed_size 0
		.amdhsa_private_segment_fixed_size 0
		.amdhsa_kernarg_size 136
		.amdhsa_user_sgpr_count 2
		.amdhsa_user_sgpr_dispatch_ptr 0
		.amdhsa_user_sgpr_queue_ptr 0
		.amdhsa_user_sgpr_kernarg_segment_ptr 1
		.amdhsa_user_sgpr_dispatch_id 0
		.amdhsa_user_sgpr_private_segment_size 0
		.amdhsa_wavefront_size32 1
		.amdhsa_uses_dynamic_stack 0
		.amdhsa_enable_private_segment 0
		.amdhsa_system_sgpr_workgroup_id_x 1
		.amdhsa_system_sgpr_workgroup_id_y 0
		.amdhsa_system_sgpr_workgroup_id_z 0
		.amdhsa_system_sgpr_workgroup_info 0
		.amdhsa_system_vgpr_workitem_id 0
		.amdhsa_next_free_vgpr 1
		.amdhsa_next_free_sgpr 1
		.amdhsa_reserve_vcc 0
		.amdhsa_float_round_mode_32 0
		.amdhsa_float_round_mode_16_64 0
		.amdhsa_float_denorm_mode_32 3
		.amdhsa_float_denorm_mode_16_64 3
		.amdhsa_fp16_overflow 0
		.amdhsa_workgroup_processor_mode 1
		.amdhsa_memory_ordered 1
		.amdhsa_forward_progress 1
		.amdhsa_inst_pref_size 0
		.amdhsa_round_robin_scheduling 0
		.amdhsa_exception_fp_ieee_invalid_op 0
		.amdhsa_exception_fp_denorm_src 0
		.amdhsa_exception_fp_ieee_div_zero 0
		.amdhsa_exception_fp_ieee_overflow 0
		.amdhsa_exception_fp_ieee_underflow 0
		.amdhsa_exception_fp_ieee_inexact 0
		.amdhsa_exception_int_div_zero 0
	.end_amdhsa_kernel
	.section	.text._ZN7rocprim17ROCPRIM_400000_NS6detail17trampoline_kernelINS0_14default_configENS1_25partition_config_selectorILNS1_17partition_subalgoE5ElNS0_10empty_typeEbEEZZNS1_14partition_implILS5_5ELb0ES3_mN6hipcub16HIPCUB_304000_NS21CountingInputIteratorIllEEPS6_NSA_22TransformInputIteratorIbN2at6native12_GLOBAL__N_19NonZeroOpIiEEPKilEENS0_5tupleIJPlS6_EEENSN_IJSD_SD_EEES6_PiJS6_EEE10hipError_tPvRmT3_T4_T5_T6_T7_T9_mT8_P12ihipStream_tbDpT10_ENKUlT_T0_E_clISt17integral_constantIbLb1EES1B_EEDaS16_S17_EUlS16_E_NS1_11comp_targetILNS1_3genE3ELNS1_11target_archE908ELNS1_3gpuE7ELNS1_3repE0EEENS1_30default_config_static_selectorELNS0_4arch9wavefront6targetE0EEEvT1_,"axG",@progbits,_ZN7rocprim17ROCPRIM_400000_NS6detail17trampoline_kernelINS0_14default_configENS1_25partition_config_selectorILNS1_17partition_subalgoE5ElNS0_10empty_typeEbEEZZNS1_14partition_implILS5_5ELb0ES3_mN6hipcub16HIPCUB_304000_NS21CountingInputIteratorIllEEPS6_NSA_22TransformInputIteratorIbN2at6native12_GLOBAL__N_19NonZeroOpIiEEPKilEENS0_5tupleIJPlS6_EEENSN_IJSD_SD_EEES6_PiJS6_EEE10hipError_tPvRmT3_T4_T5_T6_T7_T9_mT8_P12ihipStream_tbDpT10_ENKUlT_T0_E_clISt17integral_constantIbLb1EES1B_EEDaS16_S17_EUlS16_E_NS1_11comp_targetILNS1_3genE3ELNS1_11target_archE908ELNS1_3gpuE7ELNS1_3repE0EEENS1_30default_config_static_selectorELNS0_4arch9wavefront6targetE0EEEvT1_,comdat
.Lfunc_end197:
	.size	_ZN7rocprim17ROCPRIM_400000_NS6detail17trampoline_kernelINS0_14default_configENS1_25partition_config_selectorILNS1_17partition_subalgoE5ElNS0_10empty_typeEbEEZZNS1_14partition_implILS5_5ELb0ES3_mN6hipcub16HIPCUB_304000_NS21CountingInputIteratorIllEEPS6_NSA_22TransformInputIteratorIbN2at6native12_GLOBAL__N_19NonZeroOpIiEEPKilEENS0_5tupleIJPlS6_EEENSN_IJSD_SD_EEES6_PiJS6_EEE10hipError_tPvRmT3_T4_T5_T6_T7_T9_mT8_P12ihipStream_tbDpT10_ENKUlT_T0_E_clISt17integral_constantIbLb1EES1B_EEDaS16_S17_EUlS16_E_NS1_11comp_targetILNS1_3genE3ELNS1_11target_archE908ELNS1_3gpuE7ELNS1_3repE0EEENS1_30default_config_static_selectorELNS0_4arch9wavefront6targetE0EEEvT1_, .Lfunc_end197-_ZN7rocprim17ROCPRIM_400000_NS6detail17trampoline_kernelINS0_14default_configENS1_25partition_config_selectorILNS1_17partition_subalgoE5ElNS0_10empty_typeEbEEZZNS1_14partition_implILS5_5ELb0ES3_mN6hipcub16HIPCUB_304000_NS21CountingInputIteratorIllEEPS6_NSA_22TransformInputIteratorIbN2at6native12_GLOBAL__N_19NonZeroOpIiEEPKilEENS0_5tupleIJPlS6_EEENSN_IJSD_SD_EEES6_PiJS6_EEE10hipError_tPvRmT3_T4_T5_T6_T7_T9_mT8_P12ihipStream_tbDpT10_ENKUlT_T0_E_clISt17integral_constantIbLb1EES1B_EEDaS16_S17_EUlS16_E_NS1_11comp_targetILNS1_3genE3ELNS1_11target_archE908ELNS1_3gpuE7ELNS1_3repE0EEENS1_30default_config_static_selectorELNS0_4arch9wavefront6targetE0EEEvT1_
                                        ; -- End function
	.set _ZN7rocprim17ROCPRIM_400000_NS6detail17trampoline_kernelINS0_14default_configENS1_25partition_config_selectorILNS1_17partition_subalgoE5ElNS0_10empty_typeEbEEZZNS1_14partition_implILS5_5ELb0ES3_mN6hipcub16HIPCUB_304000_NS21CountingInputIteratorIllEEPS6_NSA_22TransformInputIteratorIbN2at6native12_GLOBAL__N_19NonZeroOpIiEEPKilEENS0_5tupleIJPlS6_EEENSN_IJSD_SD_EEES6_PiJS6_EEE10hipError_tPvRmT3_T4_T5_T6_T7_T9_mT8_P12ihipStream_tbDpT10_ENKUlT_T0_E_clISt17integral_constantIbLb1EES1B_EEDaS16_S17_EUlS16_E_NS1_11comp_targetILNS1_3genE3ELNS1_11target_archE908ELNS1_3gpuE7ELNS1_3repE0EEENS1_30default_config_static_selectorELNS0_4arch9wavefront6targetE0EEEvT1_.num_vgpr, 0
	.set _ZN7rocprim17ROCPRIM_400000_NS6detail17trampoline_kernelINS0_14default_configENS1_25partition_config_selectorILNS1_17partition_subalgoE5ElNS0_10empty_typeEbEEZZNS1_14partition_implILS5_5ELb0ES3_mN6hipcub16HIPCUB_304000_NS21CountingInputIteratorIllEEPS6_NSA_22TransformInputIteratorIbN2at6native12_GLOBAL__N_19NonZeroOpIiEEPKilEENS0_5tupleIJPlS6_EEENSN_IJSD_SD_EEES6_PiJS6_EEE10hipError_tPvRmT3_T4_T5_T6_T7_T9_mT8_P12ihipStream_tbDpT10_ENKUlT_T0_E_clISt17integral_constantIbLb1EES1B_EEDaS16_S17_EUlS16_E_NS1_11comp_targetILNS1_3genE3ELNS1_11target_archE908ELNS1_3gpuE7ELNS1_3repE0EEENS1_30default_config_static_selectorELNS0_4arch9wavefront6targetE0EEEvT1_.num_agpr, 0
	.set _ZN7rocprim17ROCPRIM_400000_NS6detail17trampoline_kernelINS0_14default_configENS1_25partition_config_selectorILNS1_17partition_subalgoE5ElNS0_10empty_typeEbEEZZNS1_14partition_implILS5_5ELb0ES3_mN6hipcub16HIPCUB_304000_NS21CountingInputIteratorIllEEPS6_NSA_22TransformInputIteratorIbN2at6native12_GLOBAL__N_19NonZeroOpIiEEPKilEENS0_5tupleIJPlS6_EEENSN_IJSD_SD_EEES6_PiJS6_EEE10hipError_tPvRmT3_T4_T5_T6_T7_T9_mT8_P12ihipStream_tbDpT10_ENKUlT_T0_E_clISt17integral_constantIbLb1EES1B_EEDaS16_S17_EUlS16_E_NS1_11comp_targetILNS1_3genE3ELNS1_11target_archE908ELNS1_3gpuE7ELNS1_3repE0EEENS1_30default_config_static_selectorELNS0_4arch9wavefront6targetE0EEEvT1_.numbered_sgpr, 0
	.set _ZN7rocprim17ROCPRIM_400000_NS6detail17trampoline_kernelINS0_14default_configENS1_25partition_config_selectorILNS1_17partition_subalgoE5ElNS0_10empty_typeEbEEZZNS1_14partition_implILS5_5ELb0ES3_mN6hipcub16HIPCUB_304000_NS21CountingInputIteratorIllEEPS6_NSA_22TransformInputIteratorIbN2at6native12_GLOBAL__N_19NonZeroOpIiEEPKilEENS0_5tupleIJPlS6_EEENSN_IJSD_SD_EEES6_PiJS6_EEE10hipError_tPvRmT3_T4_T5_T6_T7_T9_mT8_P12ihipStream_tbDpT10_ENKUlT_T0_E_clISt17integral_constantIbLb1EES1B_EEDaS16_S17_EUlS16_E_NS1_11comp_targetILNS1_3genE3ELNS1_11target_archE908ELNS1_3gpuE7ELNS1_3repE0EEENS1_30default_config_static_selectorELNS0_4arch9wavefront6targetE0EEEvT1_.num_named_barrier, 0
	.set _ZN7rocprim17ROCPRIM_400000_NS6detail17trampoline_kernelINS0_14default_configENS1_25partition_config_selectorILNS1_17partition_subalgoE5ElNS0_10empty_typeEbEEZZNS1_14partition_implILS5_5ELb0ES3_mN6hipcub16HIPCUB_304000_NS21CountingInputIteratorIllEEPS6_NSA_22TransformInputIteratorIbN2at6native12_GLOBAL__N_19NonZeroOpIiEEPKilEENS0_5tupleIJPlS6_EEENSN_IJSD_SD_EEES6_PiJS6_EEE10hipError_tPvRmT3_T4_T5_T6_T7_T9_mT8_P12ihipStream_tbDpT10_ENKUlT_T0_E_clISt17integral_constantIbLb1EES1B_EEDaS16_S17_EUlS16_E_NS1_11comp_targetILNS1_3genE3ELNS1_11target_archE908ELNS1_3gpuE7ELNS1_3repE0EEENS1_30default_config_static_selectorELNS0_4arch9wavefront6targetE0EEEvT1_.private_seg_size, 0
	.set _ZN7rocprim17ROCPRIM_400000_NS6detail17trampoline_kernelINS0_14default_configENS1_25partition_config_selectorILNS1_17partition_subalgoE5ElNS0_10empty_typeEbEEZZNS1_14partition_implILS5_5ELb0ES3_mN6hipcub16HIPCUB_304000_NS21CountingInputIteratorIllEEPS6_NSA_22TransformInputIteratorIbN2at6native12_GLOBAL__N_19NonZeroOpIiEEPKilEENS0_5tupleIJPlS6_EEENSN_IJSD_SD_EEES6_PiJS6_EEE10hipError_tPvRmT3_T4_T5_T6_T7_T9_mT8_P12ihipStream_tbDpT10_ENKUlT_T0_E_clISt17integral_constantIbLb1EES1B_EEDaS16_S17_EUlS16_E_NS1_11comp_targetILNS1_3genE3ELNS1_11target_archE908ELNS1_3gpuE7ELNS1_3repE0EEENS1_30default_config_static_selectorELNS0_4arch9wavefront6targetE0EEEvT1_.uses_vcc, 0
	.set _ZN7rocprim17ROCPRIM_400000_NS6detail17trampoline_kernelINS0_14default_configENS1_25partition_config_selectorILNS1_17partition_subalgoE5ElNS0_10empty_typeEbEEZZNS1_14partition_implILS5_5ELb0ES3_mN6hipcub16HIPCUB_304000_NS21CountingInputIteratorIllEEPS6_NSA_22TransformInputIteratorIbN2at6native12_GLOBAL__N_19NonZeroOpIiEEPKilEENS0_5tupleIJPlS6_EEENSN_IJSD_SD_EEES6_PiJS6_EEE10hipError_tPvRmT3_T4_T5_T6_T7_T9_mT8_P12ihipStream_tbDpT10_ENKUlT_T0_E_clISt17integral_constantIbLb1EES1B_EEDaS16_S17_EUlS16_E_NS1_11comp_targetILNS1_3genE3ELNS1_11target_archE908ELNS1_3gpuE7ELNS1_3repE0EEENS1_30default_config_static_selectorELNS0_4arch9wavefront6targetE0EEEvT1_.uses_flat_scratch, 0
	.set _ZN7rocprim17ROCPRIM_400000_NS6detail17trampoline_kernelINS0_14default_configENS1_25partition_config_selectorILNS1_17partition_subalgoE5ElNS0_10empty_typeEbEEZZNS1_14partition_implILS5_5ELb0ES3_mN6hipcub16HIPCUB_304000_NS21CountingInputIteratorIllEEPS6_NSA_22TransformInputIteratorIbN2at6native12_GLOBAL__N_19NonZeroOpIiEEPKilEENS0_5tupleIJPlS6_EEENSN_IJSD_SD_EEES6_PiJS6_EEE10hipError_tPvRmT3_T4_T5_T6_T7_T9_mT8_P12ihipStream_tbDpT10_ENKUlT_T0_E_clISt17integral_constantIbLb1EES1B_EEDaS16_S17_EUlS16_E_NS1_11comp_targetILNS1_3genE3ELNS1_11target_archE908ELNS1_3gpuE7ELNS1_3repE0EEENS1_30default_config_static_selectorELNS0_4arch9wavefront6targetE0EEEvT1_.has_dyn_sized_stack, 0
	.set _ZN7rocprim17ROCPRIM_400000_NS6detail17trampoline_kernelINS0_14default_configENS1_25partition_config_selectorILNS1_17partition_subalgoE5ElNS0_10empty_typeEbEEZZNS1_14partition_implILS5_5ELb0ES3_mN6hipcub16HIPCUB_304000_NS21CountingInputIteratorIllEEPS6_NSA_22TransformInputIteratorIbN2at6native12_GLOBAL__N_19NonZeroOpIiEEPKilEENS0_5tupleIJPlS6_EEENSN_IJSD_SD_EEES6_PiJS6_EEE10hipError_tPvRmT3_T4_T5_T6_T7_T9_mT8_P12ihipStream_tbDpT10_ENKUlT_T0_E_clISt17integral_constantIbLb1EES1B_EEDaS16_S17_EUlS16_E_NS1_11comp_targetILNS1_3genE3ELNS1_11target_archE908ELNS1_3gpuE7ELNS1_3repE0EEENS1_30default_config_static_selectorELNS0_4arch9wavefront6targetE0EEEvT1_.has_recursion, 0
	.set _ZN7rocprim17ROCPRIM_400000_NS6detail17trampoline_kernelINS0_14default_configENS1_25partition_config_selectorILNS1_17partition_subalgoE5ElNS0_10empty_typeEbEEZZNS1_14partition_implILS5_5ELb0ES3_mN6hipcub16HIPCUB_304000_NS21CountingInputIteratorIllEEPS6_NSA_22TransformInputIteratorIbN2at6native12_GLOBAL__N_19NonZeroOpIiEEPKilEENS0_5tupleIJPlS6_EEENSN_IJSD_SD_EEES6_PiJS6_EEE10hipError_tPvRmT3_T4_T5_T6_T7_T9_mT8_P12ihipStream_tbDpT10_ENKUlT_T0_E_clISt17integral_constantIbLb1EES1B_EEDaS16_S17_EUlS16_E_NS1_11comp_targetILNS1_3genE3ELNS1_11target_archE908ELNS1_3gpuE7ELNS1_3repE0EEENS1_30default_config_static_selectorELNS0_4arch9wavefront6targetE0EEEvT1_.has_indirect_call, 0
	.section	.AMDGPU.csdata,"",@progbits
; Kernel info:
; codeLenInByte = 0
; TotalNumSgprs: 0
; NumVgprs: 0
; ScratchSize: 0
; MemoryBound: 0
; FloatMode: 240
; IeeeMode: 1
; LDSByteSize: 0 bytes/workgroup (compile time only)
; SGPRBlocks: 0
; VGPRBlocks: 0
; NumSGPRsForWavesPerEU: 1
; NumVGPRsForWavesPerEU: 1
; Occupancy: 16
; WaveLimiterHint : 0
; COMPUTE_PGM_RSRC2:SCRATCH_EN: 0
; COMPUTE_PGM_RSRC2:USER_SGPR: 2
; COMPUTE_PGM_RSRC2:TRAP_HANDLER: 0
; COMPUTE_PGM_RSRC2:TGID_X_EN: 1
; COMPUTE_PGM_RSRC2:TGID_Y_EN: 0
; COMPUTE_PGM_RSRC2:TGID_Z_EN: 0
; COMPUTE_PGM_RSRC2:TIDIG_COMP_CNT: 0
	.section	.text._ZN7rocprim17ROCPRIM_400000_NS6detail17trampoline_kernelINS0_14default_configENS1_25partition_config_selectorILNS1_17partition_subalgoE5ElNS0_10empty_typeEbEEZZNS1_14partition_implILS5_5ELb0ES3_mN6hipcub16HIPCUB_304000_NS21CountingInputIteratorIllEEPS6_NSA_22TransformInputIteratorIbN2at6native12_GLOBAL__N_19NonZeroOpIiEEPKilEENS0_5tupleIJPlS6_EEENSN_IJSD_SD_EEES6_PiJS6_EEE10hipError_tPvRmT3_T4_T5_T6_T7_T9_mT8_P12ihipStream_tbDpT10_ENKUlT_T0_E_clISt17integral_constantIbLb1EES1B_EEDaS16_S17_EUlS16_E_NS1_11comp_targetILNS1_3genE2ELNS1_11target_archE906ELNS1_3gpuE6ELNS1_3repE0EEENS1_30default_config_static_selectorELNS0_4arch9wavefront6targetE0EEEvT1_,"axG",@progbits,_ZN7rocprim17ROCPRIM_400000_NS6detail17trampoline_kernelINS0_14default_configENS1_25partition_config_selectorILNS1_17partition_subalgoE5ElNS0_10empty_typeEbEEZZNS1_14partition_implILS5_5ELb0ES3_mN6hipcub16HIPCUB_304000_NS21CountingInputIteratorIllEEPS6_NSA_22TransformInputIteratorIbN2at6native12_GLOBAL__N_19NonZeroOpIiEEPKilEENS0_5tupleIJPlS6_EEENSN_IJSD_SD_EEES6_PiJS6_EEE10hipError_tPvRmT3_T4_T5_T6_T7_T9_mT8_P12ihipStream_tbDpT10_ENKUlT_T0_E_clISt17integral_constantIbLb1EES1B_EEDaS16_S17_EUlS16_E_NS1_11comp_targetILNS1_3genE2ELNS1_11target_archE906ELNS1_3gpuE6ELNS1_3repE0EEENS1_30default_config_static_selectorELNS0_4arch9wavefront6targetE0EEEvT1_,comdat
	.globl	_ZN7rocprim17ROCPRIM_400000_NS6detail17trampoline_kernelINS0_14default_configENS1_25partition_config_selectorILNS1_17partition_subalgoE5ElNS0_10empty_typeEbEEZZNS1_14partition_implILS5_5ELb0ES3_mN6hipcub16HIPCUB_304000_NS21CountingInputIteratorIllEEPS6_NSA_22TransformInputIteratorIbN2at6native12_GLOBAL__N_19NonZeroOpIiEEPKilEENS0_5tupleIJPlS6_EEENSN_IJSD_SD_EEES6_PiJS6_EEE10hipError_tPvRmT3_T4_T5_T6_T7_T9_mT8_P12ihipStream_tbDpT10_ENKUlT_T0_E_clISt17integral_constantIbLb1EES1B_EEDaS16_S17_EUlS16_E_NS1_11comp_targetILNS1_3genE2ELNS1_11target_archE906ELNS1_3gpuE6ELNS1_3repE0EEENS1_30default_config_static_selectorELNS0_4arch9wavefront6targetE0EEEvT1_ ; -- Begin function _ZN7rocprim17ROCPRIM_400000_NS6detail17trampoline_kernelINS0_14default_configENS1_25partition_config_selectorILNS1_17partition_subalgoE5ElNS0_10empty_typeEbEEZZNS1_14partition_implILS5_5ELb0ES3_mN6hipcub16HIPCUB_304000_NS21CountingInputIteratorIllEEPS6_NSA_22TransformInputIteratorIbN2at6native12_GLOBAL__N_19NonZeroOpIiEEPKilEENS0_5tupleIJPlS6_EEENSN_IJSD_SD_EEES6_PiJS6_EEE10hipError_tPvRmT3_T4_T5_T6_T7_T9_mT8_P12ihipStream_tbDpT10_ENKUlT_T0_E_clISt17integral_constantIbLb1EES1B_EEDaS16_S17_EUlS16_E_NS1_11comp_targetILNS1_3genE2ELNS1_11target_archE906ELNS1_3gpuE6ELNS1_3repE0EEENS1_30default_config_static_selectorELNS0_4arch9wavefront6targetE0EEEvT1_
	.p2align	8
	.type	_ZN7rocprim17ROCPRIM_400000_NS6detail17trampoline_kernelINS0_14default_configENS1_25partition_config_selectorILNS1_17partition_subalgoE5ElNS0_10empty_typeEbEEZZNS1_14partition_implILS5_5ELb0ES3_mN6hipcub16HIPCUB_304000_NS21CountingInputIteratorIllEEPS6_NSA_22TransformInputIteratorIbN2at6native12_GLOBAL__N_19NonZeroOpIiEEPKilEENS0_5tupleIJPlS6_EEENSN_IJSD_SD_EEES6_PiJS6_EEE10hipError_tPvRmT3_T4_T5_T6_T7_T9_mT8_P12ihipStream_tbDpT10_ENKUlT_T0_E_clISt17integral_constantIbLb1EES1B_EEDaS16_S17_EUlS16_E_NS1_11comp_targetILNS1_3genE2ELNS1_11target_archE906ELNS1_3gpuE6ELNS1_3repE0EEENS1_30default_config_static_selectorELNS0_4arch9wavefront6targetE0EEEvT1_,@function
_ZN7rocprim17ROCPRIM_400000_NS6detail17trampoline_kernelINS0_14default_configENS1_25partition_config_selectorILNS1_17partition_subalgoE5ElNS0_10empty_typeEbEEZZNS1_14partition_implILS5_5ELb0ES3_mN6hipcub16HIPCUB_304000_NS21CountingInputIteratorIllEEPS6_NSA_22TransformInputIteratorIbN2at6native12_GLOBAL__N_19NonZeroOpIiEEPKilEENS0_5tupleIJPlS6_EEENSN_IJSD_SD_EEES6_PiJS6_EEE10hipError_tPvRmT3_T4_T5_T6_T7_T9_mT8_P12ihipStream_tbDpT10_ENKUlT_T0_E_clISt17integral_constantIbLb1EES1B_EEDaS16_S17_EUlS16_E_NS1_11comp_targetILNS1_3genE2ELNS1_11target_archE906ELNS1_3gpuE6ELNS1_3repE0EEENS1_30default_config_static_selectorELNS0_4arch9wavefront6targetE0EEEvT1_: ; @_ZN7rocprim17ROCPRIM_400000_NS6detail17trampoline_kernelINS0_14default_configENS1_25partition_config_selectorILNS1_17partition_subalgoE5ElNS0_10empty_typeEbEEZZNS1_14partition_implILS5_5ELb0ES3_mN6hipcub16HIPCUB_304000_NS21CountingInputIteratorIllEEPS6_NSA_22TransformInputIteratorIbN2at6native12_GLOBAL__N_19NonZeroOpIiEEPKilEENS0_5tupleIJPlS6_EEENSN_IJSD_SD_EEES6_PiJS6_EEE10hipError_tPvRmT3_T4_T5_T6_T7_T9_mT8_P12ihipStream_tbDpT10_ENKUlT_T0_E_clISt17integral_constantIbLb1EES1B_EEDaS16_S17_EUlS16_E_NS1_11comp_targetILNS1_3genE2ELNS1_11target_archE906ELNS1_3gpuE6ELNS1_3repE0EEENS1_30default_config_static_selectorELNS0_4arch9wavefront6targetE0EEEvT1_
; %bb.0:
	.section	.rodata,"a",@progbits
	.p2align	6, 0x0
	.amdhsa_kernel _ZN7rocprim17ROCPRIM_400000_NS6detail17trampoline_kernelINS0_14default_configENS1_25partition_config_selectorILNS1_17partition_subalgoE5ElNS0_10empty_typeEbEEZZNS1_14partition_implILS5_5ELb0ES3_mN6hipcub16HIPCUB_304000_NS21CountingInputIteratorIllEEPS6_NSA_22TransformInputIteratorIbN2at6native12_GLOBAL__N_19NonZeroOpIiEEPKilEENS0_5tupleIJPlS6_EEENSN_IJSD_SD_EEES6_PiJS6_EEE10hipError_tPvRmT3_T4_T5_T6_T7_T9_mT8_P12ihipStream_tbDpT10_ENKUlT_T0_E_clISt17integral_constantIbLb1EES1B_EEDaS16_S17_EUlS16_E_NS1_11comp_targetILNS1_3genE2ELNS1_11target_archE906ELNS1_3gpuE6ELNS1_3repE0EEENS1_30default_config_static_selectorELNS0_4arch9wavefront6targetE0EEEvT1_
		.amdhsa_group_segment_fixed_size 0
		.amdhsa_private_segment_fixed_size 0
		.amdhsa_kernarg_size 136
		.amdhsa_user_sgpr_count 2
		.amdhsa_user_sgpr_dispatch_ptr 0
		.amdhsa_user_sgpr_queue_ptr 0
		.amdhsa_user_sgpr_kernarg_segment_ptr 1
		.amdhsa_user_sgpr_dispatch_id 0
		.amdhsa_user_sgpr_private_segment_size 0
		.amdhsa_wavefront_size32 1
		.amdhsa_uses_dynamic_stack 0
		.amdhsa_enable_private_segment 0
		.amdhsa_system_sgpr_workgroup_id_x 1
		.amdhsa_system_sgpr_workgroup_id_y 0
		.amdhsa_system_sgpr_workgroup_id_z 0
		.amdhsa_system_sgpr_workgroup_info 0
		.amdhsa_system_vgpr_workitem_id 0
		.amdhsa_next_free_vgpr 1
		.amdhsa_next_free_sgpr 1
		.amdhsa_reserve_vcc 0
		.amdhsa_float_round_mode_32 0
		.amdhsa_float_round_mode_16_64 0
		.amdhsa_float_denorm_mode_32 3
		.amdhsa_float_denorm_mode_16_64 3
		.amdhsa_fp16_overflow 0
		.amdhsa_workgroup_processor_mode 1
		.amdhsa_memory_ordered 1
		.amdhsa_forward_progress 1
		.amdhsa_inst_pref_size 0
		.amdhsa_round_robin_scheduling 0
		.amdhsa_exception_fp_ieee_invalid_op 0
		.amdhsa_exception_fp_denorm_src 0
		.amdhsa_exception_fp_ieee_div_zero 0
		.amdhsa_exception_fp_ieee_overflow 0
		.amdhsa_exception_fp_ieee_underflow 0
		.amdhsa_exception_fp_ieee_inexact 0
		.amdhsa_exception_int_div_zero 0
	.end_amdhsa_kernel
	.section	.text._ZN7rocprim17ROCPRIM_400000_NS6detail17trampoline_kernelINS0_14default_configENS1_25partition_config_selectorILNS1_17partition_subalgoE5ElNS0_10empty_typeEbEEZZNS1_14partition_implILS5_5ELb0ES3_mN6hipcub16HIPCUB_304000_NS21CountingInputIteratorIllEEPS6_NSA_22TransformInputIteratorIbN2at6native12_GLOBAL__N_19NonZeroOpIiEEPKilEENS0_5tupleIJPlS6_EEENSN_IJSD_SD_EEES6_PiJS6_EEE10hipError_tPvRmT3_T4_T5_T6_T7_T9_mT8_P12ihipStream_tbDpT10_ENKUlT_T0_E_clISt17integral_constantIbLb1EES1B_EEDaS16_S17_EUlS16_E_NS1_11comp_targetILNS1_3genE2ELNS1_11target_archE906ELNS1_3gpuE6ELNS1_3repE0EEENS1_30default_config_static_selectorELNS0_4arch9wavefront6targetE0EEEvT1_,"axG",@progbits,_ZN7rocprim17ROCPRIM_400000_NS6detail17trampoline_kernelINS0_14default_configENS1_25partition_config_selectorILNS1_17partition_subalgoE5ElNS0_10empty_typeEbEEZZNS1_14partition_implILS5_5ELb0ES3_mN6hipcub16HIPCUB_304000_NS21CountingInputIteratorIllEEPS6_NSA_22TransformInputIteratorIbN2at6native12_GLOBAL__N_19NonZeroOpIiEEPKilEENS0_5tupleIJPlS6_EEENSN_IJSD_SD_EEES6_PiJS6_EEE10hipError_tPvRmT3_T4_T5_T6_T7_T9_mT8_P12ihipStream_tbDpT10_ENKUlT_T0_E_clISt17integral_constantIbLb1EES1B_EEDaS16_S17_EUlS16_E_NS1_11comp_targetILNS1_3genE2ELNS1_11target_archE906ELNS1_3gpuE6ELNS1_3repE0EEENS1_30default_config_static_selectorELNS0_4arch9wavefront6targetE0EEEvT1_,comdat
.Lfunc_end198:
	.size	_ZN7rocprim17ROCPRIM_400000_NS6detail17trampoline_kernelINS0_14default_configENS1_25partition_config_selectorILNS1_17partition_subalgoE5ElNS0_10empty_typeEbEEZZNS1_14partition_implILS5_5ELb0ES3_mN6hipcub16HIPCUB_304000_NS21CountingInputIteratorIllEEPS6_NSA_22TransformInputIteratorIbN2at6native12_GLOBAL__N_19NonZeroOpIiEEPKilEENS0_5tupleIJPlS6_EEENSN_IJSD_SD_EEES6_PiJS6_EEE10hipError_tPvRmT3_T4_T5_T6_T7_T9_mT8_P12ihipStream_tbDpT10_ENKUlT_T0_E_clISt17integral_constantIbLb1EES1B_EEDaS16_S17_EUlS16_E_NS1_11comp_targetILNS1_3genE2ELNS1_11target_archE906ELNS1_3gpuE6ELNS1_3repE0EEENS1_30default_config_static_selectorELNS0_4arch9wavefront6targetE0EEEvT1_, .Lfunc_end198-_ZN7rocprim17ROCPRIM_400000_NS6detail17trampoline_kernelINS0_14default_configENS1_25partition_config_selectorILNS1_17partition_subalgoE5ElNS0_10empty_typeEbEEZZNS1_14partition_implILS5_5ELb0ES3_mN6hipcub16HIPCUB_304000_NS21CountingInputIteratorIllEEPS6_NSA_22TransformInputIteratorIbN2at6native12_GLOBAL__N_19NonZeroOpIiEEPKilEENS0_5tupleIJPlS6_EEENSN_IJSD_SD_EEES6_PiJS6_EEE10hipError_tPvRmT3_T4_T5_T6_T7_T9_mT8_P12ihipStream_tbDpT10_ENKUlT_T0_E_clISt17integral_constantIbLb1EES1B_EEDaS16_S17_EUlS16_E_NS1_11comp_targetILNS1_3genE2ELNS1_11target_archE906ELNS1_3gpuE6ELNS1_3repE0EEENS1_30default_config_static_selectorELNS0_4arch9wavefront6targetE0EEEvT1_
                                        ; -- End function
	.set _ZN7rocprim17ROCPRIM_400000_NS6detail17trampoline_kernelINS0_14default_configENS1_25partition_config_selectorILNS1_17partition_subalgoE5ElNS0_10empty_typeEbEEZZNS1_14partition_implILS5_5ELb0ES3_mN6hipcub16HIPCUB_304000_NS21CountingInputIteratorIllEEPS6_NSA_22TransformInputIteratorIbN2at6native12_GLOBAL__N_19NonZeroOpIiEEPKilEENS0_5tupleIJPlS6_EEENSN_IJSD_SD_EEES6_PiJS6_EEE10hipError_tPvRmT3_T4_T5_T6_T7_T9_mT8_P12ihipStream_tbDpT10_ENKUlT_T0_E_clISt17integral_constantIbLb1EES1B_EEDaS16_S17_EUlS16_E_NS1_11comp_targetILNS1_3genE2ELNS1_11target_archE906ELNS1_3gpuE6ELNS1_3repE0EEENS1_30default_config_static_selectorELNS0_4arch9wavefront6targetE0EEEvT1_.num_vgpr, 0
	.set _ZN7rocprim17ROCPRIM_400000_NS6detail17trampoline_kernelINS0_14default_configENS1_25partition_config_selectorILNS1_17partition_subalgoE5ElNS0_10empty_typeEbEEZZNS1_14partition_implILS5_5ELb0ES3_mN6hipcub16HIPCUB_304000_NS21CountingInputIteratorIllEEPS6_NSA_22TransformInputIteratorIbN2at6native12_GLOBAL__N_19NonZeroOpIiEEPKilEENS0_5tupleIJPlS6_EEENSN_IJSD_SD_EEES6_PiJS6_EEE10hipError_tPvRmT3_T4_T5_T6_T7_T9_mT8_P12ihipStream_tbDpT10_ENKUlT_T0_E_clISt17integral_constantIbLb1EES1B_EEDaS16_S17_EUlS16_E_NS1_11comp_targetILNS1_3genE2ELNS1_11target_archE906ELNS1_3gpuE6ELNS1_3repE0EEENS1_30default_config_static_selectorELNS0_4arch9wavefront6targetE0EEEvT1_.num_agpr, 0
	.set _ZN7rocprim17ROCPRIM_400000_NS6detail17trampoline_kernelINS0_14default_configENS1_25partition_config_selectorILNS1_17partition_subalgoE5ElNS0_10empty_typeEbEEZZNS1_14partition_implILS5_5ELb0ES3_mN6hipcub16HIPCUB_304000_NS21CountingInputIteratorIllEEPS6_NSA_22TransformInputIteratorIbN2at6native12_GLOBAL__N_19NonZeroOpIiEEPKilEENS0_5tupleIJPlS6_EEENSN_IJSD_SD_EEES6_PiJS6_EEE10hipError_tPvRmT3_T4_T5_T6_T7_T9_mT8_P12ihipStream_tbDpT10_ENKUlT_T0_E_clISt17integral_constantIbLb1EES1B_EEDaS16_S17_EUlS16_E_NS1_11comp_targetILNS1_3genE2ELNS1_11target_archE906ELNS1_3gpuE6ELNS1_3repE0EEENS1_30default_config_static_selectorELNS0_4arch9wavefront6targetE0EEEvT1_.numbered_sgpr, 0
	.set _ZN7rocprim17ROCPRIM_400000_NS6detail17trampoline_kernelINS0_14default_configENS1_25partition_config_selectorILNS1_17partition_subalgoE5ElNS0_10empty_typeEbEEZZNS1_14partition_implILS5_5ELb0ES3_mN6hipcub16HIPCUB_304000_NS21CountingInputIteratorIllEEPS6_NSA_22TransformInputIteratorIbN2at6native12_GLOBAL__N_19NonZeroOpIiEEPKilEENS0_5tupleIJPlS6_EEENSN_IJSD_SD_EEES6_PiJS6_EEE10hipError_tPvRmT3_T4_T5_T6_T7_T9_mT8_P12ihipStream_tbDpT10_ENKUlT_T0_E_clISt17integral_constantIbLb1EES1B_EEDaS16_S17_EUlS16_E_NS1_11comp_targetILNS1_3genE2ELNS1_11target_archE906ELNS1_3gpuE6ELNS1_3repE0EEENS1_30default_config_static_selectorELNS0_4arch9wavefront6targetE0EEEvT1_.num_named_barrier, 0
	.set _ZN7rocprim17ROCPRIM_400000_NS6detail17trampoline_kernelINS0_14default_configENS1_25partition_config_selectorILNS1_17partition_subalgoE5ElNS0_10empty_typeEbEEZZNS1_14partition_implILS5_5ELb0ES3_mN6hipcub16HIPCUB_304000_NS21CountingInputIteratorIllEEPS6_NSA_22TransformInputIteratorIbN2at6native12_GLOBAL__N_19NonZeroOpIiEEPKilEENS0_5tupleIJPlS6_EEENSN_IJSD_SD_EEES6_PiJS6_EEE10hipError_tPvRmT3_T4_T5_T6_T7_T9_mT8_P12ihipStream_tbDpT10_ENKUlT_T0_E_clISt17integral_constantIbLb1EES1B_EEDaS16_S17_EUlS16_E_NS1_11comp_targetILNS1_3genE2ELNS1_11target_archE906ELNS1_3gpuE6ELNS1_3repE0EEENS1_30default_config_static_selectorELNS0_4arch9wavefront6targetE0EEEvT1_.private_seg_size, 0
	.set _ZN7rocprim17ROCPRIM_400000_NS6detail17trampoline_kernelINS0_14default_configENS1_25partition_config_selectorILNS1_17partition_subalgoE5ElNS0_10empty_typeEbEEZZNS1_14partition_implILS5_5ELb0ES3_mN6hipcub16HIPCUB_304000_NS21CountingInputIteratorIllEEPS6_NSA_22TransformInputIteratorIbN2at6native12_GLOBAL__N_19NonZeroOpIiEEPKilEENS0_5tupleIJPlS6_EEENSN_IJSD_SD_EEES6_PiJS6_EEE10hipError_tPvRmT3_T4_T5_T6_T7_T9_mT8_P12ihipStream_tbDpT10_ENKUlT_T0_E_clISt17integral_constantIbLb1EES1B_EEDaS16_S17_EUlS16_E_NS1_11comp_targetILNS1_3genE2ELNS1_11target_archE906ELNS1_3gpuE6ELNS1_3repE0EEENS1_30default_config_static_selectorELNS0_4arch9wavefront6targetE0EEEvT1_.uses_vcc, 0
	.set _ZN7rocprim17ROCPRIM_400000_NS6detail17trampoline_kernelINS0_14default_configENS1_25partition_config_selectorILNS1_17partition_subalgoE5ElNS0_10empty_typeEbEEZZNS1_14partition_implILS5_5ELb0ES3_mN6hipcub16HIPCUB_304000_NS21CountingInputIteratorIllEEPS6_NSA_22TransformInputIteratorIbN2at6native12_GLOBAL__N_19NonZeroOpIiEEPKilEENS0_5tupleIJPlS6_EEENSN_IJSD_SD_EEES6_PiJS6_EEE10hipError_tPvRmT3_T4_T5_T6_T7_T9_mT8_P12ihipStream_tbDpT10_ENKUlT_T0_E_clISt17integral_constantIbLb1EES1B_EEDaS16_S17_EUlS16_E_NS1_11comp_targetILNS1_3genE2ELNS1_11target_archE906ELNS1_3gpuE6ELNS1_3repE0EEENS1_30default_config_static_selectorELNS0_4arch9wavefront6targetE0EEEvT1_.uses_flat_scratch, 0
	.set _ZN7rocprim17ROCPRIM_400000_NS6detail17trampoline_kernelINS0_14default_configENS1_25partition_config_selectorILNS1_17partition_subalgoE5ElNS0_10empty_typeEbEEZZNS1_14partition_implILS5_5ELb0ES3_mN6hipcub16HIPCUB_304000_NS21CountingInputIteratorIllEEPS6_NSA_22TransformInputIteratorIbN2at6native12_GLOBAL__N_19NonZeroOpIiEEPKilEENS0_5tupleIJPlS6_EEENSN_IJSD_SD_EEES6_PiJS6_EEE10hipError_tPvRmT3_T4_T5_T6_T7_T9_mT8_P12ihipStream_tbDpT10_ENKUlT_T0_E_clISt17integral_constantIbLb1EES1B_EEDaS16_S17_EUlS16_E_NS1_11comp_targetILNS1_3genE2ELNS1_11target_archE906ELNS1_3gpuE6ELNS1_3repE0EEENS1_30default_config_static_selectorELNS0_4arch9wavefront6targetE0EEEvT1_.has_dyn_sized_stack, 0
	.set _ZN7rocprim17ROCPRIM_400000_NS6detail17trampoline_kernelINS0_14default_configENS1_25partition_config_selectorILNS1_17partition_subalgoE5ElNS0_10empty_typeEbEEZZNS1_14partition_implILS5_5ELb0ES3_mN6hipcub16HIPCUB_304000_NS21CountingInputIteratorIllEEPS6_NSA_22TransformInputIteratorIbN2at6native12_GLOBAL__N_19NonZeroOpIiEEPKilEENS0_5tupleIJPlS6_EEENSN_IJSD_SD_EEES6_PiJS6_EEE10hipError_tPvRmT3_T4_T5_T6_T7_T9_mT8_P12ihipStream_tbDpT10_ENKUlT_T0_E_clISt17integral_constantIbLb1EES1B_EEDaS16_S17_EUlS16_E_NS1_11comp_targetILNS1_3genE2ELNS1_11target_archE906ELNS1_3gpuE6ELNS1_3repE0EEENS1_30default_config_static_selectorELNS0_4arch9wavefront6targetE0EEEvT1_.has_recursion, 0
	.set _ZN7rocprim17ROCPRIM_400000_NS6detail17trampoline_kernelINS0_14default_configENS1_25partition_config_selectorILNS1_17partition_subalgoE5ElNS0_10empty_typeEbEEZZNS1_14partition_implILS5_5ELb0ES3_mN6hipcub16HIPCUB_304000_NS21CountingInputIteratorIllEEPS6_NSA_22TransformInputIteratorIbN2at6native12_GLOBAL__N_19NonZeroOpIiEEPKilEENS0_5tupleIJPlS6_EEENSN_IJSD_SD_EEES6_PiJS6_EEE10hipError_tPvRmT3_T4_T5_T6_T7_T9_mT8_P12ihipStream_tbDpT10_ENKUlT_T0_E_clISt17integral_constantIbLb1EES1B_EEDaS16_S17_EUlS16_E_NS1_11comp_targetILNS1_3genE2ELNS1_11target_archE906ELNS1_3gpuE6ELNS1_3repE0EEENS1_30default_config_static_selectorELNS0_4arch9wavefront6targetE0EEEvT1_.has_indirect_call, 0
	.section	.AMDGPU.csdata,"",@progbits
; Kernel info:
; codeLenInByte = 0
; TotalNumSgprs: 0
; NumVgprs: 0
; ScratchSize: 0
; MemoryBound: 0
; FloatMode: 240
; IeeeMode: 1
; LDSByteSize: 0 bytes/workgroup (compile time only)
; SGPRBlocks: 0
; VGPRBlocks: 0
; NumSGPRsForWavesPerEU: 1
; NumVGPRsForWavesPerEU: 1
; Occupancy: 16
; WaveLimiterHint : 0
; COMPUTE_PGM_RSRC2:SCRATCH_EN: 0
; COMPUTE_PGM_RSRC2:USER_SGPR: 2
; COMPUTE_PGM_RSRC2:TRAP_HANDLER: 0
; COMPUTE_PGM_RSRC2:TGID_X_EN: 1
; COMPUTE_PGM_RSRC2:TGID_Y_EN: 0
; COMPUTE_PGM_RSRC2:TGID_Z_EN: 0
; COMPUTE_PGM_RSRC2:TIDIG_COMP_CNT: 0
	.section	.text._ZN7rocprim17ROCPRIM_400000_NS6detail17trampoline_kernelINS0_14default_configENS1_25partition_config_selectorILNS1_17partition_subalgoE5ElNS0_10empty_typeEbEEZZNS1_14partition_implILS5_5ELb0ES3_mN6hipcub16HIPCUB_304000_NS21CountingInputIteratorIllEEPS6_NSA_22TransformInputIteratorIbN2at6native12_GLOBAL__N_19NonZeroOpIiEEPKilEENS0_5tupleIJPlS6_EEENSN_IJSD_SD_EEES6_PiJS6_EEE10hipError_tPvRmT3_T4_T5_T6_T7_T9_mT8_P12ihipStream_tbDpT10_ENKUlT_T0_E_clISt17integral_constantIbLb1EES1B_EEDaS16_S17_EUlS16_E_NS1_11comp_targetILNS1_3genE10ELNS1_11target_archE1200ELNS1_3gpuE4ELNS1_3repE0EEENS1_30default_config_static_selectorELNS0_4arch9wavefront6targetE0EEEvT1_,"axG",@progbits,_ZN7rocprim17ROCPRIM_400000_NS6detail17trampoline_kernelINS0_14default_configENS1_25partition_config_selectorILNS1_17partition_subalgoE5ElNS0_10empty_typeEbEEZZNS1_14partition_implILS5_5ELb0ES3_mN6hipcub16HIPCUB_304000_NS21CountingInputIteratorIllEEPS6_NSA_22TransformInputIteratorIbN2at6native12_GLOBAL__N_19NonZeroOpIiEEPKilEENS0_5tupleIJPlS6_EEENSN_IJSD_SD_EEES6_PiJS6_EEE10hipError_tPvRmT3_T4_T5_T6_T7_T9_mT8_P12ihipStream_tbDpT10_ENKUlT_T0_E_clISt17integral_constantIbLb1EES1B_EEDaS16_S17_EUlS16_E_NS1_11comp_targetILNS1_3genE10ELNS1_11target_archE1200ELNS1_3gpuE4ELNS1_3repE0EEENS1_30default_config_static_selectorELNS0_4arch9wavefront6targetE0EEEvT1_,comdat
	.globl	_ZN7rocprim17ROCPRIM_400000_NS6detail17trampoline_kernelINS0_14default_configENS1_25partition_config_selectorILNS1_17partition_subalgoE5ElNS0_10empty_typeEbEEZZNS1_14partition_implILS5_5ELb0ES3_mN6hipcub16HIPCUB_304000_NS21CountingInputIteratorIllEEPS6_NSA_22TransformInputIteratorIbN2at6native12_GLOBAL__N_19NonZeroOpIiEEPKilEENS0_5tupleIJPlS6_EEENSN_IJSD_SD_EEES6_PiJS6_EEE10hipError_tPvRmT3_T4_T5_T6_T7_T9_mT8_P12ihipStream_tbDpT10_ENKUlT_T0_E_clISt17integral_constantIbLb1EES1B_EEDaS16_S17_EUlS16_E_NS1_11comp_targetILNS1_3genE10ELNS1_11target_archE1200ELNS1_3gpuE4ELNS1_3repE0EEENS1_30default_config_static_selectorELNS0_4arch9wavefront6targetE0EEEvT1_ ; -- Begin function _ZN7rocprim17ROCPRIM_400000_NS6detail17trampoline_kernelINS0_14default_configENS1_25partition_config_selectorILNS1_17partition_subalgoE5ElNS0_10empty_typeEbEEZZNS1_14partition_implILS5_5ELb0ES3_mN6hipcub16HIPCUB_304000_NS21CountingInputIteratorIllEEPS6_NSA_22TransformInputIteratorIbN2at6native12_GLOBAL__N_19NonZeroOpIiEEPKilEENS0_5tupleIJPlS6_EEENSN_IJSD_SD_EEES6_PiJS6_EEE10hipError_tPvRmT3_T4_T5_T6_T7_T9_mT8_P12ihipStream_tbDpT10_ENKUlT_T0_E_clISt17integral_constantIbLb1EES1B_EEDaS16_S17_EUlS16_E_NS1_11comp_targetILNS1_3genE10ELNS1_11target_archE1200ELNS1_3gpuE4ELNS1_3repE0EEENS1_30default_config_static_selectorELNS0_4arch9wavefront6targetE0EEEvT1_
	.p2align	8
	.type	_ZN7rocprim17ROCPRIM_400000_NS6detail17trampoline_kernelINS0_14default_configENS1_25partition_config_selectorILNS1_17partition_subalgoE5ElNS0_10empty_typeEbEEZZNS1_14partition_implILS5_5ELb0ES3_mN6hipcub16HIPCUB_304000_NS21CountingInputIteratorIllEEPS6_NSA_22TransformInputIteratorIbN2at6native12_GLOBAL__N_19NonZeroOpIiEEPKilEENS0_5tupleIJPlS6_EEENSN_IJSD_SD_EEES6_PiJS6_EEE10hipError_tPvRmT3_T4_T5_T6_T7_T9_mT8_P12ihipStream_tbDpT10_ENKUlT_T0_E_clISt17integral_constantIbLb1EES1B_EEDaS16_S17_EUlS16_E_NS1_11comp_targetILNS1_3genE10ELNS1_11target_archE1200ELNS1_3gpuE4ELNS1_3repE0EEENS1_30default_config_static_selectorELNS0_4arch9wavefront6targetE0EEEvT1_,@function
_ZN7rocprim17ROCPRIM_400000_NS6detail17trampoline_kernelINS0_14default_configENS1_25partition_config_selectorILNS1_17partition_subalgoE5ElNS0_10empty_typeEbEEZZNS1_14partition_implILS5_5ELb0ES3_mN6hipcub16HIPCUB_304000_NS21CountingInputIteratorIllEEPS6_NSA_22TransformInputIteratorIbN2at6native12_GLOBAL__N_19NonZeroOpIiEEPKilEENS0_5tupleIJPlS6_EEENSN_IJSD_SD_EEES6_PiJS6_EEE10hipError_tPvRmT3_T4_T5_T6_T7_T9_mT8_P12ihipStream_tbDpT10_ENKUlT_T0_E_clISt17integral_constantIbLb1EES1B_EEDaS16_S17_EUlS16_E_NS1_11comp_targetILNS1_3genE10ELNS1_11target_archE1200ELNS1_3gpuE4ELNS1_3repE0EEENS1_30default_config_static_selectorELNS0_4arch9wavefront6targetE0EEEvT1_: ; @_ZN7rocprim17ROCPRIM_400000_NS6detail17trampoline_kernelINS0_14default_configENS1_25partition_config_selectorILNS1_17partition_subalgoE5ElNS0_10empty_typeEbEEZZNS1_14partition_implILS5_5ELb0ES3_mN6hipcub16HIPCUB_304000_NS21CountingInputIteratorIllEEPS6_NSA_22TransformInputIteratorIbN2at6native12_GLOBAL__N_19NonZeroOpIiEEPKilEENS0_5tupleIJPlS6_EEENSN_IJSD_SD_EEES6_PiJS6_EEE10hipError_tPvRmT3_T4_T5_T6_T7_T9_mT8_P12ihipStream_tbDpT10_ENKUlT_T0_E_clISt17integral_constantIbLb1EES1B_EEDaS16_S17_EUlS16_E_NS1_11comp_targetILNS1_3genE10ELNS1_11target_archE1200ELNS1_3gpuE4ELNS1_3repE0EEENS1_30default_config_static_selectorELNS0_4arch9wavefront6targetE0EEEvT1_
; %bb.0:
	s_endpgm
	.section	.rodata,"a",@progbits
	.p2align	6, 0x0
	.amdhsa_kernel _ZN7rocprim17ROCPRIM_400000_NS6detail17trampoline_kernelINS0_14default_configENS1_25partition_config_selectorILNS1_17partition_subalgoE5ElNS0_10empty_typeEbEEZZNS1_14partition_implILS5_5ELb0ES3_mN6hipcub16HIPCUB_304000_NS21CountingInputIteratorIllEEPS6_NSA_22TransformInputIteratorIbN2at6native12_GLOBAL__N_19NonZeroOpIiEEPKilEENS0_5tupleIJPlS6_EEENSN_IJSD_SD_EEES6_PiJS6_EEE10hipError_tPvRmT3_T4_T5_T6_T7_T9_mT8_P12ihipStream_tbDpT10_ENKUlT_T0_E_clISt17integral_constantIbLb1EES1B_EEDaS16_S17_EUlS16_E_NS1_11comp_targetILNS1_3genE10ELNS1_11target_archE1200ELNS1_3gpuE4ELNS1_3repE0EEENS1_30default_config_static_selectorELNS0_4arch9wavefront6targetE0EEEvT1_
		.amdhsa_group_segment_fixed_size 0
		.amdhsa_private_segment_fixed_size 0
		.amdhsa_kernarg_size 136
		.amdhsa_user_sgpr_count 2
		.amdhsa_user_sgpr_dispatch_ptr 0
		.amdhsa_user_sgpr_queue_ptr 0
		.amdhsa_user_sgpr_kernarg_segment_ptr 1
		.amdhsa_user_sgpr_dispatch_id 0
		.amdhsa_user_sgpr_private_segment_size 0
		.amdhsa_wavefront_size32 1
		.amdhsa_uses_dynamic_stack 0
		.amdhsa_enable_private_segment 0
		.amdhsa_system_sgpr_workgroup_id_x 1
		.amdhsa_system_sgpr_workgroup_id_y 0
		.amdhsa_system_sgpr_workgroup_id_z 0
		.amdhsa_system_sgpr_workgroup_info 0
		.amdhsa_system_vgpr_workitem_id 0
		.amdhsa_next_free_vgpr 1
		.amdhsa_next_free_sgpr 1
		.amdhsa_reserve_vcc 0
		.amdhsa_float_round_mode_32 0
		.amdhsa_float_round_mode_16_64 0
		.amdhsa_float_denorm_mode_32 3
		.amdhsa_float_denorm_mode_16_64 3
		.amdhsa_fp16_overflow 0
		.amdhsa_workgroup_processor_mode 1
		.amdhsa_memory_ordered 1
		.amdhsa_forward_progress 1
		.amdhsa_inst_pref_size 1
		.amdhsa_round_robin_scheduling 0
		.amdhsa_exception_fp_ieee_invalid_op 0
		.amdhsa_exception_fp_denorm_src 0
		.amdhsa_exception_fp_ieee_div_zero 0
		.amdhsa_exception_fp_ieee_overflow 0
		.amdhsa_exception_fp_ieee_underflow 0
		.amdhsa_exception_fp_ieee_inexact 0
		.amdhsa_exception_int_div_zero 0
	.end_amdhsa_kernel
	.section	.text._ZN7rocprim17ROCPRIM_400000_NS6detail17trampoline_kernelINS0_14default_configENS1_25partition_config_selectorILNS1_17partition_subalgoE5ElNS0_10empty_typeEbEEZZNS1_14partition_implILS5_5ELb0ES3_mN6hipcub16HIPCUB_304000_NS21CountingInputIteratorIllEEPS6_NSA_22TransformInputIteratorIbN2at6native12_GLOBAL__N_19NonZeroOpIiEEPKilEENS0_5tupleIJPlS6_EEENSN_IJSD_SD_EEES6_PiJS6_EEE10hipError_tPvRmT3_T4_T5_T6_T7_T9_mT8_P12ihipStream_tbDpT10_ENKUlT_T0_E_clISt17integral_constantIbLb1EES1B_EEDaS16_S17_EUlS16_E_NS1_11comp_targetILNS1_3genE10ELNS1_11target_archE1200ELNS1_3gpuE4ELNS1_3repE0EEENS1_30default_config_static_selectorELNS0_4arch9wavefront6targetE0EEEvT1_,"axG",@progbits,_ZN7rocprim17ROCPRIM_400000_NS6detail17trampoline_kernelINS0_14default_configENS1_25partition_config_selectorILNS1_17partition_subalgoE5ElNS0_10empty_typeEbEEZZNS1_14partition_implILS5_5ELb0ES3_mN6hipcub16HIPCUB_304000_NS21CountingInputIteratorIllEEPS6_NSA_22TransformInputIteratorIbN2at6native12_GLOBAL__N_19NonZeroOpIiEEPKilEENS0_5tupleIJPlS6_EEENSN_IJSD_SD_EEES6_PiJS6_EEE10hipError_tPvRmT3_T4_T5_T6_T7_T9_mT8_P12ihipStream_tbDpT10_ENKUlT_T0_E_clISt17integral_constantIbLb1EES1B_EEDaS16_S17_EUlS16_E_NS1_11comp_targetILNS1_3genE10ELNS1_11target_archE1200ELNS1_3gpuE4ELNS1_3repE0EEENS1_30default_config_static_selectorELNS0_4arch9wavefront6targetE0EEEvT1_,comdat
.Lfunc_end199:
	.size	_ZN7rocprim17ROCPRIM_400000_NS6detail17trampoline_kernelINS0_14default_configENS1_25partition_config_selectorILNS1_17partition_subalgoE5ElNS0_10empty_typeEbEEZZNS1_14partition_implILS5_5ELb0ES3_mN6hipcub16HIPCUB_304000_NS21CountingInputIteratorIllEEPS6_NSA_22TransformInputIteratorIbN2at6native12_GLOBAL__N_19NonZeroOpIiEEPKilEENS0_5tupleIJPlS6_EEENSN_IJSD_SD_EEES6_PiJS6_EEE10hipError_tPvRmT3_T4_T5_T6_T7_T9_mT8_P12ihipStream_tbDpT10_ENKUlT_T0_E_clISt17integral_constantIbLb1EES1B_EEDaS16_S17_EUlS16_E_NS1_11comp_targetILNS1_3genE10ELNS1_11target_archE1200ELNS1_3gpuE4ELNS1_3repE0EEENS1_30default_config_static_selectorELNS0_4arch9wavefront6targetE0EEEvT1_, .Lfunc_end199-_ZN7rocprim17ROCPRIM_400000_NS6detail17trampoline_kernelINS0_14default_configENS1_25partition_config_selectorILNS1_17partition_subalgoE5ElNS0_10empty_typeEbEEZZNS1_14partition_implILS5_5ELb0ES3_mN6hipcub16HIPCUB_304000_NS21CountingInputIteratorIllEEPS6_NSA_22TransformInputIteratorIbN2at6native12_GLOBAL__N_19NonZeroOpIiEEPKilEENS0_5tupleIJPlS6_EEENSN_IJSD_SD_EEES6_PiJS6_EEE10hipError_tPvRmT3_T4_T5_T6_T7_T9_mT8_P12ihipStream_tbDpT10_ENKUlT_T0_E_clISt17integral_constantIbLb1EES1B_EEDaS16_S17_EUlS16_E_NS1_11comp_targetILNS1_3genE10ELNS1_11target_archE1200ELNS1_3gpuE4ELNS1_3repE0EEENS1_30default_config_static_selectorELNS0_4arch9wavefront6targetE0EEEvT1_
                                        ; -- End function
	.set _ZN7rocprim17ROCPRIM_400000_NS6detail17trampoline_kernelINS0_14default_configENS1_25partition_config_selectorILNS1_17partition_subalgoE5ElNS0_10empty_typeEbEEZZNS1_14partition_implILS5_5ELb0ES3_mN6hipcub16HIPCUB_304000_NS21CountingInputIteratorIllEEPS6_NSA_22TransformInputIteratorIbN2at6native12_GLOBAL__N_19NonZeroOpIiEEPKilEENS0_5tupleIJPlS6_EEENSN_IJSD_SD_EEES6_PiJS6_EEE10hipError_tPvRmT3_T4_T5_T6_T7_T9_mT8_P12ihipStream_tbDpT10_ENKUlT_T0_E_clISt17integral_constantIbLb1EES1B_EEDaS16_S17_EUlS16_E_NS1_11comp_targetILNS1_3genE10ELNS1_11target_archE1200ELNS1_3gpuE4ELNS1_3repE0EEENS1_30default_config_static_selectorELNS0_4arch9wavefront6targetE0EEEvT1_.num_vgpr, 0
	.set _ZN7rocprim17ROCPRIM_400000_NS6detail17trampoline_kernelINS0_14default_configENS1_25partition_config_selectorILNS1_17partition_subalgoE5ElNS0_10empty_typeEbEEZZNS1_14partition_implILS5_5ELb0ES3_mN6hipcub16HIPCUB_304000_NS21CountingInputIteratorIllEEPS6_NSA_22TransformInputIteratorIbN2at6native12_GLOBAL__N_19NonZeroOpIiEEPKilEENS0_5tupleIJPlS6_EEENSN_IJSD_SD_EEES6_PiJS6_EEE10hipError_tPvRmT3_T4_T5_T6_T7_T9_mT8_P12ihipStream_tbDpT10_ENKUlT_T0_E_clISt17integral_constantIbLb1EES1B_EEDaS16_S17_EUlS16_E_NS1_11comp_targetILNS1_3genE10ELNS1_11target_archE1200ELNS1_3gpuE4ELNS1_3repE0EEENS1_30default_config_static_selectorELNS0_4arch9wavefront6targetE0EEEvT1_.num_agpr, 0
	.set _ZN7rocprim17ROCPRIM_400000_NS6detail17trampoline_kernelINS0_14default_configENS1_25partition_config_selectorILNS1_17partition_subalgoE5ElNS0_10empty_typeEbEEZZNS1_14partition_implILS5_5ELb0ES3_mN6hipcub16HIPCUB_304000_NS21CountingInputIteratorIllEEPS6_NSA_22TransformInputIteratorIbN2at6native12_GLOBAL__N_19NonZeroOpIiEEPKilEENS0_5tupleIJPlS6_EEENSN_IJSD_SD_EEES6_PiJS6_EEE10hipError_tPvRmT3_T4_T5_T6_T7_T9_mT8_P12ihipStream_tbDpT10_ENKUlT_T0_E_clISt17integral_constantIbLb1EES1B_EEDaS16_S17_EUlS16_E_NS1_11comp_targetILNS1_3genE10ELNS1_11target_archE1200ELNS1_3gpuE4ELNS1_3repE0EEENS1_30default_config_static_selectorELNS0_4arch9wavefront6targetE0EEEvT1_.numbered_sgpr, 0
	.set _ZN7rocprim17ROCPRIM_400000_NS6detail17trampoline_kernelINS0_14default_configENS1_25partition_config_selectorILNS1_17partition_subalgoE5ElNS0_10empty_typeEbEEZZNS1_14partition_implILS5_5ELb0ES3_mN6hipcub16HIPCUB_304000_NS21CountingInputIteratorIllEEPS6_NSA_22TransformInputIteratorIbN2at6native12_GLOBAL__N_19NonZeroOpIiEEPKilEENS0_5tupleIJPlS6_EEENSN_IJSD_SD_EEES6_PiJS6_EEE10hipError_tPvRmT3_T4_T5_T6_T7_T9_mT8_P12ihipStream_tbDpT10_ENKUlT_T0_E_clISt17integral_constantIbLb1EES1B_EEDaS16_S17_EUlS16_E_NS1_11comp_targetILNS1_3genE10ELNS1_11target_archE1200ELNS1_3gpuE4ELNS1_3repE0EEENS1_30default_config_static_selectorELNS0_4arch9wavefront6targetE0EEEvT1_.num_named_barrier, 0
	.set _ZN7rocprim17ROCPRIM_400000_NS6detail17trampoline_kernelINS0_14default_configENS1_25partition_config_selectorILNS1_17partition_subalgoE5ElNS0_10empty_typeEbEEZZNS1_14partition_implILS5_5ELb0ES3_mN6hipcub16HIPCUB_304000_NS21CountingInputIteratorIllEEPS6_NSA_22TransformInputIteratorIbN2at6native12_GLOBAL__N_19NonZeroOpIiEEPKilEENS0_5tupleIJPlS6_EEENSN_IJSD_SD_EEES6_PiJS6_EEE10hipError_tPvRmT3_T4_T5_T6_T7_T9_mT8_P12ihipStream_tbDpT10_ENKUlT_T0_E_clISt17integral_constantIbLb1EES1B_EEDaS16_S17_EUlS16_E_NS1_11comp_targetILNS1_3genE10ELNS1_11target_archE1200ELNS1_3gpuE4ELNS1_3repE0EEENS1_30default_config_static_selectorELNS0_4arch9wavefront6targetE0EEEvT1_.private_seg_size, 0
	.set _ZN7rocprim17ROCPRIM_400000_NS6detail17trampoline_kernelINS0_14default_configENS1_25partition_config_selectorILNS1_17partition_subalgoE5ElNS0_10empty_typeEbEEZZNS1_14partition_implILS5_5ELb0ES3_mN6hipcub16HIPCUB_304000_NS21CountingInputIteratorIllEEPS6_NSA_22TransformInputIteratorIbN2at6native12_GLOBAL__N_19NonZeroOpIiEEPKilEENS0_5tupleIJPlS6_EEENSN_IJSD_SD_EEES6_PiJS6_EEE10hipError_tPvRmT3_T4_T5_T6_T7_T9_mT8_P12ihipStream_tbDpT10_ENKUlT_T0_E_clISt17integral_constantIbLb1EES1B_EEDaS16_S17_EUlS16_E_NS1_11comp_targetILNS1_3genE10ELNS1_11target_archE1200ELNS1_3gpuE4ELNS1_3repE0EEENS1_30default_config_static_selectorELNS0_4arch9wavefront6targetE0EEEvT1_.uses_vcc, 0
	.set _ZN7rocprim17ROCPRIM_400000_NS6detail17trampoline_kernelINS0_14default_configENS1_25partition_config_selectorILNS1_17partition_subalgoE5ElNS0_10empty_typeEbEEZZNS1_14partition_implILS5_5ELb0ES3_mN6hipcub16HIPCUB_304000_NS21CountingInputIteratorIllEEPS6_NSA_22TransformInputIteratorIbN2at6native12_GLOBAL__N_19NonZeroOpIiEEPKilEENS0_5tupleIJPlS6_EEENSN_IJSD_SD_EEES6_PiJS6_EEE10hipError_tPvRmT3_T4_T5_T6_T7_T9_mT8_P12ihipStream_tbDpT10_ENKUlT_T0_E_clISt17integral_constantIbLb1EES1B_EEDaS16_S17_EUlS16_E_NS1_11comp_targetILNS1_3genE10ELNS1_11target_archE1200ELNS1_3gpuE4ELNS1_3repE0EEENS1_30default_config_static_selectorELNS0_4arch9wavefront6targetE0EEEvT1_.uses_flat_scratch, 0
	.set _ZN7rocprim17ROCPRIM_400000_NS6detail17trampoline_kernelINS0_14default_configENS1_25partition_config_selectorILNS1_17partition_subalgoE5ElNS0_10empty_typeEbEEZZNS1_14partition_implILS5_5ELb0ES3_mN6hipcub16HIPCUB_304000_NS21CountingInputIteratorIllEEPS6_NSA_22TransformInputIteratorIbN2at6native12_GLOBAL__N_19NonZeroOpIiEEPKilEENS0_5tupleIJPlS6_EEENSN_IJSD_SD_EEES6_PiJS6_EEE10hipError_tPvRmT3_T4_T5_T6_T7_T9_mT8_P12ihipStream_tbDpT10_ENKUlT_T0_E_clISt17integral_constantIbLb1EES1B_EEDaS16_S17_EUlS16_E_NS1_11comp_targetILNS1_3genE10ELNS1_11target_archE1200ELNS1_3gpuE4ELNS1_3repE0EEENS1_30default_config_static_selectorELNS0_4arch9wavefront6targetE0EEEvT1_.has_dyn_sized_stack, 0
	.set _ZN7rocprim17ROCPRIM_400000_NS6detail17trampoline_kernelINS0_14default_configENS1_25partition_config_selectorILNS1_17partition_subalgoE5ElNS0_10empty_typeEbEEZZNS1_14partition_implILS5_5ELb0ES3_mN6hipcub16HIPCUB_304000_NS21CountingInputIteratorIllEEPS6_NSA_22TransformInputIteratorIbN2at6native12_GLOBAL__N_19NonZeroOpIiEEPKilEENS0_5tupleIJPlS6_EEENSN_IJSD_SD_EEES6_PiJS6_EEE10hipError_tPvRmT3_T4_T5_T6_T7_T9_mT8_P12ihipStream_tbDpT10_ENKUlT_T0_E_clISt17integral_constantIbLb1EES1B_EEDaS16_S17_EUlS16_E_NS1_11comp_targetILNS1_3genE10ELNS1_11target_archE1200ELNS1_3gpuE4ELNS1_3repE0EEENS1_30default_config_static_selectorELNS0_4arch9wavefront6targetE0EEEvT1_.has_recursion, 0
	.set _ZN7rocprim17ROCPRIM_400000_NS6detail17trampoline_kernelINS0_14default_configENS1_25partition_config_selectorILNS1_17partition_subalgoE5ElNS0_10empty_typeEbEEZZNS1_14partition_implILS5_5ELb0ES3_mN6hipcub16HIPCUB_304000_NS21CountingInputIteratorIllEEPS6_NSA_22TransformInputIteratorIbN2at6native12_GLOBAL__N_19NonZeroOpIiEEPKilEENS0_5tupleIJPlS6_EEENSN_IJSD_SD_EEES6_PiJS6_EEE10hipError_tPvRmT3_T4_T5_T6_T7_T9_mT8_P12ihipStream_tbDpT10_ENKUlT_T0_E_clISt17integral_constantIbLb1EES1B_EEDaS16_S17_EUlS16_E_NS1_11comp_targetILNS1_3genE10ELNS1_11target_archE1200ELNS1_3gpuE4ELNS1_3repE0EEENS1_30default_config_static_selectorELNS0_4arch9wavefront6targetE0EEEvT1_.has_indirect_call, 0
	.section	.AMDGPU.csdata,"",@progbits
; Kernel info:
; codeLenInByte = 4
; TotalNumSgprs: 0
; NumVgprs: 0
; ScratchSize: 0
; MemoryBound: 0
; FloatMode: 240
; IeeeMode: 1
; LDSByteSize: 0 bytes/workgroup (compile time only)
; SGPRBlocks: 0
; VGPRBlocks: 0
; NumSGPRsForWavesPerEU: 1
; NumVGPRsForWavesPerEU: 1
; Occupancy: 16
; WaveLimiterHint : 0
; COMPUTE_PGM_RSRC2:SCRATCH_EN: 0
; COMPUTE_PGM_RSRC2:USER_SGPR: 2
; COMPUTE_PGM_RSRC2:TRAP_HANDLER: 0
; COMPUTE_PGM_RSRC2:TGID_X_EN: 1
; COMPUTE_PGM_RSRC2:TGID_Y_EN: 0
; COMPUTE_PGM_RSRC2:TGID_Z_EN: 0
; COMPUTE_PGM_RSRC2:TIDIG_COMP_CNT: 0
	.section	.text._ZN7rocprim17ROCPRIM_400000_NS6detail17trampoline_kernelINS0_14default_configENS1_25partition_config_selectorILNS1_17partition_subalgoE5ElNS0_10empty_typeEbEEZZNS1_14partition_implILS5_5ELb0ES3_mN6hipcub16HIPCUB_304000_NS21CountingInputIteratorIllEEPS6_NSA_22TransformInputIteratorIbN2at6native12_GLOBAL__N_19NonZeroOpIiEEPKilEENS0_5tupleIJPlS6_EEENSN_IJSD_SD_EEES6_PiJS6_EEE10hipError_tPvRmT3_T4_T5_T6_T7_T9_mT8_P12ihipStream_tbDpT10_ENKUlT_T0_E_clISt17integral_constantIbLb1EES1B_EEDaS16_S17_EUlS16_E_NS1_11comp_targetILNS1_3genE9ELNS1_11target_archE1100ELNS1_3gpuE3ELNS1_3repE0EEENS1_30default_config_static_selectorELNS0_4arch9wavefront6targetE0EEEvT1_,"axG",@progbits,_ZN7rocprim17ROCPRIM_400000_NS6detail17trampoline_kernelINS0_14default_configENS1_25partition_config_selectorILNS1_17partition_subalgoE5ElNS0_10empty_typeEbEEZZNS1_14partition_implILS5_5ELb0ES3_mN6hipcub16HIPCUB_304000_NS21CountingInputIteratorIllEEPS6_NSA_22TransformInputIteratorIbN2at6native12_GLOBAL__N_19NonZeroOpIiEEPKilEENS0_5tupleIJPlS6_EEENSN_IJSD_SD_EEES6_PiJS6_EEE10hipError_tPvRmT3_T4_T5_T6_T7_T9_mT8_P12ihipStream_tbDpT10_ENKUlT_T0_E_clISt17integral_constantIbLb1EES1B_EEDaS16_S17_EUlS16_E_NS1_11comp_targetILNS1_3genE9ELNS1_11target_archE1100ELNS1_3gpuE3ELNS1_3repE0EEENS1_30default_config_static_selectorELNS0_4arch9wavefront6targetE0EEEvT1_,comdat
	.globl	_ZN7rocprim17ROCPRIM_400000_NS6detail17trampoline_kernelINS0_14default_configENS1_25partition_config_selectorILNS1_17partition_subalgoE5ElNS0_10empty_typeEbEEZZNS1_14partition_implILS5_5ELb0ES3_mN6hipcub16HIPCUB_304000_NS21CountingInputIteratorIllEEPS6_NSA_22TransformInputIteratorIbN2at6native12_GLOBAL__N_19NonZeroOpIiEEPKilEENS0_5tupleIJPlS6_EEENSN_IJSD_SD_EEES6_PiJS6_EEE10hipError_tPvRmT3_T4_T5_T6_T7_T9_mT8_P12ihipStream_tbDpT10_ENKUlT_T0_E_clISt17integral_constantIbLb1EES1B_EEDaS16_S17_EUlS16_E_NS1_11comp_targetILNS1_3genE9ELNS1_11target_archE1100ELNS1_3gpuE3ELNS1_3repE0EEENS1_30default_config_static_selectorELNS0_4arch9wavefront6targetE0EEEvT1_ ; -- Begin function _ZN7rocprim17ROCPRIM_400000_NS6detail17trampoline_kernelINS0_14default_configENS1_25partition_config_selectorILNS1_17partition_subalgoE5ElNS0_10empty_typeEbEEZZNS1_14partition_implILS5_5ELb0ES3_mN6hipcub16HIPCUB_304000_NS21CountingInputIteratorIllEEPS6_NSA_22TransformInputIteratorIbN2at6native12_GLOBAL__N_19NonZeroOpIiEEPKilEENS0_5tupleIJPlS6_EEENSN_IJSD_SD_EEES6_PiJS6_EEE10hipError_tPvRmT3_T4_T5_T6_T7_T9_mT8_P12ihipStream_tbDpT10_ENKUlT_T0_E_clISt17integral_constantIbLb1EES1B_EEDaS16_S17_EUlS16_E_NS1_11comp_targetILNS1_3genE9ELNS1_11target_archE1100ELNS1_3gpuE3ELNS1_3repE0EEENS1_30default_config_static_selectorELNS0_4arch9wavefront6targetE0EEEvT1_
	.p2align	8
	.type	_ZN7rocprim17ROCPRIM_400000_NS6detail17trampoline_kernelINS0_14default_configENS1_25partition_config_selectorILNS1_17partition_subalgoE5ElNS0_10empty_typeEbEEZZNS1_14partition_implILS5_5ELb0ES3_mN6hipcub16HIPCUB_304000_NS21CountingInputIteratorIllEEPS6_NSA_22TransformInputIteratorIbN2at6native12_GLOBAL__N_19NonZeroOpIiEEPKilEENS0_5tupleIJPlS6_EEENSN_IJSD_SD_EEES6_PiJS6_EEE10hipError_tPvRmT3_T4_T5_T6_T7_T9_mT8_P12ihipStream_tbDpT10_ENKUlT_T0_E_clISt17integral_constantIbLb1EES1B_EEDaS16_S17_EUlS16_E_NS1_11comp_targetILNS1_3genE9ELNS1_11target_archE1100ELNS1_3gpuE3ELNS1_3repE0EEENS1_30default_config_static_selectorELNS0_4arch9wavefront6targetE0EEEvT1_,@function
_ZN7rocprim17ROCPRIM_400000_NS6detail17trampoline_kernelINS0_14default_configENS1_25partition_config_selectorILNS1_17partition_subalgoE5ElNS0_10empty_typeEbEEZZNS1_14partition_implILS5_5ELb0ES3_mN6hipcub16HIPCUB_304000_NS21CountingInputIteratorIllEEPS6_NSA_22TransformInputIteratorIbN2at6native12_GLOBAL__N_19NonZeroOpIiEEPKilEENS0_5tupleIJPlS6_EEENSN_IJSD_SD_EEES6_PiJS6_EEE10hipError_tPvRmT3_T4_T5_T6_T7_T9_mT8_P12ihipStream_tbDpT10_ENKUlT_T0_E_clISt17integral_constantIbLb1EES1B_EEDaS16_S17_EUlS16_E_NS1_11comp_targetILNS1_3genE9ELNS1_11target_archE1100ELNS1_3gpuE3ELNS1_3repE0EEENS1_30default_config_static_selectorELNS0_4arch9wavefront6targetE0EEEvT1_: ; @_ZN7rocprim17ROCPRIM_400000_NS6detail17trampoline_kernelINS0_14default_configENS1_25partition_config_selectorILNS1_17partition_subalgoE5ElNS0_10empty_typeEbEEZZNS1_14partition_implILS5_5ELb0ES3_mN6hipcub16HIPCUB_304000_NS21CountingInputIteratorIllEEPS6_NSA_22TransformInputIteratorIbN2at6native12_GLOBAL__N_19NonZeroOpIiEEPKilEENS0_5tupleIJPlS6_EEENSN_IJSD_SD_EEES6_PiJS6_EEE10hipError_tPvRmT3_T4_T5_T6_T7_T9_mT8_P12ihipStream_tbDpT10_ENKUlT_T0_E_clISt17integral_constantIbLb1EES1B_EEDaS16_S17_EUlS16_E_NS1_11comp_targetILNS1_3genE9ELNS1_11target_archE1100ELNS1_3gpuE3ELNS1_3repE0EEENS1_30default_config_static_selectorELNS0_4arch9wavefront6targetE0EEEvT1_
; %bb.0:
	.section	.rodata,"a",@progbits
	.p2align	6, 0x0
	.amdhsa_kernel _ZN7rocprim17ROCPRIM_400000_NS6detail17trampoline_kernelINS0_14default_configENS1_25partition_config_selectorILNS1_17partition_subalgoE5ElNS0_10empty_typeEbEEZZNS1_14partition_implILS5_5ELb0ES3_mN6hipcub16HIPCUB_304000_NS21CountingInputIteratorIllEEPS6_NSA_22TransformInputIteratorIbN2at6native12_GLOBAL__N_19NonZeroOpIiEEPKilEENS0_5tupleIJPlS6_EEENSN_IJSD_SD_EEES6_PiJS6_EEE10hipError_tPvRmT3_T4_T5_T6_T7_T9_mT8_P12ihipStream_tbDpT10_ENKUlT_T0_E_clISt17integral_constantIbLb1EES1B_EEDaS16_S17_EUlS16_E_NS1_11comp_targetILNS1_3genE9ELNS1_11target_archE1100ELNS1_3gpuE3ELNS1_3repE0EEENS1_30default_config_static_selectorELNS0_4arch9wavefront6targetE0EEEvT1_
		.amdhsa_group_segment_fixed_size 0
		.amdhsa_private_segment_fixed_size 0
		.amdhsa_kernarg_size 136
		.amdhsa_user_sgpr_count 2
		.amdhsa_user_sgpr_dispatch_ptr 0
		.amdhsa_user_sgpr_queue_ptr 0
		.amdhsa_user_sgpr_kernarg_segment_ptr 1
		.amdhsa_user_sgpr_dispatch_id 0
		.amdhsa_user_sgpr_private_segment_size 0
		.amdhsa_wavefront_size32 1
		.amdhsa_uses_dynamic_stack 0
		.amdhsa_enable_private_segment 0
		.amdhsa_system_sgpr_workgroup_id_x 1
		.amdhsa_system_sgpr_workgroup_id_y 0
		.amdhsa_system_sgpr_workgroup_id_z 0
		.amdhsa_system_sgpr_workgroup_info 0
		.amdhsa_system_vgpr_workitem_id 0
		.amdhsa_next_free_vgpr 1
		.amdhsa_next_free_sgpr 1
		.amdhsa_reserve_vcc 0
		.amdhsa_float_round_mode_32 0
		.amdhsa_float_round_mode_16_64 0
		.amdhsa_float_denorm_mode_32 3
		.amdhsa_float_denorm_mode_16_64 3
		.amdhsa_fp16_overflow 0
		.amdhsa_workgroup_processor_mode 1
		.amdhsa_memory_ordered 1
		.amdhsa_forward_progress 1
		.amdhsa_inst_pref_size 0
		.amdhsa_round_robin_scheduling 0
		.amdhsa_exception_fp_ieee_invalid_op 0
		.amdhsa_exception_fp_denorm_src 0
		.amdhsa_exception_fp_ieee_div_zero 0
		.amdhsa_exception_fp_ieee_overflow 0
		.amdhsa_exception_fp_ieee_underflow 0
		.amdhsa_exception_fp_ieee_inexact 0
		.amdhsa_exception_int_div_zero 0
	.end_amdhsa_kernel
	.section	.text._ZN7rocprim17ROCPRIM_400000_NS6detail17trampoline_kernelINS0_14default_configENS1_25partition_config_selectorILNS1_17partition_subalgoE5ElNS0_10empty_typeEbEEZZNS1_14partition_implILS5_5ELb0ES3_mN6hipcub16HIPCUB_304000_NS21CountingInputIteratorIllEEPS6_NSA_22TransformInputIteratorIbN2at6native12_GLOBAL__N_19NonZeroOpIiEEPKilEENS0_5tupleIJPlS6_EEENSN_IJSD_SD_EEES6_PiJS6_EEE10hipError_tPvRmT3_T4_T5_T6_T7_T9_mT8_P12ihipStream_tbDpT10_ENKUlT_T0_E_clISt17integral_constantIbLb1EES1B_EEDaS16_S17_EUlS16_E_NS1_11comp_targetILNS1_3genE9ELNS1_11target_archE1100ELNS1_3gpuE3ELNS1_3repE0EEENS1_30default_config_static_selectorELNS0_4arch9wavefront6targetE0EEEvT1_,"axG",@progbits,_ZN7rocprim17ROCPRIM_400000_NS6detail17trampoline_kernelINS0_14default_configENS1_25partition_config_selectorILNS1_17partition_subalgoE5ElNS0_10empty_typeEbEEZZNS1_14partition_implILS5_5ELb0ES3_mN6hipcub16HIPCUB_304000_NS21CountingInputIteratorIllEEPS6_NSA_22TransformInputIteratorIbN2at6native12_GLOBAL__N_19NonZeroOpIiEEPKilEENS0_5tupleIJPlS6_EEENSN_IJSD_SD_EEES6_PiJS6_EEE10hipError_tPvRmT3_T4_T5_T6_T7_T9_mT8_P12ihipStream_tbDpT10_ENKUlT_T0_E_clISt17integral_constantIbLb1EES1B_EEDaS16_S17_EUlS16_E_NS1_11comp_targetILNS1_3genE9ELNS1_11target_archE1100ELNS1_3gpuE3ELNS1_3repE0EEENS1_30default_config_static_selectorELNS0_4arch9wavefront6targetE0EEEvT1_,comdat
.Lfunc_end200:
	.size	_ZN7rocprim17ROCPRIM_400000_NS6detail17trampoline_kernelINS0_14default_configENS1_25partition_config_selectorILNS1_17partition_subalgoE5ElNS0_10empty_typeEbEEZZNS1_14partition_implILS5_5ELb0ES3_mN6hipcub16HIPCUB_304000_NS21CountingInputIteratorIllEEPS6_NSA_22TransformInputIteratorIbN2at6native12_GLOBAL__N_19NonZeroOpIiEEPKilEENS0_5tupleIJPlS6_EEENSN_IJSD_SD_EEES6_PiJS6_EEE10hipError_tPvRmT3_T4_T5_T6_T7_T9_mT8_P12ihipStream_tbDpT10_ENKUlT_T0_E_clISt17integral_constantIbLb1EES1B_EEDaS16_S17_EUlS16_E_NS1_11comp_targetILNS1_3genE9ELNS1_11target_archE1100ELNS1_3gpuE3ELNS1_3repE0EEENS1_30default_config_static_selectorELNS0_4arch9wavefront6targetE0EEEvT1_, .Lfunc_end200-_ZN7rocprim17ROCPRIM_400000_NS6detail17trampoline_kernelINS0_14default_configENS1_25partition_config_selectorILNS1_17partition_subalgoE5ElNS0_10empty_typeEbEEZZNS1_14partition_implILS5_5ELb0ES3_mN6hipcub16HIPCUB_304000_NS21CountingInputIteratorIllEEPS6_NSA_22TransformInputIteratorIbN2at6native12_GLOBAL__N_19NonZeroOpIiEEPKilEENS0_5tupleIJPlS6_EEENSN_IJSD_SD_EEES6_PiJS6_EEE10hipError_tPvRmT3_T4_T5_T6_T7_T9_mT8_P12ihipStream_tbDpT10_ENKUlT_T0_E_clISt17integral_constantIbLb1EES1B_EEDaS16_S17_EUlS16_E_NS1_11comp_targetILNS1_3genE9ELNS1_11target_archE1100ELNS1_3gpuE3ELNS1_3repE0EEENS1_30default_config_static_selectorELNS0_4arch9wavefront6targetE0EEEvT1_
                                        ; -- End function
	.set _ZN7rocprim17ROCPRIM_400000_NS6detail17trampoline_kernelINS0_14default_configENS1_25partition_config_selectorILNS1_17partition_subalgoE5ElNS0_10empty_typeEbEEZZNS1_14partition_implILS5_5ELb0ES3_mN6hipcub16HIPCUB_304000_NS21CountingInputIteratorIllEEPS6_NSA_22TransformInputIteratorIbN2at6native12_GLOBAL__N_19NonZeroOpIiEEPKilEENS0_5tupleIJPlS6_EEENSN_IJSD_SD_EEES6_PiJS6_EEE10hipError_tPvRmT3_T4_T5_T6_T7_T9_mT8_P12ihipStream_tbDpT10_ENKUlT_T0_E_clISt17integral_constantIbLb1EES1B_EEDaS16_S17_EUlS16_E_NS1_11comp_targetILNS1_3genE9ELNS1_11target_archE1100ELNS1_3gpuE3ELNS1_3repE0EEENS1_30default_config_static_selectorELNS0_4arch9wavefront6targetE0EEEvT1_.num_vgpr, 0
	.set _ZN7rocprim17ROCPRIM_400000_NS6detail17trampoline_kernelINS0_14default_configENS1_25partition_config_selectorILNS1_17partition_subalgoE5ElNS0_10empty_typeEbEEZZNS1_14partition_implILS5_5ELb0ES3_mN6hipcub16HIPCUB_304000_NS21CountingInputIteratorIllEEPS6_NSA_22TransformInputIteratorIbN2at6native12_GLOBAL__N_19NonZeroOpIiEEPKilEENS0_5tupleIJPlS6_EEENSN_IJSD_SD_EEES6_PiJS6_EEE10hipError_tPvRmT3_T4_T5_T6_T7_T9_mT8_P12ihipStream_tbDpT10_ENKUlT_T0_E_clISt17integral_constantIbLb1EES1B_EEDaS16_S17_EUlS16_E_NS1_11comp_targetILNS1_3genE9ELNS1_11target_archE1100ELNS1_3gpuE3ELNS1_3repE0EEENS1_30default_config_static_selectorELNS0_4arch9wavefront6targetE0EEEvT1_.num_agpr, 0
	.set _ZN7rocprim17ROCPRIM_400000_NS6detail17trampoline_kernelINS0_14default_configENS1_25partition_config_selectorILNS1_17partition_subalgoE5ElNS0_10empty_typeEbEEZZNS1_14partition_implILS5_5ELb0ES3_mN6hipcub16HIPCUB_304000_NS21CountingInputIteratorIllEEPS6_NSA_22TransformInputIteratorIbN2at6native12_GLOBAL__N_19NonZeroOpIiEEPKilEENS0_5tupleIJPlS6_EEENSN_IJSD_SD_EEES6_PiJS6_EEE10hipError_tPvRmT3_T4_T5_T6_T7_T9_mT8_P12ihipStream_tbDpT10_ENKUlT_T0_E_clISt17integral_constantIbLb1EES1B_EEDaS16_S17_EUlS16_E_NS1_11comp_targetILNS1_3genE9ELNS1_11target_archE1100ELNS1_3gpuE3ELNS1_3repE0EEENS1_30default_config_static_selectorELNS0_4arch9wavefront6targetE0EEEvT1_.numbered_sgpr, 0
	.set _ZN7rocprim17ROCPRIM_400000_NS6detail17trampoline_kernelINS0_14default_configENS1_25partition_config_selectorILNS1_17partition_subalgoE5ElNS0_10empty_typeEbEEZZNS1_14partition_implILS5_5ELb0ES3_mN6hipcub16HIPCUB_304000_NS21CountingInputIteratorIllEEPS6_NSA_22TransformInputIteratorIbN2at6native12_GLOBAL__N_19NonZeroOpIiEEPKilEENS0_5tupleIJPlS6_EEENSN_IJSD_SD_EEES6_PiJS6_EEE10hipError_tPvRmT3_T4_T5_T6_T7_T9_mT8_P12ihipStream_tbDpT10_ENKUlT_T0_E_clISt17integral_constantIbLb1EES1B_EEDaS16_S17_EUlS16_E_NS1_11comp_targetILNS1_3genE9ELNS1_11target_archE1100ELNS1_3gpuE3ELNS1_3repE0EEENS1_30default_config_static_selectorELNS0_4arch9wavefront6targetE0EEEvT1_.num_named_barrier, 0
	.set _ZN7rocprim17ROCPRIM_400000_NS6detail17trampoline_kernelINS0_14default_configENS1_25partition_config_selectorILNS1_17partition_subalgoE5ElNS0_10empty_typeEbEEZZNS1_14partition_implILS5_5ELb0ES3_mN6hipcub16HIPCUB_304000_NS21CountingInputIteratorIllEEPS6_NSA_22TransformInputIteratorIbN2at6native12_GLOBAL__N_19NonZeroOpIiEEPKilEENS0_5tupleIJPlS6_EEENSN_IJSD_SD_EEES6_PiJS6_EEE10hipError_tPvRmT3_T4_T5_T6_T7_T9_mT8_P12ihipStream_tbDpT10_ENKUlT_T0_E_clISt17integral_constantIbLb1EES1B_EEDaS16_S17_EUlS16_E_NS1_11comp_targetILNS1_3genE9ELNS1_11target_archE1100ELNS1_3gpuE3ELNS1_3repE0EEENS1_30default_config_static_selectorELNS0_4arch9wavefront6targetE0EEEvT1_.private_seg_size, 0
	.set _ZN7rocprim17ROCPRIM_400000_NS6detail17trampoline_kernelINS0_14default_configENS1_25partition_config_selectorILNS1_17partition_subalgoE5ElNS0_10empty_typeEbEEZZNS1_14partition_implILS5_5ELb0ES3_mN6hipcub16HIPCUB_304000_NS21CountingInputIteratorIllEEPS6_NSA_22TransformInputIteratorIbN2at6native12_GLOBAL__N_19NonZeroOpIiEEPKilEENS0_5tupleIJPlS6_EEENSN_IJSD_SD_EEES6_PiJS6_EEE10hipError_tPvRmT3_T4_T5_T6_T7_T9_mT8_P12ihipStream_tbDpT10_ENKUlT_T0_E_clISt17integral_constantIbLb1EES1B_EEDaS16_S17_EUlS16_E_NS1_11comp_targetILNS1_3genE9ELNS1_11target_archE1100ELNS1_3gpuE3ELNS1_3repE0EEENS1_30default_config_static_selectorELNS0_4arch9wavefront6targetE0EEEvT1_.uses_vcc, 0
	.set _ZN7rocprim17ROCPRIM_400000_NS6detail17trampoline_kernelINS0_14default_configENS1_25partition_config_selectorILNS1_17partition_subalgoE5ElNS0_10empty_typeEbEEZZNS1_14partition_implILS5_5ELb0ES3_mN6hipcub16HIPCUB_304000_NS21CountingInputIteratorIllEEPS6_NSA_22TransformInputIteratorIbN2at6native12_GLOBAL__N_19NonZeroOpIiEEPKilEENS0_5tupleIJPlS6_EEENSN_IJSD_SD_EEES6_PiJS6_EEE10hipError_tPvRmT3_T4_T5_T6_T7_T9_mT8_P12ihipStream_tbDpT10_ENKUlT_T0_E_clISt17integral_constantIbLb1EES1B_EEDaS16_S17_EUlS16_E_NS1_11comp_targetILNS1_3genE9ELNS1_11target_archE1100ELNS1_3gpuE3ELNS1_3repE0EEENS1_30default_config_static_selectorELNS0_4arch9wavefront6targetE0EEEvT1_.uses_flat_scratch, 0
	.set _ZN7rocprim17ROCPRIM_400000_NS6detail17trampoline_kernelINS0_14default_configENS1_25partition_config_selectorILNS1_17partition_subalgoE5ElNS0_10empty_typeEbEEZZNS1_14partition_implILS5_5ELb0ES3_mN6hipcub16HIPCUB_304000_NS21CountingInputIteratorIllEEPS6_NSA_22TransformInputIteratorIbN2at6native12_GLOBAL__N_19NonZeroOpIiEEPKilEENS0_5tupleIJPlS6_EEENSN_IJSD_SD_EEES6_PiJS6_EEE10hipError_tPvRmT3_T4_T5_T6_T7_T9_mT8_P12ihipStream_tbDpT10_ENKUlT_T0_E_clISt17integral_constantIbLb1EES1B_EEDaS16_S17_EUlS16_E_NS1_11comp_targetILNS1_3genE9ELNS1_11target_archE1100ELNS1_3gpuE3ELNS1_3repE0EEENS1_30default_config_static_selectorELNS0_4arch9wavefront6targetE0EEEvT1_.has_dyn_sized_stack, 0
	.set _ZN7rocprim17ROCPRIM_400000_NS6detail17trampoline_kernelINS0_14default_configENS1_25partition_config_selectorILNS1_17partition_subalgoE5ElNS0_10empty_typeEbEEZZNS1_14partition_implILS5_5ELb0ES3_mN6hipcub16HIPCUB_304000_NS21CountingInputIteratorIllEEPS6_NSA_22TransformInputIteratorIbN2at6native12_GLOBAL__N_19NonZeroOpIiEEPKilEENS0_5tupleIJPlS6_EEENSN_IJSD_SD_EEES6_PiJS6_EEE10hipError_tPvRmT3_T4_T5_T6_T7_T9_mT8_P12ihipStream_tbDpT10_ENKUlT_T0_E_clISt17integral_constantIbLb1EES1B_EEDaS16_S17_EUlS16_E_NS1_11comp_targetILNS1_3genE9ELNS1_11target_archE1100ELNS1_3gpuE3ELNS1_3repE0EEENS1_30default_config_static_selectorELNS0_4arch9wavefront6targetE0EEEvT1_.has_recursion, 0
	.set _ZN7rocprim17ROCPRIM_400000_NS6detail17trampoline_kernelINS0_14default_configENS1_25partition_config_selectorILNS1_17partition_subalgoE5ElNS0_10empty_typeEbEEZZNS1_14partition_implILS5_5ELb0ES3_mN6hipcub16HIPCUB_304000_NS21CountingInputIteratorIllEEPS6_NSA_22TransformInputIteratorIbN2at6native12_GLOBAL__N_19NonZeroOpIiEEPKilEENS0_5tupleIJPlS6_EEENSN_IJSD_SD_EEES6_PiJS6_EEE10hipError_tPvRmT3_T4_T5_T6_T7_T9_mT8_P12ihipStream_tbDpT10_ENKUlT_T0_E_clISt17integral_constantIbLb1EES1B_EEDaS16_S17_EUlS16_E_NS1_11comp_targetILNS1_3genE9ELNS1_11target_archE1100ELNS1_3gpuE3ELNS1_3repE0EEENS1_30default_config_static_selectorELNS0_4arch9wavefront6targetE0EEEvT1_.has_indirect_call, 0
	.section	.AMDGPU.csdata,"",@progbits
; Kernel info:
; codeLenInByte = 0
; TotalNumSgprs: 0
; NumVgprs: 0
; ScratchSize: 0
; MemoryBound: 0
; FloatMode: 240
; IeeeMode: 1
; LDSByteSize: 0 bytes/workgroup (compile time only)
; SGPRBlocks: 0
; VGPRBlocks: 0
; NumSGPRsForWavesPerEU: 1
; NumVGPRsForWavesPerEU: 1
; Occupancy: 16
; WaveLimiterHint : 0
; COMPUTE_PGM_RSRC2:SCRATCH_EN: 0
; COMPUTE_PGM_RSRC2:USER_SGPR: 2
; COMPUTE_PGM_RSRC2:TRAP_HANDLER: 0
; COMPUTE_PGM_RSRC2:TGID_X_EN: 1
; COMPUTE_PGM_RSRC2:TGID_Y_EN: 0
; COMPUTE_PGM_RSRC2:TGID_Z_EN: 0
; COMPUTE_PGM_RSRC2:TIDIG_COMP_CNT: 0
	.section	.text._ZN7rocprim17ROCPRIM_400000_NS6detail17trampoline_kernelINS0_14default_configENS1_25partition_config_selectorILNS1_17partition_subalgoE5ElNS0_10empty_typeEbEEZZNS1_14partition_implILS5_5ELb0ES3_mN6hipcub16HIPCUB_304000_NS21CountingInputIteratorIllEEPS6_NSA_22TransformInputIteratorIbN2at6native12_GLOBAL__N_19NonZeroOpIiEEPKilEENS0_5tupleIJPlS6_EEENSN_IJSD_SD_EEES6_PiJS6_EEE10hipError_tPvRmT3_T4_T5_T6_T7_T9_mT8_P12ihipStream_tbDpT10_ENKUlT_T0_E_clISt17integral_constantIbLb1EES1B_EEDaS16_S17_EUlS16_E_NS1_11comp_targetILNS1_3genE8ELNS1_11target_archE1030ELNS1_3gpuE2ELNS1_3repE0EEENS1_30default_config_static_selectorELNS0_4arch9wavefront6targetE0EEEvT1_,"axG",@progbits,_ZN7rocprim17ROCPRIM_400000_NS6detail17trampoline_kernelINS0_14default_configENS1_25partition_config_selectorILNS1_17partition_subalgoE5ElNS0_10empty_typeEbEEZZNS1_14partition_implILS5_5ELb0ES3_mN6hipcub16HIPCUB_304000_NS21CountingInputIteratorIllEEPS6_NSA_22TransformInputIteratorIbN2at6native12_GLOBAL__N_19NonZeroOpIiEEPKilEENS0_5tupleIJPlS6_EEENSN_IJSD_SD_EEES6_PiJS6_EEE10hipError_tPvRmT3_T4_T5_T6_T7_T9_mT8_P12ihipStream_tbDpT10_ENKUlT_T0_E_clISt17integral_constantIbLb1EES1B_EEDaS16_S17_EUlS16_E_NS1_11comp_targetILNS1_3genE8ELNS1_11target_archE1030ELNS1_3gpuE2ELNS1_3repE0EEENS1_30default_config_static_selectorELNS0_4arch9wavefront6targetE0EEEvT1_,comdat
	.globl	_ZN7rocprim17ROCPRIM_400000_NS6detail17trampoline_kernelINS0_14default_configENS1_25partition_config_selectorILNS1_17partition_subalgoE5ElNS0_10empty_typeEbEEZZNS1_14partition_implILS5_5ELb0ES3_mN6hipcub16HIPCUB_304000_NS21CountingInputIteratorIllEEPS6_NSA_22TransformInputIteratorIbN2at6native12_GLOBAL__N_19NonZeroOpIiEEPKilEENS0_5tupleIJPlS6_EEENSN_IJSD_SD_EEES6_PiJS6_EEE10hipError_tPvRmT3_T4_T5_T6_T7_T9_mT8_P12ihipStream_tbDpT10_ENKUlT_T0_E_clISt17integral_constantIbLb1EES1B_EEDaS16_S17_EUlS16_E_NS1_11comp_targetILNS1_3genE8ELNS1_11target_archE1030ELNS1_3gpuE2ELNS1_3repE0EEENS1_30default_config_static_selectorELNS0_4arch9wavefront6targetE0EEEvT1_ ; -- Begin function _ZN7rocprim17ROCPRIM_400000_NS6detail17trampoline_kernelINS0_14default_configENS1_25partition_config_selectorILNS1_17partition_subalgoE5ElNS0_10empty_typeEbEEZZNS1_14partition_implILS5_5ELb0ES3_mN6hipcub16HIPCUB_304000_NS21CountingInputIteratorIllEEPS6_NSA_22TransformInputIteratorIbN2at6native12_GLOBAL__N_19NonZeroOpIiEEPKilEENS0_5tupleIJPlS6_EEENSN_IJSD_SD_EEES6_PiJS6_EEE10hipError_tPvRmT3_T4_T5_T6_T7_T9_mT8_P12ihipStream_tbDpT10_ENKUlT_T0_E_clISt17integral_constantIbLb1EES1B_EEDaS16_S17_EUlS16_E_NS1_11comp_targetILNS1_3genE8ELNS1_11target_archE1030ELNS1_3gpuE2ELNS1_3repE0EEENS1_30default_config_static_selectorELNS0_4arch9wavefront6targetE0EEEvT1_
	.p2align	8
	.type	_ZN7rocprim17ROCPRIM_400000_NS6detail17trampoline_kernelINS0_14default_configENS1_25partition_config_selectorILNS1_17partition_subalgoE5ElNS0_10empty_typeEbEEZZNS1_14partition_implILS5_5ELb0ES3_mN6hipcub16HIPCUB_304000_NS21CountingInputIteratorIllEEPS6_NSA_22TransformInputIteratorIbN2at6native12_GLOBAL__N_19NonZeroOpIiEEPKilEENS0_5tupleIJPlS6_EEENSN_IJSD_SD_EEES6_PiJS6_EEE10hipError_tPvRmT3_T4_T5_T6_T7_T9_mT8_P12ihipStream_tbDpT10_ENKUlT_T0_E_clISt17integral_constantIbLb1EES1B_EEDaS16_S17_EUlS16_E_NS1_11comp_targetILNS1_3genE8ELNS1_11target_archE1030ELNS1_3gpuE2ELNS1_3repE0EEENS1_30default_config_static_selectorELNS0_4arch9wavefront6targetE0EEEvT1_,@function
_ZN7rocprim17ROCPRIM_400000_NS6detail17trampoline_kernelINS0_14default_configENS1_25partition_config_selectorILNS1_17partition_subalgoE5ElNS0_10empty_typeEbEEZZNS1_14partition_implILS5_5ELb0ES3_mN6hipcub16HIPCUB_304000_NS21CountingInputIteratorIllEEPS6_NSA_22TransformInputIteratorIbN2at6native12_GLOBAL__N_19NonZeroOpIiEEPKilEENS0_5tupleIJPlS6_EEENSN_IJSD_SD_EEES6_PiJS6_EEE10hipError_tPvRmT3_T4_T5_T6_T7_T9_mT8_P12ihipStream_tbDpT10_ENKUlT_T0_E_clISt17integral_constantIbLb1EES1B_EEDaS16_S17_EUlS16_E_NS1_11comp_targetILNS1_3genE8ELNS1_11target_archE1030ELNS1_3gpuE2ELNS1_3repE0EEENS1_30default_config_static_selectorELNS0_4arch9wavefront6targetE0EEEvT1_: ; @_ZN7rocprim17ROCPRIM_400000_NS6detail17trampoline_kernelINS0_14default_configENS1_25partition_config_selectorILNS1_17partition_subalgoE5ElNS0_10empty_typeEbEEZZNS1_14partition_implILS5_5ELb0ES3_mN6hipcub16HIPCUB_304000_NS21CountingInputIteratorIllEEPS6_NSA_22TransformInputIteratorIbN2at6native12_GLOBAL__N_19NonZeroOpIiEEPKilEENS0_5tupleIJPlS6_EEENSN_IJSD_SD_EEES6_PiJS6_EEE10hipError_tPvRmT3_T4_T5_T6_T7_T9_mT8_P12ihipStream_tbDpT10_ENKUlT_T0_E_clISt17integral_constantIbLb1EES1B_EEDaS16_S17_EUlS16_E_NS1_11comp_targetILNS1_3genE8ELNS1_11target_archE1030ELNS1_3gpuE2ELNS1_3repE0EEENS1_30default_config_static_selectorELNS0_4arch9wavefront6targetE0EEEvT1_
; %bb.0:
	.section	.rodata,"a",@progbits
	.p2align	6, 0x0
	.amdhsa_kernel _ZN7rocprim17ROCPRIM_400000_NS6detail17trampoline_kernelINS0_14default_configENS1_25partition_config_selectorILNS1_17partition_subalgoE5ElNS0_10empty_typeEbEEZZNS1_14partition_implILS5_5ELb0ES3_mN6hipcub16HIPCUB_304000_NS21CountingInputIteratorIllEEPS6_NSA_22TransformInputIteratorIbN2at6native12_GLOBAL__N_19NonZeroOpIiEEPKilEENS0_5tupleIJPlS6_EEENSN_IJSD_SD_EEES6_PiJS6_EEE10hipError_tPvRmT3_T4_T5_T6_T7_T9_mT8_P12ihipStream_tbDpT10_ENKUlT_T0_E_clISt17integral_constantIbLb1EES1B_EEDaS16_S17_EUlS16_E_NS1_11comp_targetILNS1_3genE8ELNS1_11target_archE1030ELNS1_3gpuE2ELNS1_3repE0EEENS1_30default_config_static_selectorELNS0_4arch9wavefront6targetE0EEEvT1_
		.amdhsa_group_segment_fixed_size 0
		.amdhsa_private_segment_fixed_size 0
		.amdhsa_kernarg_size 136
		.amdhsa_user_sgpr_count 2
		.amdhsa_user_sgpr_dispatch_ptr 0
		.amdhsa_user_sgpr_queue_ptr 0
		.amdhsa_user_sgpr_kernarg_segment_ptr 1
		.amdhsa_user_sgpr_dispatch_id 0
		.amdhsa_user_sgpr_private_segment_size 0
		.amdhsa_wavefront_size32 1
		.amdhsa_uses_dynamic_stack 0
		.amdhsa_enable_private_segment 0
		.amdhsa_system_sgpr_workgroup_id_x 1
		.amdhsa_system_sgpr_workgroup_id_y 0
		.amdhsa_system_sgpr_workgroup_id_z 0
		.amdhsa_system_sgpr_workgroup_info 0
		.amdhsa_system_vgpr_workitem_id 0
		.amdhsa_next_free_vgpr 1
		.amdhsa_next_free_sgpr 1
		.amdhsa_reserve_vcc 0
		.amdhsa_float_round_mode_32 0
		.amdhsa_float_round_mode_16_64 0
		.amdhsa_float_denorm_mode_32 3
		.amdhsa_float_denorm_mode_16_64 3
		.amdhsa_fp16_overflow 0
		.amdhsa_workgroup_processor_mode 1
		.amdhsa_memory_ordered 1
		.amdhsa_forward_progress 1
		.amdhsa_inst_pref_size 0
		.amdhsa_round_robin_scheduling 0
		.amdhsa_exception_fp_ieee_invalid_op 0
		.amdhsa_exception_fp_denorm_src 0
		.amdhsa_exception_fp_ieee_div_zero 0
		.amdhsa_exception_fp_ieee_overflow 0
		.amdhsa_exception_fp_ieee_underflow 0
		.amdhsa_exception_fp_ieee_inexact 0
		.amdhsa_exception_int_div_zero 0
	.end_amdhsa_kernel
	.section	.text._ZN7rocprim17ROCPRIM_400000_NS6detail17trampoline_kernelINS0_14default_configENS1_25partition_config_selectorILNS1_17partition_subalgoE5ElNS0_10empty_typeEbEEZZNS1_14partition_implILS5_5ELb0ES3_mN6hipcub16HIPCUB_304000_NS21CountingInputIteratorIllEEPS6_NSA_22TransformInputIteratorIbN2at6native12_GLOBAL__N_19NonZeroOpIiEEPKilEENS0_5tupleIJPlS6_EEENSN_IJSD_SD_EEES6_PiJS6_EEE10hipError_tPvRmT3_T4_T5_T6_T7_T9_mT8_P12ihipStream_tbDpT10_ENKUlT_T0_E_clISt17integral_constantIbLb1EES1B_EEDaS16_S17_EUlS16_E_NS1_11comp_targetILNS1_3genE8ELNS1_11target_archE1030ELNS1_3gpuE2ELNS1_3repE0EEENS1_30default_config_static_selectorELNS0_4arch9wavefront6targetE0EEEvT1_,"axG",@progbits,_ZN7rocprim17ROCPRIM_400000_NS6detail17trampoline_kernelINS0_14default_configENS1_25partition_config_selectorILNS1_17partition_subalgoE5ElNS0_10empty_typeEbEEZZNS1_14partition_implILS5_5ELb0ES3_mN6hipcub16HIPCUB_304000_NS21CountingInputIteratorIllEEPS6_NSA_22TransformInputIteratorIbN2at6native12_GLOBAL__N_19NonZeroOpIiEEPKilEENS0_5tupleIJPlS6_EEENSN_IJSD_SD_EEES6_PiJS6_EEE10hipError_tPvRmT3_T4_T5_T6_T7_T9_mT8_P12ihipStream_tbDpT10_ENKUlT_T0_E_clISt17integral_constantIbLb1EES1B_EEDaS16_S17_EUlS16_E_NS1_11comp_targetILNS1_3genE8ELNS1_11target_archE1030ELNS1_3gpuE2ELNS1_3repE0EEENS1_30default_config_static_selectorELNS0_4arch9wavefront6targetE0EEEvT1_,comdat
.Lfunc_end201:
	.size	_ZN7rocprim17ROCPRIM_400000_NS6detail17trampoline_kernelINS0_14default_configENS1_25partition_config_selectorILNS1_17partition_subalgoE5ElNS0_10empty_typeEbEEZZNS1_14partition_implILS5_5ELb0ES3_mN6hipcub16HIPCUB_304000_NS21CountingInputIteratorIllEEPS6_NSA_22TransformInputIteratorIbN2at6native12_GLOBAL__N_19NonZeroOpIiEEPKilEENS0_5tupleIJPlS6_EEENSN_IJSD_SD_EEES6_PiJS6_EEE10hipError_tPvRmT3_T4_T5_T6_T7_T9_mT8_P12ihipStream_tbDpT10_ENKUlT_T0_E_clISt17integral_constantIbLb1EES1B_EEDaS16_S17_EUlS16_E_NS1_11comp_targetILNS1_3genE8ELNS1_11target_archE1030ELNS1_3gpuE2ELNS1_3repE0EEENS1_30default_config_static_selectorELNS0_4arch9wavefront6targetE0EEEvT1_, .Lfunc_end201-_ZN7rocprim17ROCPRIM_400000_NS6detail17trampoline_kernelINS0_14default_configENS1_25partition_config_selectorILNS1_17partition_subalgoE5ElNS0_10empty_typeEbEEZZNS1_14partition_implILS5_5ELb0ES3_mN6hipcub16HIPCUB_304000_NS21CountingInputIteratorIllEEPS6_NSA_22TransformInputIteratorIbN2at6native12_GLOBAL__N_19NonZeroOpIiEEPKilEENS0_5tupleIJPlS6_EEENSN_IJSD_SD_EEES6_PiJS6_EEE10hipError_tPvRmT3_T4_T5_T6_T7_T9_mT8_P12ihipStream_tbDpT10_ENKUlT_T0_E_clISt17integral_constantIbLb1EES1B_EEDaS16_S17_EUlS16_E_NS1_11comp_targetILNS1_3genE8ELNS1_11target_archE1030ELNS1_3gpuE2ELNS1_3repE0EEENS1_30default_config_static_selectorELNS0_4arch9wavefront6targetE0EEEvT1_
                                        ; -- End function
	.set _ZN7rocprim17ROCPRIM_400000_NS6detail17trampoline_kernelINS0_14default_configENS1_25partition_config_selectorILNS1_17partition_subalgoE5ElNS0_10empty_typeEbEEZZNS1_14partition_implILS5_5ELb0ES3_mN6hipcub16HIPCUB_304000_NS21CountingInputIteratorIllEEPS6_NSA_22TransformInputIteratorIbN2at6native12_GLOBAL__N_19NonZeroOpIiEEPKilEENS0_5tupleIJPlS6_EEENSN_IJSD_SD_EEES6_PiJS6_EEE10hipError_tPvRmT3_T4_T5_T6_T7_T9_mT8_P12ihipStream_tbDpT10_ENKUlT_T0_E_clISt17integral_constantIbLb1EES1B_EEDaS16_S17_EUlS16_E_NS1_11comp_targetILNS1_3genE8ELNS1_11target_archE1030ELNS1_3gpuE2ELNS1_3repE0EEENS1_30default_config_static_selectorELNS0_4arch9wavefront6targetE0EEEvT1_.num_vgpr, 0
	.set _ZN7rocprim17ROCPRIM_400000_NS6detail17trampoline_kernelINS0_14default_configENS1_25partition_config_selectorILNS1_17partition_subalgoE5ElNS0_10empty_typeEbEEZZNS1_14partition_implILS5_5ELb0ES3_mN6hipcub16HIPCUB_304000_NS21CountingInputIteratorIllEEPS6_NSA_22TransformInputIteratorIbN2at6native12_GLOBAL__N_19NonZeroOpIiEEPKilEENS0_5tupleIJPlS6_EEENSN_IJSD_SD_EEES6_PiJS6_EEE10hipError_tPvRmT3_T4_T5_T6_T7_T9_mT8_P12ihipStream_tbDpT10_ENKUlT_T0_E_clISt17integral_constantIbLb1EES1B_EEDaS16_S17_EUlS16_E_NS1_11comp_targetILNS1_3genE8ELNS1_11target_archE1030ELNS1_3gpuE2ELNS1_3repE0EEENS1_30default_config_static_selectorELNS0_4arch9wavefront6targetE0EEEvT1_.num_agpr, 0
	.set _ZN7rocprim17ROCPRIM_400000_NS6detail17trampoline_kernelINS0_14default_configENS1_25partition_config_selectorILNS1_17partition_subalgoE5ElNS0_10empty_typeEbEEZZNS1_14partition_implILS5_5ELb0ES3_mN6hipcub16HIPCUB_304000_NS21CountingInputIteratorIllEEPS6_NSA_22TransformInputIteratorIbN2at6native12_GLOBAL__N_19NonZeroOpIiEEPKilEENS0_5tupleIJPlS6_EEENSN_IJSD_SD_EEES6_PiJS6_EEE10hipError_tPvRmT3_T4_T5_T6_T7_T9_mT8_P12ihipStream_tbDpT10_ENKUlT_T0_E_clISt17integral_constantIbLb1EES1B_EEDaS16_S17_EUlS16_E_NS1_11comp_targetILNS1_3genE8ELNS1_11target_archE1030ELNS1_3gpuE2ELNS1_3repE0EEENS1_30default_config_static_selectorELNS0_4arch9wavefront6targetE0EEEvT1_.numbered_sgpr, 0
	.set _ZN7rocprim17ROCPRIM_400000_NS6detail17trampoline_kernelINS0_14default_configENS1_25partition_config_selectorILNS1_17partition_subalgoE5ElNS0_10empty_typeEbEEZZNS1_14partition_implILS5_5ELb0ES3_mN6hipcub16HIPCUB_304000_NS21CountingInputIteratorIllEEPS6_NSA_22TransformInputIteratorIbN2at6native12_GLOBAL__N_19NonZeroOpIiEEPKilEENS0_5tupleIJPlS6_EEENSN_IJSD_SD_EEES6_PiJS6_EEE10hipError_tPvRmT3_T4_T5_T6_T7_T9_mT8_P12ihipStream_tbDpT10_ENKUlT_T0_E_clISt17integral_constantIbLb1EES1B_EEDaS16_S17_EUlS16_E_NS1_11comp_targetILNS1_3genE8ELNS1_11target_archE1030ELNS1_3gpuE2ELNS1_3repE0EEENS1_30default_config_static_selectorELNS0_4arch9wavefront6targetE0EEEvT1_.num_named_barrier, 0
	.set _ZN7rocprim17ROCPRIM_400000_NS6detail17trampoline_kernelINS0_14default_configENS1_25partition_config_selectorILNS1_17partition_subalgoE5ElNS0_10empty_typeEbEEZZNS1_14partition_implILS5_5ELb0ES3_mN6hipcub16HIPCUB_304000_NS21CountingInputIteratorIllEEPS6_NSA_22TransformInputIteratorIbN2at6native12_GLOBAL__N_19NonZeroOpIiEEPKilEENS0_5tupleIJPlS6_EEENSN_IJSD_SD_EEES6_PiJS6_EEE10hipError_tPvRmT3_T4_T5_T6_T7_T9_mT8_P12ihipStream_tbDpT10_ENKUlT_T0_E_clISt17integral_constantIbLb1EES1B_EEDaS16_S17_EUlS16_E_NS1_11comp_targetILNS1_3genE8ELNS1_11target_archE1030ELNS1_3gpuE2ELNS1_3repE0EEENS1_30default_config_static_selectorELNS0_4arch9wavefront6targetE0EEEvT1_.private_seg_size, 0
	.set _ZN7rocprim17ROCPRIM_400000_NS6detail17trampoline_kernelINS0_14default_configENS1_25partition_config_selectorILNS1_17partition_subalgoE5ElNS0_10empty_typeEbEEZZNS1_14partition_implILS5_5ELb0ES3_mN6hipcub16HIPCUB_304000_NS21CountingInputIteratorIllEEPS6_NSA_22TransformInputIteratorIbN2at6native12_GLOBAL__N_19NonZeroOpIiEEPKilEENS0_5tupleIJPlS6_EEENSN_IJSD_SD_EEES6_PiJS6_EEE10hipError_tPvRmT3_T4_T5_T6_T7_T9_mT8_P12ihipStream_tbDpT10_ENKUlT_T0_E_clISt17integral_constantIbLb1EES1B_EEDaS16_S17_EUlS16_E_NS1_11comp_targetILNS1_3genE8ELNS1_11target_archE1030ELNS1_3gpuE2ELNS1_3repE0EEENS1_30default_config_static_selectorELNS0_4arch9wavefront6targetE0EEEvT1_.uses_vcc, 0
	.set _ZN7rocprim17ROCPRIM_400000_NS6detail17trampoline_kernelINS0_14default_configENS1_25partition_config_selectorILNS1_17partition_subalgoE5ElNS0_10empty_typeEbEEZZNS1_14partition_implILS5_5ELb0ES3_mN6hipcub16HIPCUB_304000_NS21CountingInputIteratorIllEEPS6_NSA_22TransformInputIteratorIbN2at6native12_GLOBAL__N_19NonZeroOpIiEEPKilEENS0_5tupleIJPlS6_EEENSN_IJSD_SD_EEES6_PiJS6_EEE10hipError_tPvRmT3_T4_T5_T6_T7_T9_mT8_P12ihipStream_tbDpT10_ENKUlT_T0_E_clISt17integral_constantIbLb1EES1B_EEDaS16_S17_EUlS16_E_NS1_11comp_targetILNS1_3genE8ELNS1_11target_archE1030ELNS1_3gpuE2ELNS1_3repE0EEENS1_30default_config_static_selectorELNS0_4arch9wavefront6targetE0EEEvT1_.uses_flat_scratch, 0
	.set _ZN7rocprim17ROCPRIM_400000_NS6detail17trampoline_kernelINS0_14default_configENS1_25partition_config_selectorILNS1_17partition_subalgoE5ElNS0_10empty_typeEbEEZZNS1_14partition_implILS5_5ELb0ES3_mN6hipcub16HIPCUB_304000_NS21CountingInputIteratorIllEEPS6_NSA_22TransformInputIteratorIbN2at6native12_GLOBAL__N_19NonZeroOpIiEEPKilEENS0_5tupleIJPlS6_EEENSN_IJSD_SD_EEES6_PiJS6_EEE10hipError_tPvRmT3_T4_T5_T6_T7_T9_mT8_P12ihipStream_tbDpT10_ENKUlT_T0_E_clISt17integral_constantIbLb1EES1B_EEDaS16_S17_EUlS16_E_NS1_11comp_targetILNS1_3genE8ELNS1_11target_archE1030ELNS1_3gpuE2ELNS1_3repE0EEENS1_30default_config_static_selectorELNS0_4arch9wavefront6targetE0EEEvT1_.has_dyn_sized_stack, 0
	.set _ZN7rocprim17ROCPRIM_400000_NS6detail17trampoline_kernelINS0_14default_configENS1_25partition_config_selectorILNS1_17partition_subalgoE5ElNS0_10empty_typeEbEEZZNS1_14partition_implILS5_5ELb0ES3_mN6hipcub16HIPCUB_304000_NS21CountingInputIteratorIllEEPS6_NSA_22TransformInputIteratorIbN2at6native12_GLOBAL__N_19NonZeroOpIiEEPKilEENS0_5tupleIJPlS6_EEENSN_IJSD_SD_EEES6_PiJS6_EEE10hipError_tPvRmT3_T4_T5_T6_T7_T9_mT8_P12ihipStream_tbDpT10_ENKUlT_T0_E_clISt17integral_constantIbLb1EES1B_EEDaS16_S17_EUlS16_E_NS1_11comp_targetILNS1_3genE8ELNS1_11target_archE1030ELNS1_3gpuE2ELNS1_3repE0EEENS1_30default_config_static_selectorELNS0_4arch9wavefront6targetE0EEEvT1_.has_recursion, 0
	.set _ZN7rocprim17ROCPRIM_400000_NS6detail17trampoline_kernelINS0_14default_configENS1_25partition_config_selectorILNS1_17partition_subalgoE5ElNS0_10empty_typeEbEEZZNS1_14partition_implILS5_5ELb0ES3_mN6hipcub16HIPCUB_304000_NS21CountingInputIteratorIllEEPS6_NSA_22TransformInputIteratorIbN2at6native12_GLOBAL__N_19NonZeroOpIiEEPKilEENS0_5tupleIJPlS6_EEENSN_IJSD_SD_EEES6_PiJS6_EEE10hipError_tPvRmT3_T4_T5_T6_T7_T9_mT8_P12ihipStream_tbDpT10_ENKUlT_T0_E_clISt17integral_constantIbLb1EES1B_EEDaS16_S17_EUlS16_E_NS1_11comp_targetILNS1_3genE8ELNS1_11target_archE1030ELNS1_3gpuE2ELNS1_3repE0EEENS1_30default_config_static_selectorELNS0_4arch9wavefront6targetE0EEEvT1_.has_indirect_call, 0
	.section	.AMDGPU.csdata,"",@progbits
; Kernel info:
; codeLenInByte = 0
; TotalNumSgprs: 0
; NumVgprs: 0
; ScratchSize: 0
; MemoryBound: 0
; FloatMode: 240
; IeeeMode: 1
; LDSByteSize: 0 bytes/workgroup (compile time only)
; SGPRBlocks: 0
; VGPRBlocks: 0
; NumSGPRsForWavesPerEU: 1
; NumVGPRsForWavesPerEU: 1
; Occupancy: 16
; WaveLimiterHint : 0
; COMPUTE_PGM_RSRC2:SCRATCH_EN: 0
; COMPUTE_PGM_RSRC2:USER_SGPR: 2
; COMPUTE_PGM_RSRC2:TRAP_HANDLER: 0
; COMPUTE_PGM_RSRC2:TGID_X_EN: 1
; COMPUTE_PGM_RSRC2:TGID_Y_EN: 0
; COMPUTE_PGM_RSRC2:TGID_Z_EN: 0
; COMPUTE_PGM_RSRC2:TIDIG_COMP_CNT: 0
	.section	.text._ZN7rocprim17ROCPRIM_400000_NS6detail17trampoline_kernelINS0_14default_configENS1_25partition_config_selectorILNS1_17partition_subalgoE5ElNS0_10empty_typeEbEEZZNS1_14partition_implILS5_5ELb0ES3_mN6hipcub16HIPCUB_304000_NS21CountingInputIteratorIllEEPS6_NSA_22TransformInputIteratorIbN2at6native12_GLOBAL__N_19NonZeroOpIiEEPKilEENS0_5tupleIJPlS6_EEENSN_IJSD_SD_EEES6_PiJS6_EEE10hipError_tPvRmT3_T4_T5_T6_T7_T9_mT8_P12ihipStream_tbDpT10_ENKUlT_T0_E_clISt17integral_constantIbLb1EES1A_IbLb0EEEEDaS16_S17_EUlS16_E_NS1_11comp_targetILNS1_3genE0ELNS1_11target_archE4294967295ELNS1_3gpuE0ELNS1_3repE0EEENS1_30default_config_static_selectorELNS0_4arch9wavefront6targetE0EEEvT1_,"axG",@progbits,_ZN7rocprim17ROCPRIM_400000_NS6detail17trampoline_kernelINS0_14default_configENS1_25partition_config_selectorILNS1_17partition_subalgoE5ElNS0_10empty_typeEbEEZZNS1_14partition_implILS5_5ELb0ES3_mN6hipcub16HIPCUB_304000_NS21CountingInputIteratorIllEEPS6_NSA_22TransformInputIteratorIbN2at6native12_GLOBAL__N_19NonZeroOpIiEEPKilEENS0_5tupleIJPlS6_EEENSN_IJSD_SD_EEES6_PiJS6_EEE10hipError_tPvRmT3_T4_T5_T6_T7_T9_mT8_P12ihipStream_tbDpT10_ENKUlT_T0_E_clISt17integral_constantIbLb1EES1A_IbLb0EEEEDaS16_S17_EUlS16_E_NS1_11comp_targetILNS1_3genE0ELNS1_11target_archE4294967295ELNS1_3gpuE0ELNS1_3repE0EEENS1_30default_config_static_selectorELNS0_4arch9wavefront6targetE0EEEvT1_,comdat
	.globl	_ZN7rocprim17ROCPRIM_400000_NS6detail17trampoline_kernelINS0_14default_configENS1_25partition_config_selectorILNS1_17partition_subalgoE5ElNS0_10empty_typeEbEEZZNS1_14partition_implILS5_5ELb0ES3_mN6hipcub16HIPCUB_304000_NS21CountingInputIteratorIllEEPS6_NSA_22TransformInputIteratorIbN2at6native12_GLOBAL__N_19NonZeroOpIiEEPKilEENS0_5tupleIJPlS6_EEENSN_IJSD_SD_EEES6_PiJS6_EEE10hipError_tPvRmT3_T4_T5_T6_T7_T9_mT8_P12ihipStream_tbDpT10_ENKUlT_T0_E_clISt17integral_constantIbLb1EES1A_IbLb0EEEEDaS16_S17_EUlS16_E_NS1_11comp_targetILNS1_3genE0ELNS1_11target_archE4294967295ELNS1_3gpuE0ELNS1_3repE0EEENS1_30default_config_static_selectorELNS0_4arch9wavefront6targetE0EEEvT1_ ; -- Begin function _ZN7rocprim17ROCPRIM_400000_NS6detail17trampoline_kernelINS0_14default_configENS1_25partition_config_selectorILNS1_17partition_subalgoE5ElNS0_10empty_typeEbEEZZNS1_14partition_implILS5_5ELb0ES3_mN6hipcub16HIPCUB_304000_NS21CountingInputIteratorIllEEPS6_NSA_22TransformInputIteratorIbN2at6native12_GLOBAL__N_19NonZeroOpIiEEPKilEENS0_5tupleIJPlS6_EEENSN_IJSD_SD_EEES6_PiJS6_EEE10hipError_tPvRmT3_T4_T5_T6_T7_T9_mT8_P12ihipStream_tbDpT10_ENKUlT_T0_E_clISt17integral_constantIbLb1EES1A_IbLb0EEEEDaS16_S17_EUlS16_E_NS1_11comp_targetILNS1_3genE0ELNS1_11target_archE4294967295ELNS1_3gpuE0ELNS1_3repE0EEENS1_30default_config_static_selectorELNS0_4arch9wavefront6targetE0EEEvT1_
	.p2align	8
	.type	_ZN7rocprim17ROCPRIM_400000_NS6detail17trampoline_kernelINS0_14default_configENS1_25partition_config_selectorILNS1_17partition_subalgoE5ElNS0_10empty_typeEbEEZZNS1_14partition_implILS5_5ELb0ES3_mN6hipcub16HIPCUB_304000_NS21CountingInputIteratorIllEEPS6_NSA_22TransformInputIteratorIbN2at6native12_GLOBAL__N_19NonZeroOpIiEEPKilEENS0_5tupleIJPlS6_EEENSN_IJSD_SD_EEES6_PiJS6_EEE10hipError_tPvRmT3_T4_T5_T6_T7_T9_mT8_P12ihipStream_tbDpT10_ENKUlT_T0_E_clISt17integral_constantIbLb1EES1A_IbLb0EEEEDaS16_S17_EUlS16_E_NS1_11comp_targetILNS1_3genE0ELNS1_11target_archE4294967295ELNS1_3gpuE0ELNS1_3repE0EEENS1_30default_config_static_selectorELNS0_4arch9wavefront6targetE0EEEvT1_,@function
_ZN7rocprim17ROCPRIM_400000_NS6detail17trampoline_kernelINS0_14default_configENS1_25partition_config_selectorILNS1_17partition_subalgoE5ElNS0_10empty_typeEbEEZZNS1_14partition_implILS5_5ELb0ES3_mN6hipcub16HIPCUB_304000_NS21CountingInputIteratorIllEEPS6_NSA_22TransformInputIteratorIbN2at6native12_GLOBAL__N_19NonZeroOpIiEEPKilEENS0_5tupleIJPlS6_EEENSN_IJSD_SD_EEES6_PiJS6_EEE10hipError_tPvRmT3_T4_T5_T6_T7_T9_mT8_P12ihipStream_tbDpT10_ENKUlT_T0_E_clISt17integral_constantIbLb1EES1A_IbLb0EEEEDaS16_S17_EUlS16_E_NS1_11comp_targetILNS1_3genE0ELNS1_11target_archE4294967295ELNS1_3gpuE0ELNS1_3repE0EEENS1_30default_config_static_selectorELNS0_4arch9wavefront6targetE0EEEvT1_: ; @_ZN7rocprim17ROCPRIM_400000_NS6detail17trampoline_kernelINS0_14default_configENS1_25partition_config_selectorILNS1_17partition_subalgoE5ElNS0_10empty_typeEbEEZZNS1_14partition_implILS5_5ELb0ES3_mN6hipcub16HIPCUB_304000_NS21CountingInputIteratorIllEEPS6_NSA_22TransformInputIteratorIbN2at6native12_GLOBAL__N_19NonZeroOpIiEEPKilEENS0_5tupleIJPlS6_EEENSN_IJSD_SD_EEES6_PiJS6_EEE10hipError_tPvRmT3_T4_T5_T6_T7_T9_mT8_P12ihipStream_tbDpT10_ENKUlT_T0_E_clISt17integral_constantIbLb1EES1A_IbLb0EEEEDaS16_S17_EUlS16_E_NS1_11comp_targetILNS1_3genE0ELNS1_11target_archE4294967295ELNS1_3gpuE0ELNS1_3repE0EEENS1_30default_config_static_selectorELNS0_4arch9wavefront6targetE0EEEvT1_
; %bb.0:
	.section	.rodata,"a",@progbits
	.p2align	6, 0x0
	.amdhsa_kernel _ZN7rocprim17ROCPRIM_400000_NS6detail17trampoline_kernelINS0_14default_configENS1_25partition_config_selectorILNS1_17partition_subalgoE5ElNS0_10empty_typeEbEEZZNS1_14partition_implILS5_5ELb0ES3_mN6hipcub16HIPCUB_304000_NS21CountingInputIteratorIllEEPS6_NSA_22TransformInputIteratorIbN2at6native12_GLOBAL__N_19NonZeroOpIiEEPKilEENS0_5tupleIJPlS6_EEENSN_IJSD_SD_EEES6_PiJS6_EEE10hipError_tPvRmT3_T4_T5_T6_T7_T9_mT8_P12ihipStream_tbDpT10_ENKUlT_T0_E_clISt17integral_constantIbLb1EES1A_IbLb0EEEEDaS16_S17_EUlS16_E_NS1_11comp_targetILNS1_3genE0ELNS1_11target_archE4294967295ELNS1_3gpuE0ELNS1_3repE0EEENS1_30default_config_static_selectorELNS0_4arch9wavefront6targetE0EEEvT1_
		.amdhsa_group_segment_fixed_size 0
		.amdhsa_private_segment_fixed_size 0
		.amdhsa_kernarg_size 120
		.amdhsa_user_sgpr_count 2
		.amdhsa_user_sgpr_dispatch_ptr 0
		.amdhsa_user_sgpr_queue_ptr 0
		.amdhsa_user_sgpr_kernarg_segment_ptr 1
		.amdhsa_user_sgpr_dispatch_id 0
		.amdhsa_user_sgpr_private_segment_size 0
		.amdhsa_wavefront_size32 1
		.amdhsa_uses_dynamic_stack 0
		.amdhsa_enable_private_segment 0
		.amdhsa_system_sgpr_workgroup_id_x 1
		.amdhsa_system_sgpr_workgroup_id_y 0
		.amdhsa_system_sgpr_workgroup_id_z 0
		.amdhsa_system_sgpr_workgroup_info 0
		.amdhsa_system_vgpr_workitem_id 0
		.amdhsa_next_free_vgpr 1
		.amdhsa_next_free_sgpr 1
		.amdhsa_reserve_vcc 0
		.amdhsa_float_round_mode_32 0
		.amdhsa_float_round_mode_16_64 0
		.amdhsa_float_denorm_mode_32 3
		.amdhsa_float_denorm_mode_16_64 3
		.amdhsa_fp16_overflow 0
		.amdhsa_workgroup_processor_mode 1
		.amdhsa_memory_ordered 1
		.amdhsa_forward_progress 1
		.amdhsa_inst_pref_size 0
		.amdhsa_round_robin_scheduling 0
		.amdhsa_exception_fp_ieee_invalid_op 0
		.amdhsa_exception_fp_denorm_src 0
		.amdhsa_exception_fp_ieee_div_zero 0
		.amdhsa_exception_fp_ieee_overflow 0
		.amdhsa_exception_fp_ieee_underflow 0
		.amdhsa_exception_fp_ieee_inexact 0
		.amdhsa_exception_int_div_zero 0
	.end_amdhsa_kernel
	.section	.text._ZN7rocprim17ROCPRIM_400000_NS6detail17trampoline_kernelINS0_14default_configENS1_25partition_config_selectorILNS1_17partition_subalgoE5ElNS0_10empty_typeEbEEZZNS1_14partition_implILS5_5ELb0ES3_mN6hipcub16HIPCUB_304000_NS21CountingInputIteratorIllEEPS6_NSA_22TransformInputIteratorIbN2at6native12_GLOBAL__N_19NonZeroOpIiEEPKilEENS0_5tupleIJPlS6_EEENSN_IJSD_SD_EEES6_PiJS6_EEE10hipError_tPvRmT3_T4_T5_T6_T7_T9_mT8_P12ihipStream_tbDpT10_ENKUlT_T0_E_clISt17integral_constantIbLb1EES1A_IbLb0EEEEDaS16_S17_EUlS16_E_NS1_11comp_targetILNS1_3genE0ELNS1_11target_archE4294967295ELNS1_3gpuE0ELNS1_3repE0EEENS1_30default_config_static_selectorELNS0_4arch9wavefront6targetE0EEEvT1_,"axG",@progbits,_ZN7rocprim17ROCPRIM_400000_NS6detail17trampoline_kernelINS0_14default_configENS1_25partition_config_selectorILNS1_17partition_subalgoE5ElNS0_10empty_typeEbEEZZNS1_14partition_implILS5_5ELb0ES3_mN6hipcub16HIPCUB_304000_NS21CountingInputIteratorIllEEPS6_NSA_22TransformInputIteratorIbN2at6native12_GLOBAL__N_19NonZeroOpIiEEPKilEENS0_5tupleIJPlS6_EEENSN_IJSD_SD_EEES6_PiJS6_EEE10hipError_tPvRmT3_T4_T5_T6_T7_T9_mT8_P12ihipStream_tbDpT10_ENKUlT_T0_E_clISt17integral_constantIbLb1EES1A_IbLb0EEEEDaS16_S17_EUlS16_E_NS1_11comp_targetILNS1_3genE0ELNS1_11target_archE4294967295ELNS1_3gpuE0ELNS1_3repE0EEENS1_30default_config_static_selectorELNS0_4arch9wavefront6targetE0EEEvT1_,comdat
.Lfunc_end202:
	.size	_ZN7rocprim17ROCPRIM_400000_NS6detail17trampoline_kernelINS0_14default_configENS1_25partition_config_selectorILNS1_17partition_subalgoE5ElNS0_10empty_typeEbEEZZNS1_14partition_implILS5_5ELb0ES3_mN6hipcub16HIPCUB_304000_NS21CountingInputIteratorIllEEPS6_NSA_22TransformInputIteratorIbN2at6native12_GLOBAL__N_19NonZeroOpIiEEPKilEENS0_5tupleIJPlS6_EEENSN_IJSD_SD_EEES6_PiJS6_EEE10hipError_tPvRmT3_T4_T5_T6_T7_T9_mT8_P12ihipStream_tbDpT10_ENKUlT_T0_E_clISt17integral_constantIbLb1EES1A_IbLb0EEEEDaS16_S17_EUlS16_E_NS1_11comp_targetILNS1_3genE0ELNS1_11target_archE4294967295ELNS1_3gpuE0ELNS1_3repE0EEENS1_30default_config_static_selectorELNS0_4arch9wavefront6targetE0EEEvT1_, .Lfunc_end202-_ZN7rocprim17ROCPRIM_400000_NS6detail17trampoline_kernelINS0_14default_configENS1_25partition_config_selectorILNS1_17partition_subalgoE5ElNS0_10empty_typeEbEEZZNS1_14partition_implILS5_5ELb0ES3_mN6hipcub16HIPCUB_304000_NS21CountingInputIteratorIllEEPS6_NSA_22TransformInputIteratorIbN2at6native12_GLOBAL__N_19NonZeroOpIiEEPKilEENS0_5tupleIJPlS6_EEENSN_IJSD_SD_EEES6_PiJS6_EEE10hipError_tPvRmT3_T4_T5_T6_T7_T9_mT8_P12ihipStream_tbDpT10_ENKUlT_T0_E_clISt17integral_constantIbLb1EES1A_IbLb0EEEEDaS16_S17_EUlS16_E_NS1_11comp_targetILNS1_3genE0ELNS1_11target_archE4294967295ELNS1_3gpuE0ELNS1_3repE0EEENS1_30default_config_static_selectorELNS0_4arch9wavefront6targetE0EEEvT1_
                                        ; -- End function
	.set _ZN7rocprim17ROCPRIM_400000_NS6detail17trampoline_kernelINS0_14default_configENS1_25partition_config_selectorILNS1_17partition_subalgoE5ElNS0_10empty_typeEbEEZZNS1_14partition_implILS5_5ELb0ES3_mN6hipcub16HIPCUB_304000_NS21CountingInputIteratorIllEEPS6_NSA_22TransformInputIteratorIbN2at6native12_GLOBAL__N_19NonZeroOpIiEEPKilEENS0_5tupleIJPlS6_EEENSN_IJSD_SD_EEES6_PiJS6_EEE10hipError_tPvRmT3_T4_T5_T6_T7_T9_mT8_P12ihipStream_tbDpT10_ENKUlT_T0_E_clISt17integral_constantIbLb1EES1A_IbLb0EEEEDaS16_S17_EUlS16_E_NS1_11comp_targetILNS1_3genE0ELNS1_11target_archE4294967295ELNS1_3gpuE0ELNS1_3repE0EEENS1_30default_config_static_selectorELNS0_4arch9wavefront6targetE0EEEvT1_.num_vgpr, 0
	.set _ZN7rocprim17ROCPRIM_400000_NS6detail17trampoline_kernelINS0_14default_configENS1_25partition_config_selectorILNS1_17partition_subalgoE5ElNS0_10empty_typeEbEEZZNS1_14partition_implILS5_5ELb0ES3_mN6hipcub16HIPCUB_304000_NS21CountingInputIteratorIllEEPS6_NSA_22TransformInputIteratorIbN2at6native12_GLOBAL__N_19NonZeroOpIiEEPKilEENS0_5tupleIJPlS6_EEENSN_IJSD_SD_EEES6_PiJS6_EEE10hipError_tPvRmT3_T4_T5_T6_T7_T9_mT8_P12ihipStream_tbDpT10_ENKUlT_T0_E_clISt17integral_constantIbLb1EES1A_IbLb0EEEEDaS16_S17_EUlS16_E_NS1_11comp_targetILNS1_3genE0ELNS1_11target_archE4294967295ELNS1_3gpuE0ELNS1_3repE0EEENS1_30default_config_static_selectorELNS0_4arch9wavefront6targetE0EEEvT1_.num_agpr, 0
	.set _ZN7rocprim17ROCPRIM_400000_NS6detail17trampoline_kernelINS0_14default_configENS1_25partition_config_selectorILNS1_17partition_subalgoE5ElNS0_10empty_typeEbEEZZNS1_14partition_implILS5_5ELb0ES3_mN6hipcub16HIPCUB_304000_NS21CountingInputIteratorIllEEPS6_NSA_22TransformInputIteratorIbN2at6native12_GLOBAL__N_19NonZeroOpIiEEPKilEENS0_5tupleIJPlS6_EEENSN_IJSD_SD_EEES6_PiJS6_EEE10hipError_tPvRmT3_T4_T5_T6_T7_T9_mT8_P12ihipStream_tbDpT10_ENKUlT_T0_E_clISt17integral_constantIbLb1EES1A_IbLb0EEEEDaS16_S17_EUlS16_E_NS1_11comp_targetILNS1_3genE0ELNS1_11target_archE4294967295ELNS1_3gpuE0ELNS1_3repE0EEENS1_30default_config_static_selectorELNS0_4arch9wavefront6targetE0EEEvT1_.numbered_sgpr, 0
	.set _ZN7rocprim17ROCPRIM_400000_NS6detail17trampoline_kernelINS0_14default_configENS1_25partition_config_selectorILNS1_17partition_subalgoE5ElNS0_10empty_typeEbEEZZNS1_14partition_implILS5_5ELb0ES3_mN6hipcub16HIPCUB_304000_NS21CountingInputIteratorIllEEPS6_NSA_22TransformInputIteratorIbN2at6native12_GLOBAL__N_19NonZeroOpIiEEPKilEENS0_5tupleIJPlS6_EEENSN_IJSD_SD_EEES6_PiJS6_EEE10hipError_tPvRmT3_T4_T5_T6_T7_T9_mT8_P12ihipStream_tbDpT10_ENKUlT_T0_E_clISt17integral_constantIbLb1EES1A_IbLb0EEEEDaS16_S17_EUlS16_E_NS1_11comp_targetILNS1_3genE0ELNS1_11target_archE4294967295ELNS1_3gpuE0ELNS1_3repE0EEENS1_30default_config_static_selectorELNS0_4arch9wavefront6targetE0EEEvT1_.num_named_barrier, 0
	.set _ZN7rocprim17ROCPRIM_400000_NS6detail17trampoline_kernelINS0_14default_configENS1_25partition_config_selectorILNS1_17partition_subalgoE5ElNS0_10empty_typeEbEEZZNS1_14partition_implILS5_5ELb0ES3_mN6hipcub16HIPCUB_304000_NS21CountingInputIteratorIllEEPS6_NSA_22TransformInputIteratorIbN2at6native12_GLOBAL__N_19NonZeroOpIiEEPKilEENS0_5tupleIJPlS6_EEENSN_IJSD_SD_EEES6_PiJS6_EEE10hipError_tPvRmT3_T4_T5_T6_T7_T9_mT8_P12ihipStream_tbDpT10_ENKUlT_T0_E_clISt17integral_constantIbLb1EES1A_IbLb0EEEEDaS16_S17_EUlS16_E_NS1_11comp_targetILNS1_3genE0ELNS1_11target_archE4294967295ELNS1_3gpuE0ELNS1_3repE0EEENS1_30default_config_static_selectorELNS0_4arch9wavefront6targetE0EEEvT1_.private_seg_size, 0
	.set _ZN7rocprim17ROCPRIM_400000_NS6detail17trampoline_kernelINS0_14default_configENS1_25partition_config_selectorILNS1_17partition_subalgoE5ElNS0_10empty_typeEbEEZZNS1_14partition_implILS5_5ELb0ES3_mN6hipcub16HIPCUB_304000_NS21CountingInputIteratorIllEEPS6_NSA_22TransformInputIteratorIbN2at6native12_GLOBAL__N_19NonZeroOpIiEEPKilEENS0_5tupleIJPlS6_EEENSN_IJSD_SD_EEES6_PiJS6_EEE10hipError_tPvRmT3_T4_T5_T6_T7_T9_mT8_P12ihipStream_tbDpT10_ENKUlT_T0_E_clISt17integral_constantIbLb1EES1A_IbLb0EEEEDaS16_S17_EUlS16_E_NS1_11comp_targetILNS1_3genE0ELNS1_11target_archE4294967295ELNS1_3gpuE0ELNS1_3repE0EEENS1_30default_config_static_selectorELNS0_4arch9wavefront6targetE0EEEvT1_.uses_vcc, 0
	.set _ZN7rocprim17ROCPRIM_400000_NS6detail17trampoline_kernelINS0_14default_configENS1_25partition_config_selectorILNS1_17partition_subalgoE5ElNS0_10empty_typeEbEEZZNS1_14partition_implILS5_5ELb0ES3_mN6hipcub16HIPCUB_304000_NS21CountingInputIteratorIllEEPS6_NSA_22TransformInputIteratorIbN2at6native12_GLOBAL__N_19NonZeroOpIiEEPKilEENS0_5tupleIJPlS6_EEENSN_IJSD_SD_EEES6_PiJS6_EEE10hipError_tPvRmT3_T4_T5_T6_T7_T9_mT8_P12ihipStream_tbDpT10_ENKUlT_T0_E_clISt17integral_constantIbLb1EES1A_IbLb0EEEEDaS16_S17_EUlS16_E_NS1_11comp_targetILNS1_3genE0ELNS1_11target_archE4294967295ELNS1_3gpuE0ELNS1_3repE0EEENS1_30default_config_static_selectorELNS0_4arch9wavefront6targetE0EEEvT1_.uses_flat_scratch, 0
	.set _ZN7rocprim17ROCPRIM_400000_NS6detail17trampoline_kernelINS0_14default_configENS1_25partition_config_selectorILNS1_17partition_subalgoE5ElNS0_10empty_typeEbEEZZNS1_14partition_implILS5_5ELb0ES3_mN6hipcub16HIPCUB_304000_NS21CountingInputIteratorIllEEPS6_NSA_22TransformInputIteratorIbN2at6native12_GLOBAL__N_19NonZeroOpIiEEPKilEENS0_5tupleIJPlS6_EEENSN_IJSD_SD_EEES6_PiJS6_EEE10hipError_tPvRmT3_T4_T5_T6_T7_T9_mT8_P12ihipStream_tbDpT10_ENKUlT_T0_E_clISt17integral_constantIbLb1EES1A_IbLb0EEEEDaS16_S17_EUlS16_E_NS1_11comp_targetILNS1_3genE0ELNS1_11target_archE4294967295ELNS1_3gpuE0ELNS1_3repE0EEENS1_30default_config_static_selectorELNS0_4arch9wavefront6targetE0EEEvT1_.has_dyn_sized_stack, 0
	.set _ZN7rocprim17ROCPRIM_400000_NS6detail17trampoline_kernelINS0_14default_configENS1_25partition_config_selectorILNS1_17partition_subalgoE5ElNS0_10empty_typeEbEEZZNS1_14partition_implILS5_5ELb0ES3_mN6hipcub16HIPCUB_304000_NS21CountingInputIteratorIllEEPS6_NSA_22TransformInputIteratorIbN2at6native12_GLOBAL__N_19NonZeroOpIiEEPKilEENS0_5tupleIJPlS6_EEENSN_IJSD_SD_EEES6_PiJS6_EEE10hipError_tPvRmT3_T4_T5_T6_T7_T9_mT8_P12ihipStream_tbDpT10_ENKUlT_T0_E_clISt17integral_constantIbLb1EES1A_IbLb0EEEEDaS16_S17_EUlS16_E_NS1_11comp_targetILNS1_3genE0ELNS1_11target_archE4294967295ELNS1_3gpuE0ELNS1_3repE0EEENS1_30default_config_static_selectorELNS0_4arch9wavefront6targetE0EEEvT1_.has_recursion, 0
	.set _ZN7rocprim17ROCPRIM_400000_NS6detail17trampoline_kernelINS0_14default_configENS1_25partition_config_selectorILNS1_17partition_subalgoE5ElNS0_10empty_typeEbEEZZNS1_14partition_implILS5_5ELb0ES3_mN6hipcub16HIPCUB_304000_NS21CountingInputIteratorIllEEPS6_NSA_22TransformInputIteratorIbN2at6native12_GLOBAL__N_19NonZeroOpIiEEPKilEENS0_5tupleIJPlS6_EEENSN_IJSD_SD_EEES6_PiJS6_EEE10hipError_tPvRmT3_T4_T5_T6_T7_T9_mT8_P12ihipStream_tbDpT10_ENKUlT_T0_E_clISt17integral_constantIbLb1EES1A_IbLb0EEEEDaS16_S17_EUlS16_E_NS1_11comp_targetILNS1_3genE0ELNS1_11target_archE4294967295ELNS1_3gpuE0ELNS1_3repE0EEENS1_30default_config_static_selectorELNS0_4arch9wavefront6targetE0EEEvT1_.has_indirect_call, 0
	.section	.AMDGPU.csdata,"",@progbits
; Kernel info:
; codeLenInByte = 0
; TotalNumSgprs: 0
; NumVgprs: 0
; ScratchSize: 0
; MemoryBound: 0
; FloatMode: 240
; IeeeMode: 1
; LDSByteSize: 0 bytes/workgroup (compile time only)
; SGPRBlocks: 0
; VGPRBlocks: 0
; NumSGPRsForWavesPerEU: 1
; NumVGPRsForWavesPerEU: 1
; Occupancy: 16
; WaveLimiterHint : 0
; COMPUTE_PGM_RSRC2:SCRATCH_EN: 0
; COMPUTE_PGM_RSRC2:USER_SGPR: 2
; COMPUTE_PGM_RSRC2:TRAP_HANDLER: 0
; COMPUTE_PGM_RSRC2:TGID_X_EN: 1
; COMPUTE_PGM_RSRC2:TGID_Y_EN: 0
; COMPUTE_PGM_RSRC2:TGID_Z_EN: 0
; COMPUTE_PGM_RSRC2:TIDIG_COMP_CNT: 0
	.section	.text._ZN7rocprim17ROCPRIM_400000_NS6detail17trampoline_kernelINS0_14default_configENS1_25partition_config_selectorILNS1_17partition_subalgoE5ElNS0_10empty_typeEbEEZZNS1_14partition_implILS5_5ELb0ES3_mN6hipcub16HIPCUB_304000_NS21CountingInputIteratorIllEEPS6_NSA_22TransformInputIteratorIbN2at6native12_GLOBAL__N_19NonZeroOpIiEEPKilEENS0_5tupleIJPlS6_EEENSN_IJSD_SD_EEES6_PiJS6_EEE10hipError_tPvRmT3_T4_T5_T6_T7_T9_mT8_P12ihipStream_tbDpT10_ENKUlT_T0_E_clISt17integral_constantIbLb1EES1A_IbLb0EEEEDaS16_S17_EUlS16_E_NS1_11comp_targetILNS1_3genE5ELNS1_11target_archE942ELNS1_3gpuE9ELNS1_3repE0EEENS1_30default_config_static_selectorELNS0_4arch9wavefront6targetE0EEEvT1_,"axG",@progbits,_ZN7rocprim17ROCPRIM_400000_NS6detail17trampoline_kernelINS0_14default_configENS1_25partition_config_selectorILNS1_17partition_subalgoE5ElNS0_10empty_typeEbEEZZNS1_14partition_implILS5_5ELb0ES3_mN6hipcub16HIPCUB_304000_NS21CountingInputIteratorIllEEPS6_NSA_22TransformInputIteratorIbN2at6native12_GLOBAL__N_19NonZeroOpIiEEPKilEENS0_5tupleIJPlS6_EEENSN_IJSD_SD_EEES6_PiJS6_EEE10hipError_tPvRmT3_T4_T5_T6_T7_T9_mT8_P12ihipStream_tbDpT10_ENKUlT_T0_E_clISt17integral_constantIbLb1EES1A_IbLb0EEEEDaS16_S17_EUlS16_E_NS1_11comp_targetILNS1_3genE5ELNS1_11target_archE942ELNS1_3gpuE9ELNS1_3repE0EEENS1_30default_config_static_selectorELNS0_4arch9wavefront6targetE0EEEvT1_,comdat
	.globl	_ZN7rocprim17ROCPRIM_400000_NS6detail17trampoline_kernelINS0_14default_configENS1_25partition_config_selectorILNS1_17partition_subalgoE5ElNS0_10empty_typeEbEEZZNS1_14partition_implILS5_5ELb0ES3_mN6hipcub16HIPCUB_304000_NS21CountingInputIteratorIllEEPS6_NSA_22TransformInputIteratorIbN2at6native12_GLOBAL__N_19NonZeroOpIiEEPKilEENS0_5tupleIJPlS6_EEENSN_IJSD_SD_EEES6_PiJS6_EEE10hipError_tPvRmT3_T4_T5_T6_T7_T9_mT8_P12ihipStream_tbDpT10_ENKUlT_T0_E_clISt17integral_constantIbLb1EES1A_IbLb0EEEEDaS16_S17_EUlS16_E_NS1_11comp_targetILNS1_3genE5ELNS1_11target_archE942ELNS1_3gpuE9ELNS1_3repE0EEENS1_30default_config_static_selectorELNS0_4arch9wavefront6targetE0EEEvT1_ ; -- Begin function _ZN7rocprim17ROCPRIM_400000_NS6detail17trampoline_kernelINS0_14default_configENS1_25partition_config_selectorILNS1_17partition_subalgoE5ElNS0_10empty_typeEbEEZZNS1_14partition_implILS5_5ELb0ES3_mN6hipcub16HIPCUB_304000_NS21CountingInputIteratorIllEEPS6_NSA_22TransformInputIteratorIbN2at6native12_GLOBAL__N_19NonZeroOpIiEEPKilEENS0_5tupleIJPlS6_EEENSN_IJSD_SD_EEES6_PiJS6_EEE10hipError_tPvRmT3_T4_T5_T6_T7_T9_mT8_P12ihipStream_tbDpT10_ENKUlT_T0_E_clISt17integral_constantIbLb1EES1A_IbLb0EEEEDaS16_S17_EUlS16_E_NS1_11comp_targetILNS1_3genE5ELNS1_11target_archE942ELNS1_3gpuE9ELNS1_3repE0EEENS1_30default_config_static_selectorELNS0_4arch9wavefront6targetE0EEEvT1_
	.p2align	8
	.type	_ZN7rocprim17ROCPRIM_400000_NS6detail17trampoline_kernelINS0_14default_configENS1_25partition_config_selectorILNS1_17partition_subalgoE5ElNS0_10empty_typeEbEEZZNS1_14partition_implILS5_5ELb0ES3_mN6hipcub16HIPCUB_304000_NS21CountingInputIteratorIllEEPS6_NSA_22TransformInputIteratorIbN2at6native12_GLOBAL__N_19NonZeroOpIiEEPKilEENS0_5tupleIJPlS6_EEENSN_IJSD_SD_EEES6_PiJS6_EEE10hipError_tPvRmT3_T4_T5_T6_T7_T9_mT8_P12ihipStream_tbDpT10_ENKUlT_T0_E_clISt17integral_constantIbLb1EES1A_IbLb0EEEEDaS16_S17_EUlS16_E_NS1_11comp_targetILNS1_3genE5ELNS1_11target_archE942ELNS1_3gpuE9ELNS1_3repE0EEENS1_30default_config_static_selectorELNS0_4arch9wavefront6targetE0EEEvT1_,@function
_ZN7rocprim17ROCPRIM_400000_NS6detail17trampoline_kernelINS0_14default_configENS1_25partition_config_selectorILNS1_17partition_subalgoE5ElNS0_10empty_typeEbEEZZNS1_14partition_implILS5_5ELb0ES3_mN6hipcub16HIPCUB_304000_NS21CountingInputIteratorIllEEPS6_NSA_22TransformInputIteratorIbN2at6native12_GLOBAL__N_19NonZeroOpIiEEPKilEENS0_5tupleIJPlS6_EEENSN_IJSD_SD_EEES6_PiJS6_EEE10hipError_tPvRmT3_T4_T5_T6_T7_T9_mT8_P12ihipStream_tbDpT10_ENKUlT_T0_E_clISt17integral_constantIbLb1EES1A_IbLb0EEEEDaS16_S17_EUlS16_E_NS1_11comp_targetILNS1_3genE5ELNS1_11target_archE942ELNS1_3gpuE9ELNS1_3repE0EEENS1_30default_config_static_selectorELNS0_4arch9wavefront6targetE0EEEvT1_: ; @_ZN7rocprim17ROCPRIM_400000_NS6detail17trampoline_kernelINS0_14default_configENS1_25partition_config_selectorILNS1_17partition_subalgoE5ElNS0_10empty_typeEbEEZZNS1_14partition_implILS5_5ELb0ES3_mN6hipcub16HIPCUB_304000_NS21CountingInputIteratorIllEEPS6_NSA_22TransformInputIteratorIbN2at6native12_GLOBAL__N_19NonZeroOpIiEEPKilEENS0_5tupleIJPlS6_EEENSN_IJSD_SD_EEES6_PiJS6_EEE10hipError_tPvRmT3_T4_T5_T6_T7_T9_mT8_P12ihipStream_tbDpT10_ENKUlT_T0_E_clISt17integral_constantIbLb1EES1A_IbLb0EEEEDaS16_S17_EUlS16_E_NS1_11comp_targetILNS1_3genE5ELNS1_11target_archE942ELNS1_3gpuE9ELNS1_3repE0EEENS1_30default_config_static_selectorELNS0_4arch9wavefront6targetE0EEEvT1_
; %bb.0:
	.section	.rodata,"a",@progbits
	.p2align	6, 0x0
	.amdhsa_kernel _ZN7rocprim17ROCPRIM_400000_NS6detail17trampoline_kernelINS0_14default_configENS1_25partition_config_selectorILNS1_17partition_subalgoE5ElNS0_10empty_typeEbEEZZNS1_14partition_implILS5_5ELb0ES3_mN6hipcub16HIPCUB_304000_NS21CountingInputIteratorIllEEPS6_NSA_22TransformInputIteratorIbN2at6native12_GLOBAL__N_19NonZeroOpIiEEPKilEENS0_5tupleIJPlS6_EEENSN_IJSD_SD_EEES6_PiJS6_EEE10hipError_tPvRmT3_T4_T5_T6_T7_T9_mT8_P12ihipStream_tbDpT10_ENKUlT_T0_E_clISt17integral_constantIbLb1EES1A_IbLb0EEEEDaS16_S17_EUlS16_E_NS1_11comp_targetILNS1_3genE5ELNS1_11target_archE942ELNS1_3gpuE9ELNS1_3repE0EEENS1_30default_config_static_selectorELNS0_4arch9wavefront6targetE0EEEvT1_
		.amdhsa_group_segment_fixed_size 0
		.amdhsa_private_segment_fixed_size 0
		.amdhsa_kernarg_size 120
		.amdhsa_user_sgpr_count 2
		.amdhsa_user_sgpr_dispatch_ptr 0
		.amdhsa_user_sgpr_queue_ptr 0
		.amdhsa_user_sgpr_kernarg_segment_ptr 1
		.amdhsa_user_sgpr_dispatch_id 0
		.amdhsa_user_sgpr_private_segment_size 0
		.amdhsa_wavefront_size32 1
		.amdhsa_uses_dynamic_stack 0
		.amdhsa_enable_private_segment 0
		.amdhsa_system_sgpr_workgroup_id_x 1
		.amdhsa_system_sgpr_workgroup_id_y 0
		.amdhsa_system_sgpr_workgroup_id_z 0
		.amdhsa_system_sgpr_workgroup_info 0
		.amdhsa_system_vgpr_workitem_id 0
		.amdhsa_next_free_vgpr 1
		.amdhsa_next_free_sgpr 1
		.amdhsa_reserve_vcc 0
		.amdhsa_float_round_mode_32 0
		.amdhsa_float_round_mode_16_64 0
		.amdhsa_float_denorm_mode_32 3
		.amdhsa_float_denorm_mode_16_64 3
		.amdhsa_fp16_overflow 0
		.amdhsa_workgroup_processor_mode 1
		.amdhsa_memory_ordered 1
		.amdhsa_forward_progress 1
		.amdhsa_inst_pref_size 0
		.amdhsa_round_robin_scheduling 0
		.amdhsa_exception_fp_ieee_invalid_op 0
		.amdhsa_exception_fp_denorm_src 0
		.amdhsa_exception_fp_ieee_div_zero 0
		.amdhsa_exception_fp_ieee_overflow 0
		.amdhsa_exception_fp_ieee_underflow 0
		.amdhsa_exception_fp_ieee_inexact 0
		.amdhsa_exception_int_div_zero 0
	.end_amdhsa_kernel
	.section	.text._ZN7rocprim17ROCPRIM_400000_NS6detail17trampoline_kernelINS0_14default_configENS1_25partition_config_selectorILNS1_17partition_subalgoE5ElNS0_10empty_typeEbEEZZNS1_14partition_implILS5_5ELb0ES3_mN6hipcub16HIPCUB_304000_NS21CountingInputIteratorIllEEPS6_NSA_22TransformInputIteratorIbN2at6native12_GLOBAL__N_19NonZeroOpIiEEPKilEENS0_5tupleIJPlS6_EEENSN_IJSD_SD_EEES6_PiJS6_EEE10hipError_tPvRmT3_T4_T5_T6_T7_T9_mT8_P12ihipStream_tbDpT10_ENKUlT_T0_E_clISt17integral_constantIbLb1EES1A_IbLb0EEEEDaS16_S17_EUlS16_E_NS1_11comp_targetILNS1_3genE5ELNS1_11target_archE942ELNS1_3gpuE9ELNS1_3repE0EEENS1_30default_config_static_selectorELNS0_4arch9wavefront6targetE0EEEvT1_,"axG",@progbits,_ZN7rocprim17ROCPRIM_400000_NS6detail17trampoline_kernelINS0_14default_configENS1_25partition_config_selectorILNS1_17partition_subalgoE5ElNS0_10empty_typeEbEEZZNS1_14partition_implILS5_5ELb0ES3_mN6hipcub16HIPCUB_304000_NS21CountingInputIteratorIllEEPS6_NSA_22TransformInputIteratorIbN2at6native12_GLOBAL__N_19NonZeroOpIiEEPKilEENS0_5tupleIJPlS6_EEENSN_IJSD_SD_EEES6_PiJS6_EEE10hipError_tPvRmT3_T4_T5_T6_T7_T9_mT8_P12ihipStream_tbDpT10_ENKUlT_T0_E_clISt17integral_constantIbLb1EES1A_IbLb0EEEEDaS16_S17_EUlS16_E_NS1_11comp_targetILNS1_3genE5ELNS1_11target_archE942ELNS1_3gpuE9ELNS1_3repE0EEENS1_30default_config_static_selectorELNS0_4arch9wavefront6targetE0EEEvT1_,comdat
.Lfunc_end203:
	.size	_ZN7rocprim17ROCPRIM_400000_NS6detail17trampoline_kernelINS0_14default_configENS1_25partition_config_selectorILNS1_17partition_subalgoE5ElNS0_10empty_typeEbEEZZNS1_14partition_implILS5_5ELb0ES3_mN6hipcub16HIPCUB_304000_NS21CountingInputIteratorIllEEPS6_NSA_22TransformInputIteratorIbN2at6native12_GLOBAL__N_19NonZeroOpIiEEPKilEENS0_5tupleIJPlS6_EEENSN_IJSD_SD_EEES6_PiJS6_EEE10hipError_tPvRmT3_T4_T5_T6_T7_T9_mT8_P12ihipStream_tbDpT10_ENKUlT_T0_E_clISt17integral_constantIbLb1EES1A_IbLb0EEEEDaS16_S17_EUlS16_E_NS1_11comp_targetILNS1_3genE5ELNS1_11target_archE942ELNS1_3gpuE9ELNS1_3repE0EEENS1_30default_config_static_selectorELNS0_4arch9wavefront6targetE0EEEvT1_, .Lfunc_end203-_ZN7rocprim17ROCPRIM_400000_NS6detail17trampoline_kernelINS0_14default_configENS1_25partition_config_selectorILNS1_17partition_subalgoE5ElNS0_10empty_typeEbEEZZNS1_14partition_implILS5_5ELb0ES3_mN6hipcub16HIPCUB_304000_NS21CountingInputIteratorIllEEPS6_NSA_22TransformInputIteratorIbN2at6native12_GLOBAL__N_19NonZeroOpIiEEPKilEENS0_5tupleIJPlS6_EEENSN_IJSD_SD_EEES6_PiJS6_EEE10hipError_tPvRmT3_T4_T5_T6_T7_T9_mT8_P12ihipStream_tbDpT10_ENKUlT_T0_E_clISt17integral_constantIbLb1EES1A_IbLb0EEEEDaS16_S17_EUlS16_E_NS1_11comp_targetILNS1_3genE5ELNS1_11target_archE942ELNS1_3gpuE9ELNS1_3repE0EEENS1_30default_config_static_selectorELNS0_4arch9wavefront6targetE0EEEvT1_
                                        ; -- End function
	.set _ZN7rocprim17ROCPRIM_400000_NS6detail17trampoline_kernelINS0_14default_configENS1_25partition_config_selectorILNS1_17partition_subalgoE5ElNS0_10empty_typeEbEEZZNS1_14partition_implILS5_5ELb0ES3_mN6hipcub16HIPCUB_304000_NS21CountingInputIteratorIllEEPS6_NSA_22TransformInputIteratorIbN2at6native12_GLOBAL__N_19NonZeroOpIiEEPKilEENS0_5tupleIJPlS6_EEENSN_IJSD_SD_EEES6_PiJS6_EEE10hipError_tPvRmT3_T4_T5_T6_T7_T9_mT8_P12ihipStream_tbDpT10_ENKUlT_T0_E_clISt17integral_constantIbLb1EES1A_IbLb0EEEEDaS16_S17_EUlS16_E_NS1_11comp_targetILNS1_3genE5ELNS1_11target_archE942ELNS1_3gpuE9ELNS1_3repE0EEENS1_30default_config_static_selectorELNS0_4arch9wavefront6targetE0EEEvT1_.num_vgpr, 0
	.set _ZN7rocprim17ROCPRIM_400000_NS6detail17trampoline_kernelINS0_14default_configENS1_25partition_config_selectorILNS1_17partition_subalgoE5ElNS0_10empty_typeEbEEZZNS1_14partition_implILS5_5ELb0ES3_mN6hipcub16HIPCUB_304000_NS21CountingInputIteratorIllEEPS6_NSA_22TransformInputIteratorIbN2at6native12_GLOBAL__N_19NonZeroOpIiEEPKilEENS0_5tupleIJPlS6_EEENSN_IJSD_SD_EEES6_PiJS6_EEE10hipError_tPvRmT3_T4_T5_T6_T7_T9_mT8_P12ihipStream_tbDpT10_ENKUlT_T0_E_clISt17integral_constantIbLb1EES1A_IbLb0EEEEDaS16_S17_EUlS16_E_NS1_11comp_targetILNS1_3genE5ELNS1_11target_archE942ELNS1_3gpuE9ELNS1_3repE0EEENS1_30default_config_static_selectorELNS0_4arch9wavefront6targetE0EEEvT1_.num_agpr, 0
	.set _ZN7rocprim17ROCPRIM_400000_NS6detail17trampoline_kernelINS0_14default_configENS1_25partition_config_selectorILNS1_17partition_subalgoE5ElNS0_10empty_typeEbEEZZNS1_14partition_implILS5_5ELb0ES3_mN6hipcub16HIPCUB_304000_NS21CountingInputIteratorIllEEPS6_NSA_22TransformInputIteratorIbN2at6native12_GLOBAL__N_19NonZeroOpIiEEPKilEENS0_5tupleIJPlS6_EEENSN_IJSD_SD_EEES6_PiJS6_EEE10hipError_tPvRmT3_T4_T5_T6_T7_T9_mT8_P12ihipStream_tbDpT10_ENKUlT_T0_E_clISt17integral_constantIbLb1EES1A_IbLb0EEEEDaS16_S17_EUlS16_E_NS1_11comp_targetILNS1_3genE5ELNS1_11target_archE942ELNS1_3gpuE9ELNS1_3repE0EEENS1_30default_config_static_selectorELNS0_4arch9wavefront6targetE0EEEvT1_.numbered_sgpr, 0
	.set _ZN7rocprim17ROCPRIM_400000_NS6detail17trampoline_kernelINS0_14default_configENS1_25partition_config_selectorILNS1_17partition_subalgoE5ElNS0_10empty_typeEbEEZZNS1_14partition_implILS5_5ELb0ES3_mN6hipcub16HIPCUB_304000_NS21CountingInputIteratorIllEEPS6_NSA_22TransformInputIteratorIbN2at6native12_GLOBAL__N_19NonZeroOpIiEEPKilEENS0_5tupleIJPlS6_EEENSN_IJSD_SD_EEES6_PiJS6_EEE10hipError_tPvRmT3_T4_T5_T6_T7_T9_mT8_P12ihipStream_tbDpT10_ENKUlT_T0_E_clISt17integral_constantIbLb1EES1A_IbLb0EEEEDaS16_S17_EUlS16_E_NS1_11comp_targetILNS1_3genE5ELNS1_11target_archE942ELNS1_3gpuE9ELNS1_3repE0EEENS1_30default_config_static_selectorELNS0_4arch9wavefront6targetE0EEEvT1_.num_named_barrier, 0
	.set _ZN7rocprim17ROCPRIM_400000_NS6detail17trampoline_kernelINS0_14default_configENS1_25partition_config_selectorILNS1_17partition_subalgoE5ElNS0_10empty_typeEbEEZZNS1_14partition_implILS5_5ELb0ES3_mN6hipcub16HIPCUB_304000_NS21CountingInputIteratorIllEEPS6_NSA_22TransformInputIteratorIbN2at6native12_GLOBAL__N_19NonZeroOpIiEEPKilEENS0_5tupleIJPlS6_EEENSN_IJSD_SD_EEES6_PiJS6_EEE10hipError_tPvRmT3_T4_T5_T6_T7_T9_mT8_P12ihipStream_tbDpT10_ENKUlT_T0_E_clISt17integral_constantIbLb1EES1A_IbLb0EEEEDaS16_S17_EUlS16_E_NS1_11comp_targetILNS1_3genE5ELNS1_11target_archE942ELNS1_3gpuE9ELNS1_3repE0EEENS1_30default_config_static_selectorELNS0_4arch9wavefront6targetE0EEEvT1_.private_seg_size, 0
	.set _ZN7rocprim17ROCPRIM_400000_NS6detail17trampoline_kernelINS0_14default_configENS1_25partition_config_selectorILNS1_17partition_subalgoE5ElNS0_10empty_typeEbEEZZNS1_14partition_implILS5_5ELb0ES3_mN6hipcub16HIPCUB_304000_NS21CountingInputIteratorIllEEPS6_NSA_22TransformInputIteratorIbN2at6native12_GLOBAL__N_19NonZeroOpIiEEPKilEENS0_5tupleIJPlS6_EEENSN_IJSD_SD_EEES6_PiJS6_EEE10hipError_tPvRmT3_T4_T5_T6_T7_T9_mT8_P12ihipStream_tbDpT10_ENKUlT_T0_E_clISt17integral_constantIbLb1EES1A_IbLb0EEEEDaS16_S17_EUlS16_E_NS1_11comp_targetILNS1_3genE5ELNS1_11target_archE942ELNS1_3gpuE9ELNS1_3repE0EEENS1_30default_config_static_selectorELNS0_4arch9wavefront6targetE0EEEvT1_.uses_vcc, 0
	.set _ZN7rocprim17ROCPRIM_400000_NS6detail17trampoline_kernelINS0_14default_configENS1_25partition_config_selectorILNS1_17partition_subalgoE5ElNS0_10empty_typeEbEEZZNS1_14partition_implILS5_5ELb0ES3_mN6hipcub16HIPCUB_304000_NS21CountingInputIteratorIllEEPS6_NSA_22TransformInputIteratorIbN2at6native12_GLOBAL__N_19NonZeroOpIiEEPKilEENS0_5tupleIJPlS6_EEENSN_IJSD_SD_EEES6_PiJS6_EEE10hipError_tPvRmT3_T4_T5_T6_T7_T9_mT8_P12ihipStream_tbDpT10_ENKUlT_T0_E_clISt17integral_constantIbLb1EES1A_IbLb0EEEEDaS16_S17_EUlS16_E_NS1_11comp_targetILNS1_3genE5ELNS1_11target_archE942ELNS1_3gpuE9ELNS1_3repE0EEENS1_30default_config_static_selectorELNS0_4arch9wavefront6targetE0EEEvT1_.uses_flat_scratch, 0
	.set _ZN7rocprim17ROCPRIM_400000_NS6detail17trampoline_kernelINS0_14default_configENS1_25partition_config_selectorILNS1_17partition_subalgoE5ElNS0_10empty_typeEbEEZZNS1_14partition_implILS5_5ELb0ES3_mN6hipcub16HIPCUB_304000_NS21CountingInputIteratorIllEEPS6_NSA_22TransformInputIteratorIbN2at6native12_GLOBAL__N_19NonZeroOpIiEEPKilEENS0_5tupleIJPlS6_EEENSN_IJSD_SD_EEES6_PiJS6_EEE10hipError_tPvRmT3_T4_T5_T6_T7_T9_mT8_P12ihipStream_tbDpT10_ENKUlT_T0_E_clISt17integral_constantIbLb1EES1A_IbLb0EEEEDaS16_S17_EUlS16_E_NS1_11comp_targetILNS1_3genE5ELNS1_11target_archE942ELNS1_3gpuE9ELNS1_3repE0EEENS1_30default_config_static_selectorELNS0_4arch9wavefront6targetE0EEEvT1_.has_dyn_sized_stack, 0
	.set _ZN7rocprim17ROCPRIM_400000_NS6detail17trampoline_kernelINS0_14default_configENS1_25partition_config_selectorILNS1_17partition_subalgoE5ElNS0_10empty_typeEbEEZZNS1_14partition_implILS5_5ELb0ES3_mN6hipcub16HIPCUB_304000_NS21CountingInputIteratorIllEEPS6_NSA_22TransformInputIteratorIbN2at6native12_GLOBAL__N_19NonZeroOpIiEEPKilEENS0_5tupleIJPlS6_EEENSN_IJSD_SD_EEES6_PiJS6_EEE10hipError_tPvRmT3_T4_T5_T6_T7_T9_mT8_P12ihipStream_tbDpT10_ENKUlT_T0_E_clISt17integral_constantIbLb1EES1A_IbLb0EEEEDaS16_S17_EUlS16_E_NS1_11comp_targetILNS1_3genE5ELNS1_11target_archE942ELNS1_3gpuE9ELNS1_3repE0EEENS1_30default_config_static_selectorELNS0_4arch9wavefront6targetE0EEEvT1_.has_recursion, 0
	.set _ZN7rocprim17ROCPRIM_400000_NS6detail17trampoline_kernelINS0_14default_configENS1_25partition_config_selectorILNS1_17partition_subalgoE5ElNS0_10empty_typeEbEEZZNS1_14partition_implILS5_5ELb0ES3_mN6hipcub16HIPCUB_304000_NS21CountingInputIteratorIllEEPS6_NSA_22TransformInputIteratorIbN2at6native12_GLOBAL__N_19NonZeroOpIiEEPKilEENS0_5tupleIJPlS6_EEENSN_IJSD_SD_EEES6_PiJS6_EEE10hipError_tPvRmT3_T4_T5_T6_T7_T9_mT8_P12ihipStream_tbDpT10_ENKUlT_T0_E_clISt17integral_constantIbLb1EES1A_IbLb0EEEEDaS16_S17_EUlS16_E_NS1_11comp_targetILNS1_3genE5ELNS1_11target_archE942ELNS1_3gpuE9ELNS1_3repE0EEENS1_30default_config_static_selectorELNS0_4arch9wavefront6targetE0EEEvT1_.has_indirect_call, 0
	.section	.AMDGPU.csdata,"",@progbits
; Kernel info:
; codeLenInByte = 0
; TotalNumSgprs: 0
; NumVgprs: 0
; ScratchSize: 0
; MemoryBound: 0
; FloatMode: 240
; IeeeMode: 1
; LDSByteSize: 0 bytes/workgroup (compile time only)
; SGPRBlocks: 0
; VGPRBlocks: 0
; NumSGPRsForWavesPerEU: 1
; NumVGPRsForWavesPerEU: 1
; Occupancy: 16
; WaveLimiterHint : 0
; COMPUTE_PGM_RSRC2:SCRATCH_EN: 0
; COMPUTE_PGM_RSRC2:USER_SGPR: 2
; COMPUTE_PGM_RSRC2:TRAP_HANDLER: 0
; COMPUTE_PGM_RSRC2:TGID_X_EN: 1
; COMPUTE_PGM_RSRC2:TGID_Y_EN: 0
; COMPUTE_PGM_RSRC2:TGID_Z_EN: 0
; COMPUTE_PGM_RSRC2:TIDIG_COMP_CNT: 0
	.section	.text._ZN7rocprim17ROCPRIM_400000_NS6detail17trampoline_kernelINS0_14default_configENS1_25partition_config_selectorILNS1_17partition_subalgoE5ElNS0_10empty_typeEbEEZZNS1_14partition_implILS5_5ELb0ES3_mN6hipcub16HIPCUB_304000_NS21CountingInputIteratorIllEEPS6_NSA_22TransformInputIteratorIbN2at6native12_GLOBAL__N_19NonZeroOpIiEEPKilEENS0_5tupleIJPlS6_EEENSN_IJSD_SD_EEES6_PiJS6_EEE10hipError_tPvRmT3_T4_T5_T6_T7_T9_mT8_P12ihipStream_tbDpT10_ENKUlT_T0_E_clISt17integral_constantIbLb1EES1A_IbLb0EEEEDaS16_S17_EUlS16_E_NS1_11comp_targetILNS1_3genE4ELNS1_11target_archE910ELNS1_3gpuE8ELNS1_3repE0EEENS1_30default_config_static_selectorELNS0_4arch9wavefront6targetE0EEEvT1_,"axG",@progbits,_ZN7rocprim17ROCPRIM_400000_NS6detail17trampoline_kernelINS0_14default_configENS1_25partition_config_selectorILNS1_17partition_subalgoE5ElNS0_10empty_typeEbEEZZNS1_14partition_implILS5_5ELb0ES3_mN6hipcub16HIPCUB_304000_NS21CountingInputIteratorIllEEPS6_NSA_22TransformInputIteratorIbN2at6native12_GLOBAL__N_19NonZeroOpIiEEPKilEENS0_5tupleIJPlS6_EEENSN_IJSD_SD_EEES6_PiJS6_EEE10hipError_tPvRmT3_T4_T5_T6_T7_T9_mT8_P12ihipStream_tbDpT10_ENKUlT_T0_E_clISt17integral_constantIbLb1EES1A_IbLb0EEEEDaS16_S17_EUlS16_E_NS1_11comp_targetILNS1_3genE4ELNS1_11target_archE910ELNS1_3gpuE8ELNS1_3repE0EEENS1_30default_config_static_selectorELNS0_4arch9wavefront6targetE0EEEvT1_,comdat
	.globl	_ZN7rocprim17ROCPRIM_400000_NS6detail17trampoline_kernelINS0_14default_configENS1_25partition_config_selectorILNS1_17partition_subalgoE5ElNS0_10empty_typeEbEEZZNS1_14partition_implILS5_5ELb0ES3_mN6hipcub16HIPCUB_304000_NS21CountingInputIteratorIllEEPS6_NSA_22TransformInputIteratorIbN2at6native12_GLOBAL__N_19NonZeroOpIiEEPKilEENS0_5tupleIJPlS6_EEENSN_IJSD_SD_EEES6_PiJS6_EEE10hipError_tPvRmT3_T4_T5_T6_T7_T9_mT8_P12ihipStream_tbDpT10_ENKUlT_T0_E_clISt17integral_constantIbLb1EES1A_IbLb0EEEEDaS16_S17_EUlS16_E_NS1_11comp_targetILNS1_3genE4ELNS1_11target_archE910ELNS1_3gpuE8ELNS1_3repE0EEENS1_30default_config_static_selectorELNS0_4arch9wavefront6targetE0EEEvT1_ ; -- Begin function _ZN7rocprim17ROCPRIM_400000_NS6detail17trampoline_kernelINS0_14default_configENS1_25partition_config_selectorILNS1_17partition_subalgoE5ElNS0_10empty_typeEbEEZZNS1_14partition_implILS5_5ELb0ES3_mN6hipcub16HIPCUB_304000_NS21CountingInputIteratorIllEEPS6_NSA_22TransformInputIteratorIbN2at6native12_GLOBAL__N_19NonZeroOpIiEEPKilEENS0_5tupleIJPlS6_EEENSN_IJSD_SD_EEES6_PiJS6_EEE10hipError_tPvRmT3_T4_T5_T6_T7_T9_mT8_P12ihipStream_tbDpT10_ENKUlT_T0_E_clISt17integral_constantIbLb1EES1A_IbLb0EEEEDaS16_S17_EUlS16_E_NS1_11comp_targetILNS1_3genE4ELNS1_11target_archE910ELNS1_3gpuE8ELNS1_3repE0EEENS1_30default_config_static_selectorELNS0_4arch9wavefront6targetE0EEEvT1_
	.p2align	8
	.type	_ZN7rocprim17ROCPRIM_400000_NS6detail17trampoline_kernelINS0_14default_configENS1_25partition_config_selectorILNS1_17partition_subalgoE5ElNS0_10empty_typeEbEEZZNS1_14partition_implILS5_5ELb0ES3_mN6hipcub16HIPCUB_304000_NS21CountingInputIteratorIllEEPS6_NSA_22TransformInputIteratorIbN2at6native12_GLOBAL__N_19NonZeroOpIiEEPKilEENS0_5tupleIJPlS6_EEENSN_IJSD_SD_EEES6_PiJS6_EEE10hipError_tPvRmT3_T4_T5_T6_T7_T9_mT8_P12ihipStream_tbDpT10_ENKUlT_T0_E_clISt17integral_constantIbLb1EES1A_IbLb0EEEEDaS16_S17_EUlS16_E_NS1_11comp_targetILNS1_3genE4ELNS1_11target_archE910ELNS1_3gpuE8ELNS1_3repE0EEENS1_30default_config_static_selectorELNS0_4arch9wavefront6targetE0EEEvT1_,@function
_ZN7rocprim17ROCPRIM_400000_NS6detail17trampoline_kernelINS0_14default_configENS1_25partition_config_selectorILNS1_17partition_subalgoE5ElNS0_10empty_typeEbEEZZNS1_14partition_implILS5_5ELb0ES3_mN6hipcub16HIPCUB_304000_NS21CountingInputIteratorIllEEPS6_NSA_22TransformInputIteratorIbN2at6native12_GLOBAL__N_19NonZeroOpIiEEPKilEENS0_5tupleIJPlS6_EEENSN_IJSD_SD_EEES6_PiJS6_EEE10hipError_tPvRmT3_T4_T5_T6_T7_T9_mT8_P12ihipStream_tbDpT10_ENKUlT_T0_E_clISt17integral_constantIbLb1EES1A_IbLb0EEEEDaS16_S17_EUlS16_E_NS1_11comp_targetILNS1_3genE4ELNS1_11target_archE910ELNS1_3gpuE8ELNS1_3repE0EEENS1_30default_config_static_selectorELNS0_4arch9wavefront6targetE0EEEvT1_: ; @_ZN7rocprim17ROCPRIM_400000_NS6detail17trampoline_kernelINS0_14default_configENS1_25partition_config_selectorILNS1_17partition_subalgoE5ElNS0_10empty_typeEbEEZZNS1_14partition_implILS5_5ELb0ES3_mN6hipcub16HIPCUB_304000_NS21CountingInputIteratorIllEEPS6_NSA_22TransformInputIteratorIbN2at6native12_GLOBAL__N_19NonZeroOpIiEEPKilEENS0_5tupleIJPlS6_EEENSN_IJSD_SD_EEES6_PiJS6_EEE10hipError_tPvRmT3_T4_T5_T6_T7_T9_mT8_P12ihipStream_tbDpT10_ENKUlT_T0_E_clISt17integral_constantIbLb1EES1A_IbLb0EEEEDaS16_S17_EUlS16_E_NS1_11comp_targetILNS1_3genE4ELNS1_11target_archE910ELNS1_3gpuE8ELNS1_3repE0EEENS1_30default_config_static_selectorELNS0_4arch9wavefront6targetE0EEEvT1_
; %bb.0:
	.section	.rodata,"a",@progbits
	.p2align	6, 0x0
	.amdhsa_kernel _ZN7rocprim17ROCPRIM_400000_NS6detail17trampoline_kernelINS0_14default_configENS1_25partition_config_selectorILNS1_17partition_subalgoE5ElNS0_10empty_typeEbEEZZNS1_14partition_implILS5_5ELb0ES3_mN6hipcub16HIPCUB_304000_NS21CountingInputIteratorIllEEPS6_NSA_22TransformInputIteratorIbN2at6native12_GLOBAL__N_19NonZeroOpIiEEPKilEENS0_5tupleIJPlS6_EEENSN_IJSD_SD_EEES6_PiJS6_EEE10hipError_tPvRmT3_T4_T5_T6_T7_T9_mT8_P12ihipStream_tbDpT10_ENKUlT_T0_E_clISt17integral_constantIbLb1EES1A_IbLb0EEEEDaS16_S17_EUlS16_E_NS1_11comp_targetILNS1_3genE4ELNS1_11target_archE910ELNS1_3gpuE8ELNS1_3repE0EEENS1_30default_config_static_selectorELNS0_4arch9wavefront6targetE0EEEvT1_
		.amdhsa_group_segment_fixed_size 0
		.amdhsa_private_segment_fixed_size 0
		.amdhsa_kernarg_size 120
		.amdhsa_user_sgpr_count 2
		.amdhsa_user_sgpr_dispatch_ptr 0
		.amdhsa_user_sgpr_queue_ptr 0
		.amdhsa_user_sgpr_kernarg_segment_ptr 1
		.amdhsa_user_sgpr_dispatch_id 0
		.amdhsa_user_sgpr_private_segment_size 0
		.amdhsa_wavefront_size32 1
		.amdhsa_uses_dynamic_stack 0
		.amdhsa_enable_private_segment 0
		.amdhsa_system_sgpr_workgroup_id_x 1
		.amdhsa_system_sgpr_workgroup_id_y 0
		.amdhsa_system_sgpr_workgroup_id_z 0
		.amdhsa_system_sgpr_workgroup_info 0
		.amdhsa_system_vgpr_workitem_id 0
		.amdhsa_next_free_vgpr 1
		.amdhsa_next_free_sgpr 1
		.amdhsa_reserve_vcc 0
		.amdhsa_float_round_mode_32 0
		.amdhsa_float_round_mode_16_64 0
		.amdhsa_float_denorm_mode_32 3
		.amdhsa_float_denorm_mode_16_64 3
		.amdhsa_fp16_overflow 0
		.amdhsa_workgroup_processor_mode 1
		.amdhsa_memory_ordered 1
		.amdhsa_forward_progress 1
		.amdhsa_inst_pref_size 0
		.amdhsa_round_robin_scheduling 0
		.amdhsa_exception_fp_ieee_invalid_op 0
		.amdhsa_exception_fp_denorm_src 0
		.amdhsa_exception_fp_ieee_div_zero 0
		.amdhsa_exception_fp_ieee_overflow 0
		.amdhsa_exception_fp_ieee_underflow 0
		.amdhsa_exception_fp_ieee_inexact 0
		.amdhsa_exception_int_div_zero 0
	.end_amdhsa_kernel
	.section	.text._ZN7rocprim17ROCPRIM_400000_NS6detail17trampoline_kernelINS0_14default_configENS1_25partition_config_selectorILNS1_17partition_subalgoE5ElNS0_10empty_typeEbEEZZNS1_14partition_implILS5_5ELb0ES3_mN6hipcub16HIPCUB_304000_NS21CountingInputIteratorIllEEPS6_NSA_22TransformInputIteratorIbN2at6native12_GLOBAL__N_19NonZeroOpIiEEPKilEENS0_5tupleIJPlS6_EEENSN_IJSD_SD_EEES6_PiJS6_EEE10hipError_tPvRmT3_T4_T5_T6_T7_T9_mT8_P12ihipStream_tbDpT10_ENKUlT_T0_E_clISt17integral_constantIbLb1EES1A_IbLb0EEEEDaS16_S17_EUlS16_E_NS1_11comp_targetILNS1_3genE4ELNS1_11target_archE910ELNS1_3gpuE8ELNS1_3repE0EEENS1_30default_config_static_selectorELNS0_4arch9wavefront6targetE0EEEvT1_,"axG",@progbits,_ZN7rocprim17ROCPRIM_400000_NS6detail17trampoline_kernelINS0_14default_configENS1_25partition_config_selectorILNS1_17partition_subalgoE5ElNS0_10empty_typeEbEEZZNS1_14partition_implILS5_5ELb0ES3_mN6hipcub16HIPCUB_304000_NS21CountingInputIteratorIllEEPS6_NSA_22TransformInputIteratorIbN2at6native12_GLOBAL__N_19NonZeroOpIiEEPKilEENS0_5tupleIJPlS6_EEENSN_IJSD_SD_EEES6_PiJS6_EEE10hipError_tPvRmT3_T4_T5_T6_T7_T9_mT8_P12ihipStream_tbDpT10_ENKUlT_T0_E_clISt17integral_constantIbLb1EES1A_IbLb0EEEEDaS16_S17_EUlS16_E_NS1_11comp_targetILNS1_3genE4ELNS1_11target_archE910ELNS1_3gpuE8ELNS1_3repE0EEENS1_30default_config_static_selectorELNS0_4arch9wavefront6targetE0EEEvT1_,comdat
.Lfunc_end204:
	.size	_ZN7rocprim17ROCPRIM_400000_NS6detail17trampoline_kernelINS0_14default_configENS1_25partition_config_selectorILNS1_17partition_subalgoE5ElNS0_10empty_typeEbEEZZNS1_14partition_implILS5_5ELb0ES3_mN6hipcub16HIPCUB_304000_NS21CountingInputIteratorIllEEPS6_NSA_22TransformInputIteratorIbN2at6native12_GLOBAL__N_19NonZeroOpIiEEPKilEENS0_5tupleIJPlS6_EEENSN_IJSD_SD_EEES6_PiJS6_EEE10hipError_tPvRmT3_T4_T5_T6_T7_T9_mT8_P12ihipStream_tbDpT10_ENKUlT_T0_E_clISt17integral_constantIbLb1EES1A_IbLb0EEEEDaS16_S17_EUlS16_E_NS1_11comp_targetILNS1_3genE4ELNS1_11target_archE910ELNS1_3gpuE8ELNS1_3repE0EEENS1_30default_config_static_selectorELNS0_4arch9wavefront6targetE0EEEvT1_, .Lfunc_end204-_ZN7rocprim17ROCPRIM_400000_NS6detail17trampoline_kernelINS0_14default_configENS1_25partition_config_selectorILNS1_17partition_subalgoE5ElNS0_10empty_typeEbEEZZNS1_14partition_implILS5_5ELb0ES3_mN6hipcub16HIPCUB_304000_NS21CountingInputIteratorIllEEPS6_NSA_22TransformInputIteratorIbN2at6native12_GLOBAL__N_19NonZeroOpIiEEPKilEENS0_5tupleIJPlS6_EEENSN_IJSD_SD_EEES6_PiJS6_EEE10hipError_tPvRmT3_T4_T5_T6_T7_T9_mT8_P12ihipStream_tbDpT10_ENKUlT_T0_E_clISt17integral_constantIbLb1EES1A_IbLb0EEEEDaS16_S17_EUlS16_E_NS1_11comp_targetILNS1_3genE4ELNS1_11target_archE910ELNS1_3gpuE8ELNS1_3repE0EEENS1_30default_config_static_selectorELNS0_4arch9wavefront6targetE0EEEvT1_
                                        ; -- End function
	.set _ZN7rocprim17ROCPRIM_400000_NS6detail17trampoline_kernelINS0_14default_configENS1_25partition_config_selectorILNS1_17partition_subalgoE5ElNS0_10empty_typeEbEEZZNS1_14partition_implILS5_5ELb0ES3_mN6hipcub16HIPCUB_304000_NS21CountingInputIteratorIllEEPS6_NSA_22TransformInputIteratorIbN2at6native12_GLOBAL__N_19NonZeroOpIiEEPKilEENS0_5tupleIJPlS6_EEENSN_IJSD_SD_EEES6_PiJS6_EEE10hipError_tPvRmT3_T4_T5_T6_T7_T9_mT8_P12ihipStream_tbDpT10_ENKUlT_T0_E_clISt17integral_constantIbLb1EES1A_IbLb0EEEEDaS16_S17_EUlS16_E_NS1_11comp_targetILNS1_3genE4ELNS1_11target_archE910ELNS1_3gpuE8ELNS1_3repE0EEENS1_30default_config_static_selectorELNS0_4arch9wavefront6targetE0EEEvT1_.num_vgpr, 0
	.set _ZN7rocprim17ROCPRIM_400000_NS6detail17trampoline_kernelINS0_14default_configENS1_25partition_config_selectorILNS1_17partition_subalgoE5ElNS0_10empty_typeEbEEZZNS1_14partition_implILS5_5ELb0ES3_mN6hipcub16HIPCUB_304000_NS21CountingInputIteratorIllEEPS6_NSA_22TransformInputIteratorIbN2at6native12_GLOBAL__N_19NonZeroOpIiEEPKilEENS0_5tupleIJPlS6_EEENSN_IJSD_SD_EEES6_PiJS6_EEE10hipError_tPvRmT3_T4_T5_T6_T7_T9_mT8_P12ihipStream_tbDpT10_ENKUlT_T0_E_clISt17integral_constantIbLb1EES1A_IbLb0EEEEDaS16_S17_EUlS16_E_NS1_11comp_targetILNS1_3genE4ELNS1_11target_archE910ELNS1_3gpuE8ELNS1_3repE0EEENS1_30default_config_static_selectorELNS0_4arch9wavefront6targetE0EEEvT1_.num_agpr, 0
	.set _ZN7rocprim17ROCPRIM_400000_NS6detail17trampoline_kernelINS0_14default_configENS1_25partition_config_selectorILNS1_17partition_subalgoE5ElNS0_10empty_typeEbEEZZNS1_14partition_implILS5_5ELb0ES3_mN6hipcub16HIPCUB_304000_NS21CountingInputIteratorIllEEPS6_NSA_22TransformInputIteratorIbN2at6native12_GLOBAL__N_19NonZeroOpIiEEPKilEENS0_5tupleIJPlS6_EEENSN_IJSD_SD_EEES6_PiJS6_EEE10hipError_tPvRmT3_T4_T5_T6_T7_T9_mT8_P12ihipStream_tbDpT10_ENKUlT_T0_E_clISt17integral_constantIbLb1EES1A_IbLb0EEEEDaS16_S17_EUlS16_E_NS1_11comp_targetILNS1_3genE4ELNS1_11target_archE910ELNS1_3gpuE8ELNS1_3repE0EEENS1_30default_config_static_selectorELNS0_4arch9wavefront6targetE0EEEvT1_.numbered_sgpr, 0
	.set _ZN7rocprim17ROCPRIM_400000_NS6detail17trampoline_kernelINS0_14default_configENS1_25partition_config_selectorILNS1_17partition_subalgoE5ElNS0_10empty_typeEbEEZZNS1_14partition_implILS5_5ELb0ES3_mN6hipcub16HIPCUB_304000_NS21CountingInputIteratorIllEEPS6_NSA_22TransformInputIteratorIbN2at6native12_GLOBAL__N_19NonZeroOpIiEEPKilEENS0_5tupleIJPlS6_EEENSN_IJSD_SD_EEES6_PiJS6_EEE10hipError_tPvRmT3_T4_T5_T6_T7_T9_mT8_P12ihipStream_tbDpT10_ENKUlT_T0_E_clISt17integral_constantIbLb1EES1A_IbLb0EEEEDaS16_S17_EUlS16_E_NS1_11comp_targetILNS1_3genE4ELNS1_11target_archE910ELNS1_3gpuE8ELNS1_3repE0EEENS1_30default_config_static_selectorELNS0_4arch9wavefront6targetE0EEEvT1_.num_named_barrier, 0
	.set _ZN7rocprim17ROCPRIM_400000_NS6detail17trampoline_kernelINS0_14default_configENS1_25partition_config_selectorILNS1_17partition_subalgoE5ElNS0_10empty_typeEbEEZZNS1_14partition_implILS5_5ELb0ES3_mN6hipcub16HIPCUB_304000_NS21CountingInputIteratorIllEEPS6_NSA_22TransformInputIteratorIbN2at6native12_GLOBAL__N_19NonZeroOpIiEEPKilEENS0_5tupleIJPlS6_EEENSN_IJSD_SD_EEES6_PiJS6_EEE10hipError_tPvRmT3_T4_T5_T6_T7_T9_mT8_P12ihipStream_tbDpT10_ENKUlT_T0_E_clISt17integral_constantIbLb1EES1A_IbLb0EEEEDaS16_S17_EUlS16_E_NS1_11comp_targetILNS1_3genE4ELNS1_11target_archE910ELNS1_3gpuE8ELNS1_3repE0EEENS1_30default_config_static_selectorELNS0_4arch9wavefront6targetE0EEEvT1_.private_seg_size, 0
	.set _ZN7rocprim17ROCPRIM_400000_NS6detail17trampoline_kernelINS0_14default_configENS1_25partition_config_selectorILNS1_17partition_subalgoE5ElNS0_10empty_typeEbEEZZNS1_14partition_implILS5_5ELb0ES3_mN6hipcub16HIPCUB_304000_NS21CountingInputIteratorIllEEPS6_NSA_22TransformInputIteratorIbN2at6native12_GLOBAL__N_19NonZeroOpIiEEPKilEENS0_5tupleIJPlS6_EEENSN_IJSD_SD_EEES6_PiJS6_EEE10hipError_tPvRmT3_T4_T5_T6_T7_T9_mT8_P12ihipStream_tbDpT10_ENKUlT_T0_E_clISt17integral_constantIbLb1EES1A_IbLb0EEEEDaS16_S17_EUlS16_E_NS1_11comp_targetILNS1_3genE4ELNS1_11target_archE910ELNS1_3gpuE8ELNS1_3repE0EEENS1_30default_config_static_selectorELNS0_4arch9wavefront6targetE0EEEvT1_.uses_vcc, 0
	.set _ZN7rocprim17ROCPRIM_400000_NS6detail17trampoline_kernelINS0_14default_configENS1_25partition_config_selectorILNS1_17partition_subalgoE5ElNS0_10empty_typeEbEEZZNS1_14partition_implILS5_5ELb0ES3_mN6hipcub16HIPCUB_304000_NS21CountingInputIteratorIllEEPS6_NSA_22TransformInputIteratorIbN2at6native12_GLOBAL__N_19NonZeroOpIiEEPKilEENS0_5tupleIJPlS6_EEENSN_IJSD_SD_EEES6_PiJS6_EEE10hipError_tPvRmT3_T4_T5_T6_T7_T9_mT8_P12ihipStream_tbDpT10_ENKUlT_T0_E_clISt17integral_constantIbLb1EES1A_IbLb0EEEEDaS16_S17_EUlS16_E_NS1_11comp_targetILNS1_3genE4ELNS1_11target_archE910ELNS1_3gpuE8ELNS1_3repE0EEENS1_30default_config_static_selectorELNS0_4arch9wavefront6targetE0EEEvT1_.uses_flat_scratch, 0
	.set _ZN7rocprim17ROCPRIM_400000_NS6detail17trampoline_kernelINS0_14default_configENS1_25partition_config_selectorILNS1_17partition_subalgoE5ElNS0_10empty_typeEbEEZZNS1_14partition_implILS5_5ELb0ES3_mN6hipcub16HIPCUB_304000_NS21CountingInputIteratorIllEEPS6_NSA_22TransformInputIteratorIbN2at6native12_GLOBAL__N_19NonZeroOpIiEEPKilEENS0_5tupleIJPlS6_EEENSN_IJSD_SD_EEES6_PiJS6_EEE10hipError_tPvRmT3_T4_T5_T6_T7_T9_mT8_P12ihipStream_tbDpT10_ENKUlT_T0_E_clISt17integral_constantIbLb1EES1A_IbLb0EEEEDaS16_S17_EUlS16_E_NS1_11comp_targetILNS1_3genE4ELNS1_11target_archE910ELNS1_3gpuE8ELNS1_3repE0EEENS1_30default_config_static_selectorELNS0_4arch9wavefront6targetE0EEEvT1_.has_dyn_sized_stack, 0
	.set _ZN7rocprim17ROCPRIM_400000_NS6detail17trampoline_kernelINS0_14default_configENS1_25partition_config_selectorILNS1_17partition_subalgoE5ElNS0_10empty_typeEbEEZZNS1_14partition_implILS5_5ELb0ES3_mN6hipcub16HIPCUB_304000_NS21CountingInputIteratorIllEEPS6_NSA_22TransformInputIteratorIbN2at6native12_GLOBAL__N_19NonZeroOpIiEEPKilEENS0_5tupleIJPlS6_EEENSN_IJSD_SD_EEES6_PiJS6_EEE10hipError_tPvRmT3_T4_T5_T6_T7_T9_mT8_P12ihipStream_tbDpT10_ENKUlT_T0_E_clISt17integral_constantIbLb1EES1A_IbLb0EEEEDaS16_S17_EUlS16_E_NS1_11comp_targetILNS1_3genE4ELNS1_11target_archE910ELNS1_3gpuE8ELNS1_3repE0EEENS1_30default_config_static_selectorELNS0_4arch9wavefront6targetE0EEEvT1_.has_recursion, 0
	.set _ZN7rocprim17ROCPRIM_400000_NS6detail17trampoline_kernelINS0_14default_configENS1_25partition_config_selectorILNS1_17partition_subalgoE5ElNS0_10empty_typeEbEEZZNS1_14partition_implILS5_5ELb0ES3_mN6hipcub16HIPCUB_304000_NS21CountingInputIteratorIllEEPS6_NSA_22TransformInputIteratorIbN2at6native12_GLOBAL__N_19NonZeroOpIiEEPKilEENS0_5tupleIJPlS6_EEENSN_IJSD_SD_EEES6_PiJS6_EEE10hipError_tPvRmT3_T4_T5_T6_T7_T9_mT8_P12ihipStream_tbDpT10_ENKUlT_T0_E_clISt17integral_constantIbLb1EES1A_IbLb0EEEEDaS16_S17_EUlS16_E_NS1_11comp_targetILNS1_3genE4ELNS1_11target_archE910ELNS1_3gpuE8ELNS1_3repE0EEENS1_30default_config_static_selectorELNS0_4arch9wavefront6targetE0EEEvT1_.has_indirect_call, 0
	.section	.AMDGPU.csdata,"",@progbits
; Kernel info:
; codeLenInByte = 0
; TotalNumSgprs: 0
; NumVgprs: 0
; ScratchSize: 0
; MemoryBound: 0
; FloatMode: 240
; IeeeMode: 1
; LDSByteSize: 0 bytes/workgroup (compile time only)
; SGPRBlocks: 0
; VGPRBlocks: 0
; NumSGPRsForWavesPerEU: 1
; NumVGPRsForWavesPerEU: 1
; Occupancy: 16
; WaveLimiterHint : 0
; COMPUTE_PGM_RSRC2:SCRATCH_EN: 0
; COMPUTE_PGM_RSRC2:USER_SGPR: 2
; COMPUTE_PGM_RSRC2:TRAP_HANDLER: 0
; COMPUTE_PGM_RSRC2:TGID_X_EN: 1
; COMPUTE_PGM_RSRC2:TGID_Y_EN: 0
; COMPUTE_PGM_RSRC2:TGID_Z_EN: 0
; COMPUTE_PGM_RSRC2:TIDIG_COMP_CNT: 0
	.section	.text._ZN7rocprim17ROCPRIM_400000_NS6detail17trampoline_kernelINS0_14default_configENS1_25partition_config_selectorILNS1_17partition_subalgoE5ElNS0_10empty_typeEbEEZZNS1_14partition_implILS5_5ELb0ES3_mN6hipcub16HIPCUB_304000_NS21CountingInputIteratorIllEEPS6_NSA_22TransformInputIteratorIbN2at6native12_GLOBAL__N_19NonZeroOpIiEEPKilEENS0_5tupleIJPlS6_EEENSN_IJSD_SD_EEES6_PiJS6_EEE10hipError_tPvRmT3_T4_T5_T6_T7_T9_mT8_P12ihipStream_tbDpT10_ENKUlT_T0_E_clISt17integral_constantIbLb1EES1A_IbLb0EEEEDaS16_S17_EUlS16_E_NS1_11comp_targetILNS1_3genE3ELNS1_11target_archE908ELNS1_3gpuE7ELNS1_3repE0EEENS1_30default_config_static_selectorELNS0_4arch9wavefront6targetE0EEEvT1_,"axG",@progbits,_ZN7rocprim17ROCPRIM_400000_NS6detail17trampoline_kernelINS0_14default_configENS1_25partition_config_selectorILNS1_17partition_subalgoE5ElNS0_10empty_typeEbEEZZNS1_14partition_implILS5_5ELb0ES3_mN6hipcub16HIPCUB_304000_NS21CountingInputIteratorIllEEPS6_NSA_22TransformInputIteratorIbN2at6native12_GLOBAL__N_19NonZeroOpIiEEPKilEENS0_5tupleIJPlS6_EEENSN_IJSD_SD_EEES6_PiJS6_EEE10hipError_tPvRmT3_T4_T5_T6_T7_T9_mT8_P12ihipStream_tbDpT10_ENKUlT_T0_E_clISt17integral_constantIbLb1EES1A_IbLb0EEEEDaS16_S17_EUlS16_E_NS1_11comp_targetILNS1_3genE3ELNS1_11target_archE908ELNS1_3gpuE7ELNS1_3repE0EEENS1_30default_config_static_selectorELNS0_4arch9wavefront6targetE0EEEvT1_,comdat
	.globl	_ZN7rocprim17ROCPRIM_400000_NS6detail17trampoline_kernelINS0_14default_configENS1_25partition_config_selectorILNS1_17partition_subalgoE5ElNS0_10empty_typeEbEEZZNS1_14partition_implILS5_5ELb0ES3_mN6hipcub16HIPCUB_304000_NS21CountingInputIteratorIllEEPS6_NSA_22TransformInputIteratorIbN2at6native12_GLOBAL__N_19NonZeroOpIiEEPKilEENS0_5tupleIJPlS6_EEENSN_IJSD_SD_EEES6_PiJS6_EEE10hipError_tPvRmT3_T4_T5_T6_T7_T9_mT8_P12ihipStream_tbDpT10_ENKUlT_T0_E_clISt17integral_constantIbLb1EES1A_IbLb0EEEEDaS16_S17_EUlS16_E_NS1_11comp_targetILNS1_3genE3ELNS1_11target_archE908ELNS1_3gpuE7ELNS1_3repE0EEENS1_30default_config_static_selectorELNS0_4arch9wavefront6targetE0EEEvT1_ ; -- Begin function _ZN7rocprim17ROCPRIM_400000_NS6detail17trampoline_kernelINS0_14default_configENS1_25partition_config_selectorILNS1_17partition_subalgoE5ElNS0_10empty_typeEbEEZZNS1_14partition_implILS5_5ELb0ES3_mN6hipcub16HIPCUB_304000_NS21CountingInputIteratorIllEEPS6_NSA_22TransformInputIteratorIbN2at6native12_GLOBAL__N_19NonZeroOpIiEEPKilEENS0_5tupleIJPlS6_EEENSN_IJSD_SD_EEES6_PiJS6_EEE10hipError_tPvRmT3_T4_T5_T6_T7_T9_mT8_P12ihipStream_tbDpT10_ENKUlT_T0_E_clISt17integral_constantIbLb1EES1A_IbLb0EEEEDaS16_S17_EUlS16_E_NS1_11comp_targetILNS1_3genE3ELNS1_11target_archE908ELNS1_3gpuE7ELNS1_3repE0EEENS1_30default_config_static_selectorELNS0_4arch9wavefront6targetE0EEEvT1_
	.p2align	8
	.type	_ZN7rocprim17ROCPRIM_400000_NS6detail17trampoline_kernelINS0_14default_configENS1_25partition_config_selectorILNS1_17partition_subalgoE5ElNS0_10empty_typeEbEEZZNS1_14partition_implILS5_5ELb0ES3_mN6hipcub16HIPCUB_304000_NS21CountingInputIteratorIllEEPS6_NSA_22TransformInputIteratorIbN2at6native12_GLOBAL__N_19NonZeroOpIiEEPKilEENS0_5tupleIJPlS6_EEENSN_IJSD_SD_EEES6_PiJS6_EEE10hipError_tPvRmT3_T4_T5_T6_T7_T9_mT8_P12ihipStream_tbDpT10_ENKUlT_T0_E_clISt17integral_constantIbLb1EES1A_IbLb0EEEEDaS16_S17_EUlS16_E_NS1_11comp_targetILNS1_3genE3ELNS1_11target_archE908ELNS1_3gpuE7ELNS1_3repE0EEENS1_30default_config_static_selectorELNS0_4arch9wavefront6targetE0EEEvT1_,@function
_ZN7rocprim17ROCPRIM_400000_NS6detail17trampoline_kernelINS0_14default_configENS1_25partition_config_selectorILNS1_17partition_subalgoE5ElNS0_10empty_typeEbEEZZNS1_14partition_implILS5_5ELb0ES3_mN6hipcub16HIPCUB_304000_NS21CountingInputIteratorIllEEPS6_NSA_22TransformInputIteratorIbN2at6native12_GLOBAL__N_19NonZeroOpIiEEPKilEENS0_5tupleIJPlS6_EEENSN_IJSD_SD_EEES6_PiJS6_EEE10hipError_tPvRmT3_T4_T5_T6_T7_T9_mT8_P12ihipStream_tbDpT10_ENKUlT_T0_E_clISt17integral_constantIbLb1EES1A_IbLb0EEEEDaS16_S17_EUlS16_E_NS1_11comp_targetILNS1_3genE3ELNS1_11target_archE908ELNS1_3gpuE7ELNS1_3repE0EEENS1_30default_config_static_selectorELNS0_4arch9wavefront6targetE0EEEvT1_: ; @_ZN7rocprim17ROCPRIM_400000_NS6detail17trampoline_kernelINS0_14default_configENS1_25partition_config_selectorILNS1_17partition_subalgoE5ElNS0_10empty_typeEbEEZZNS1_14partition_implILS5_5ELb0ES3_mN6hipcub16HIPCUB_304000_NS21CountingInputIteratorIllEEPS6_NSA_22TransformInputIteratorIbN2at6native12_GLOBAL__N_19NonZeroOpIiEEPKilEENS0_5tupleIJPlS6_EEENSN_IJSD_SD_EEES6_PiJS6_EEE10hipError_tPvRmT3_T4_T5_T6_T7_T9_mT8_P12ihipStream_tbDpT10_ENKUlT_T0_E_clISt17integral_constantIbLb1EES1A_IbLb0EEEEDaS16_S17_EUlS16_E_NS1_11comp_targetILNS1_3genE3ELNS1_11target_archE908ELNS1_3gpuE7ELNS1_3repE0EEENS1_30default_config_static_selectorELNS0_4arch9wavefront6targetE0EEEvT1_
; %bb.0:
	.section	.rodata,"a",@progbits
	.p2align	6, 0x0
	.amdhsa_kernel _ZN7rocprim17ROCPRIM_400000_NS6detail17trampoline_kernelINS0_14default_configENS1_25partition_config_selectorILNS1_17partition_subalgoE5ElNS0_10empty_typeEbEEZZNS1_14partition_implILS5_5ELb0ES3_mN6hipcub16HIPCUB_304000_NS21CountingInputIteratorIllEEPS6_NSA_22TransformInputIteratorIbN2at6native12_GLOBAL__N_19NonZeroOpIiEEPKilEENS0_5tupleIJPlS6_EEENSN_IJSD_SD_EEES6_PiJS6_EEE10hipError_tPvRmT3_T4_T5_T6_T7_T9_mT8_P12ihipStream_tbDpT10_ENKUlT_T0_E_clISt17integral_constantIbLb1EES1A_IbLb0EEEEDaS16_S17_EUlS16_E_NS1_11comp_targetILNS1_3genE3ELNS1_11target_archE908ELNS1_3gpuE7ELNS1_3repE0EEENS1_30default_config_static_selectorELNS0_4arch9wavefront6targetE0EEEvT1_
		.amdhsa_group_segment_fixed_size 0
		.amdhsa_private_segment_fixed_size 0
		.amdhsa_kernarg_size 120
		.amdhsa_user_sgpr_count 2
		.amdhsa_user_sgpr_dispatch_ptr 0
		.amdhsa_user_sgpr_queue_ptr 0
		.amdhsa_user_sgpr_kernarg_segment_ptr 1
		.amdhsa_user_sgpr_dispatch_id 0
		.amdhsa_user_sgpr_private_segment_size 0
		.amdhsa_wavefront_size32 1
		.amdhsa_uses_dynamic_stack 0
		.amdhsa_enable_private_segment 0
		.amdhsa_system_sgpr_workgroup_id_x 1
		.amdhsa_system_sgpr_workgroup_id_y 0
		.amdhsa_system_sgpr_workgroup_id_z 0
		.amdhsa_system_sgpr_workgroup_info 0
		.amdhsa_system_vgpr_workitem_id 0
		.amdhsa_next_free_vgpr 1
		.amdhsa_next_free_sgpr 1
		.amdhsa_reserve_vcc 0
		.amdhsa_float_round_mode_32 0
		.amdhsa_float_round_mode_16_64 0
		.amdhsa_float_denorm_mode_32 3
		.amdhsa_float_denorm_mode_16_64 3
		.amdhsa_fp16_overflow 0
		.amdhsa_workgroup_processor_mode 1
		.amdhsa_memory_ordered 1
		.amdhsa_forward_progress 1
		.amdhsa_inst_pref_size 0
		.amdhsa_round_robin_scheduling 0
		.amdhsa_exception_fp_ieee_invalid_op 0
		.amdhsa_exception_fp_denorm_src 0
		.amdhsa_exception_fp_ieee_div_zero 0
		.amdhsa_exception_fp_ieee_overflow 0
		.amdhsa_exception_fp_ieee_underflow 0
		.amdhsa_exception_fp_ieee_inexact 0
		.amdhsa_exception_int_div_zero 0
	.end_amdhsa_kernel
	.section	.text._ZN7rocprim17ROCPRIM_400000_NS6detail17trampoline_kernelINS0_14default_configENS1_25partition_config_selectorILNS1_17partition_subalgoE5ElNS0_10empty_typeEbEEZZNS1_14partition_implILS5_5ELb0ES3_mN6hipcub16HIPCUB_304000_NS21CountingInputIteratorIllEEPS6_NSA_22TransformInputIteratorIbN2at6native12_GLOBAL__N_19NonZeroOpIiEEPKilEENS0_5tupleIJPlS6_EEENSN_IJSD_SD_EEES6_PiJS6_EEE10hipError_tPvRmT3_T4_T5_T6_T7_T9_mT8_P12ihipStream_tbDpT10_ENKUlT_T0_E_clISt17integral_constantIbLb1EES1A_IbLb0EEEEDaS16_S17_EUlS16_E_NS1_11comp_targetILNS1_3genE3ELNS1_11target_archE908ELNS1_3gpuE7ELNS1_3repE0EEENS1_30default_config_static_selectorELNS0_4arch9wavefront6targetE0EEEvT1_,"axG",@progbits,_ZN7rocprim17ROCPRIM_400000_NS6detail17trampoline_kernelINS0_14default_configENS1_25partition_config_selectorILNS1_17partition_subalgoE5ElNS0_10empty_typeEbEEZZNS1_14partition_implILS5_5ELb0ES3_mN6hipcub16HIPCUB_304000_NS21CountingInputIteratorIllEEPS6_NSA_22TransformInputIteratorIbN2at6native12_GLOBAL__N_19NonZeroOpIiEEPKilEENS0_5tupleIJPlS6_EEENSN_IJSD_SD_EEES6_PiJS6_EEE10hipError_tPvRmT3_T4_T5_T6_T7_T9_mT8_P12ihipStream_tbDpT10_ENKUlT_T0_E_clISt17integral_constantIbLb1EES1A_IbLb0EEEEDaS16_S17_EUlS16_E_NS1_11comp_targetILNS1_3genE3ELNS1_11target_archE908ELNS1_3gpuE7ELNS1_3repE0EEENS1_30default_config_static_selectorELNS0_4arch9wavefront6targetE0EEEvT1_,comdat
.Lfunc_end205:
	.size	_ZN7rocprim17ROCPRIM_400000_NS6detail17trampoline_kernelINS0_14default_configENS1_25partition_config_selectorILNS1_17partition_subalgoE5ElNS0_10empty_typeEbEEZZNS1_14partition_implILS5_5ELb0ES3_mN6hipcub16HIPCUB_304000_NS21CountingInputIteratorIllEEPS6_NSA_22TransformInputIteratorIbN2at6native12_GLOBAL__N_19NonZeroOpIiEEPKilEENS0_5tupleIJPlS6_EEENSN_IJSD_SD_EEES6_PiJS6_EEE10hipError_tPvRmT3_T4_T5_T6_T7_T9_mT8_P12ihipStream_tbDpT10_ENKUlT_T0_E_clISt17integral_constantIbLb1EES1A_IbLb0EEEEDaS16_S17_EUlS16_E_NS1_11comp_targetILNS1_3genE3ELNS1_11target_archE908ELNS1_3gpuE7ELNS1_3repE0EEENS1_30default_config_static_selectorELNS0_4arch9wavefront6targetE0EEEvT1_, .Lfunc_end205-_ZN7rocprim17ROCPRIM_400000_NS6detail17trampoline_kernelINS0_14default_configENS1_25partition_config_selectorILNS1_17partition_subalgoE5ElNS0_10empty_typeEbEEZZNS1_14partition_implILS5_5ELb0ES3_mN6hipcub16HIPCUB_304000_NS21CountingInputIteratorIllEEPS6_NSA_22TransformInputIteratorIbN2at6native12_GLOBAL__N_19NonZeroOpIiEEPKilEENS0_5tupleIJPlS6_EEENSN_IJSD_SD_EEES6_PiJS6_EEE10hipError_tPvRmT3_T4_T5_T6_T7_T9_mT8_P12ihipStream_tbDpT10_ENKUlT_T0_E_clISt17integral_constantIbLb1EES1A_IbLb0EEEEDaS16_S17_EUlS16_E_NS1_11comp_targetILNS1_3genE3ELNS1_11target_archE908ELNS1_3gpuE7ELNS1_3repE0EEENS1_30default_config_static_selectorELNS0_4arch9wavefront6targetE0EEEvT1_
                                        ; -- End function
	.set _ZN7rocprim17ROCPRIM_400000_NS6detail17trampoline_kernelINS0_14default_configENS1_25partition_config_selectorILNS1_17partition_subalgoE5ElNS0_10empty_typeEbEEZZNS1_14partition_implILS5_5ELb0ES3_mN6hipcub16HIPCUB_304000_NS21CountingInputIteratorIllEEPS6_NSA_22TransformInputIteratorIbN2at6native12_GLOBAL__N_19NonZeroOpIiEEPKilEENS0_5tupleIJPlS6_EEENSN_IJSD_SD_EEES6_PiJS6_EEE10hipError_tPvRmT3_T4_T5_T6_T7_T9_mT8_P12ihipStream_tbDpT10_ENKUlT_T0_E_clISt17integral_constantIbLb1EES1A_IbLb0EEEEDaS16_S17_EUlS16_E_NS1_11comp_targetILNS1_3genE3ELNS1_11target_archE908ELNS1_3gpuE7ELNS1_3repE0EEENS1_30default_config_static_selectorELNS0_4arch9wavefront6targetE0EEEvT1_.num_vgpr, 0
	.set _ZN7rocprim17ROCPRIM_400000_NS6detail17trampoline_kernelINS0_14default_configENS1_25partition_config_selectorILNS1_17partition_subalgoE5ElNS0_10empty_typeEbEEZZNS1_14partition_implILS5_5ELb0ES3_mN6hipcub16HIPCUB_304000_NS21CountingInputIteratorIllEEPS6_NSA_22TransformInputIteratorIbN2at6native12_GLOBAL__N_19NonZeroOpIiEEPKilEENS0_5tupleIJPlS6_EEENSN_IJSD_SD_EEES6_PiJS6_EEE10hipError_tPvRmT3_T4_T5_T6_T7_T9_mT8_P12ihipStream_tbDpT10_ENKUlT_T0_E_clISt17integral_constantIbLb1EES1A_IbLb0EEEEDaS16_S17_EUlS16_E_NS1_11comp_targetILNS1_3genE3ELNS1_11target_archE908ELNS1_3gpuE7ELNS1_3repE0EEENS1_30default_config_static_selectorELNS0_4arch9wavefront6targetE0EEEvT1_.num_agpr, 0
	.set _ZN7rocprim17ROCPRIM_400000_NS6detail17trampoline_kernelINS0_14default_configENS1_25partition_config_selectorILNS1_17partition_subalgoE5ElNS0_10empty_typeEbEEZZNS1_14partition_implILS5_5ELb0ES3_mN6hipcub16HIPCUB_304000_NS21CountingInputIteratorIllEEPS6_NSA_22TransformInputIteratorIbN2at6native12_GLOBAL__N_19NonZeroOpIiEEPKilEENS0_5tupleIJPlS6_EEENSN_IJSD_SD_EEES6_PiJS6_EEE10hipError_tPvRmT3_T4_T5_T6_T7_T9_mT8_P12ihipStream_tbDpT10_ENKUlT_T0_E_clISt17integral_constantIbLb1EES1A_IbLb0EEEEDaS16_S17_EUlS16_E_NS1_11comp_targetILNS1_3genE3ELNS1_11target_archE908ELNS1_3gpuE7ELNS1_3repE0EEENS1_30default_config_static_selectorELNS0_4arch9wavefront6targetE0EEEvT1_.numbered_sgpr, 0
	.set _ZN7rocprim17ROCPRIM_400000_NS6detail17trampoline_kernelINS0_14default_configENS1_25partition_config_selectorILNS1_17partition_subalgoE5ElNS0_10empty_typeEbEEZZNS1_14partition_implILS5_5ELb0ES3_mN6hipcub16HIPCUB_304000_NS21CountingInputIteratorIllEEPS6_NSA_22TransformInputIteratorIbN2at6native12_GLOBAL__N_19NonZeroOpIiEEPKilEENS0_5tupleIJPlS6_EEENSN_IJSD_SD_EEES6_PiJS6_EEE10hipError_tPvRmT3_T4_T5_T6_T7_T9_mT8_P12ihipStream_tbDpT10_ENKUlT_T0_E_clISt17integral_constantIbLb1EES1A_IbLb0EEEEDaS16_S17_EUlS16_E_NS1_11comp_targetILNS1_3genE3ELNS1_11target_archE908ELNS1_3gpuE7ELNS1_3repE0EEENS1_30default_config_static_selectorELNS0_4arch9wavefront6targetE0EEEvT1_.num_named_barrier, 0
	.set _ZN7rocprim17ROCPRIM_400000_NS6detail17trampoline_kernelINS0_14default_configENS1_25partition_config_selectorILNS1_17partition_subalgoE5ElNS0_10empty_typeEbEEZZNS1_14partition_implILS5_5ELb0ES3_mN6hipcub16HIPCUB_304000_NS21CountingInputIteratorIllEEPS6_NSA_22TransformInputIteratorIbN2at6native12_GLOBAL__N_19NonZeroOpIiEEPKilEENS0_5tupleIJPlS6_EEENSN_IJSD_SD_EEES6_PiJS6_EEE10hipError_tPvRmT3_T4_T5_T6_T7_T9_mT8_P12ihipStream_tbDpT10_ENKUlT_T0_E_clISt17integral_constantIbLb1EES1A_IbLb0EEEEDaS16_S17_EUlS16_E_NS1_11comp_targetILNS1_3genE3ELNS1_11target_archE908ELNS1_3gpuE7ELNS1_3repE0EEENS1_30default_config_static_selectorELNS0_4arch9wavefront6targetE0EEEvT1_.private_seg_size, 0
	.set _ZN7rocprim17ROCPRIM_400000_NS6detail17trampoline_kernelINS0_14default_configENS1_25partition_config_selectorILNS1_17partition_subalgoE5ElNS0_10empty_typeEbEEZZNS1_14partition_implILS5_5ELb0ES3_mN6hipcub16HIPCUB_304000_NS21CountingInputIteratorIllEEPS6_NSA_22TransformInputIteratorIbN2at6native12_GLOBAL__N_19NonZeroOpIiEEPKilEENS0_5tupleIJPlS6_EEENSN_IJSD_SD_EEES6_PiJS6_EEE10hipError_tPvRmT3_T4_T5_T6_T7_T9_mT8_P12ihipStream_tbDpT10_ENKUlT_T0_E_clISt17integral_constantIbLb1EES1A_IbLb0EEEEDaS16_S17_EUlS16_E_NS1_11comp_targetILNS1_3genE3ELNS1_11target_archE908ELNS1_3gpuE7ELNS1_3repE0EEENS1_30default_config_static_selectorELNS0_4arch9wavefront6targetE0EEEvT1_.uses_vcc, 0
	.set _ZN7rocprim17ROCPRIM_400000_NS6detail17trampoline_kernelINS0_14default_configENS1_25partition_config_selectorILNS1_17partition_subalgoE5ElNS0_10empty_typeEbEEZZNS1_14partition_implILS5_5ELb0ES3_mN6hipcub16HIPCUB_304000_NS21CountingInputIteratorIllEEPS6_NSA_22TransformInputIteratorIbN2at6native12_GLOBAL__N_19NonZeroOpIiEEPKilEENS0_5tupleIJPlS6_EEENSN_IJSD_SD_EEES6_PiJS6_EEE10hipError_tPvRmT3_T4_T5_T6_T7_T9_mT8_P12ihipStream_tbDpT10_ENKUlT_T0_E_clISt17integral_constantIbLb1EES1A_IbLb0EEEEDaS16_S17_EUlS16_E_NS1_11comp_targetILNS1_3genE3ELNS1_11target_archE908ELNS1_3gpuE7ELNS1_3repE0EEENS1_30default_config_static_selectorELNS0_4arch9wavefront6targetE0EEEvT1_.uses_flat_scratch, 0
	.set _ZN7rocprim17ROCPRIM_400000_NS6detail17trampoline_kernelINS0_14default_configENS1_25partition_config_selectorILNS1_17partition_subalgoE5ElNS0_10empty_typeEbEEZZNS1_14partition_implILS5_5ELb0ES3_mN6hipcub16HIPCUB_304000_NS21CountingInputIteratorIllEEPS6_NSA_22TransformInputIteratorIbN2at6native12_GLOBAL__N_19NonZeroOpIiEEPKilEENS0_5tupleIJPlS6_EEENSN_IJSD_SD_EEES6_PiJS6_EEE10hipError_tPvRmT3_T4_T5_T6_T7_T9_mT8_P12ihipStream_tbDpT10_ENKUlT_T0_E_clISt17integral_constantIbLb1EES1A_IbLb0EEEEDaS16_S17_EUlS16_E_NS1_11comp_targetILNS1_3genE3ELNS1_11target_archE908ELNS1_3gpuE7ELNS1_3repE0EEENS1_30default_config_static_selectorELNS0_4arch9wavefront6targetE0EEEvT1_.has_dyn_sized_stack, 0
	.set _ZN7rocprim17ROCPRIM_400000_NS6detail17trampoline_kernelINS0_14default_configENS1_25partition_config_selectorILNS1_17partition_subalgoE5ElNS0_10empty_typeEbEEZZNS1_14partition_implILS5_5ELb0ES3_mN6hipcub16HIPCUB_304000_NS21CountingInputIteratorIllEEPS6_NSA_22TransformInputIteratorIbN2at6native12_GLOBAL__N_19NonZeroOpIiEEPKilEENS0_5tupleIJPlS6_EEENSN_IJSD_SD_EEES6_PiJS6_EEE10hipError_tPvRmT3_T4_T5_T6_T7_T9_mT8_P12ihipStream_tbDpT10_ENKUlT_T0_E_clISt17integral_constantIbLb1EES1A_IbLb0EEEEDaS16_S17_EUlS16_E_NS1_11comp_targetILNS1_3genE3ELNS1_11target_archE908ELNS1_3gpuE7ELNS1_3repE0EEENS1_30default_config_static_selectorELNS0_4arch9wavefront6targetE0EEEvT1_.has_recursion, 0
	.set _ZN7rocprim17ROCPRIM_400000_NS6detail17trampoline_kernelINS0_14default_configENS1_25partition_config_selectorILNS1_17partition_subalgoE5ElNS0_10empty_typeEbEEZZNS1_14partition_implILS5_5ELb0ES3_mN6hipcub16HIPCUB_304000_NS21CountingInputIteratorIllEEPS6_NSA_22TransformInputIteratorIbN2at6native12_GLOBAL__N_19NonZeroOpIiEEPKilEENS0_5tupleIJPlS6_EEENSN_IJSD_SD_EEES6_PiJS6_EEE10hipError_tPvRmT3_T4_T5_T6_T7_T9_mT8_P12ihipStream_tbDpT10_ENKUlT_T0_E_clISt17integral_constantIbLb1EES1A_IbLb0EEEEDaS16_S17_EUlS16_E_NS1_11comp_targetILNS1_3genE3ELNS1_11target_archE908ELNS1_3gpuE7ELNS1_3repE0EEENS1_30default_config_static_selectorELNS0_4arch9wavefront6targetE0EEEvT1_.has_indirect_call, 0
	.section	.AMDGPU.csdata,"",@progbits
; Kernel info:
; codeLenInByte = 0
; TotalNumSgprs: 0
; NumVgprs: 0
; ScratchSize: 0
; MemoryBound: 0
; FloatMode: 240
; IeeeMode: 1
; LDSByteSize: 0 bytes/workgroup (compile time only)
; SGPRBlocks: 0
; VGPRBlocks: 0
; NumSGPRsForWavesPerEU: 1
; NumVGPRsForWavesPerEU: 1
; Occupancy: 16
; WaveLimiterHint : 0
; COMPUTE_PGM_RSRC2:SCRATCH_EN: 0
; COMPUTE_PGM_RSRC2:USER_SGPR: 2
; COMPUTE_PGM_RSRC2:TRAP_HANDLER: 0
; COMPUTE_PGM_RSRC2:TGID_X_EN: 1
; COMPUTE_PGM_RSRC2:TGID_Y_EN: 0
; COMPUTE_PGM_RSRC2:TGID_Z_EN: 0
; COMPUTE_PGM_RSRC2:TIDIG_COMP_CNT: 0
	.section	.text._ZN7rocprim17ROCPRIM_400000_NS6detail17trampoline_kernelINS0_14default_configENS1_25partition_config_selectorILNS1_17partition_subalgoE5ElNS0_10empty_typeEbEEZZNS1_14partition_implILS5_5ELb0ES3_mN6hipcub16HIPCUB_304000_NS21CountingInputIteratorIllEEPS6_NSA_22TransformInputIteratorIbN2at6native12_GLOBAL__N_19NonZeroOpIiEEPKilEENS0_5tupleIJPlS6_EEENSN_IJSD_SD_EEES6_PiJS6_EEE10hipError_tPvRmT3_T4_T5_T6_T7_T9_mT8_P12ihipStream_tbDpT10_ENKUlT_T0_E_clISt17integral_constantIbLb1EES1A_IbLb0EEEEDaS16_S17_EUlS16_E_NS1_11comp_targetILNS1_3genE2ELNS1_11target_archE906ELNS1_3gpuE6ELNS1_3repE0EEENS1_30default_config_static_selectorELNS0_4arch9wavefront6targetE0EEEvT1_,"axG",@progbits,_ZN7rocprim17ROCPRIM_400000_NS6detail17trampoline_kernelINS0_14default_configENS1_25partition_config_selectorILNS1_17partition_subalgoE5ElNS0_10empty_typeEbEEZZNS1_14partition_implILS5_5ELb0ES3_mN6hipcub16HIPCUB_304000_NS21CountingInputIteratorIllEEPS6_NSA_22TransformInputIteratorIbN2at6native12_GLOBAL__N_19NonZeroOpIiEEPKilEENS0_5tupleIJPlS6_EEENSN_IJSD_SD_EEES6_PiJS6_EEE10hipError_tPvRmT3_T4_T5_T6_T7_T9_mT8_P12ihipStream_tbDpT10_ENKUlT_T0_E_clISt17integral_constantIbLb1EES1A_IbLb0EEEEDaS16_S17_EUlS16_E_NS1_11comp_targetILNS1_3genE2ELNS1_11target_archE906ELNS1_3gpuE6ELNS1_3repE0EEENS1_30default_config_static_selectorELNS0_4arch9wavefront6targetE0EEEvT1_,comdat
	.globl	_ZN7rocprim17ROCPRIM_400000_NS6detail17trampoline_kernelINS0_14default_configENS1_25partition_config_selectorILNS1_17partition_subalgoE5ElNS0_10empty_typeEbEEZZNS1_14partition_implILS5_5ELb0ES3_mN6hipcub16HIPCUB_304000_NS21CountingInputIteratorIllEEPS6_NSA_22TransformInputIteratorIbN2at6native12_GLOBAL__N_19NonZeroOpIiEEPKilEENS0_5tupleIJPlS6_EEENSN_IJSD_SD_EEES6_PiJS6_EEE10hipError_tPvRmT3_T4_T5_T6_T7_T9_mT8_P12ihipStream_tbDpT10_ENKUlT_T0_E_clISt17integral_constantIbLb1EES1A_IbLb0EEEEDaS16_S17_EUlS16_E_NS1_11comp_targetILNS1_3genE2ELNS1_11target_archE906ELNS1_3gpuE6ELNS1_3repE0EEENS1_30default_config_static_selectorELNS0_4arch9wavefront6targetE0EEEvT1_ ; -- Begin function _ZN7rocprim17ROCPRIM_400000_NS6detail17trampoline_kernelINS0_14default_configENS1_25partition_config_selectorILNS1_17partition_subalgoE5ElNS0_10empty_typeEbEEZZNS1_14partition_implILS5_5ELb0ES3_mN6hipcub16HIPCUB_304000_NS21CountingInputIteratorIllEEPS6_NSA_22TransformInputIteratorIbN2at6native12_GLOBAL__N_19NonZeroOpIiEEPKilEENS0_5tupleIJPlS6_EEENSN_IJSD_SD_EEES6_PiJS6_EEE10hipError_tPvRmT3_T4_T5_T6_T7_T9_mT8_P12ihipStream_tbDpT10_ENKUlT_T0_E_clISt17integral_constantIbLb1EES1A_IbLb0EEEEDaS16_S17_EUlS16_E_NS1_11comp_targetILNS1_3genE2ELNS1_11target_archE906ELNS1_3gpuE6ELNS1_3repE0EEENS1_30default_config_static_selectorELNS0_4arch9wavefront6targetE0EEEvT1_
	.p2align	8
	.type	_ZN7rocprim17ROCPRIM_400000_NS6detail17trampoline_kernelINS0_14default_configENS1_25partition_config_selectorILNS1_17partition_subalgoE5ElNS0_10empty_typeEbEEZZNS1_14partition_implILS5_5ELb0ES3_mN6hipcub16HIPCUB_304000_NS21CountingInputIteratorIllEEPS6_NSA_22TransformInputIteratorIbN2at6native12_GLOBAL__N_19NonZeroOpIiEEPKilEENS0_5tupleIJPlS6_EEENSN_IJSD_SD_EEES6_PiJS6_EEE10hipError_tPvRmT3_T4_T5_T6_T7_T9_mT8_P12ihipStream_tbDpT10_ENKUlT_T0_E_clISt17integral_constantIbLb1EES1A_IbLb0EEEEDaS16_S17_EUlS16_E_NS1_11comp_targetILNS1_3genE2ELNS1_11target_archE906ELNS1_3gpuE6ELNS1_3repE0EEENS1_30default_config_static_selectorELNS0_4arch9wavefront6targetE0EEEvT1_,@function
_ZN7rocprim17ROCPRIM_400000_NS6detail17trampoline_kernelINS0_14default_configENS1_25partition_config_selectorILNS1_17partition_subalgoE5ElNS0_10empty_typeEbEEZZNS1_14partition_implILS5_5ELb0ES3_mN6hipcub16HIPCUB_304000_NS21CountingInputIteratorIllEEPS6_NSA_22TransformInputIteratorIbN2at6native12_GLOBAL__N_19NonZeroOpIiEEPKilEENS0_5tupleIJPlS6_EEENSN_IJSD_SD_EEES6_PiJS6_EEE10hipError_tPvRmT3_T4_T5_T6_T7_T9_mT8_P12ihipStream_tbDpT10_ENKUlT_T0_E_clISt17integral_constantIbLb1EES1A_IbLb0EEEEDaS16_S17_EUlS16_E_NS1_11comp_targetILNS1_3genE2ELNS1_11target_archE906ELNS1_3gpuE6ELNS1_3repE0EEENS1_30default_config_static_selectorELNS0_4arch9wavefront6targetE0EEEvT1_: ; @_ZN7rocprim17ROCPRIM_400000_NS6detail17trampoline_kernelINS0_14default_configENS1_25partition_config_selectorILNS1_17partition_subalgoE5ElNS0_10empty_typeEbEEZZNS1_14partition_implILS5_5ELb0ES3_mN6hipcub16HIPCUB_304000_NS21CountingInputIteratorIllEEPS6_NSA_22TransformInputIteratorIbN2at6native12_GLOBAL__N_19NonZeroOpIiEEPKilEENS0_5tupleIJPlS6_EEENSN_IJSD_SD_EEES6_PiJS6_EEE10hipError_tPvRmT3_T4_T5_T6_T7_T9_mT8_P12ihipStream_tbDpT10_ENKUlT_T0_E_clISt17integral_constantIbLb1EES1A_IbLb0EEEEDaS16_S17_EUlS16_E_NS1_11comp_targetILNS1_3genE2ELNS1_11target_archE906ELNS1_3gpuE6ELNS1_3repE0EEENS1_30default_config_static_selectorELNS0_4arch9wavefront6targetE0EEEvT1_
; %bb.0:
	.section	.rodata,"a",@progbits
	.p2align	6, 0x0
	.amdhsa_kernel _ZN7rocprim17ROCPRIM_400000_NS6detail17trampoline_kernelINS0_14default_configENS1_25partition_config_selectorILNS1_17partition_subalgoE5ElNS0_10empty_typeEbEEZZNS1_14partition_implILS5_5ELb0ES3_mN6hipcub16HIPCUB_304000_NS21CountingInputIteratorIllEEPS6_NSA_22TransformInputIteratorIbN2at6native12_GLOBAL__N_19NonZeroOpIiEEPKilEENS0_5tupleIJPlS6_EEENSN_IJSD_SD_EEES6_PiJS6_EEE10hipError_tPvRmT3_T4_T5_T6_T7_T9_mT8_P12ihipStream_tbDpT10_ENKUlT_T0_E_clISt17integral_constantIbLb1EES1A_IbLb0EEEEDaS16_S17_EUlS16_E_NS1_11comp_targetILNS1_3genE2ELNS1_11target_archE906ELNS1_3gpuE6ELNS1_3repE0EEENS1_30default_config_static_selectorELNS0_4arch9wavefront6targetE0EEEvT1_
		.amdhsa_group_segment_fixed_size 0
		.amdhsa_private_segment_fixed_size 0
		.amdhsa_kernarg_size 120
		.amdhsa_user_sgpr_count 2
		.amdhsa_user_sgpr_dispatch_ptr 0
		.amdhsa_user_sgpr_queue_ptr 0
		.amdhsa_user_sgpr_kernarg_segment_ptr 1
		.amdhsa_user_sgpr_dispatch_id 0
		.amdhsa_user_sgpr_private_segment_size 0
		.amdhsa_wavefront_size32 1
		.amdhsa_uses_dynamic_stack 0
		.amdhsa_enable_private_segment 0
		.amdhsa_system_sgpr_workgroup_id_x 1
		.amdhsa_system_sgpr_workgroup_id_y 0
		.amdhsa_system_sgpr_workgroup_id_z 0
		.amdhsa_system_sgpr_workgroup_info 0
		.amdhsa_system_vgpr_workitem_id 0
		.amdhsa_next_free_vgpr 1
		.amdhsa_next_free_sgpr 1
		.amdhsa_reserve_vcc 0
		.amdhsa_float_round_mode_32 0
		.amdhsa_float_round_mode_16_64 0
		.amdhsa_float_denorm_mode_32 3
		.amdhsa_float_denorm_mode_16_64 3
		.amdhsa_fp16_overflow 0
		.amdhsa_workgroup_processor_mode 1
		.amdhsa_memory_ordered 1
		.amdhsa_forward_progress 1
		.amdhsa_inst_pref_size 0
		.amdhsa_round_robin_scheduling 0
		.amdhsa_exception_fp_ieee_invalid_op 0
		.amdhsa_exception_fp_denorm_src 0
		.amdhsa_exception_fp_ieee_div_zero 0
		.amdhsa_exception_fp_ieee_overflow 0
		.amdhsa_exception_fp_ieee_underflow 0
		.amdhsa_exception_fp_ieee_inexact 0
		.amdhsa_exception_int_div_zero 0
	.end_amdhsa_kernel
	.section	.text._ZN7rocprim17ROCPRIM_400000_NS6detail17trampoline_kernelINS0_14default_configENS1_25partition_config_selectorILNS1_17partition_subalgoE5ElNS0_10empty_typeEbEEZZNS1_14partition_implILS5_5ELb0ES3_mN6hipcub16HIPCUB_304000_NS21CountingInputIteratorIllEEPS6_NSA_22TransformInputIteratorIbN2at6native12_GLOBAL__N_19NonZeroOpIiEEPKilEENS0_5tupleIJPlS6_EEENSN_IJSD_SD_EEES6_PiJS6_EEE10hipError_tPvRmT3_T4_T5_T6_T7_T9_mT8_P12ihipStream_tbDpT10_ENKUlT_T0_E_clISt17integral_constantIbLb1EES1A_IbLb0EEEEDaS16_S17_EUlS16_E_NS1_11comp_targetILNS1_3genE2ELNS1_11target_archE906ELNS1_3gpuE6ELNS1_3repE0EEENS1_30default_config_static_selectorELNS0_4arch9wavefront6targetE0EEEvT1_,"axG",@progbits,_ZN7rocprim17ROCPRIM_400000_NS6detail17trampoline_kernelINS0_14default_configENS1_25partition_config_selectorILNS1_17partition_subalgoE5ElNS0_10empty_typeEbEEZZNS1_14partition_implILS5_5ELb0ES3_mN6hipcub16HIPCUB_304000_NS21CountingInputIteratorIllEEPS6_NSA_22TransformInputIteratorIbN2at6native12_GLOBAL__N_19NonZeroOpIiEEPKilEENS0_5tupleIJPlS6_EEENSN_IJSD_SD_EEES6_PiJS6_EEE10hipError_tPvRmT3_T4_T5_T6_T7_T9_mT8_P12ihipStream_tbDpT10_ENKUlT_T0_E_clISt17integral_constantIbLb1EES1A_IbLb0EEEEDaS16_S17_EUlS16_E_NS1_11comp_targetILNS1_3genE2ELNS1_11target_archE906ELNS1_3gpuE6ELNS1_3repE0EEENS1_30default_config_static_selectorELNS0_4arch9wavefront6targetE0EEEvT1_,comdat
.Lfunc_end206:
	.size	_ZN7rocprim17ROCPRIM_400000_NS6detail17trampoline_kernelINS0_14default_configENS1_25partition_config_selectorILNS1_17partition_subalgoE5ElNS0_10empty_typeEbEEZZNS1_14partition_implILS5_5ELb0ES3_mN6hipcub16HIPCUB_304000_NS21CountingInputIteratorIllEEPS6_NSA_22TransformInputIteratorIbN2at6native12_GLOBAL__N_19NonZeroOpIiEEPKilEENS0_5tupleIJPlS6_EEENSN_IJSD_SD_EEES6_PiJS6_EEE10hipError_tPvRmT3_T4_T5_T6_T7_T9_mT8_P12ihipStream_tbDpT10_ENKUlT_T0_E_clISt17integral_constantIbLb1EES1A_IbLb0EEEEDaS16_S17_EUlS16_E_NS1_11comp_targetILNS1_3genE2ELNS1_11target_archE906ELNS1_3gpuE6ELNS1_3repE0EEENS1_30default_config_static_selectorELNS0_4arch9wavefront6targetE0EEEvT1_, .Lfunc_end206-_ZN7rocprim17ROCPRIM_400000_NS6detail17trampoline_kernelINS0_14default_configENS1_25partition_config_selectorILNS1_17partition_subalgoE5ElNS0_10empty_typeEbEEZZNS1_14partition_implILS5_5ELb0ES3_mN6hipcub16HIPCUB_304000_NS21CountingInputIteratorIllEEPS6_NSA_22TransformInputIteratorIbN2at6native12_GLOBAL__N_19NonZeroOpIiEEPKilEENS0_5tupleIJPlS6_EEENSN_IJSD_SD_EEES6_PiJS6_EEE10hipError_tPvRmT3_T4_T5_T6_T7_T9_mT8_P12ihipStream_tbDpT10_ENKUlT_T0_E_clISt17integral_constantIbLb1EES1A_IbLb0EEEEDaS16_S17_EUlS16_E_NS1_11comp_targetILNS1_3genE2ELNS1_11target_archE906ELNS1_3gpuE6ELNS1_3repE0EEENS1_30default_config_static_selectorELNS0_4arch9wavefront6targetE0EEEvT1_
                                        ; -- End function
	.set _ZN7rocprim17ROCPRIM_400000_NS6detail17trampoline_kernelINS0_14default_configENS1_25partition_config_selectorILNS1_17partition_subalgoE5ElNS0_10empty_typeEbEEZZNS1_14partition_implILS5_5ELb0ES3_mN6hipcub16HIPCUB_304000_NS21CountingInputIteratorIllEEPS6_NSA_22TransformInputIteratorIbN2at6native12_GLOBAL__N_19NonZeroOpIiEEPKilEENS0_5tupleIJPlS6_EEENSN_IJSD_SD_EEES6_PiJS6_EEE10hipError_tPvRmT3_T4_T5_T6_T7_T9_mT8_P12ihipStream_tbDpT10_ENKUlT_T0_E_clISt17integral_constantIbLb1EES1A_IbLb0EEEEDaS16_S17_EUlS16_E_NS1_11comp_targetILNS1_3genE2ELNS1_11target_archE906ELNS1_3gpuE6ELNS1_3repE0EEENS1_30default_config_static_selectorELNS0_4arch9wavefront6targetE0EEEvT1_.num_vgpr, 0
	.set _ZN7rocprim17ROCPRIM_400000_NS6detail17trampoline_kernelINS0_14default_configENS1_25partition_config_selectorILNS1_17partition_subalgoE5ElNS0_10empty_typeEbEEZZNS1_14partition_implILS5_5ELb0ES3_mN6hipcub16HIPCUB_304000_NS21CountingInputIteratorIllEEPS6_NSA_22TransformInputIteratorIbN2at6native12_GLOBAL__N_19NonZeroOpIiEEPKilEENS0_5tupleIJPlS6_EEENSN_IJSD_SD_EEES6_PiJS6_EEE10hipError_tPvRmT3_T4_T5_T6_T7_T9_mT8_P12ihipStream_tbDpT10_ENKUlT_T0_E_clISt17integral_constantIbLb1EES1A_IbLb0EEEEDaS16_S17_EUlS16_E_NS1_11comp_targetILNS1_3genE2ELNS1_11target_archE906ELNS1_3gpuE6ELNS1_3repE0EEENS1_30default_config_static_selectorELNS0_4arch9wavefront6targetE0EEEvT1_.num_agpr, 0
	.set _ZN7rocprim17ROCPRIM_400000_NS6detail17trampoline_kernelINS0_14default_configENS1_25partition_config_selectorILNS1_17partition_subalgoE5ElNS0_10empty_typeEbEEZZNS1_14partition_implILS5_5ELb0ES3_mN6hipcub16HIPCUB_304000_NS21CountingInputIteratorIllEEPS6_NSA_22TransformInputIteratorIbN2at6native12_GLOBAL__N_19NonZeroOpIiEEPKilEENS0_5tupleIJPlS6_EEENSN_IJSD_SD_EEES6_PiJS6_EEE10hipError_tPvRmT3_T4_T5_T6_T7_T9_mT8_P12ihipStream_tbDpT10_ENKUlT_T0_E_clISt17integral_constantIbLb1EES1A_IbLb0EEEEDaS16_S17_EUlS16_E_NS1_11comp_targetILNS1_3genE2ELNS1_11target_archE906ELNS1_3gpuE6ELNS1_3repE0EEENS1_30default_config_static_selectorELNS0_4arch9wavefront6targetE0EEEvT1_.numbered_sgpr, 0
	.set _ZN7rocprim17ROCPRIM_400000_NS6detail17trampoline_kernelINS0_14default_configENS1_25partition_config_selectorILNS1_17partition_subalgoE5ElNS0_10empty_typeEbEEZZNS1_14partition_implILS5_5ELb0ES3_mN6hipcub16HIPCUB_304000_NS21CountingInputIteratorIllEEPS6_NSA_22TransformInputIteratorIbN2at6native12_GLOBAL__N_19NonZeroOpIiEEPKilEENS0_5tupleIJPlS6_EEENSN_IJSD_SD_EEES6_PiJS6_EEE10hipError_tPvRmT3_T4_T5_T6_T7_T9_mT8_P12ihipStream_tbDpT10_ENKUlT_T0_E_clISt17integral_constantIbLb1EES1A_IbLb0EEEEDaS16_S17_EUlS16_E_NS1_11comp_targetILNS1_3genE2ELNS1_11target_archE906ELNS1_3gpuE6ELNS1_3repE0EEENS1_30default_config_static_selectorELNS0_4arch9wavefront6targetE0EEEvT1_.num_named_barrier, 0
	.set _ZN7rocprim17ROCPRIM_400000_NS6detail17trampoline_kernelINS0_14default_configENS1_25partition_config_selectorILNS1_17partition_subalgoE5ElNS0_10empty_typeEbEEZZNS1_14partition_implILS5_5ELb0ES3_mN6hipcub16HIPCUB_304000_NS21CountingInputIteratorIllEEPS6_NSA_22TransformInputIteratorIbN2at6native12_GLOBAL__N_19NonZeroOpIiEEPKilEENS0_5tupleIJPlS6_EEENSN_IJSD_SD_EEES6_PiJS6_EEE10hipError_tPvRmT3_T4_T5_T6_T7_T9_mT8_P12ihipStream_tbDpT10_ENKUlT_T0_E_clISt17integral_constantIbLb1EES1A_IbLb0EEEEDaS16_S17_EUlS16_E_NS1_11comp_targetILNS1_3genE2ELNS1_11target_archE906ELNS1_3gpuE6ELNS1_3repE0EEENS1_30default_config_static_selectorELNS0_4arch9wavefront6targetE0EEEvT1_.private_seg_size, 0
	.set _ZN7rocprim17ROCPRIM_400000_NS6detail17trampoline_kernelINS0_14default_configENS1_25partition_config_selectorILNS1_17partition_subalgoE5ElNS0_10empty_typeEbEEZZNS1_14partition_implILS5_5ELb0ES3_mN6hipcub16HIPCUB_304000_NS21CountingInputIteratorIllEEPS6_NSA_22TransformInputIteratorIbN2at6native12_GLOBAL__N_19NonZeroOpIiEEPKilEENS0_5tupleIJPlS6_EEENSN_IJSD_SD_EEES6_PiJS6_EEE10hipError_tPvRmT3_T4_T5_T6_T7_T9_mT8_P12ihipStream_tbDpT10_ENKUlT_T0_E_clISt17integral_constantIbLb1EES1A_IbLb0EEEEDaS16_S17_EUlS16_E_NS1_11comp_targetILNS1_3genE2ELNS1_11target_archE906ELNS1_3gpuE6ELNS1_3repE0EEENS1_30default_config_static_selectorELNS0_4arch9wavefront6targetE0EEEvT1_.uses_vcc, 0
	.set _ZN7rocprim17ROCPRIM_400000_NS6detail17trampoline_kernelINS0_14default_configENS1_25partition_config_selectorILNS1_17partition_subalgoE5ElNS0_10empty_typeEbEEZZNS1_14partition_implILS5_5ELb0ES3_mN6hipcub16HIPCUB_304000_NS21CountingInputIteratorIllEEPS6_NSA_22TransformInputIteratorIbN2at6native12_GLOBAL__N_19NonZeroOpIiEEPKilEENS0_5tupleIJPlS6_EEENSN_IJSD_SD_EEES6_PiJS6_EEE10hipError_tPvRmT3_T4_T5_T6_T7_T9_mT8_P12ihipStream_tbDpT10_ENKUlT_T0_E_clISt17integral_constantIbLb1EES1A_IbLb0EEEEDaS16_S17_EUlS16_E_NS1_11comp_targetILNS1_3genE2ELNS1_11target_archE906ELNS1_3gpuE6ELNS1_3repE0EEENS1_30default_config_static_selectorELNS0_4arch9wavefront6targetE0EEEvT1_.uses_flat_scratch, 0
	.set _ZN7rocprim17ROCPRIM_400000_NS6detail17trampoline_kernelINS0_14default_configENS1_25partition_config_selectorILNS1_17partition_subalgoE5ElNS0_10empty_typeEbEEZZNS1_14partition_implILS5_5ELb0ES3_mN6hipcub16HIPCUB_304000_NS21CountingInputIteratorIllEEPS6_NSA_22TransformInputIteratorIbN2at6native12_GLOBAL__N_19NonZeroOpIiEEPKilEENS0_5tupleIJPlS6_EEENSN_IJSD_SD_EEES6_PiJS6_EEE10hipError_tPvRmT3_T4_T5_T6_T7_T9_mT8_P12ihipStream_tbDpT10_ENKUlT_T0_E_clISt17integral_constantIbLb1EES1A_IbLb0EEEEDaS16_S17_EUlS16_E_NS1_11comp_targetILNS1_3genE2ELNS1_11target_archE906ELNS1_3gpuE6ELNS1_3repE0EEENS1_30default_config_static_selectorELNS0_4arch9wavefront6targetE0EEEvT1_.has_dyn_sized_stack, 0
	.set _ZN7rocprim17ROCPRIM_400000_NS6detail17trampoline_kernelINS0_14default_configENS1_25partition_config_selectorILNS1_17partition_subalgoE5ElNS0_10empty_typeEbEEZZNS1_14partition_implILS5_5ELb0ES3_mN6hipcub16HIPCUB_304000_NS21CountingInputIteratorIllEEPS6_NSA_22TransformInputIteratorIbN2at6native12_GLOBAL__N_19NonZeroOpIiEEPKilEENS0_5tupleIJPlS6_EEENSN_IJSD_SD_EEES6_PiJS6_EEE10hipError_tPvRmT3_T4_T5_T6_T7_T9_mT8_P12ihipStream_tbDpT10_ENKUlT_T0_E_clISt17integral_constantIbLb1EES1A_IbLb0EEEEDaS16_S17_EUlS16_E_NS1_11comp_targetILNS1_3genE2ELNS1_11target_archE906ELNS1_3gpuE6ELNS1_3repE0EEENS1_30default_config_static_selectorELNS0_4arch9wavefront6targetE0EEEvT1_.has_recursion, 0
	.set _ZN7rocprim17ROCPRIM_400000_NS6detail17trampoline_kernelINS0_14default_configENS1_25partition_config_selectorILNS1_17partition_subalgoE5ElNS0_10empty_typeEbEEZZNS1_14partition_implILS5_5ELb0ES3_mN6hipcub16HIPCUB_304000_NS21CountingInputIteratorIllEEPS6_NSA_22TransformInputIteratorIbN2at6native12_GLOBAL__N_19NonZeroOpIiEEPKilEENS0_5tupleIJPlS6_EEENSN_IJSD_SD_EEES6_PiJS6_EEE10hipError_tPvRmT3_T4_T5_T6_T7_T9_mT8_P12ihipStream_tbDpT10_ENKUlT_T0_E_clISt17integral_constantIbLb1EES1A_IbLb0EEEEDaS16_S17_EUlS16_E_NS1_11comp_targetILNS1_3genE2ELNS1_11target_archE906ELNS1_3gpuE6ELNS1_3repE0EEENS1_30default_config_static_selectorELNS0_4arch9wavefront6targetE0EEEvT1_.has_indirect_call, 0
	.section	.AMDGPU.csdata,"",@progbits
; Kernel info:
; codeLenInByte = 0
; TotalNumSgprs: 0
; NumVgprs: 0
; ScratchSize: 0
; MemoryBound: 0
; FloatMode: 240
; IeeeMode: 1
; LDSByteSize: 0 bytes/workgroup (compile time only)
; SGPRBlocks: 0
; VGPRBlocks: 0
; NumSGPRsForWavesPerEU: 1
; NumVGPRsForWavesPerEU: 1
; Occupancy: 16
; WaveLimiterHint : 0
; COMPUTE_PGM_RSRC2:SCRATCH_EN: 0
; COMPUTE_PGM_RSRC2:USER_SGPR: 2
; COMPUTE_PGM_RSRC2:TRAP_HANDLER: 0
; COMPUTE_PGM_RSRC2:TGID_X_EN: 1
; COMPUTE_PGM_RSRC2:TGID_Y_EN: 0
; COMPUTE_PGM_RSRC2:TGID_Z_EN: 0
; COMPUTE_PGM_RSRC2:TIDIG_COMP_CNT: 0
	.section	.text._ZN7rocprim17ROCPRIM_400000_NS6detail17trampoline_kernelINS0_14default_configENS1_25partition_config_selectorILNS1_17partition_subalgoE5ElNS0_10empty_typeEbEEZZNS1_14partition_implILS5_5ELb0ES3_mN6hipcub16HIPCUB_304000_NS21CountingInputIteratorIllEEPS6_NSA_22TransformInputIteratorIbN2at6native12_GLOBAL__N_19NonZeroOpIiEEPKilEENS0_5tupleIJPlS6_EEENSN_IJSD_SD_EEES6_PiJS6_EEE10hipError_tPvRmT3_T4_T5_T6_T7_T9_mT8_P12ihipStream_tbDpT10_ENKUlT_T0_E_clISt17integral_constantIbLb1EES1A_IbLb0EEEEDaS16_S17_EUlS16_E_NS1_11comp_targetILNS1_3genE10ELNS1_11target_archE1200ELNS1_3gpuE4ELNS1_3repE0EEENS1_30default_config_static_selectorELNS0_4arch9wavefront6targetE0EEEvT1_,"axG",@progbits,_ZN7rocprim17ROCPRIM_400000_NS6detail17trampoline_kernelINS0_14default_configENS1_25partition_config_selectorILNS1_17partition_subalgoE5ElNS0_10empty_typeEbEEZZNS1_14partition_implILS5_5ELb0ES3_mN6hipcub16HIPCUB_304000_NS21CountingInputIteratorIllEEPS6_NSA_22TransformInputIteratorIbN2at6native12_GLOBAL__N_19NonZeroOpIiEEPKilEENS0_5tupleIJPlS6_EEENSN_IJSD_SD_EEES6_PiJS6_EEE10hipError_tPvRmT3_T4_T5_T6_T7_T9_mT8_P12ihipStream_tbDpT10_ENKUlT_T0_E_clISt17integral_constantIbLb1EES1A_IbLb0EEEEDaS16_S17_EUlS16_E_NS1_11comp_targetILNS1_3genE10ELNS1_11target_archE1200ELNS1_3gpuE4ELNS1_3repE0EEENS1_30default_config_static_selectorELNS0_4arch9wavefront6targetE0EEEvT1_,comdat
	.globl	_ZN7rocprim17ROCPRIM_400000_NS6detail17trampoline_kernelINS0_14default_configENS1_25partition_config_selectorILNS1_17partition_subalgoE5ElNS0_10empty_typeEbEEZZNS1_14partition_implILS5_5ELb0ES3_mN6hipcub16HIPCUB_304000_NS21CountingInputIteratorIllEEPS6_NSA_22TransformInputIteratorIbN2at6native12_GLOBAL__N_19NonZeroOpIiEEPKilEENS0_5tupleIJPlS6_EEENSN_IJSD_SD_EEES6_PiJS6_EEE10hipError_tPvRmT3_T4_T5_T6_T7_T9_mT8_P12ihipStream_tbDpT10_ENKUlT_T0_E_clISt17integral_constantIbLb1EES1A_IbLb0EEEEDaS16_S17_EUlS16_E_NS1_11comp_targetILNS1_3genE10ELNS1_11target_archE1200ELNS1_3gpuE4ELNS1_3repE0EEENS1_30default_config_static_selectorELNS0_4arch9wavefront6targetE0EEEvT1_ ; -- Begin function _ZN7rocprim17ROCPRIM_400000_NS6detail17trampoline_kernelINS0_14default_configENS1_25partition_config_selectorILNS1_17partition_subalgoE5ElNS0_10empty_typeEbEEZZNS1_14partition_implILS5_5ELb0ES3_mN6hipcub16HIPCUB_304000_NS21CountingInputIteratorIllEEPS6_NSA_22TransformInputIteratorIbN2at6native12_GLOBAL__N_19NonZeroOpIiEEPKilEENS0_5tupleIJPlS6_EEENSN_IJSD_SD_EEES6_PiJS6_EEE10hipError_tPvRmT3_T4_T5_T6_T7_T9_mT8_P12ihipStream_tbDpT10_ENKUlT_T0_E_clISt17integral_constantIbLb1EES1A_IbLb0EEEEDaS16_S17_EUlS16_E_NS1_11comp_targetILNS1_3genE10ELNS1_11target_archE1200ELNS1_3gpuE4ELNS1_3repE0EEENS1_30default_config_static_selectorELNS0_4arch9wavefront6targetE0EEEvT1_
	.p2align	8
	.type	_ZN7rocprim17ROCPRIM_400000_NS6detail17trampoline_kernelINS0_14default_configENS1_25partition_config_selectorILNS1_17partition_subalgoE5ElNS0_10empty_typeEbEEZZNS1_14partition_implILS5_5ELb0ES3_mN6hipcub16HIPCUB_304000_NS21CountingInputIteratorIllEEPS6_NSA_22TransformInputIteratorIbN2at6native12_GLOBAL__N_19NonZeroOpIiEEPKilEENS0_5tupleIJPlS6_EEENSN_IJSD_SD_EEES6_PiJS6_EEE10hipError_tPvRmT3_T4_T5_T6_T7_T9_mT8_P12ihipStream_tbDpT10_ENKUlT_T0_E_clISt17integral_constantIbLb1EES1A_IbLb0EEEEDaS16_S17_EUlS16_E_NS1_11comp_targetILNS1_3genE10ELNS1_11target_archE1200ELNS1_3gpuE4ELNS1_3repE0EEENS1_30default_config_static_selectorELNS0_4arch9wavefront6targetE0EEEvT1_,@function
_ZN7rocprim17ROCPRIM_400000_NS6detail17trampoline_kernelINS0_14default_configENS1_25partition_config_selectorILNS1_17partition_subalgoE5ElNS0_10empty_typeEbEEZZNS1_14partition_implILS5_5ELb0ES3_mN6hipcub16HIPCUB_304000_NS21CountingInputIteratorIllEEPS6_NSA_22TransformInputIteratorIbN2at6native12_GLOBAL__N_19NonZeroOpIiEEPKilEENS0_5tupleIJPlS6_EEENSN_IJSD_SD_EEES6_PiJS6_EEE10hipError_tPvRmT3_T4_T5_T6_T7_T9_mT8_P12ihipStream_tbDpT10_ENKUlT_T0_E_clISt17integral_constantIbLb1EES1A_IbLb0EEEEDaS16_S17_EUlS16_E_NS1_11comp_targetILNS1_3genE10ELNS1_11target_archE1200ELNS1_3gpuE4ELNS1_3repE0EEENS1_30default_config_static_selectorELNS0_4arch9wavefront6targetE0EEEvT1_: ; @_ZN7rocprim17ROCPRIM_400000_NS6detail17trampoline_kernelINS0_14default_configENS1_25partition_config_selectorILNS1_17partition_subalgoE5ElNS0_10empty_typeEbEEZZNS1_14partition_implILS5_5ELb0ES3_mN6hipcub16HIPCUB_304000_NS21CountingInputIteratorIllEEPS6_NSA_22TransformInputIteratorIbN2at6native12_GLOBAL__N_19NonZeroOpIiEEPKilEENS0_5tupleIJPlS6_EEENSN_IJSD_SD_EEES6_PiJS6_EEE10hipError_tPvRmT3_T4_T5_T6_T7_T9_mT8_P12ihipStream_tbDpT10_ENKUlT_T0_E_clISt17integral_constantIbLb1EES1A_IbLb0EEEEDaS16_S17_EUlS16_E_NS1_11comp_targetILNS1_3genE10ELNS1_11target_archE1200ELNS1_3gpuE4ELNS1_3repE0EEENS1_30default_config_static_selectorELNS0_4arch9wavefront6targetE0EEEvT1_
; %bb.0:
	s_endpgm
	.section	.rodata,"a",@progbits
	.p2align	6, 0x0
	.amdhsa_kernel _ZN7rocprim17ROCPRIM_400000_NS6detail17trampoline_kernelINS0_14default_configENS1_25partition_config_selectorILNS1_17partition_subalgoE5ElNS0_10empty_typeEbEEZZNS1_14partition_implILS5_5ELb0ES3_mN6hipcub16HIPCUB_304000_NS21CountingInputIteratorIllEEPS6_NSA_22TransformInputIteratorIbN2at6native12_GLOBAL__N_19NonZeroOpIiEEPKilEENS0_5tupleIJPlS6_EEENSN_IJSD_SD_EEES6_PiJS6_EEE10hipError_tPvRmT3_T4_T5_T6_T7_T9_mT8_P12ihipStream_tbDpT10_ENKUlT_T0_E_clISt17integral_constantIbLb1EES1A_IbLb0EEEEDaS16_S17_EUlS16_E_NS1_11comp_targetILNS1_3genE10ELNS1_11target_archE1200ELNS1_3gpuE4ELNS1_3repE0EEENS1_30default_config_static_selectorELNS0_4arch9wavefront6targetE0EEEvT1_
		.amdhsa_group_segment_fixed_size 0
		.amdhsa_private_segment_fixed_size 0
		.amdhsa_kernarg_size 120
		.amdhsa_user_sgpr_count 2
		.amdhsa_user_sgpr_dispatch_ptr 0
		.amdhsa_user_sgpr_queue_ptr 0
		.amdhsa_user_sgpr_kernarg_segment_ptr 1
		.amdhsa_user_sgpr_dispatch_id 0
		.amdhsa_user_sgpr_private_segment_size 0
		.amdhsa_wavefront_size32 1
		.amdhsa_uses_dynamic_stack 0
		.amdhsa_enable_private_segment 0
		.amdhsa_system_sgpr_workgroup_id_x 1
		.amdhsa_system_sgpr_workgroup_id_y 0
		.amdhsa_system_sgpr_workgroup_id_z 0
		.amdhsa_system_sgpr_workgroup_info 0
		.amdhsa_system_vgpr_workitem_id 0
		.amdhsa_next_free_vgpr 1
		.amdhsa_next_free_sgpr 1
		.amdhsa_reserve_vcc 0
		.amdhsa_float_round_mode_32 0
		.amdhsa_float_round_mode_16_64 0
		.amdhsa_float_denorm_mode_32 3
		.amdhsa_float_denorm_mode_16_64 3
		.amdhsa_fp16_overflow 0
		.amdhsa_workgroup_processor_mode 1
		.amdhsa_memory_ordered 1
		.amdhsa_forward_progress 1
		.amdhsa_inst_pref_size 1
		.amdhsa_round_robin_scheduling 0
		.amdhsa_exception_fp_ieee_invalid_op 0
		.amdhsa_exception_fp_denorm_src 0
		.amdhsa_exception_fp_ieee_div_zero 0
		.amdhsa_exception_fp_ieee_overflow 0
		.amdhsa_exception_fp_ieee_underflow 0
		.amdhsa_exception_fp_ieee_inexact 0
		.amdhsa_exception_int_div_zero 0
	.end_amdhsa_kernel
	.section	.text._ZN7rocprim17ROCPRIM_400000_NS6detail17trampoline_kernelINS0_14default_configENS1_25partition_config_selectorILNS1_17partition_subalgoE5ElNS0_10empty_typeEbEEZZNS1_14partition_implILS5_5ELb0ES3_mN6hipcub16HIPCUB_304000_NS21CountingInputIteratorIllEEPS6_NSA_22TransformInputIteratorIbN2at6native12_GLOBAL__N_19NonZeroOpIiEEPKilEENS0_5tupleIJPlS6_EEENSN_IJSD_SD_EEES6_PiJS6_EEE10hipError_tPvRmT3_T4_T5_T6_T7_T9_mT8_P12ihipStream_tbDpT10_ENKUlT_T0_E_clISt17integral_constantIbLb1EES1A_IbLb0EEEEDaS16_S17_EUlS16_E_NS1_11comp_targetILNS1_3genE10ELNS1_11target_archE1200ELNS1_3gpuE4ELNS1_3repE0EEENS1_30default_config_static_selectorELNS0_4arch9wavefront6targetE0EEEvT1_,"axG",@progbits,_ZN7rocprim17ROCPRIM_400000_NS6detail17trampoline_kernelINS0_14default_configENS1_25partition_config_selectorILNS1_17partition_subalgoE5ElNS0_10empty_typeEbEEZZNS1_14partition_implILS5_5ELb0ES3_mN6hipcub16HIPCUB_304000_NS21CountingInputIteratorIllEEPS6_NSA_22TransformInputIteratorIbN2at6native12_GLOBAL__N_19NonZeroOpIiEEPKilEENS0_5tupleIJPlS6_EEENSN_IJSD_SD_EEES6_PiJS6_EEE10hipError_tPvRmT3_T4_T5_T6_T7_T9_mT8_P12ihipStream_tbDpT10_ENKUlT_T0_E_clISt17integral_constantIbLb1EES1A_IbLb0EEEEDaS16_S17_EUlS16_E_NS1_11comp_targetILNS1_3genE10ELNS1_11target_archE1200ELNS1_3gpuE4ELNS1_3repE0EEENS1_30default_config_static_selectorELNS0_4arch9wavefront6targetE0EEEvT1_,comdat
.Lfunc_end207:
	.size	_ZN7rocprim17ROCPRIM_400000_NS6detail17trampoline_kernelINS0_14default_configENS1_25partition_config_selectorILNS1_17partition_subalgoE5ElNS0_10empty_typeEbEEZZNS1_14partition_implILS5_5ELb0ES3_mN6hipcub16HIPCUB_304000_NS21CountingInputIteratorIllEEPS6_NSA_22TransformInputIteratorIbN2at6native12_GLOBAL__N_19NonZeroOpIiEEPKilEENS0_5tupleIJPlS6_EEENSN_IJSD_SD_EEES6_PiJS6_EEE10hipError_tPvRmT3_T4_T5_T6_T7_T9_mT8_P12ihipStream_tbDpT10_ENKUlT_T0_E_clISt17integral_constantIbLb1EES1A_IbLb0EEEEDaS16_S17_EUlS16_E_NS1_11comp_targetILNS1_3genE10ELNS1_11target_archE1200ELNS1_3gpuE4ELNS1_3repE0EEENS1_30default_config_static_selectorELNS0_4arch9wavefront6targetE0EEEvT1_, .Lfunc_end207-_ZN7rocprim17ROCPRIM_400000_NS6detail17trampoline_kernelINS0_14default_configENS1_25partition_config_selectorILNS1_17partition_subalgoE5ElNS0_10empty_typeEbEEZZNS1_14partition_implILS5_5ELb0ES3_mN6hipcub16HIPCUB_304000_NS21CountingInputIteratorIllEEPS6_NSA_22TransformInputIteratorIbN2at6native12_GLOBAL__N_19NonZeroOpIiEEPKilEENS0_5tupleIJPlS6_EEENSN_IJSD_SD_EEES6_PiJS6_EEE10hipError_tPvRmT3_T4_T5_T6_T7_T9_mT8_P12ihipStream_tbDpT10_ENKUlT_T0_E_clISt17integral_constantIbLb1EES1A_IbLb0EEEEDaS16_S17_EUlS16_E_NS1_11comp_targetILNS1_3genE10ELNS1_11target_archE1200ELNS1_3gpuE4ELNS1_3repE0EEENS1_30default_config_static_selectorELNS0_4arch9wavefront6targetE0EEEvT1_
                                        ; -- End function
	.set _ZN7rocprim17ROCPRIM_400000_NS6detail17trampoline_kernelINS0_14default_configENS1_25partition_config_selectorILNS1_17partition_subalgoE5ElNS0_10empty_typeEbEEZZNS1_14partition_implILS5_5ELb0ES3_mN6hipcub16HIPCUB_304000_NS21CountingInputIteratorIllEEPS6_NSA_22TransformInputIteratorIbN2at6native12_GLOBAL__N_19NonZeroOpIiEEPKilEENS0_5tupleIJPlS6_EEENSN_IJSD_SD_EEES6_PiJS6_EEE10hipError_tPvRmT3_T4_T5_T6_T7_T9_mT8_P12ihipStream_tbDpT10_ENKUlT_T0_E_clISt17integral_constantIbLb1EES1A_IbLb0EEEEDaS16_S17_EUlS16_E_NS1_11comp_targetILNS1_3genE10ELNS1_11target_archE1200ELNS1_3gpuE4ELNS1_3repE0EEENS1_30default_config_static_selectorELNS0_4arch9wavefront6targetE0EEEvT1_.num_vgpr, 0
	.set _ZN7rocprim17ROCPRIM_400000_NS6detail17trampoline_kernelINS0_14default_configENS1_25partition_config_selectorILNS1_17partition_subalgoE5ElNS0_10empty_typeEbEEZZNS1_14partition_implILS5_5ELb0ES3_mN6hipcub16HIPCUB_304000_NS21CountingInputIteratorIllEEPS6_NSA_22TransformInputIteratorIbN2at6native12_GLOBAL__N_19NonZeroOpIiEEPKilEENS0_5tupleIJPlS6_EEENSN_IJSD_SD_EEES6_PiJS6_EEE10hipError_tPvRmT3_T4_T5_T6_T7_T9_mT8_P12ihipStream_tbDpT10_ENKUlT_T0_E_clISt17integral_constantIbLb1EES1A_IbLb0EEEEDaS16_S17_EUlS16_E_NS1_11comp_targetILNS1_3genE10ELNS1_11target_archE1200ELNS1_3gpuE4ELNS1_3repE0EEENS1_30default_config_static_selectorELNS0_4arch9wavefront6targetE0EEEvT1_.num_agpr, 0
	.set _ZN7rocprim17ROCPRIM_400000_NS6detail17trampoline_kernelINS0_14default_configENS1_25partition_config_selectorILNS1_17partition_subalgoE5ElNS0_10empty_typeEbEEZZNS1_14partition_implILS5_5ELb0ES3_mN6hipcub16HIPCUB_304000_NS21CountingInputIteratorIllEEPS6_NSA_22TransformInputIteratorIbN2at6native12_GLOBAL__N_19NonZeroOpIiEEPKilEENS0_5tupleIJPlS6_EEENSN_IJSD_SD_EEES6_PiJS6_EEE10hipError_tPvRmT3_T4_T5_T6_T7_T9_mT8_P12ihipStream_tbDpT10_ENKUlT_T0_E_clISt17integral_constantIbLb1EES1A_IbLb0EEEEDaS16_S17_EUlS16_E_NS1_11comp_targetILNS1_3genE10ELNS1_11target_archE1200ELNS1_3gpuE4ELNS1_3repE0EEENS1_30default_config_static_selectorELNS0_4arch9wavefront6targetE0EEEvT1_.numbered_sgpr, 0
	.set _ZN7rocprim17ROCPRIM_400000_NS6detail17trampoline_kernelINS0_14default_configENS1_25partition_config_selectorILNS1_17partition_subalgoE5ElNS0_10empty_typeEbEEZZNS1_14partition_implILS5_5ELb0ES3_mN6hipcub16HIPCUB_304000_NS21CountingInputIteratorIllEEPS6_NSA_22TransformInputIteratorIbN2at6native12_GLOBAL__N_19NonZeroOpIiEEPKilEENS0_5tupleIJPlS6_EEENSN_IJSD_SD_EEES6_PiJS6_EEE10hipError_tPvRmT3_T4_T5_T6_T7_T9_mT8_P12ihipStream_tbDpT10_ENKUlT_T0_E_clISt17integral_constantIbLb1EES1A_IbLb0EEEEDaS16_S17_EUlS16_E_NS1_11comp_targetILNS1_3genE10ELNS1_11target_archE1200ELNS1_3gpuE4ELNS1_3repE0EEENS1_30default_config_static_selectorELNS0_4arch9wavefront6targetE0EEEvT1_.num_named_barrier, 0
	.set _ZN7rocprim17ROCPRIM_400000_NS6detail17trampoline_kernelINS0_14default_configENS1_25partition_config_selectorILNS1_17partition_subalgoE5ElNS0_10empty_typeEbEEZZNS1_14partition_implILS5_5ELb0ES3_mN6hipcub16HIPCUB_304000_NS21CountingInputIteratorIllEEPS6_NSA_22TransformInputIteratorIbN2at6native12_GLOBAL__N_19NonZeroOpIiEEPKilEENS0_5tupleIJPlS6_EEENSN_IJSD_SD_EEES6_PiJS6_EEE10hipError_tPvRmT3_T4_T5_T6_T7_T9_mT8_P12ihipStream_tbDpT10_ENKUlT_T0_E_clISt17integral_constantIbLb1EES1A_IbLb0EEEEDaS16_S17_EUlS16_E_NS1_11comp_targetILNS1_3genE10ELNS1_11target_archE1200ELNS1_3gpuE4ELNS1_3repE0EEENS1_30default_config_static_selectorELNS0_4arch9wavefront6targetE0EEEvT1_.private_seg_size, 0
	.set _ZN7rocprim17ROCPRIM_400000_NS6detail17trampoline_kernelINS0_14default_configENS1_25partition_config_selectorILNS1_17partition_subalgoE5ElNS0_10empty_typeEbEEZZNS1_14partition_implILS5_5ELb0ES3_mN6hipcub16HIPCUB_304000_NS21CountingInputIteratorIllEEPS6_NSA_22TransformInputIteratorIbN2at6native12_GLOBAL__N_19NonZeroOpIiEEPKilEENS0_5tupleIJPlS6_EEENSN_IJSD_SD_EEES6_PiJS6_EEE10hipError_tPvRmT3_T4_T5_T6_T7_T9_mT8_P12ihipStream_tbDpT10_ENKUlT_T0_E_clISt17integral_constantIbLb1EES1A_IbLb0EEEEDaS16_S17_EUlS16_E_NS1_11comp_targetILNS1_3genE10ELNS1_11target_archE1200ELNS1_3gpuE4ELNS1_3repE0EEENS1_30default_config_static_selectorELNS0_4arch9wavefront6targetE0EEEvT1_.uses_vcc, 0
	.set _ZN7rocprim17ROCPRIM_400000_NS6detail17trampoline_kernelINS0_14default_configENS1_25partition_config_selectorILNS1_17partition_subalgoE5ElNS0_10empty_typeEbEEZZNS1_14partition_implILS5_5ELb0ES3_mN6hipcub16HIPCUB_304000_NS21CountingInputIteratorIllEEPS6_NSA_22TransformInputIteratorIbN2at6native12_GLOBAL__N_19NonZeroOpIiEEPKilEENS0_5tupleIJPlS6_EEENSN_IJSD_SD_EEES6_PiJS6_EEE10hipError_tPvRmT3_T4_T5_T6_T7_T9_mT8_P12ihipStream_tbDpT10_ENKUlT_T0_E_clISt17integral_constantIbLb1EES1A_IbLb0EEEEDaS16_S17_EUlS16_E_NS1_11comp_targetILNS1_3genE10ELNS1_11target_archE1200ELNS1_3gpuE4ELNS1_3repE0EEENS1_30default_config_static_selectorELNS0_4arch9wavefront6targetE0EEEvT1_.uses_flat_scratch, 0
	.set _ZN7rocprim17ROCPRIM_400000_NS6detail17trampoline_kernelINS0_14default_configENS1_25partition_config_selectorILNS1_17partition_subalgoE5ElNS0_10empty_typeEbEEZZNS1_14partition_implILS5_5ELb0ES3_mN6hipcub16HIPCUB_304000_NS21CountingInputIteratorIllEEPS6_NSA_22TransformInputIteratorIbN2at6native12_GLOBAL__N_19NonZeroOpIiEEPKilEENS0_5tupleIJPlS6_EEENSN_IJSD_SD_EEES6_PiJS6_EEE10hipError_tPvRmT3_T4_T5_T6_T7_T9_mT8_P12ihipStream_tbDpT10_ENKUlT_T0_E_clISt17integral_constantIbLb1EES1A_IbLb0EEEEDaS16_S17_EUlS16_E_NS1_11comp_targetILNS1_3genE10ELNS1_11target_archE1200ELNS1_3gpuE4ELNS1_3repE0EEENS1_30default_config_static_selectorELNS0_4arch9wavefront6targetE0EEEvT1_.has_dyn_sized_stack, 0
	.set _ZN7rocprim17ROCPRIM_400000_NS6detail17trampoline_kernelINS0_14default_configENS1_25partition_config_selectorILNS1_17partition_subalgoE5ElNS0_10empty_typeEbEEZZNS1_14partition_implILS5_5ELb0ES3_mN6hipcub16HIPCUB_304000_NS21CountingInputIteratorIllEEPS6_NSA_22TransformInputIteratorIbN2at6native12_GLOBAL__N_19NonZeroOpIiEEPKilEENS0_5tupleIJPlS6_EEENSN_IJSD_SD_EEES6_PiJS6_EEE10hipError_tPvRmT3_T4_T5_T6_T7_T9_mT8_P12ihipStream_tbDpT10_ENKUlT_T0_E_clISt17integral_constantIbLb1EES1A_IbLb0EEEEDaS16_S17_EUlS16_E_NS1_11comp_targetILNS1_3genE10ELNS1_11target_archE1200ELNS1_3gpuE4ELNS1_3repE0EEENS1_30default_config_static_selectorELNS0_4arch9wavefront6targetE0EEEvT1_.has_recursion, 0
	.set _ZN7rocprim17ROCPRIM_400000_NS6detail17trampoline_kernelINS0_14default_configENS1_25partition_config_selectorILNS1_17partition_subalgoE5ElNS0_10empty_typeEbEEZZNS1_14partition_implILS5_5ELb0ES3_mN6hipcub16HIPCUB_304000_NS21CountingInputIteratorIllEEPS6_NSA_22TransformInputIteratorIbN2at6native12_GLOBAL__N_19NonZeroOpIiEEPKilEENS0_5tupleIJPlS6_EEENSN_IJSD_SD_EEES6_PiJS6_EEE10hipError_tPvRmT3_T4_T5_T6_T7_T9_mT8_P12ihipStream_tbDpT10_ENKUlT_T0_E_clISt17integral_constantIbLb1EES1A_IbLb0EEEEDaS16_S17_EUlS16_E_NS1_11comp_targetILNS1_3genE10ELNS1_11target_archE1200ELNS1_3gpuE4ELNS1_3repE0EEENS1_30default_config_static_selectorELNS0_4arch9wavefront6targetE0EEEvT1_.has_indirect_call, 0
	.section	.AMDGPU.csdata,"",@progbits
; Kernel info:
; codeLenInByte = 4
; TotalNumSgprs: 0
; NumVgprs: 0
; ScratchSize: 0
; MemoryBound: 0
; FloatMode: 240
; IeeeMode: 1
; LDSByteSize: 0 bytes/workgroup (compile time only)
; SGPRBlocks: 0
; VGPRBlocks: 0
; NumSGPRsForWavesPerEU: 1
; NumVGPRsForWavesPerEU: 1
; Occupancy: 16
; WaveLimiterHint : 0
; COMPUTE_PGM_RSRC2:SCRATCH_EN: 0
; COMPUTE_PGM_RSRC2:USER_SGPR: 2
; COMPUTE_PGM_RSRC2:TRAP_HANDLER: 0
; COMPUTE_PGM_RSRC2:TGID_X_EN: 1
; COMPUTE_PGM_RSRC2:TGID_Y_EN: 0
; COMPUTE_PGM_RSRC2:TGID_Z_EN: 0
; COMPUTE_PGM_RSRC2:TIDIG_COMP_CNT: 0
	.section	.text._ZN7rocprim17ROCPRIM_400000_NS6detail17trampoline_kernelINS0_14default_configENS1_25partition_config_selectorILNS1_17partition_subalgoE5ElNS0_10empty_typeEbEEZZNS1_14partition_implILS5_5ELb0ES3_mN6hipcub16HIPCUB_304000_NS21CountingInputIteratorIllEEPS6_NSA_22TransformInputIteratorIbN2at6native12_GLOBAL__N_19NonZeroOpIiEEPKilEENS0_5tupleIJPlS6_EEENSN_IJSD_SD_EEES6_PiJS6_EEE10hipError_tPvRmT3_T4_T5_T6_T7_T9_mT8_P12ihipStream_tbDpT10_ENKUlT_T0_E_clISt17integral_constantIbLb1EES1A_IbLb0EEEEDaS16_S17_EUlS16_E_NS1_11comp_targetILNS1_3genE9ELNS1_11target_archE1100ELNS1_3gpuE3ELNS1_3repE0EEENS1_30default_config_static_selectorELNS0_4arch9wavefront6targetE0EEEvT1_,"axG",@progbits,_ZN7rocprim17ROCPRIM_400000_NS6detail17trampoline_kernelINS0_14default_configENS1_25partition_config_selectorILNS1_17partition_subalgoE5ElNS0_10empty_typeEbEEZZNS1_14partition_implILS5_5ELb0ES3_mN6hipcub16HIPCUB_304000_NS21CountingInputIteratorIllEEPS6_NSA_22TransformInputIteratorIbN2at6native12_GLOBAL__N_19NonZeroOpIiEEPKilEENS0_5tupleIJPlS6_EEENSN_IJSD_SD_EEES6_PiJS6_EEE10hipError_tPvRmT3_T4_T5_T6_T7_T9_mT8_P12ihipStream_tbDpT10_ENKUlT_T0_E_clISt17integral_constantIbLb1EES1A_IbLb0EEEEDaS16_S17_EUlS16_E_NS1_11comp_targetILNS1_3genE9ELNS1_11target_archE1100ELNS1_3gpuE3ELNS1_3repE0EEENS1_30default_config_static_selectorELNS0_4arch9wavefront6targetE0EEEvT1_,comdat
	.globl	_ZN7rocprim17ROCPRIM_400000_NS6detail17trampoline_kernelINS0_14default_configENS1_25partition_config_selectorILNS1_17partition_subalgoE5ElNS0_10empty_typeEbEEZZNS1_14partition_implILS5_5ELb0ES3_mN6hipcub16HIPCUB_304000_NS21CountingInputIteratorIllEEPS6_NSA_22TransformInputIteratorIbN2at6native12_GLOBAL__N_19NonZeroOpIiEEPKilEENS0_5tupleIJPlS6_EEENSN_IJSD_SD_EEES6_PiJS6_EEE10hipError_tPvRmT3_T4_T5_T6_T7_T9_mT8_P12ihipStream_tbDpT10_ENKUlT_T0_E_clISt17integral_constantIbLb1EES1A_IbLb0EEEEDaS16_S17_EUlS16_E_NS1_11comp_targetILNS1_3genE9ELNS1_11target_archE1100ELNS1_3gpuE3ELNS1_3repE0EEENS1_30default_config_static_selectorELNS0_4arch9wavefront6targetE0EEEvT1_ ; -- Begin function _ZN7rocprim17ROCPRIM_400000_NS6detail17trampoline_kernelINS0_14default_configENS1_25partition_config_selectorILNS1_17partition_subalgoE5ElNS0_10empty_typeEbEEZZNS1_14partition_implILS5_5ELb0ES3_mN6hipcub16HIPCUB_304000_NS21CountingInputIteratorIllEEPS6_NSA_22TransformInputIteratorIbN2at6native12_GLOBAL__N_19NonZeroOpIiEEPKilEENS0_5tupleIJPlS6_EEENSN_IJSD_SD_EEES6_PiJS6_EEE10hipError_tPvRmT3_T4_T5_T6_T7_T9_mT8_P12ihipStream_tbDpT10_ENKUlT_T0_E_clISt17integral_constantIbLb1EES1A_IbLb0EEEEDaS16_S17_EUlS16_E_NS1_11comp_targetILNS1_3genE9ELNS1_11target_archE1100ELNS1_3gpuE3ELNS1_3repE0EEENS1_30default_config_static_selectorELNS0_4arch9wavefront6targetE0EEEvT1_
	.p2align	8
	.type	_ZN7rocprim17ROCPRIM_400000_NS6detail17trampoline_kernelINS0_14default_configENS1_25partition_config_selectorILNS1_17partition_subalgoE5ElNS0_10empty_typeEbEEZZNS1_14partition_implILS5_5ELb0ES3_mN6hipcub16HIPCUB_304000_NS21CountingInputIteratorIllEEPS6_NSA_22TransformInputIteratorIbN2at6native12_GLOBAL__N_19NonZeroOpIiEEPKilEENS0_5tupleIJPlS6_EEENSN_IJSD_SD_EEES6_PiJS6_EEE10hipError_tPvRmT3_T4_T5_T6_T7_T9_mT8_P12ihipStream_tbDpT10_ENKUlT_T0_E_clISt17integral_constantIbLb1EES1A_IbLb0EEEEDaS16_S17_EUlS16_E_NS1_11comp_targetILNS1_3genE9ELNS1_11target_archE1100ELNS1_3gpuE3ELNS1_3repE0EEENS1_30default_config_static_selectorELNS0_4arch9wavefront6targetE0EEEvT1_,@function
_ZN7rocprim17ROCPRIM_400000_NS6detail17trampoline_kernelINS0_14default_configENS1_25partition_config_selectorILNS1_17partition_subalgoE5ElNS0_10empty_typeEbEEZZNS1_14partition_implILS5_5ELb0ES3_mN6hipcub16HIPCUB_304000_NS21CountingInputIteratorIllEEPS6_NSA_22TransformInputIteratorIbN2at6native12_GLOBAL__N_19NonZeroOpIiEEPKilEENS0_5tupleIJPlS6_EEENSN_IJSD_SD_EEES6_PiJS6_EEE10hipError_tPvRmT3_T4_T5_T6_T7_T9_mT8_P12ihipStream_tbDpT10_ENKUlT_T0_E_clISt17integral_constantIbLb1EES1A_IbLb0EEEEDaS16_S17_EUlS16_E_NS1_11comp_targetILNS1_3genE9ELNS1_11target_archE1100ELNS1_3gpuE3ELNS1_3repE0EEENS1_30default_config_static_selectorELNS0_4arch9wavefront6targetE0EEEvT1_: ; @_ZN7rocprim17ROCPRIM_400000_NS6detail17trampoline_kernelINS0_14default_configENS1_25partition_config_selectorILNS1_17partition_subalgoE5ElNS0_10empty_typeEbEEZZNS1_14partition_implILS5_5ELb0ES3_mN6hipcub16HIPCUB_304000_NS21CountingInputIteratorIllEEPS6_NSA_22TransformInputIteratorIbN2at6native12_GLOBAL__N_19NonZeroOpIiEEPKilEENS0_5tupleIJPlS6_EEENSN_IJSD_SD_EEES6_PiJS6_EEE10hipError_tPvRmT3_T4_T5_T6_T7_T9_mT8_P12ihipStream_tbDpT10_ENKUlT_T0_E_clISt17integral_constantIbLb1EES1A_IbLb0EEEEDaS16_S17_EUlS16_E_NS1_11comp_targetILNS1_3genE9ELNS1_11target_archE1100ELNS1_3gpuE3ELNS1_3repE0EEENS1_30default_config_static_selectorELNS0_4arch9wavefront6targetE0EEEvT1_
; %bb.0:
	.section	.rodata,"a",@progbits
	.p2align	6, 0x0
	.amdhsa_kernel _ZN7rocprim17ROCPRIM_400000_NS6detail17trampoline_kernelINS0_14default_configENS1_25partition_config_selectorILNS1_17partition_subalgoE5ElNS0_10empty_typeEbEEZZNS1_14partition_implILS5_5ELb0ES3_mN6hipcub16HIPCUB_304000_NS21CountingInputIteratorIllEEPS6_NSA_22TransformInputIteratorIbN2at6native12_GLOBAL__N_19NonZeroOpIiEEPKilEENS0_5tupleIJPlS6_EEENSN_IJSD_SD_EEES6_PiJS6_EEE10hipError_tPvRmT3_T4_T5_T6_T7_T9_mT8_P12ihipStream_tbDpT10_ENKUlT_T0_E_clISt17integral_constantIbLb1EES1A_IbLb0EEEEDaS16_S17_EUlS16_E_NS1_11comp_targetILNS1_3genE9ELNS1_11target_archE1100ELNS1_3gpuE3ELNS1_3repE0EEENS1_30default_config_static_selectorELNS0_4arch9wavefront6targetE0EEEvT1_
		.amdhsa_group_segment_fixed_size 0
		.amdhsa_private_segment_fixed_size 0
		.amdhsa_kernarg_size 120
		.amdhsa_user_sgpr_count 2
		.amdhsa_user_sgpr_dispatch_ptr 0
		.amdhsa_user_sgpr_queue_ptr 0
		.amdhsa_user_sgpr_kernarg_segment_ptr 1
		.amdhsa_user_sgpr_dispatch_id 0
		.amdhsa_user_sgpr_private_segment_size 0
		.amdhsa_wavefront_size32 1
		.amdhsa_uses_dynamic_stack 0
		.amdhsa_enable_private_segment 0
		.amdhsa_system_sgpr_workgroup_id_x 1
		.amdhsa_system_sgpr_workgroup_id_y 0
		.amdhsa_system_sgpr_workgroup_id_z 0
		.amdhsa_system_sgpr_workgroup_info 0
		.amdhsa_system_vgpr_workitem_id 0
		.amdhsa_next_free_vgpr 1
		.amdhsa_next_free_sgpr 1
		.amdhsa_reserve_vcc 0
		.amdhsa_float_round_mode_32 0
		.amdhsa_float_round_mode_16_64 0
		.amdhsa_float_denorm_mode_32 3
		.amdhsa_float_denorm_mode_16_64 3
		.amdhsa_fp16_overflow 0
		.amdhsa_workgroup_processor_mode 1
		.amdhsa_memory_ordered 1
		.amdhsa_forward_progress 1
		.amdhsa_inst_pref_size 0
		.amdhsa_round_robin_scheduling 0
		.amdhsa_exception_fp_ieee_invalid_op 0
		.amdhsa_exception_fp_denorm_src 0
		.amdhsa_exception_fp_ieee_div_zero 0
		.amdhsa_exception_fp_ieee_overflow 0
		.amdhsa_exception_fp_ieee_underflow 0
		.amdhsa_exception_fp_ieee_inexact 0
		.amdhsa_exception_int_div_zero 0
	.end_amdhsa_kernel
	.section	.text._ZN7rocprim17ROCPRIM_400000_NS6detail17trampoline_kernelINS0_14default_configENS1_25partition_config_selectorILNS1_17partition_subalgoE5ElNS0_10empty_typeEbEEZZNS1_14partition_implILS5_5ELb0ES3_mN6hipcub16HIPCUB_304000_NS21CountingInputIteratorIllEEPS6_NSA_22TransformInputIteratorIbN2at6native12_GLOBAL__N_19NonZeroOpIiEEPKilEENS0_5tupleIJPlS6_EEENSN_IJSD_SD_EEES6_PiJS6_EEE10hipError_tPvRmT3_T4_T5_T6_T7_T9_mT8_P12ihipStream_tbDpT10_ENKUlT_T0_E_clISt17integral_constantIbLb1EES1A_IbLb0EEEEDaS16_S17_EUlS16_E_NS1_11comp_targetILNS1_3genE9ELNS1_11target_archE1100ELNS1_3gpuE3ELNS1_3repE0EEENS1_30default_config_static_selectorELNS0_4arch9wavefront6targetE0EEEvT1_,"axG",@progbits,_ZN7rocprim17ROCPRIM_400000_NS6detail17trampoline_kernelINS0_14default_configENS1_25partition_config_selectorILNS1_17partition_subalgoE5ElNS0_10empty_typeEbEEZZNS1_14partition_implILS5_5ELb0ES3_mN6hipcub16HIPCUB_304000_NS21CountingInputIteratorIllEEPS6_NSA_22TransformInputIteratorIbN2at6native12_GLOBAL__N_19NonZeroOpIiEEPKilEENS0_5tupleIJPlS6_EEENSN_IJSD_SD_EEES6_PiJS6_EEE10hipError_tPvRmT3_T4_T5_T6_T7_T9_mT8_P12ihipStream_tbDpT10_ENKUlT_T0_E_clISt17integral_constantIbLb1EES1A_IbLb0EEEEDaS16_S17_EUlS16_E_NS1_11comp_targetILNS1_3genE9ELNS1_11target_archE1100ELNS1_3gpuE3ELNS1_3repE0EEENS1_30default_config_static_selectorELNS0_4arch9wavefront6targetE0EEEvT1_,comdat
.Lfunc_end208:
	.size	_ZN7rocprim17ROCPRIM_400000_NS6detail17trampoline_kernelINS0_14default_configENS1_25partition_config_selectorILNS1_17partition_subalgoE5ElNS0_10empty_typeEbEEZZNS1_14partition_implILS5_5ELb0ES3_mN6hipcub16HIPCUB_304000_NS21CountingInputIteratorIllEEPS6_NSA_22TransformInputIteratorIbN2at6native12_GLOBAL__N_19NonZeroOpIiEEPKilEENS0_5tupleIJPlS6_EEENSN_IJSD_SD_EEES6_PiJS6_EEE10hipError_tPvRmT3_T4_T5_T6_T7_T9_mT8_P12ihipStream_tbDpT10_ENKUlT_T0_E_clISt17integral_constantIbLb1EES1A_IbLb0EEEEDaS16_S17_EUlS16_E_NS1_11comp_targetILNS1_3genE9ELNS1_11target_archE1100ELNS1_3gpuE3ELNS1_3repE0EEENS1_30default_config_static_selectorELNS0_4arch9wavefront6targetE0EEEvT1_, .Lfunc_end208-_ZN7rocprim17ROCPRIM_400000_NS6detail17trampoline_kernelINS0_14default_configENS1_25partition_config_selectorILNS1_17partition_subalgoE5ElNS0_10empty_typeEbEEZZNS1_14partition_implILS5_5ELb0ES3_mN6hipcub16HIPCUB_304000_NS21CountingInputIteratorIllEEPS6_NSA_22TransformInputIteratorIbN2at6native12_GLOBAL__N_19NonZeroOpIiEEPKilEENS0_5tupleIJPlS6_EEENSN_IJSD_SD_EEES6_PiJS6_EEE10hipError_tPvRmT3_T4_T5_T6_T7_T9_mT8_P12ihipStream_tbDpT10_ENKUlT_T0_E_clISt17integral_constantIbLb1EES1A_IbLb0EEEEDaS16_S17_EUlS16_E_NS1_11comp_targetILNS1_3genE9ELNS1_11target_archE1100ELNS1_3gpuE3ELNS1_3repE0EEENS1_30default_config_static_selectorELNS0_4arch9wavefront6targetE0EEEvT1_
                                        ; -- End function
	.set _ZN7rocprim17ROCPRIM_400000_NS6detail17trampoline_kernelINS0_14default_configENS1_25partition_config_selectorILNS1_17partition_subalgoE5ElNS0_10empty_typeEbEEZZNS1_14partition_implILS5_5ELb0ES3_mN6hipcub16HIPCUB_304000_NS21CountingInputIteratorIllEEPS6_NSA_22TransformInputIteratorIbN2at6native12_GLOBAL__N_19NonZeroOpIiEEPKilEENS0_5tupleIJPlS6_EEENSN_IJSD_SD_EEES6_PiJS6_EEE10hipError_tPvRmT3_T4_T5_T6_T7_T9_mT8_P12ihipStream_tbDpT10_ENKUlT_T0_E_clISt17integral_constantIbLb1EES1A_IbLb0EEEEDaS16_S17_EUlS16_E_NS1_11comp_targetILNS1_3genE9ELNS1_11target_archE1100ELNS1_3gpuE3ELNS1_3repE0EEENS1_30default_config_static_selectorELNS0_4arch9wavefront6targetE0EEEvT1_.num_vgpr, 0
	.set _ZN7rocprim17ROCPRIM_400000_NS6detail17trampoline_kernelINS0_14default_configENS1_25partition_config_selectorILNS1_17partition_subalgoE5ElNS0_10empty_typeEbEEZZNS1_14partition_implILS5_5ELb0ES3_mN6hipcub16HIPCUB_304000_NS21CountingInputIteratorIllEEPS6_NSA_22TransformInputIteratorIbN2at6native12_GLOBAL__N_19NonZeroOpIiEEPKilEENS0_5tupleIJPlS6_EEENSN_IJSD_SD_EEES6_PiJS6_EEE10hipError_tPvRmT3_T4_T5_T6_T7_T9_mT8_P12ihipStream_tbDpT10_ENKUlT_T0_E_clISt17integral_constantIbLb1EES1A_IbLb0EEEEDaS16_S17_EUlS16_E_NS1_11comp_targetILNS1_3genE9ELNS1_11target_archE1100ELNS1_3gpuE3ELNS1_3repE0EEENS1_30default_config_static_selectorELNS0_4arch9wavefront6targetE0EEEvT1_.num_agpr, 0
	.set _ZN7rocprim17ROCPRIM_400000_NS6detail17trampoline_kernelINS0_14default_configENS1_25partition_config_selectorILNS1_17partition_subalgoE5ElNS0_10empty_typeEbEEZZNS1_14partition_implILS5_5ELb0ES3_mN6hipcub16HIPCUB_304000_NS21CountingInputIteratorIllEEPS6_NSA_22TransformInputIteratorIbN2at6native12_GLOBAL__N_19NonZeroOpIiEEPKilEENS0_5tupleIJPlS6_EEENSN_IJSD_SD_EEES6_PiJS6_EEE10hipError_tPvRmT3_T4_T5_T6_T7_T9_mT8_P12ihipStream_tbDpT10_ENKUlT_T0_E_clISt17integral_constantIbLb1EES1A_IbLb0EEEEDaS16_S17_EUlS16_E_NS1_11comp_targetILNS1_3genE9ELNS1_11target_archE1100ELNS1_3gpuE3ELNS1_3repE0EEENS1_30default_config_static_selectorELNS0_4arch9wavefront6targetE0EEEvT1_.numbered_sgpr, 0
	.set _ZN7rocprim17ROCPRIM_400000_NS6detail17trampoline_kernelINS0_14default_configENS1_25partition_config_selectorILNS1_17partition_subalgoE5ElNS0_10empty_typeEbEEZZNS1_14partition_implILS5_5ELb0ES3_mN6hipcub16HIPCUB_304000_NS21CountingInputIteratorIllEEPS6_NSA_22TransformInputIteratorIbN2at6native12_GLOBAL__N_19NonZeroOpIiEEPKilEENS0_5tupleIJPlS6_EEENSN_IJSD_SD_EEES6_PiJS6_EEE10hipError_tPvRmT3_T4_T5_T6_T7_T9_mT8_P12ihipStream_tbDpT10_ENKUlT_T0_E_clISt17integral_constantIbLb1EES1A_IbLb0EEEEDaS16_S17_EUlS16_E_NS1_11comp_targetILNS1_3genE9ELNS1_11target_archE1100ELNS1_3gpuE3ELNS1_3repE0EEENS1_30default_config_static_selectorELNS0_4arch9wavefront6targetE0EEEvT1_.num_named_barrier, 0
	.set _ZN7rocprim17ROCPRIM_400000_NS6detail17trampoline_kernelINS0_14default_configENS1_25partition_config_selectorILNS1_17partition_subalgoE5ElNS0_10empty_typeEbEEZZNS1_14partition_implILS5_5ELb0ES3_mN6hipcub16HIPCUB_304000_NS21CountingInputIteratorIllEEPS6_NSA_22TransformInputIteratorIbN2at6native12_GLOBAL__N_19NonZeroOpIiEEPKilEENS0_5tupleIJPlS6_EEENSN_IJSD_SD_EEES6_PiJS6_EEE10hipError_tPvRmT3_T4_T5_T6_T7_T9_mT8_P12ihipStream_tbDpT10_ENKUlT_T0_E_clISt17integral_constantIbLb1EES1A_IbLb0EEEEDaS16_S17_EUlS16_E_NS1_11comp_targetILNS1_3genE9ELNS1_11target_archE1100ELNS1_3gpuE3ELNS1_3repE0EEENS1_30default_config_static_selectorELNS0_4arch9wavefront6targetE0EEEvT1_.private_seg_size, 0
	.set _ZN7rocprim17ROCPRIM_400000_NS6detail17trampoline_kernelINS0_14default_configENS1_25partition_config_selectorILNS1_17partition_subalgoE5ElNS0_10empty_typeEbEEZZNS1_14partition_implILS5_5ELb0ES3_mN6hipcub16HIPCUB_304000_NS21CountingInputIteratorIllEEPS6_NSA_22TransformInputIteratorIbN2at6native12_GLOBAL__N_19NonZeroOpIiEEPKilEENS0_5tupleIJPlS6_EEENSN_IJSD_SD_EEES6_PiJS6_EEE10hipError_tPvRmT3_T4_T5_T6_T7_T9_mT8_P12ihipStream_tbDpT10_ENKUlT_T0_E_clISt17integral_constantIbLb1EES1A_IbLb0EEEEDaS16_S17_EUlS16_E_NS1_11comp_targetILNS1_3genE9ELNS1_11target_archE1100ELNS1_3gpuE3ELNS1_3repE0EEENS1_30default_config_static_selectorELNS0_4arch9wavefront6targetE0EEEvT1_.uses_vcc, 0
	.set _ZN7rocprim17ROCPRIM_400000_NS6detail17trampoline_kernelINS0_14default_configENS1_25partition_config_selectorILNS1_17partition_subalgoE5ElNS0_10empty_typeEbEEZZNS1_14partition_implILS5_5ELb0ES3_mN6hipcub16HIPCUB_304000_NS21CountingInputIteratorIllEEPS6_NSA_22TransformInputIteratorIbN2at6native12_GLOBAL__N_19NonZeroOpIiEEPKilEENS0_5tupleIJPlS6_EEENSN_IJSD_SD_EEES6_PiJS6_EEE10hipError_tPvRmT3_T4_T5_T6_T7_T9_mT8_P12ihipStream_tbDpT10_ENKUlT_T0_E_clISt17integral_constantIbLb1EES1A_IbLb0EEEEDaS16_S17_EUlS16_E_NS1_11comp_targetILNS1_3genE9ELNS1_11target_archE1100ELNS1_3gpuE3ELNS1_3repE0EEENS1_30default_config_static_selectorELNS0_4arch9wavefront6targetE0EEEvT1_.uses_flat_scratch, 0
	.set _ZN7rocprim17ROCPRIM_400000_NS6detail17trampoline_kernelINS0_14default_configENS1_25partition_config_selectorILNS1_17partition_subalgoE5ElNS0_10empty_typeEbEEZZNS1_14partition_implILS5_5ELb0ES3_mN6hipcub16HIPCUB_304000_NS21CountingInputIteratorIllEEPS6_NSA_22TransformInputIteratorIbN2at6native12_GLOBAL__N_19NonZeroOpIiEEPKilEENS0_5tupleIJPlS6_EEENSN_IJSD_SD_EEES6_PiJS6_EEE10hipError_tPvRmT3_T4_T5_T6_T7_T9_mT8_P12ihipStream_tbDpT10_ENKUlT_T0_E_clISt17integral_constantIbLb1EES1A_IbLb0EEEEDaS16_S17_EUlS16_E_NS1_11comp_targetILNS1_3genE9ELNS1_11target_archE1100ELNS1_3gpuE3ELNS1_3repE0EEENS1_30default_config_static_selectorELNS0_4arch9wavefront6targetE0EEEvT1_.has_dyn_sized_stack, 0
	.set _ZN7rocprim17ROCPRIM_400000_NS6detail17trampoline_kernelINS0_14default_configENS1_25partition_config_selectorILNS1_17partition_subalgoE5ElNS0_10empty_typeEbEEZZNS1_14partition_implILS5_5ELb0ES3_mN6hipcub16HIPCUB_304000_NS21CountingInputIteratorIllEEPS6_NSA_22TransformInputIteratorIbN2at6native12_GLOBAL__N_19NonZeroOpIiEEPKilEENS0_5tupleIJPlS6_EEENSN_IJSD_SD_EEES6_PiJS6_EEE10hipError_tPvRmT3_T4_T5_T6_T7_T9_mT8_P12ihipStream_tbDpT10_ENKUlT_T0_E_clISt17integral_constantIbLb1EES1A_IbLb0EEEEDaS16_S17_EUlS16_E_NS1_11comp_targetILNS1_3genE9ELNS1_11target_archE1100ELNS1_3gpuE3ELNS1_3repE0EEENS1_30default_config_static_selectorELNS0_4arch9wavefront6targetE0EEEvT1_.has_recursion, 0
	.set _ZN7rocprim17ROCPRIM_400000_NS6detail17trampoline_kernelINS0_14default_configENS1_25partition_config_selectorILNS1_17partition_subalgoE5ElNS0_10empty_typeEbEEZZNS1_14partition_implILS5_5ELb0ES3_mN6hipcub16HIPCUB_304000_NS21CountingInputIteratorIllEEPS6_NSA_22TransformInputIteratorIbN2at6native12_GLOBAL__N_19NonZeroOpIiEEPKilEENS0_5tupleIJPlS6_EEENSN_IJSD_SD_EEES6_PiJS6_EEE10hipError_tPvRmT3_T4_T5_T6_T7_T9_mT8_P12ihipStream_tbDpT10_ENKUlT_T0_E_clISt17integral_constantIbLb1EES1A_IbLb0EEEEDaS16_S17_EUlS16_E_NS1_11comp_targetILNS1_3genE9ELNS1_11target_archE1100ELNS1_3gpuE3ELNS1_3repE0EEENS1_30default_config_static_selectorELNS0_4arch9wavefront6targetE0EEEvT1_.has_indirect_call, 0
	.section	.AMDGPU.csdata,"",@progbits
; Kernel info:
; codeLenInByte = 0
; TotalNumSgprs: 0
; NumVgprs: 0
; ScratchSize: 0
; MemoryBound: 0
; FloatMode: 240
; IeeeMode: 1
; LDSByteSize: 0 bytes/workgroup (compile time only)
; SGPRBlocks: 0
; VGPRBlocks: 0
; NumSGPRsForWavesPerEU: 1
; NumVGPRsForWavesPerEU: 1
; Occupancy: 16
; WaveLimiterHint : 0
; COMPUTE_PGM_RSRC2:SCRATCH_EN: 0
; COMPUTE_PGM_RSRC2:USER_SGPR: 2
; COMPUTE_PGM_RSRC2:TRAP_HANDLER: 0
; COMPUTE_PGM_RSRC2:TGID_X_EN: 1
; COMPUTE_PGM_RSRC2:TGID_Y_EN: 0
; COMPUTE_PGM_RSRC2:TGID_Z_EN: 0
; COMPUTE_PGM_RSRC2:TIDIG_COMP_CNT: 0
	.section	.text._ZN7rocprim17ROCPRIM_400000_NS6detail17trampoline_kernelINS0_14default_configENS1_25partition_config_selectorILNS1_17partition_subalgoE5ElNS0_10empty_typeEbEEZZNS1_14partition_implILS5_5ELb0ES3_mN6hipcub16HIPCUB_304000_NS21CountingInputIteratorIllEEPS6_NSA_22TransformInputIteratorIbN2at6native12_GLOBAL__N_19NonZeroOpIiEEPKilEENS0_5tupleIJPlS6_EEENSN_IJSD_SD_EEES6_PiJS6_EEE10hipError_tPvRmT3_T4_T5_T6_T7_T9_mT8_P12ihipStream_tbDpT10_ENKUlT_T0_E_clISt17integral_constantIbLb1EES1A_IbLb0EEEEDaS16_S17_EUlS16_E_NS1_11comp_targetILNS1_3genE8ELNS1_11target_archE1030ELNS1_3gpuE2ELNS1_3repE0EEENS1_30default_config_static_selectorELNS0_4arch9wavefront6targetE0EEEvT1_,"axG",@progbits,_ZN7rocprim17ROCPRIM_400000_NS6detail17trampoline_kernelINS0_14default_configENS1_25partition_config_selectorILNS1_17partition_subalgoE5ElNS0_10empty_typeEbEEZZNS1_14partition_implILS5_5ELb0ES3_mN6hipcub16HIPCUB_304000_NS21CountingInputIteratorIllEEPS6_NSA_22TransformInputIteratorIbN2at6native12_GLOBAL__N_19NonZeroOpIiEEPKilEENS0_5tupleIJPlS6_EEENSN_IJSD_SD_EEES6_PiJS6_EEE10hipError_tPvRmT3_T4_T5_T6_T7_T9_mT8_P12ihipStream_tbDpT10_ENKUlT_T0_E_clISt17integral_constantIbLb1EES1A_IbLb0EEEEDaS16_S17_EUlS16_E_NS1_11comp_targetILNS1_3genE8ELNS1_11target_archE1030ELNS1_3gpuE2ELNS1_3repE0EEENS1_30default_config_static_selectorELNS0_4arch9wavefront6targetE0EEEvT1_,comdat
	.globl	_ZN7rocprim17ROCPRIM_400000_NS6detail17trampoline_kernelINS0_14default_configENS1_25partition_config_selectorILNS1_17partition_subalgoE5ElNS0_10empty_typeEbEEZZNS1_14partition_implILS5_5ELb0ES3_mN6hipcub16HIPCUB_304000_NS21CountingInputIteratorIllEEPS6_NSA_22TransformInputIteratorIbN2at6native12_GLOBAL__N_19NonZeroOpIiEEPKilEENS0_5tupleIJPlS6_EEENSN_IJSD_SD_EEES6_PiJS6_EEE10hipError_tPvRmT3_T4_T5_T6_T7_T9_mT8_P12ihipStream_tbDpT10_ENKUlT_T0_E_clISt17integral_constantIbLb1EES1A_IbLb0EEEEDaS16_S17_EUlS16_E_NS1_11comp_targetILNS1_3genE8ELNS1_11target_archE1030ELNS1_3gpuE2ELNS1_3repE0EEENS1_30default_config_static_selectorELNS0_4arch9wavefront6targetE0EEEvT1_ ; -- Begin function _ZN7rocprim17ROCPRIM_400000_NS6detail17trampoline_kernelINS0_14default_configENS1_25partition_config_selectorILNS1_17partition_subalgoE5ElNS0_10empty_typeEbEEZZNS1_14partition_implILS5_5ELb0ES3_mN6hipcub16HIPCUB_304000_NS21CountingInputIteratorIllEEPS6_NSA_22TransformInputIteratorIbN2at6native12_GLOBAL__N_19NonZeroOpIiEEPKilEENS0_5tupleIJPlS6_EEENSN_IJSD_SD_EEES6_PiJS6_EEE10hipError_tPvRmT3_T4_T5_T6_T7_T9_mT8_P12ihipStream_tbDpT10_ENKUlT_T0_E_clISt17integral_constantIbLb1EES1A_IbLb0EEEEDaS16_S17_EUlS16_E_NS1_11comp_targetILNS1_3genE8ELNS1_11target_archE1030ELNS1_3gpuE2ELNS1_3repE0EEENS1_30default_config_static_selectorELNS0_4arch9wavefront6targetE0EEEvT1_
	.p2align	8
	.type	_ZN7rocprim17ROCPRIM_400000_NS6detail17trampoline_kernelINS0_14default_configENS1_25partition_config_selectorILNS1_17partition_subalgoE5ElNS0_10empty_typeEbEEZZNS1_14partition_implILS5_5ELb0ES3_mN6hipcub16HIPCUB_304000_NS21CountingInputIteratorIllEEPS6_NSA_22TransformInputIteratorIbN2at6native12_GLOBAL__N_19NonZeroOpIiEEPKilEENS0_5tupleIJPlS6_EEENSN_IJSD_SD_EEES6_PiJS6_EEE10hipError_tPvRmT3_T4_T5_T6_T7_T9_mT8_P12ihipStream_tbDpT10_ENKUlT_T0_E_clISt17integral_constantIbLb1EES1A_IbLb0EEEEDaS16_S17_EUlS16_E_NS1_11comp_targetILNS1_3genE8ELNS1_11target_archE1030ELNS1_3gpuE2ELNS1_3repE0EEENS1_30default_config_static_selectorELNS0_4arch9wavefront6targetE0EEEvT1_,@function
_ZN7rocprim17ROCPRIM_400000_NS6detail17trampoline_kernelINS0_14default_configENS1_25partition_config_selectorILNS1_17partition_subalgoE5ElNS0_10empty_typeEbEEZZNS1_14partition_implILS5_5ELb0ES3_mN6hipcub16HIPCUB_304000_NS21CountingInputIteratorIllEEPS6_NSA_22TransformInputIteratorIbN2at6native12_GLOBAL__N_19NonZeroOpIiEEPKilEENS0_5tupleIJPlS6_EEENSN_IJSD_SD_EEES6_PiJS6_EEE10hipError_tPvRmT3_T4_T5_T6_T7_T9_mT8_P12ihipStream_tbDpT10_ENKUlT_T0_E_clISt17integral_constantIbLb1EES1A_IbLb0EEEEDaS16_S17_EUlS16_E_NS1_11comp_targetILNS1_3genE8ELNS1_11target_archE1030ELNS1_3gpuE2ELNS1_3repE0EEENS1_30default_config_static_selectorELNS0_4arch9wavefront6targetE0EEEvT1_: ; @_ZN7rocprim17ROCPRIM_400000_NS6detail17trampoline_kernelINS0_14default_configENS1_25partition_config_selectorILNS1_17partition_subalgoE5ElNS0_10empty_typeEbEEZZNS1_14partition_implILS5_5ELb0ES3_mN6hipcub16HIPCUB_304000_NS21CountingInputIteratorIllEEPS6_NSA_22TransformInputIteratorIbN2at6native12_GLOBAL__N_19NonZeroOpIiEEPKilEENS0_5tupleIJPlS6_EEENSN_IJSD_SD_EEES6_PiJS6_EEE10hipError_tPvRmT3_T4_T5_T6_T7_T9_mT8_P12ihipStream_tbDpT10_ENKUlT_T0_E_clISt17integral_constantIbLb1EES1A_IbLb0EEEEDaS16_S17_EUlS16_E_NS1_11comp_targetILNS1_3genE8ELNS1_11target_archE1030ELNS1_3gpuE2ELNS1_3repE0EEENS1_30default_config_static_selectorELNS0_4arch9wavefront6targetE0EEEvT1_
; %bb.0:
	.section	.rodata,"a",@progbits
	.p2align	6, 0x0
	.amdhsa_kernel _ZN7rocprim17ROCPRIM_400000_NS6detail17trampoline_kernelINS0_14default_configENS1_25partition_config_selectorILNS1_17partition_subalgoE5ElNS0_10empty_typeEbEEZZNS1_14partition_implILS5_5ELb0ES3_mN6hipcub16HIPCUB_304000_NS21CountingInputIteratorIllEEPS6_NSA_22TransformInputIteratorIbN2at6native12_GLOBAL__N_19NonZeroOpIiEEPKilEENS0_5tupleIJPlS6_EEENSN_IJSD_SD_EEES6_PiJS6_EEE10hipError_tPvRmT3_T4_T5_T6_T7_T9_mT8_P12ihipStream_tbDpT10_ENKUlT_T0_E_clISt17integral_constantIbLb1EES1A_IbLb0EEEEDaS16_S17_EUlS16_E_NS1_11comp_targetILNS1_3genE8ELNS1_11target_archE1030ELNS1_3gpuE2ELNS1_3repE0EEENS1_30default_config_static_selectorELNS0_4arch9wavefront6targetE0EEEvT1_
		.amdhsa_group_segment_fixed_size 0
		.amdhsa_private_segment_fixed_size 0
		.amdhsa_kernarg_size 120
		.amdhsa_user_sgpr_count 2
		.amdhsa_user_sgpr_dispatch_ptr 0
		.amdhsa_user_sgpr_queue_ptr 0
		.amdhsa_user_sgpr_kernarg_segment_ptr 1
		.amdhsa_user_sgpr_dispatch_id 0
		.amdhsa_user_sgpr_private_segment_size 0
		.amdhsa_wavefront_size32 1
		.amdhsa_uses_dynamic_stack 0
		.amdhsa_enable_private_segment 0
		.amdhsa_system_sgpr_workgroup_id_x 1
		.amdhsa_system_sgpr_workgroup_id_y 0
		.amdhsa_system_sgpr_workgroup_id_z 0
		.amdhsa_system_sgpr_workgroup_info 0
		.amdhsa_system_vgpr_workitem_id 0
		.amdhsa_next_free_vgpr 1
		.amdhsa_next_free_sgpr 1
		.amdhsa_reserve_vcc 0
		.amdhsa_float_round_mode_32 0
		.amdhsa_float_round_mode_16_64 0
		.amdhsa_float_denorm_mode_32 3
		.amdhsa_float_denorm_mode_16_64 3
		.amdhsa_fp16_overflow 0
		.amdhsa_workgroup_processor_mode 1
		.amdhsa_memory_ordered 1
		.amdhsa_forward_progress 1
		.amdhsa_inst_pref_size 0
		.amdhsa_round_robin_scheduling 0
		.amdhsa_exception_fp_ieee_invalid_op 0
		.amdhsa_exception_fp_denorm_src 0
		.amdhsa_exception_fp_ieee_div_zero 0
		.amdhsa_exception_fp_ieee_overflow 0
		.amdhsa_exception_fp_ieee_underflow 0
		.amdhsa_exception_fp_ieee_inexact 0
		.amdhsa_exception_int_div_zero 0
	.end_amdhsa_kernel
	.section	.text._ZN7rocprim17ROCPRIM_400000_NS6detail17trampoline_kernelINS0_14default_configENS1_25partition_config_selectorILNS1_17partition_subalgoE5ElNS0_10empty_typeEbEEZZNS1_14partition_implILS5_5ELb0ES3_mN6hipcub16HIPCUB_304000_NS21CountingInputIteratorIllEEPS6_NSA_22TransformInputIteratorIbN2at6native12_GLOBAL__N_19NonZeroOpIiEEPKilEENS0_5tupleIJPlS6_EEENSN_IJSD_SD_EEES6_PiJS6_EEE10hipError_tPvRmT3_T4_T5_T6_T7_T9_mT8_P12ihipStream_tbDpT10_ENKUlT_T0_E_clISt17integral_constantIbLb1EES1A_IbLb0EEEEDaS16_S17_EUlS16_E_NS1_11comp_targetILNS1_3genE8ELNS1_11target_archE1030ELNS1_3gpuE2ELNS1_3repE0EEENS1_30default_config_static_selectorELNS0_4arch9wavefront6targetE0EEEvT1_,"axG",@progbits,_ZN7rocprim17ROCPRIM_400000_NS6detail17trampoline_kernelINS0_14default_configENS1_25partition_config_selectorILNS1_17partition_subalgoE5ElNS0_10empty_typeEbEEZZNS1_14partition_implILS5_5ELb0ES3_mN6hipcub16HIPCUB_304000_NS21CountingInputIteratorIllEEPS6_NSA_22TransformInputIteratorIbN2at6native12_GLOBAL__N_19NonZeroOpIiEEPKilEENS0_5tupleIJPlS6_EEENSN_IJSD_SD_EEES6_PiJS6_EEE10hipError_tPvRmT3_T4_T5_T6_T7_T9_mT8_P12ihipStream_tbDpT10_ENKUlT_T0_E_clISt17integral_constantIbLb1EES1A_IbLb0EEEEDaS16_S17_EUlS16_E_NS1_11comp_targetILNS1_3genE8ELNS1_11target_archE1030ELNS1_3gpuE2ELNS1_3repE0EEENS1_30default_config_static_selectorELNS0_4arch9wavefront6targetE0EEEvT1_,comdat
.Lfunc_end209:
	.size	_ZN7rocprim17ROCPRIM_400000_NS6detail17trampoline_kernelINS0_14default_configENS1_25partition_config_selectorILNS1_17partition_subalgoE5ElNS0_10empty_typeEbEEZZNS1_14partition_implILS5_5ELb0ES3_mN6hipcub16HIPCUB_304000_NS21CountingInputIteratorIllEEPS6_NSA_22TransformInputIteratorIbN2at6native12_GLOBAL__N_19NonZeroOpIiEEPKilEENS0_5tupleIJPlS6_EEENSN_IJSD_SD_EEES6_PiJS6_EEE10hipError_tPvRmT3_T4_T5_T6_T7_T9_mT8_P12ihipStream_tbDpT10_ENKUlT_T0_E_clISt17integral_constantIbLb1EES1A_IbLb0EEEEDaS16_S17_EUlS16_E_NS1_11comp_targetILNS1_3genE8ELNS1_11target_archE1030ELNS1_3gpuE2ELNS1_3repE0EEENS1_30default_config_static_selectorELNS0_4arch9wavefront6targetE0EEEvT1_, .Lfunc_end209-_ZN7rocprim17ROCPRIM_400000_NS6detail17trampoline_kernelINS0_14default_configENS1_25partition_config_selectorILNS1_17partition_subalgoE5ElNS0_10empty_typeEbEEZZNS1_14partition_implILS5_5ELb0ES3_mN6hipcub16HIPCUB_304000_NS21CountingInputIteratorIllEEPS6_NSA_22TransformInputIteratorIbN2at6native12_GLOBAL__N_19NonZeroOpIiEEPKilEENS0_5tupleIJPlS6_EEENSN_IJSD_SD_EEES6_PiJS6_EEE10hipError_tPvRmT3_T4_T5_T6_T7_T9_mT8_P12ihipStream_tbDpT10_ENKUlT_T0_E_clISt17integral_constantIbLb1EES1A_IbLb0EEEEDaS16_S17_EUlS16_E_NS1_11comp_targetILNS1_3genE8ELNS1_11target_archE1030ELNS1_3gpuE2ELNS1_3repE0EEENS1_30default_config_static_selectorELNS0_4arch9wavefront6targetE0EEEvT1_
                                        ; -- End function
	.set _ZN7rocprim17ROCPRIM_400000_NS6detail17trampoline_kernelINS0_14default_configENS1_25partition_config_selectorILNS1_17partition_subalgoE5ElNS0_10empty_typeEbEEZZNS1_14partition_implILS5_5ELb0ES3_mN6hipcub16HIPCUB_304000_NS21CountingInputIteratorIllEEPS6_NSA_22TransformInputIteratorIbN2at6native12_GLOBAL__N_19NonZeroOpIiEEPKilEENS0_5tupleIJPlS6_EEENSN_IJSD_SD_EEES6_PiJS6_EEE10hipError_tPvRmT3_T4_T5_T6_T7_T9_mT8_P12ihipStream_tbDpT10_ENKUlT_T0_E_clISt17integral_constantIbLb1EES1A_IbLb0EEEEDaS16_S17_EUlS16_E_NS1_11comp_targetILNS1_3genE8ELNS1_11target_archE1030ELNS1_3gpuE2ELNS1_3repE0EEENS1_30default_config_static_selectorELNS0_4arch9wavefront6targetE0EEEvT1_.num_vgpr, 0
	.set _ZN7rocprim17ROCPRIM_400000_NS6detail17trampoline_kernelINS0_14default_configENS1_25partition_config_selectorILNS1_17partition_subalgoE5ElNS0_10empty_typeEbEEZZNS1_14partition_implILS5_5ELb0ES3_mN6hipcub16HIPCUB_304000_NS21CountingInputIteratorIllEEPS6_NSA_22TransformInputIteratorIbN2at6native12_GLOBAL__N_19NonZeroOpIiEEPKilEENS0_5tupleIJPlS6_EEENSN_IJSD_SD_EEES6_PiJS6_EEE10hipError_tPvRmT3_T4_T5_T6_T7_T9_mT8_P12ihipStream_tbDpT10_ENKUlT_T0_E_clISt17integral_constantIbLb1EES1A_IbLb0EEEEDaS16_S17_EUlS16_E_NS1_11comp_targetILNS1_3genE8ELNS1_11target_archE1030ELNS1_3gpuE2ELNS1_3repE0EEENS1_30default_config_static_selectorELNS0_4arch9wavefront6targetE0EEEvT1_.num_agpr, 0
	.set _ZN7rocprim17ROCPRIM_400000_NS6detail17trampoline_kernelINS0_14default_configENS1_25partition_config_selectorILNS1_17partition_subalgoE5ElNS0_10empty_typeEbEEZZNS1_14partition_implILS5_5ELb0ES3_mN6hipcub16HIPCUB_304000_NS21CountingInputIteratorIllEEPS6_NSA_22TransformInputIteratorIbN2at6native12_GLOBAL__N_19NonZeroOpIiEEPKilEENS0_5tupleIJPlS6_EEENSN_IJSD_SD_EEES6_PiJS6_EEE10hipError_tPvRmT3_T4_T5_T6_T7_T9_mT8_P12ihipStream_tbDpT10_ENKUlT_T0_E_clISt17integral_constantIbLb1EES1A_IbLb0EEEEDaS16_S17_EUlS16_E_NS1_11comp_targetILNS1_3genE8ELNS1_11target_archE1030ELNS1_3gpuE2ELNS1_3repE0EEENS1_30default_config_static_selectorELNS0_4arch9wavefront6targetE0EEEvT1_.numbered_sgpr, 0
	.set _ZN7rocprim17ROCPRIM_400000_NS6detail17trampoline_kernelINS0_14default_configENS1_25partition_config_selectorILNS1_17partition_subalgoE5ElNS0_10empty_typeEbEEZZNS1_14partition_implILS5_5ELb0ES3_mN6hipcub16HIPCUB_304000_NS21CountingInputIteratorIllEEPS6_NSA_22TransformInputIteratorIbN2at6native12_GLOBAL__N_19NonZeroOpIiEEPKilEENS0_5tupleIJPlS6_EEENSN_IJSD_SD_EEES6_PiJS6_EEE10hipError_tPvRmT3_T4_T5_T6_T7_T9_mT8_P12ihipStream_tbDpT10_ENKUlT_T0_E_clISt17integral_constantIbLb1EES1A_IbLb0EEEEDaS16_S17_EUlS16_E_NS1_11comp_targetILNS1_3genE8ELNS1_11target_archE1030ELNS1_3gpuE2ELNS1_3repE0EEENS1_30default_config_static_selectorELNS0_4arch9wavefront6targetE0EEEvT1_.num_named_barrier, 0
	.set _ZN7rocprim17ROCPRIM_400000_NS6detail17trampoline_kernelINS0_14default_configENS1_25partition_config_selectorILNS1_17partition_subalgoE5ElNS0_10empty_typeEbEEZZNS1_14partition_implILS5_5ELb0ES3_mN6hipcub16HIPCUB_304000_NS21CountingInputIteratorIllEEPS6_NSA_22TransformInputIteratorIbN2at6native12_GLOBAL__N_19NonZeroOpIiEEPKilEENS0_5tupleIJPlS6_EEENSN_IJSD_SD_EEES6_PiJS6_EEE10hipError_tPvRmT3_T4_T5_T6_T7_T9_mT8_P12ihipStream_tbDpT10_ENKUlT_T0_E_clISt17integral_constantIbLb1EES1A_IbLb0EEEEDaS16_S17_EUlS16_E_NS1_11comp_targetILNS1_3genE8ELNS1_11target_archE1030ELNS1_3gpuE2ELNS1_3repE0EEENS1_30default_config_static_selectorELNS0_4arch9wavefront6targetE0EEEvT1_.private_seg_size, 0
	.set _ZN7rocprim17ROCPRIM_400000_NS6detail17trampoline_kernelINS0_14default_configENS1_25partition_config_selectorILNS1_17partition_subalgoE5ElNS0_10empty_typeEbEEZZNS1_14partition_implILS5_5ELb0ES3_mN6hipcub16HIPCUB_304000_NS21CountingInputIteratorIllEEPS6_NSA_22TransformInputIteratorIbN2at6native12_GLOBAL__N_19NonZeroOpIiEEPKilEENS0_5tupleIJPlS6_EEENSN_IJSD_SD_EEES6_PiJS6_EEE10hipError_tPvRmT3_T4_T5_T6_T7_T9_mT8_P12ihipStream_tbDpT10_ENKUlT_T0_E_clISt17integral_constantIbLb1EES1A_IbLb0EEEEDaS16_S17_EUlS16_E_NS1_11comp_targetILNS1_3genE8ELNS1_11target_archE1030ELNS1_3gpuE2ELNS1_3repE0EEENS1_30default_config_static_selectorELNS0_4arch9wavefront6targetE0EEEvT1_.uses_vcc, 0
	.set _ZN7rocprim17ROCPRIM_400000_NS6detail17trampoline_kernelINS0_14default_configENS1_25partition_config_selectorILNS1_17partition_subalgoE5ElNS0_10empty_typeEbEEZZNS1_14partition_implILS5_5ELb0ES3_mN6hipcub16HIPCUB_304000_NS21CountingInputIteratorIllEEPS6_NSA_22TransformInputIteratorIbN2at6native12_GLOBAL__N_19NonZeroOpIiEEPKilEENS0_5tupleIJPlS6_EEENSN_IJSD_SD_EEES6_PiJS6_EEE10hipError_tPvRmT3_T4_T5_T6_T7_T9_mT8_P12ihipStream_tbDpT10_ENKUlT_T0_E_clISt17integral_constantIbLb1EES1A_IbLb0EEEEDaS16_S17_EUlS16_E_NS1_11comp_targetILNS1_3genE8ELNS1_11target_archE1030ELNS1_3gpuE2ELNS1_3repE0EEENS1_30default_config_static_selectorELNS0_4arch9wavefront6targetE0EEEvT1_.uses_flat_scratch, 0
	.set _ZN7rocprim17ROCPRIM_400000_NS6detail17trampoline_kernelINS0_14default_configENS1_25partition_config_selectorILNS1_17partition_subalgoE5ElNS0_10empty_typeEbEEZZNS1_14partition_implILS5_5ELb0ES3_mN6hipcub16HIPCUB_304000_NS21CountingInputIteratorIllEEPS6_NSA_22TransformInputIteratorIbN2at6native12_GLOBAL__N_19NonZeroOpIiEEPKilEENS0_5tupleIJPlS6_EEENSN_IJSD_SD_EEES6_PiJS6_EEE10hipError_tPvRmT3_T4_T5_T6_T7_T9_mT8_P12ihipStream_tbDpT10_ENKUlT_T0_E_clISt17integral_constantIbLb1EES1A_IbLb0EEEEDaS16_S17_EUlS16_E_NS1_11comp_targetILNS1_3genE8ELNS1_11target_archE1030ELNS1_3gpuE2ELNS1_3repE0EEENS1_30default_config_static_selectorELNS0_4arch9wavefront6targetE0EEEvT1_.has_dyn_sized_stack, 0
	.set _ZN7rocprim17ROCPRIM_400000_NS6detail17trampoline_kernelINS0_14default_configENS1_25partition_config_selectorILNS1_17partition_subalgoE5ElNS0_10empty_typeEbEEZZNS1_14partition_implILS5_5ELb0ES3_mN6hipcub16HIPCUB_304000_NS21CountingInputIteratorIllEEPS6_NSA_22TransformInputIteratorIbN2at6native12_GLOBAL__N_19NonZeroOpIiEEPKilEENS0_5tupleIJPlS6_EEENSN_IJSD_SD_EEES6_PiJS6_EEE10hipError_tPvRmT3_T4_T5_T6_T7_T9_mT8_P12ihipStream_tbDpT10_ENKUlT_T0_E_clISt17integral_constantIbLb1EES1A_IbLb0EEEEDaS16_S17_EUlS16_E_NS1_11comp_targetILNS1_3genE8ELNS1_11target_archE1030ELNS1_3gpuE2ELNS1_3repE0EEENS1_30default_config_static_selectorELNS0_4arch9wavefront6targetE0EEEvT1_.has_recursion, 0
	.set _ZN7rocprim17ROCPRIM_400000_NS6detail17trampoline_kernelINS0_14default_configENS1_25partition_config_selectorILNS1_17partition_subalgoE5ElNS0_10empty_typeEbEEZZNS1_14partition_implILS5_5ELb0ES3_mN6hipcub16HIPCUB_304000_NS21CountingInputIteratorIllEEPS6_NSA_22TransformInputIteratorIbN2at6native12_GLOBAL__N_19NonZeroOpIiEEPKilEENS0_5tupleIJPlS6_EEENSN_IJSD_SD_EEES6_PiJS6_EEE10hipError_tPvRmT3_T4_T5_T6_T7_T9_mT8_P12ihipStream_tbDpT10_ENKUlT_T0_E_clISt17integral_constantIbLb1EES1A_IbLb0EEEEDaS16_S17_EUlS16_E_NS1_11comp_targetILNS1_3genE8ELNS1_11target_archE1030ELNS1_3gpuE2ELNS1_3repE0EEENS1_30default_config_static_selectorELNS0_4arch9wavefront6targetE0EEEvT1_.has_indirect_call, 0
	.section	.AMDGPU.csdata,"",@progbits
; Kernel info:
; codeLenInByte = 0
; TotalNumSgprs: 0
; NumVgprs: 0
; ScratchSize: 0
; MemoryBound: 0
; FloatMode: 240
; IeeeMode: 1
; LDSByteSize: 0 bytes/workgroup (compile time only)
; SGPRBlocks: 0
; VGPRBlocks: 0
; NumSGPRsForWavesPerEU: 1
; NumVGPRsForWavesPerEU: 1
; Occupancy: 16
; WaveLimiterHint : 0
; COMPUTE_PGM_RSRC2:SCRATCH_EN: 0
; COMPUTE_PGM_RSRC2:USER_SGPR: 2
; COMPUTE_PGM_RSRC2:TRAP_HANDLER: 0
; COMPUTE_PGM_RSRC2:TGID_X_EN: 1
; COMPUTE_PGM_RSRC2:TGID_Y_EN: 0
; COMPUTE_PGM_RSRC2:TGID_Z_EN: 0
; COMPUTE_PGM_RSRC2:TIDIG_COMP_CNT: 0
	.section	.text._ZN7rocprim17ROCPRIM_400000_NS6detail17trampoline_kernelINS0_14default_configENS1_25partition_config_selectorILNS1_17partition_subalgoE5ElNS0_10empty_typeEbEEZZNS1_14partition_implILS5_5ELb0ES3_mN6hipcub16HIPCUB_304000_NS21CountingInputIteratorIllEEPS6_NSA_22TransformInputIteratorIbN2at6native12_GLOBAL__N_19NonZeroOpIiEEPKilEENS0_5tupleIJPlS6_EEENSN_IJSD_SD_EEES6_PiJS6_EEE10hipError_tPvRmT3_T4_T5_T6_T7_T9_mT8_P12ihipStream_tbDpT10_ENKUlT_T0_E_clISt17integral_constantIbLb0EES1A_IbLb1EEEEDaS16_S17_EUlS16_E_NS1_11comp_targetILNS1_3genE0ELNS1_11target_archE4294967295ELNS1_3gpuE0ELNS1_3repE0EEENS1_30default_config_static_selectorELNS0_4arch9wavefront6targetE0EEEvT1_,"axG",@progbits,_ZN7rocprim17ROCPRIM_400000_NS6detail17trampoline_kernelINS0_14default_configENS1_25partition_config_selectorILNS1_17partition_subalgoE5ElNS0_10empty_typeEbEEZZNS1_14partition_implILS5_5ELb0ES3_mN6hipcub16HIPCUB_304000_NS21CountingInputIteratorIllEEPS6_NSA_22TransformInputIteratorIbN2at6native12_GLOBAL__N_19NonZeroOpIiEEPKilEENS0_5tupleIJPlS6_EEENSN_IJSD_SD_EEES6_PiJS6_EEE10hipError_tPvRmT3_T4_T5_T6_T7_T9_mT8_P12ihipStream_tbDpT10_ENKUlT_T0_E_clISt17integral_constantIbLb0EES1A_IbLb1EEEEDaS16_S17_EUlS16_E_NS1_11comp_targetILNS1_3genE0ELNS1_11target_archE4294967295ELNS1_3gpuE0ELNS1_3repE0EEENS1_30default_config_static_selectorELNS0_4arch9wavefront6targetE0EEEvT1_,comdat
	.globl	_ZN7rocprim17ROCPRIM_400000_NS6detail17trampoline_kernelINS0_14default_configENS1_25partition_config_selectorILNS1_17partition_subalgoE5ElNS0_10empty_typeEbEEZZNS1_14partition_implILS5_5ELb0ES3_mN6hipcub16HIPCUB_304000_NS21CountingInputIteratorIllEEPS6_NSA_22TransformInputIteratorIbN2at6native12_GLOBAL__N_19NonZeroOpIiEEPKilEENS0_5tupleIJPlS6_EEENSN_IJSD_SD_EEES6_PiJS6_EEE10hipError_tPvRmT3_T4_T5_T6_T7_T9_mT8_P12ihipStream_tbDpT10_ENKUlT_T0_E_clISt17integral_constantIbLb0EES1A_IbLb1EEEEDaS16_S17_EUlS16_E_NS1_11comp_targetILNS1_3genE0ELNS1_11target_archE4294967295ELNS1_3gpuE0ELNS1_3repE0EEENS1_30default_config_static_selectorELNS0_4arch9wavefront6targetE0EEEvT1_ ; -- Begin function _ZN7rocprim17ROCPRIM_400000_NS6detail17trampoline_kernelINS0_14default_configENS1_25partition_config_selectorILNS1_17partition_subalgoE5ElNS0_10empty_typeEbEEZZNS1_14partition_implILS5_5ELb0ES3_mN6hipcub16HIPCUB_304000_NS21CountingInputIteratorIllEEPS6_NSA_22TransformInputIteratorIbN2at6native12_GLOBAL__N_19NonZeroOpIiEEPKilEENS0_5tupleIJPlS6_EEENSN_IJSD_SD_EEES6_PiJS6_EEE10hipError_tPvRmT3_T4_T5_T6_T7_T9_mT8_P12ihipStream_tbDpT10_ENKUlT_T0_E_clISt17integral_constantIbLb0EES1A_IbLb1EEEEDaS16_S17_EUlS16_E_NS1_11comp_targetILNS1_3genE0ELNS1_11target_archE4294967295ELNS1_3gpuE0ELNS1_3repE0EEENS1_30default_config_static_selectorELNS0_4arch9wavefront6targetE0EEEvT1_
	.p2align	8
	.type	_ZN7rocprim17ROCPRIM_400000_NS6detail17trampoline_kernelINS0_14default_configENS1_25partition_config_selectorILNS1_17partition_subalgoE5ElNS0_10empty_typeEbEEZZNS1_14partition_implILS5_5ELb0ES3_mN6hipcub16HIPCUB_304000_NS21CountingInputIteratorIllEEPS6_NSA_22TransformInputIteratorIbN2at6native12_GLOBAL__N_19NonZeroOpIiEEPKilEENS0_5tupleIJPlS6_EEENSN_IJSD_SD_EEES6_PiJS6_EEE10hipError_tPvRmT3_T4_T5_T6_T7_T9_mT8_P12ihipStream_tbDpT10_ENKUlT_T0_E_clISt17integral_constantIbLb0EES1A_IbLb1EEEEDaS16_S17_EUlS16_E_NS1_11comp_targetILNS1_3genE0ELNS1_11target_archE4294967295ELNS1_3gpuE0ELNS1_3repE0EEENS1_30default_config_static_selectorELNS0_4arch9wavefront6targetE0EEEvT1_,@function
_ZN7rocprim17ROCPRIM_400000_NS6detail17trampoline_kernelINS0_14default_configENS1_25partition_config_selectorILNS1_17partition_subalgoE5ElNS0_10empty_typeEbEEZZNS1_14partition_implILS5_5ELb0ES3_mN6hipcub16HIPCUB_304000_NS21CountingInputIteratorIllEEPS6_NSA_22TransformInputIteratorIbN2at6native12_GLOBAL__N_19NonZeroOpIiEEPKilEENS0_5tupleIJPlS6_EEENSN_IJSD_SD_EEES6_PiJS6_EEE10hipError_tPvRmT3_T4_T5_T6_T7_T9_mT8_P12ihipStream_tbDpT10_ENKUlT_T0_E_clISt17integral_constantIbLb0EES1A_IbLb1EEEEDaS16_S17_EUlS16_E_NS1_11comp_targetILNS1_3genE0ELNS1_11target_archE4294967295ELNS1_3gpuE0ELNS1_3repE0EEENS1_30default_config_static_selectorELNS0_4arch9wavefront6targetE0EEEvT1_: ; @_ZN7rocprim17ROCPRIM_400000_NS6detail17trampoline_kernelINS0_14default_configENS1_25partition_config_selectorILNS1_17partition_subalgoE5ElNS0_10empty_typeEbEEZZNS1_14partition_implILS5_5ELb0ES3_mN6hipcub16HIPCUB_304000_NS21CountingInputIteratorIllEEPS6_NSA_22TransformInputIteratorIbN2at6native12_GLOBAL__N_19NonZeroOpIiEEPKilEENS0_5tupleIJPlS6_EEENSN_IJSD_SD_EEES6_PiJS6_EEE10hipError_tPvRmT3_T4_T5_T6_T7_T9_mT8_P12ihipStream_tbDpT10_ENKUlT_T0_E_clISt17integral_constantIbLb0EES1A_IbLb1EEEEDaS16_S17_EUlS16_E_NS1_11comp_targetILNS1_3genE0ELNS1_11target_archE4294967295ELNS1_3gpuE0ELNS1_3repE0EEENS1_30default_config_static_selectorELNS0_4arch9wavefront6targetE0EEEvT1_
; %bb.0:
	.section	.rodata,"a",@progbits
	.p2align	6, 0x0
	.amdhsa_kernel _ZN7rocprim17ROCPRIM_400000_NS6detail17trampoline_kernelINS0_14default_configENS1_25partition_config_selectorILNS1_17partition_subalgoE5ElNS0_10empty_typeEbEEZZNS1_14partition_implILS5_5ELb0ES3_mN6hipcub16HIPCUB_304000_NS21CountingInputIteratorIllEEPS6_NSA_22TransformInputIteratorIbN2at6native12_GLOBAL__N_19NonZeroOpIiEEPKilEENS0_5tupleIJPlS6_EEENSN_IJSD_SD_EEES6_PiJS6_EEE10hipError_tPvRmT3_T4_T5_T6_T7_T9_mT8_P12ihipStream_tbDpT10_ENKUlT_T0_E_clISt17integral_constantIbLb0EES1A_IbLb1EEEEDaS16_S17_EUlS16_E_NS1_11comp_targetILNS1_3genE0ELNS1_11target_archE4294967295ELNS1_3gpuE0ELNS1_3repE0EEENS1_30default_config_static_selectorELNS0_4arch9wavefront6targetE0EEEvT1_
		.amdhsa_group_segment_fixed_size 0
		.amdhsa_private_segment_fixed_size 0
		.amdhsa_kernarg_size 136
		.amdhsa_user_sgpr_count 2
		.amdhsa_user_sgpr_dispatch_ptr 0
		.amdhsa_user_sgpr_queue_ptr 0
		.amdhsa_user_sgpr_kernarg_segment_ptr 1
		.amdhsa_user_sgpr_dispatch_id 0
		.amdhsa_user_sgpr_private_segment_size 0
		.amdhsa_wavefront_size32 1
		.amdhsa_uses_dynamic_stack 0
		.amdhsa_enable_private_segment 0
		.amdhsa_system_sgpr_workgroup_id_x 1
		.amdhsa_system_sgpr_workgroup_id_y 0
		.amdhsa_system_sgpr_workgroup_id_z 0
		.amdhsa_system_sgpr_workgroup_info 0
		.amdhsa_system_vgpr_workitem_id 0
		.amdhsa_next_free_vgpr 1
		.amdhsa_next_free_sgpr 1
		.amdhsa_reserve_vcc 0
		.amdhsa_float_round_mode_32 0
		.amdhsa_float_round_mode_16_64 0
		.amdhsa_float_denorm_mode_32 3
		.amdhsa_float_denorm_mode_16_64 3
		.amdhsa_fp16_overflow 0
		.amdhsa_workgroup_processor_mode 1
		.amdhsa_memory_ordered 1
		.amdhsa_forward_progress 1
		.amdhsa_inst_pref_size 0
		.amdhsa_round_robin_scheduling 0
		.amdhsa_exception_fp_ieee_invalid_op 0
		.amdhsa_exception_fp_denorm_src 0
		.amdhsa_exception_fp_ieee_div_zero 0
		.amdhsa_exception_fp_ieee_overflow 0
		.amdhsa_exception_fp_ieee_underflow 0
		.amdhsa_exception_fp_ieee_inexact 0
		.amdhsa_exception_int_div_zero 0
	.end_amdhsa_kernel
	.section	.text._ZN7rocprim17ROCPRIM_400000_NS6detail17trampoline_kernelINS0_14default_configENS1_25partition_config_selectorILNS1_17partition_subalgoE5ElNS0_10empty_typeEbEEZZNS1_14partition_implILS5_5ELb0ES3_mN6hipcub16HIPCUB_304000_NS21CountingInputIteratorIllEEPS6_NSA_22TransformInputIteratorIbN2at6native12_GLOBAL__N_19NonZeroOpIiEEPKilEENS0_5tupleIJPlS6_EEENSN_IJSD_SD_EEES6_PiJS6_EEE10hipError_tPvRmT3_T4_T5_T6_T7_T9_mT8_P12ihipStream_tbDpT10_ENKUlT_T0_E_clISt17integral_constantIbLb0EES1A_IbLb1EEEEDaS16_S17_EUlS16_E_NS1_11comp_targetILNS1_3genE0ELNS1_11target_archE4294967295ELNS1_3gpuE0ELNS1_3repE0EEENS1_30default_config_static_selectorELNS0_4arch9wavefront6targetE0EEEvT1_,"axG",@progbits,_ZN7rocprim17ROCPRIM_400000_NS6detail17trampoline_kernelINS0_14default_configENS1_25partition_config_selectorILNS1_17partition_subalgoE5ElNS0_10empty_typeEbEEZZNS1_14partition_implILS5_5ELb0ES3_mN6hipcub16HIPCUB_304000_NS21CountingInputIteratorIllEEPS6_NSA_22TransformInputIteratorIbN2at6native12_GLOBAL__N_19NonZeroOpIiEEPKilEENS0_5tupleIJPlS6_EEENSN_IJSD_SD_EEES6_PiJS6_EEE10hipError_tPvRmT3_T4_T5_T6_T7_T9_mT8_P12ihipStream_tbDpT10_ENKUlT_T0_E_clISt17integral_constantIbLb0EES1A_IbLb1EEEEDaS16_S17_EUlS16_E_NS1_11comp_targetILNS1_3genE0ELNS1_11target_archE4294967295ELNS1_3gpuE0ELNS1_3repE0EEENS1_30default_config_static_selectorELNS0_4arch9wavefront6targetE0EEEvT1_,comdat
.Lfunc_end210:
	.size	_ZN7rocprim17ROCPRIM_400000_NS6detail17trampoline_kernelINS0_14default_configENS1_25partition_config_selectorILNS1_17partition_subalgoE5ElNS0_10empty_typeEbEEZZNS1_14partition_implILS5_5ELb0ES3_mN6hipcub16HIPCUB_304000_NS21CountingInputIteratorIllEEPS6_NSA_22TransformInputIteratorIbN2at6native12_GLOBAL__N_19NonZeroOpIiEEPKilEENS0_5tupleIJPlS6_EEENSN_IJSD_SD_EEES6_PiJS6_EEE10hipError_tPvRmT3_T4_T5_T6_T7_T9_mT8_P12ihipStream_tbDpT10_ENKUlT_T0_E_clISt17integral_constantIbLb0EES1A_IbLb1EEEEDaS16_S17_EUlS16_E_NS1_11comp_targetILNS1_3genE0ELNS1_11target_archE4294967295ELNS1_3gpuE0ELNS1_3repE0EEENS1_30default_config_static_selectorELNS0_4arch9wavefront6targetE0EEEvT1_, .Lfunc_end210-_ZN7rocprim17ROCPRIM_400000_NS6detail17trampoline_kernelINS0_14default_configENS1_25partition_config_selectorILNS1_17partition_subalgoE5ElNS0_10empty_typeEbEEZZNS1_14partition_implILS5_5ELb0ES3_mN6hipcub16HIPCUB_304000_NS21CountingInputIteratorIllEEPS6_NSA_22TransformInputIteratorIbN2at6native12_GLOBAL__N_19NonZeroOpIiEEPKilEENS0_5tupleIJPlS6_EEENSN_IJSD_SD_EEES6_PiJS6_EEE10hipError_tPvRmT3_T4_T5_T6_T7_T9_mT8_P12ihipStream_tbDpT10_ENKUlT_T0_E_clISt17integral_constantIbLb0EES1A_IbLb1EEEEDaS16_S17_EUlS16_E_NS1_11comp_targetILNS1_3genE0ELNS1_11target_archE4294967295ELNS1_3gpuE0ELNS1_3repE0EEENS1_30default_config_static_selectorELNS0_4arch9wavefront6targetE0EEEvT1_
                                        ; -- End function
	.set _ZN7rocprim17ROCPRIM_400000_NS6detail17trampoline_kernelINS0_14default_configENS1_25partition_config_selectorILNS1_17partition_subalgoE5ElNS0_10empty_typeEbEEZZNS1_14partition_implILS5_5ELb0ES3_mN6hipcub16HIPCUB_304000_NS21CountingInputIteratorIllEEPS6_NSA_22TransformInputIteratorIbN2at6native12_GLOBAL__N_19NonZeroOpIiEEPKilEENS0_5tupleIJPlS6_EEENSN_IJSD_SD_EEES6_PiJS6_EEE10hipError_tPvRmT3_T4_T5_T6_T7_T9_mT8_P12ihipStream_tbDpT10_ENKUlT_T0_E_clISt17integral_constantIbLb0EES1A_IbLb1EEEEDaS16_S17_EUlS16_E_NS1_11comp_targetILNS1_3genE0ELNS1_11target_archE4294967295ELNS1_3gpuE0ELNS1_3repE0EEENS1_30default_config_static_selectorELNS0_4arch9wavefront6targetE0EEEvT1_.num_vgpr, 0
	.set _ZN7rocprim17ROCPRIM_400000_NS6detail17trampoline_kernelINS0_14default_configENS1_25partition_config_selectorILNS1_17partition_subalgoE5ElNS0_10empty_typeEbEEZZNS1_14partition_implILS5_5ELb0ES3_mN6hipcub16HIPCUB_304000_NS21CountingInputIteratorIllEEPS6_NSA_22TransformInputIteratorIbN2at6native12_GLOBAL__N_19NonZeroOpIiEEPKilEENS0_5tupleIJPlS6_EEENSN_IJSD_SD_EEES6_PiJS6_EEE10hipError_tPvRmT3_T4_T5_T6_T7_T9_mT8_P12ihipStream_tbDpT10_ENKUlT_T0_E_clISt17integral_constantIbLb0EES1A_IbLb1EEEEDaS16_S17_EUlS16_E_NS1_11comp_targetILNS1_3genE0ELNS1_11target_archE4294967295ELNS1_3gpuE0ELNS1_3repE0EEENS1_30default_config_static_selectorELNS0_4arch9wavefront6targetE0EEEvT1_.num_agpr, 0
	.set _ZN7rocprim17ROCPRIM_400000_NS6detail17trampoline_kernelINS0_14default_configENS1_25partition_config_selectorILNS1_17partition_subalgoE5ElNS0_10empty_typeEbEEZZNS1_14partition_implILS5_5ELb0ES3_mN6hipcub16HIPCUB_304000_NS21CountingInputIteratorIllEEPS6_NSA_22TransformInputIteratorIbN2at6native12_GLOBAL__N_19NonZeroOpIiEEPKilEENS0_5tupleIJPlS6_EEENSN_IJSD_SD_EEES6_PiJS6_EEE10hipError_tPvRmT3_T4_T5_T6_T7_T9_mT8_P12ihipStream_tbDpT10_ENKUlT_T0_E_clISt17integral_constantIbLb0EES1A_IbLb1EEEEDaS16_S17_EUlS16_E_NS1_11comp_targetILNS1_3genE0ELNS1_11target_archE4294967295ELNS1_3gpuE0ELNS1_3repE0EEENS1_30default_config_static_selectorELNS0_4arch9wavefront6targetE0EEEvT1_.numbered_sgpr, 0
	.set _ZN7rocprim17ROCPRIM_400000_NS6detail17trampoline_kernelINS0_14default_configENS1_25partition_config_selectorILNS1_17partition_subalgoE5ElNS0_10empty_typeEbEEZZNS1_14partition_implILS5_5ELb0ES3_mN6hipcub16HIPCUB_304000_NS21CountingInputIteratorIllEEPS6_NSA_22TransformInputIteratorIbN2at6native12_GLOBAL__N_19NonZeroOpIiEEPKilEENS0_5tupleIJPlS6_EEENSN_IJSD_SD_EEES6_PiJS6_EEE10hipError_tPvRmT3_T4_T5_T6_T7_T9_mT8_P12ihipStream_tbDpT10_ENKUlT_T0_E_clISt17integral_constantIbLb0EES1A_IbLb1EEEEDaS16_S17_EUlS16_E_NS1_11comp_targetILNS1_3genE0ELNS1_11target_archE4294967295ELNS1_3gpuE0ELNS1_3repE0EEENS1_30default_config_static_selectorELNS0_4arch9wavefront6targetE0EEEvT1_.num_named_barrier, 0
	.set _ZN7rocprim17ROCPRIM_400000_NS6detail17trampoline_kernelINS0_14default_configENS1_25partition_config_selectorILNS1_17partition_subalgoE5ElNS0_10empty_typeEbEEZZNS1_14partition_implILS5_5ELb0ES3_mN6hipcub16HIPCUB_304000_NS21CountingInputIteratorIllEEPS6_NSA_22TransformInputIteratorIbN2at6native12_GLOBAL__N_19NonZeroOpIiEEPKilEENS0_5tupleIJPlS6_EEENSN_IJSD_SD_EEES6_PiJS6_EEE10hipError_tPvRmT3_T4_T5_T6_T7_T9_mT8_P12ihipStream_tbDpT10_ENKUlT_T0_E_clISt17integral_constantIbLb0EES1A_IbLb1EEEEDaS16_S17_EUlS16_E_NS1_11comp_targetILNS1_3genE0ELNS1_11target_archE4294967295ELNS1_3gpuE0ELNS1_3repE0EEENS1_30default_config_static_selectorELNS0_4arch9wavefront6targetE0EEEvT1_.private_seg_size, 0
	.set _ZN7rocprim17ROCPRIM_400000_NS6detail17trampoline_kernelINS0_14default_configENS1_25partition_config_selectorILNS1_17partition_subalgoE5ElNS0_10empty_typeEbEEZZNS1_14partition_implILS5_5ELb0ES3_mN6hipcub16HIPCUB_304000_NS21CountingInputIteratorIllEEPS6_NSA_22TransformInputIteratorIbN2at6native12_GLOBAL__N_19NonZeroOpIiEEPKilEENS0_5tupleIJPlS6_EEENSN_IJSD_SD_EEES6_PiJS6_EEE10hipError_tPvRmT3_T4_T5_T6_T7_T9_mT8_P12ihipStream_tbDpT10_ENKUlT_T0_E_clISt17integral_constantIbLb0EES1A_IbLb1EEEEDaS16_S17_EUlS16_E_NS1_11comp_targetILNS1_3genE0ELNS1_11target_archE4294967295ELNS1_3gpuE0ELNS1_3repE0EEENS1_30default_config_static_selectorELNS0_4arch9wavefront6targetE0EEEvT1_.uses_vcc, 0
	.set _ZN7rocprim17ROCPRIM_400000_NS6detail17trampoline_kernelINS0_14default_configENS1_25partition_config_selectorILNS1_17partition_subalgoE5ElNS0_10empty_typeEbEEZZNS1_14partition_implILS5_5ELb0ES3_mN6hipcub16HIPCUB_304000_NS21CountingInputIteratorIllEEPS6_NSA_22TransformInputIteratorIbN2at6native12_GLOBAL__N_19NonZeroOpIiEEPKilEENS0_5tupleIJPlS6_EEENSN_IJSD_SD_EEES6_PiJS6_EEE10hipError_tPvRmT3_T4_T5_T6_T7_T9_mT8_P12ihipStream_tbDpT10_ENKUlT_T0_E_clISt17integral_constantIbLb0EES1A_IbLb1EEEEDaS16_S17_EUlS16_E_NS1_11comp_targetILNS1_3genE0ELNS1_11target_archE4294967295ELNS1_3gpuE0ELNS1_3repE0EEENS1_30default_config_static_selectorELNS0_4arch9wavefront6targetE0EEEvT1_.uses_flat_scratch, 0
	.set _ZN7rocprim17ROCPRIM_400000_NS6detail17trampoline_kernelINS0_14default_configENS1_25partition_config_selectorILNS1_17partition_subalgoE5ElNS0_10empty_typeEbEEZZNS1_14partition_implILS5_5ELb0ES3_mN6hipcub16HIPCUB_304000_NS21CountingInputIteratorIllEEPS6_NSA_22TransformInputIteratorIbN2at6native12_GLOBAL__N_19NonZeroOpIiEEPKilEENS0_5tupleIJPlS6_EEENSN_IJSD_SD_EEES6_PiJS6_EEE10hipError_tPvRmT3_T4_T5_T6_T7_T9_mT8_P12ihipStream_tbDpT10_ENKUlT_T0_E_clISt17integral_constantIbLb0EES1A_IbLb1EEEEDaS16_S17_EUlS16_E_NS1_11comp_targetILNS1_3genE0ELNS1_11target_archE4294967295ELNS1_3gpuE0ELNS1_3repE0EEENS1_30default_config_static_selectorELNS0_4arch9wavefront6targetE0EEEvT1_.has_dyn_sized_stack, 0
	.set _ZN7rocprim17ROCPRIM_400000_NS6detail17trampoline_kernelINS0_14default_configENS1_25partition_config_selectorILNS1_17partition_subalgoE5ElNS0_10empty_typeEbEEZZNS1_14partition_implILS5_5ELb0ES3_mN6hipcub16HIPCUB_304000_NS21CountingInputIteratorIllEEPS6_NSA_22TransformInputIteratorIbN2at6native12_GLOBAL__N_19NonZeroOpIiEEPKilEENS0_5tupleIJPlS6_EEENSN_IJSD_SD_EEES6_PiJS6_EEE10hipError_tPvRmT3_T4_T5_T6_T7_T9_mT8_P12ihipStream_tbDpT10_ENKUlT_T0_E_clISt17integral_constantIbLb0EES1A_IbLb1EEEEDaS16_S17_EUlS16_E_NS1_11comp_targetILNS1_3genE0ELNS1_11target_archE4294967295ELNS1_3gpuE0ELNS1_3repE0EEENS1_30default_config_static_selectorELNS0_4arch9wavefront6targetE0EEEvT1_.has_recursion, 0
	.set _ZN7rocprim17ROCPRIM_400000_NS6detail17trampoline_kernelINS0_14default_configENS1_25partition_config_selectorILNS1_17partition_subalgoE5ElNS0_10empty_typeEbEEZZNS1_14partition_implILS5_5ELb0ES3_mN6hipcub16HIPCUB_304000_NS21CountingInputIteratorIllEEPS6_NSA_22TransformInputIteratorIbN2at6native12_GLOBAL__N_19NonZeroOpIiEEPKilEENS0_5tupleIJPlS6_EEENSN_IJSD_SD_EEES6_PiJS6_EEE10hipError_tPvRmT3_T4_T5_T6_T7_T9_mT8_P12ihipStream_tbDpT10_ENKUlT_T0_E_clISt17integral_constantIbLb0EES1A_IbLb1EEEEDaS16_S17_EUlS16_E_NS1_11comp_targetILNS1_3genE0ELNS1_11target_archE4294967295ELNS1_3gpuE0ELNS1_3repE0EEENS1_30default_config_static_selectorELNS0_4arch9wavefront6targetE0EEEvT1_.has_indirect_call, 0
	.section	.AMDGPU.csdata,"",@progbits
; Kernel info:
; codeLenInByte = 0
; TotalNumSgprs: 0
; NumVgprs: 0
; ScratchSize: 0
; MemoryBound: 0
; FloatMode: 240
; IeeeMode: 1
; LDSByteSize: 0 bytes/workgroup (compile time only)
; SGPRBlocks: 0
; VGPRBlocks: 0
; NumSGPRsForWavesPerEU: 1
; NumVGPRsForWavesPerEU: 1
; Occupancy: 16
; WaveLimiterHint : 0
; COMPUTE_PGM_RSRC2:SCRATCH_EN: 0
; COMPUTE_PGM_RSRC2:USER_SGPR: 2
; COMPUTE_PGM_RSRC2:TRAP_HANDLER: 0
; COMPUTE_PGM_RSRC2:TGID_X_EN: 1
; COMPUTE_PGM_RSRC2:TGID_Y_EN: 0
; COMPUTE_PGM_RSRC2:TGID_Z_EN: 0
; COMPUTE_PGM_RSRC2:TIDIG_COMP_CNT: 0
	.section	.text._ZN7rocprim17ROCPRIM_400000_NS6detail17trampoline_kernelINS0_14default_configENS1_25partition_config_selectorILNS1_17partition_subalgoE5ElNS0_10empty_typeEbEEZZNS1_14partition_implILS5_5ELb0ES3_mN6hipcub16HIPCUB_304000_NS21CountingInputIteratorIllEEPS6_NSA_22TransformInputIteratorIbN2at6native12_GLOBAL__N_19NonZeroOpIiEEPKilEENS0_5tupleIJPlS6_EEENSN_IJSD_SD_EEES6_PiJS6_EEE10hipError_tPvRmT3_T4_T5_T6_T7_T9_mT8_P12ihipStream_tbDpT10_ENKUlT_T0_E_clISt17integral_constantIbLb0EES1A_IbLb1EEEEDaS16_S17_EUlS16_E_NS1_11comp_targetILNS1_3genE5ELNS1_11target_archE942ELNS1_3gpuE9ELNS1_3repE0EEENS1_30default_config_static_selectorELNS0_4arch9wavefront6targetE0EEEvT1_,"axG",@progbits,_ZN7rocprim17ROCPRIM_400000_NS6detail17trampoline_kernelINS0_14default_configENS1_25partition_config_selectorILNS1_17partition_subalgoE5ElNS0_10empty_typeEbEEZZNS1_14partition_implILS5_5ELb0ES3_mN6hipcub16HIPCUB_304000_NS21CountingInputIteratorIllEEPS6_NSA_22TransformInputIteratorIbN2at6native12_GLOBAL__N_19NonZeroOpIiEEPKilEENS0_5tupleIJPlS6_EEENSN_IJSD_SD_EEES6_PiJS6_EEE10hipError_tPvRmT3_T4_T5_T6_T7_T9_mT8_P12ihipStream_tbDpT10_ENKUlT_T0_E_clISt17integral_constantIbLb0EES1A_IbLb1EEEEDaS16_S17_EUlS16_E_NS1_11comp_targetILNS1_3genE5ELNS1_11target_archE942ELNS1_3gpuE9ELNS1_3repE0EEENS1_30default_config_static_selectorELNS0_4arch9wavefront6targetE0EEEvT1_,comdat
	.globl	_ZN7rocprim17ROCPRIM_400000_NS6detail17trampoline_kernelINS0_14default_configENS1_25partition_config_selectorILNS1_17partition_subalgoE5ElNS0_10empty_typeEbEEZZNS1_14partition_implILS5_5ELb0ES3_mN6hipcub16HIPCUB_304000_NS21CountingInputIteratorIllEEPS6_NSA_22TransformInputIteratorIbN2at6native12_GLOBAL__N_19NonZeroOpIiEEPKilEENS0_5tupleIJPlS6_EEENSN_IJSD_SD_EEES6_PiJS6_EEE10hipError_tPvRmT3_T4_T5_T6_T7_T9_mT8_P12ihipStream_tbDpT10_ENKUlT_T0_E_clISt17integral_constantIbLb0EES1A_IbLb1EEEEDaS16_S17_EUlS16_E_NS1_11comp_targetILNS1_3genE5ELNS1_11target_archE942ELNS1_3gpuE9ELNS1_3repE0EEENS1_30default_config_static_selectorELNS0_4arch9wavefront6targetE0EEEvT1_ ; -- Begin function _ZN7rocprim17ROCPRIM_400000_NS6detail17trampoline_kernelINS0_14default_configENS1_25partition_config_selectorILNS1_17partition_subalgoE5ElNS0_10empty_typeEbEEZZNS1_14partition_implILS5_5ELb0ES3_mN6hipcub16HIPCUB_304000_NS21CountingInputIteratorIllEEPS6_NSA_22TransformInputIteratorIbN2at6native12_GLOBAL__N_19NonZeroOpIiEEPKilEENS0_5tupleIJPlS6_EEENSN_IJSD_SD_EEES6_PiJS6_EEE10hipError_tPvRmT3_T4_T5_T6_T7_T9_mT8_P12ihipStream_tbDpT10_ENKUlT_T0_E_clISt17integral_constantIbLb0EES1A_IbLb1EEEEDaS16_S17_EUlS16_E_NS1_11comp_targetILNS1_3genE5ELNS1_11target_archE942ELNS1_3gpuE9ELNS1_3repE0EEENS1_30default_config_static_selectorELNS0_4arch9wavefront6targetE0EEEvT1_
	.p2align	8
	.type	_ZN7rocprim17ROCPRIM_400000_NS6detail17trampoline_kernelINS0_14default_configENS1_25partition_config_selectorILNS1_17partition_subalgoE5ElNS0_10empty_typeEbEEZZNS1_14partition_implILS5_5ELb0ES3_mN6hipcub16HIPCUB_304000_NS21CountingInputIteratorIllEEPS6_NSA_22TransformInputIteratorIbN2at6native12_GLOBAL__N_19NonZeroOpIiEEPKilEENS0_5tupleIJPlS6_EEENSN_IJSD_SD_EEES6_PiJS6_EEE10hipError_tPvRmT3_T4_T5_T6_T7_T9_mT8_P12ihipStream_tbDpT10_ENKUlT_T0_E_clISt17integral_constantIbLb0EES1A_IbLb1EEEEDaS16_S17_EUlS16_E_NS1_11comp_targetILNS1_3genE5ELNS1_11target_archE942ELNS1_3gpuE9ELNS1_3repE0EEENS1_30default_config_static_selectorELNS0_4arch9wavefront6targetE0EEEvT1_,@function
_ZN7rocprim17ROCPRIM_400000_NS6detail17trampoline_kernelINS0_14default_configENS1_25partition_config_selectorILNS1_17partition_subalgoE5ElNS0_10empty_typeEbEEZZNS1_14partition_implILS5_5ELb0ES3_mN6hipcub16HIPCUB_304000_NS21CountingInputIteratorIllEEPS6_NSA_22TransformInputIteratorIbN2at6native12_GLOBAL__N_19NonZeroOpIiEEPKilEENS0_5tupleIJPlS6_EEENSN_IJSD_SD_EEES6_PiJS6_EEE10hipError_tPvRmT3_T4_T5_T6_T7_T9_mT8_P12ihipStream_tbDpT10_ENKUlT_T0_E_clISt17integral_constantIbLb0EES1A_IbLb1EEEEDaS16_S17_EUlS16_E_NS1_11comp_targetILNS1_3genE5ELNS1_11target_archE942ELNS1_3gpuE9ELNS1_3repE0EEENS1_30default_config_static_selectorELNS0_4arch9wavefront6targetE0EEEvT1_: ; @_ZN7rocprim17ROCPRIM_400000_NS6detail17trampoline_kernelINS0_14default_configENS1_25partition_config_selectorILNS1_17partition_subalgoE5ElNS0_10empty_typeEbEEZZNS1_14partition_implILS5_5ELb0ES3_mN6hipcub16HIPCUB_304000_NS21CountingInputIteratorIllEEPS6_NSA_22TransformInputIteratorIbN2at6native12_GLOBAL__N_19NonZeroOpIiEEPKilEENS0_5tupleIJPlS6_EEENSN_IJSD_SD_EEES6_PiJS6_EEE10hipError_tPvRmT3_T4_T5_T6_T7_T9_mT8_P12ihipStream_tbDpT10_ENKUlT_T0_E_clISt17integral_constantIbLb0EES1A_IbLb1EEEEDaS16_S17_EUlS16_E_NS1_11comp_targetILNS1_3genE5ELNS1_11target_archE942ELNS1_3gpuE9ELNS1_3repE0EEENS1_30default_config_static_selectorELNS0_4arch9wavefront6targetE0EEEvT1_
; %bb.0:
	.section	.rodata,"a",@progbits
	.p2align	6, 0x0
	.amdhsa_kernel _ZN7rocprim17ROCPRIM_400000_NS6detail17trampoline_kernelINS0_14default_configENS1_25partition_config_selectorILNS1_17partition_subalgoE5ElNS0_10empty_typeEbEEZZNS1_14partition_implILS5_5ELb0ES3_mN6hipcub16HIPCUB_304000_NS21CountingInputIteratorIllEEPS6_NSA_22TransformInputIteratorIbN2at6native12_GLOBAL__N_19NonZeroOpIiEEPKilEENS0_5tupleIJPlS6_EEENSN_IJSD_SD_EEES6_PiJS6_EEE10hipError_tPvRmT3_T4_T5_T6_T7_T9_mT8_P12ihipStream_tbDpT10_ENKUlT_T0_E_clISt17integral_constantIbLb0EES1A_IbLb1EEEEDaS16_S17_EUlS16_E_NS1_11comp_targetILNS1_3genE5ELNS1_11target_archE942ELNS1_3gpuE9ELNS1_3repE0EEENS1_30default_config_static_selectorELNS0_4arch9wavefront6targetE0EEEvT1_
		.amdhsa_group_segment_fixed_size 0
		.amdhsa_private_segment_fixed_size 0
		.amdhsa_kernarg_size 136
		.amdhsa_user_sgpr_count 2
		.amdhsa_user_sgpr_dispatch_ptr 0
		.amdhsa_user_sgpr_queue_ptr 0
		.amdhsa_user_sgpr_kernarg_segment_ptr 1
		.amdhsa_user_sgpr_dispatch_id 0
		.amdhsa_user_sgpr_private_segment_size 0
		.amdhsa_wavefront_size32 1
		.amdhsa_uses_dynamic_stack 0
		.amdhsa_enable_private_segment 0
		.amdhsa_system_sgpr_workgroup_id_x 1
		.amdhsa_system_sgpr_workgroup_id_y 0
		.amdhsa_system_sgpr_workgroup_id_z 0
		.amdhsa_system_sgpr_workgroup_info 0
		.amdhsa_system_vgpr_workitem_id 0
		.amdhsa_next_free_vgpr 1
		.amdhsa_next_free_sgpr 1
		.amdhsa_reserve_vcc 0
		.amdhsa_float_round_mode_32 0
		.amdhsa_float_round_mode_16_64 0
		.amdhsa_float_denorm_mode_32 3
		.amdhsa_float_denorm_mode_16_64 3
		.amdhsa_fp16_overflow 0
		.amdhsa_workgroup_processor_mode 1
		.amdhsa_memory_ordered 1
		.amdhsa_forward_progress 1
		.amdhsa_inst_pref_size 0
		.amdhsa_round_robin_scheduling 0
		.amdhsa_exception_fp_ieee_invalid_op 0
		.amdhsa_exception_fp_denorm_src 0
		.amdhsa_exception_fp_ieee_div_zero 0
		.amdhsa_exception_fp_ieee_overflow 0
		.amdhsa_exception_fp_ieee_underflow 0
		.amdhsa_exception_fp_ieee_inexact 0
		.amdhsa_exception_int_div_zero 0
	.end_amdhsa_kernel
	.section	.text._ZN7rocprim17ROCPRIM_400000_NS6detail17trampoline_kernelINS0_14default_configENS1_25partition_config_selectorILNS1_17partition_subalgoE5ElNS0_10empty_typeEbEEZZNS1_14partition_implILS5_5ELb0ES3_mN6hipcub16HIPCUB_304000_NS21CountingInputIteratorIllEEPS6_NSA_22TransformInputIteratorIbN2at6native12_GLOBAL__N_19NonZeroOpIiEEPKilEENS0_5tupleIJPlS6_EEENSN_IJSD_SD_EEES6_PiJS6_EEE10hipError_tPvRmT3_T4_T5_T6_T7_T9_mT8_P12ihipStream_tbDpT10_ENKUlT_T0_E_clISt17integral_constantIbLb0EES1A_IbLb1EEEEDaS16_S17_EUlS16_E_NS1_11comp_targetILNS1_3genE5ELNS1_11target_archE942ELNS1_3gpuE9ELNS1_3repE0EEENS1_30default_config_static_selectorELNS0_4arch9wavefront6targetE0EEEvT1_,"axG",@progbits,_ZN7rocprim17ROCPRIM_400000_NS6detail17trampoline_kernelINS0_14default_configENS1_25partition_config_selectorILNS1_17partition_subalgoE5ElNS0_10empty_typeEbEEZZNS1_14partition_implILS5_5ELb0ES3_mN6hipcub16HIPCUB_304000_NS21CountingInputIteratorIllEEPS6_NSA_22TransformInputIteratorIbN2at6native12_GLOBAL__N_19NonZeroOpIiEEPKilEENS0_5tupleIJPlS6_EEENSN_IJSD_SD_EEES6_PiJS6_EEE10hipError_tPvRmT3_T4_T5_T6_T7_T9_mT8_P12ihipStream_tbDpT10_ENKUlT_T0_E_clISt17integral_constantIbLb0EES1A_IbLb1EEEEDaS16_S17_EUlS16_E_NS1_11comp_targetILNS1_3genE5ELNS1_11target_archE942ELNS1_3gpuE9ELNS1_3repE0EEENS1_30default_config_static_selectorELNS0_4arch9wavefront6targetE0EEEvT1_,comdat
.Lfunc_end211:
	.size	_ZN7rocprim17ROCPRIM_400000_NS6detail17trampoline_kernelINS0_14default_configENS1_25partition_config_selectorILNS1_17partition_subalgoE5ElNS0_10empty_typeEbEEZZNS1_14partition_implILS5_5ELb0ES3_mN6hipcub16HIPCUB_304000_NS21CountingInputIteratorIllEEPS6_NSA_22TransformInputIteratorIbN2at6native12_GLOBAL__N_19NonZeroOpIiEEPKilEENS0_5tupleIJPlS6_EEENSN_IJSD_SD_EEES6_PiJS6_EEE10hipError_tPvRmT3_T4_T5_T6_T7_T9_mT8_P12ihipStream_tbDpT10_ENKUlT_T0_E_clISt17integral_constantIbLb0EES1A_IbLb1EEEEDaS16_S17_EUlS16_E_NS1_11comp_targetILNS1_3genE5ELNS1_11target_archE942ELNS1_3gpuE9ELNS1_3repE0EEENS1_30default_config_static_selectorELNS0_4arch9wavefront6targetE0EEEvT1_, .Lfunc_end211-_ZN7rocprim17ROCPRIM_400000_NS6detail17trampoline_kernelINS0_14default_configENS1_25partition_config_selectorILNS1_17partition_subalgoE5ElNS0_10empty_typeEbEEZZNS1_14partition_implILS5_5ELb0ES3_mN6hipcub16HIPCUB_304000_NS21CountingInputIteratorIllEEPS6_NSA_22TransformInputIteratorIbN2at6native12_GLOBAL__N_19NonZeroOpIiEEPKilEENS0_5tupleIJPlS6_EEENSN_IJSD_SD_EEES6_PiJS6_EEE10hipError_tPvRmT3_T4_T5_T6_T7_T9_mT8_P12ihipStream_tbDpT10_ENKUlT_T0_E_clISt17integral_constantIbLb0EES1A_IbLb1EEEEDaS16_S17_EUlS16_E_NS1_11comp_targetILNS1_3genE5ELNS1_11target_archE942ELNS1_3gpuE9ELNS1_3repE0EEENS1_30default_config_static_selectorELNS0_4arch9wavefront6targetE0EEEvT1_
                                        ; -- End function
	.set _ZN7rocprim17ROCPRIM_400000_NS6detail17trampoline_kernelINS0_14default_configENS1_25partition_config_selectorILNS1_17partition_subalgoE5ElNS0_10empty_typeEbEEZZNS1_14partition_implILS5_5ELb0ES3_mN6hipcub16HIPCUB_304000_NS21CountingInputIteratorIllEEPS6_NSA_22TransformInputIteratorIbN2at6native12_GLOBAL__N_19NonZeroOpIiEEPKilEENS0_5tupleIJPlS6_EEENSN_IJSD_SD_EEES6_PiJS6_EEE10hipError_tPvRmT3_T4_T5_T6_T7_T9_mT8_P12ihipStream_tbDpT10_ENKUlT_T0_E_clISt17integral_constantIbLb0EES1A_IbLb1EEEEDaS16_S17_EUlS16_E_NS1_11comp_targetILNS1_3genE5ELNS1_11target_archE942ELNS1_3gpuE9ELNS1_3repE0EEENS1_30default_config_static_selectorELNS0_4arch9wavefront6targetE0EEEvT1_.num_vgpr, 0
	.set _ZN7rocprim17ROCPRIM_400000_NS6detail17trampoline_kernelINS0_14default_configENS1_25partition_config_selectorILNS1_17partition_subalgoE5ElNS0_10empty_typeEbEEZZNS1_14partition_implILS5_5ELb0ES3_mN6hipcub16HIPCUB_304000_NS21CountingInputIteratorIllEEPS6_NSA_22TransformInputIteratorIbN2at6native12_GLOBAL__N_19NonZeroOpIiEEPKilEENS0_5tupleIJPlS6_EEENSN_IJSD_SD_EEES6_PiJS6_EEE10hipError_tPvRmT3_T4_T5_T6_T7_T9_mT8_P12ihipStream_tbDpT10_ENKUlT_T0_E_clISt17integral_constantIbLb0EES1A_IbLb1EEEEDaS16_S17_EUlS16_E_NS1_11comp_targetILNS1_3genE5ELNS1_11target_archE942ELNS1_3gpuE9ELNS1_3repE0EEENS1_30default_config_static_selectorELNS0_4arch9wavefront6targetE0EEEvT1_.num_agpr, 0
	.set _ZN7rocprim17ROCPRIM_400000_NS6detail17trampoline_kernelINS0_14default_configENS1_25partition_config_selectorILNS1_17partition_subalgoE5ElNS0_10empty_typeEbEEZZNS1_14partition_implILS5_5ELb0ES3_mN6hipcub16HIPCUB_304000_NS21CountingInputIteratorIllEEPS6_NSA_22TransformInputIteratorIbN2at6native12_GLOBAL__N_19NonZeroOpIiEEPKilEENS0_5tupleIJPlS6_EEENSN_IJSD_SD_EEES6_PiJS6_EEE10hipError_tPvRmT3_T4_T5_T6_T7_T9_mT8_P12ihipStream_tbDpT10_ENKUlT_T0_E_clISt17integral_constantIbLb0EES1A_IbLb1EEEEDaS16_S17_EUlS16_E_NS1_11comp_targetILNS1_3genE5ELNS1_11target_archE942ELNS1_3gpuE9ELNS1_3repE0EEENS1_30default_config_static_selectorELNS0_4arch9wavefront6targetE0EEEvT1_.numbered_sgpr, 0
	.set _ZN7rocprim17ROCPRIM_400000_NS6detail17trampoline_kernelINS0_14default_configENS1_25partition_config_selectorILNS1_17partition_subalgoE5ElNS0_10empty_typeEbEEZZNS1_14partition_implILS5_5ELb0ES3_mN6hipcub16HIPCUB_304000_NS21CountingInputIteratorIllEEPS6_NSA_22TransformInputIteratorIbN2at6native12_GLOBAL__N_19NonZeroOpIiEEPKilEENS0_5tupleIJPlS6_EEENSN_IJSD_SD_EEES6_PiJS6_EEE10hipError_tPvRmT3_T4_T5_T6_T7_T9_mT8_P12ihipStream_tbDpT10_ENKUlT_T0_E_clISt17integral_constantIbLb0EES1A_IbLb1EEEEDaS16_S17_EUlS16_E_NS1_11comp_targetILNS1_3genE5ELNS1_11target_archE942ELNS1_3gpuE9ELNS1_3repE0EEENS1_30default_config_static_selectorELNS0_4arch9wavefront6targetE0EEEvT1_.num_named_barrier, 0
	.set _ZN7rocprim17ROCPRIM_400000_NS6detail17trampoline_kernelINS0_14default_configENS1_25partition_config_selectorILNS1_17partition_subalgoE5ElNS0_10empty_typeEbEEZZNS1_14partition_implILS5_5ELb0ES3_mN6hipcub16HIPCUB_304000_NS21CountingInputIteratorIllEEPS6_NSA_22TransformInputIteratorIbN2at6native12_GLOBAL__N_19NonZeroOpIiEEPKilEENS0_5tupleIJPlS6_EEENSN_IJSD_SD_EEES6_PiJS6_EEE10hipError_tPvRmT3_T4_T5_T6_T7_T9_mT8_P12ihipStream_tbDpT10_ENKUlT_T0_E_clISt17integral_constantIbLb0EES1A_IbLb1EEEEDaS16_S17_EUlS16_E_NS1_11comp_targetILNS1_3genE5ELNS1_11target_archE942ELNS1_3gpuE9ELNS1_3repE0EEENS1_30default_config_static_selectorELNS0_4arch9wavefront6targetE0EEEvT1_.private_seg_size, 0
	.set _ZN7rocprim17ROCPRIM_400000_NS6detail17trampoline_kernelINS0_14default_configENS1_25partition_config_selectorILNS1_17partition_subalgoE5ElNS0_10empty_typeEbEEZZNS1_14partition_implILS5_5ELb0ES3_mN6hipcub16HIPCUB_304000_NS21CountingInputIteratorIllEEPS6_NSA_22TransformInputIteratorIbN2at6native12_GLOBAL__N_19NonZeroOpIiEEPKilEENS0_5tupleIJPlS6_EEENSN_IJSD_SD_EEES6_PiJS6_EEE10hipError_tPvRmT3_T4_T5_T6_T7_T9_mT8_P12ihipStream_tbDpT10_ENKUlT_T0_E_clISt17integral_constantIbLb0EES1A_IbLb1EEEEDaS16_S17_EUlS16_E_NS1_11comp_targetILNS1_3genE5ELNS1_11target_archE942ELNS1_3gpuE9ELNS1_3repE0EEENS1_30default_config_static_selectorELNS0_4arch9wavefront6targetE0EEEvT1_.uses_vcc, 0
	.set _ZN7rocprim17ROCPRIM_400000_NS6detail17trampoline_kernelINS0_14default_configENS1_25partition_config_selectorILNS1_17partition_subalgoE5ElNS0_10empty_typeEbEEZZNS1_14partition_implILS5_5ELb0ES3_mN6hipcub16HIPCUB_304000_NS21CountingInputIteratorIllEEPS6_NSA_22TransformInputIteratorIbN2at6native12_GLOBAL__N_19NonZeroOpIiEEPKilEENS0_5tupleIJPlS6_EEENSN_IJSD_SD_EEES6_PiJS6_EEE10hipError_tPvRmT3_T4_T5_T6_T7_T9_mT8_P12ihipStream_tbDpT10_ENKUlT_T0_E_clISt17integral_constantIbLb0EES1A_IbLb1EEEEDaS16_S17_EUlS16_E_NS1_11comp_targetILNS1_3genE5ELNS1_11target_archE942ELNS1_3gpuE9ELNS1_3repE0EEENS1_30default_config_static_selectorELNS0_4arch9wavefront6targetE0EEEvT1_.uses_flat_scratch, 0
	.set _ZN7rocprim17ROCPRIM_400000_NS6detail17trampoline_kernelINS0_14default_configENS1_25partition_config_selectorILNS1_17partition_subalgoE5ElNS0_10empty_typeEbEEZZNS1_14partition_implILS5_5ELb0ES3_mN6hipcub16HIPCUB_304000_NS21CountingInputIteratorIllEEPS6_NSA_22TransformInputIteratorIbN2at6native12_GLOBAL__N_19NonZeroOpIiEEPKilEENS0_5tupleIJPlS6_EEENSN_IJSD_SD_EEES6_PiJS6_EEE10hipError_tPvRmT3_T4_T5_T6_T7_T9_mT8_P12ihipStream_tbDpT10_ENKUlT_T0_E_clISt17integral_constantIbLb0EES1A_IbLb1EEEEDaS16_S17_EUlS16_E_NS1_11comp_targetILNS1_3genE5ELNS1_11target_archE942ELNS1_3gpuE9ELNS1_3repE0EEENS1_30default_config_static_selectorELNS0_4arch9wavefront6targetE0EEEvT1_.has_dyn_sized_stack, 0
	.set _ZN7rocprim17ROCPRIM_400000_NS6detail17trampoline_kernelINS0_14default_configENS1_25partition_config_selectorILNS1_17partition_subalgoE5ElNS0_10empty_typeEbEEZZNS1_14partition_implILS5_5ELb0ES3_mN6hipcub16HIPCUB_304000_NS21CountingInputIteratorIllEEPS6_NSA_22TransformInputIteratorIbN2at6native12_GLOBAL__N_19NonZeroOpIiEEPKilEENS0_5tupleIJPlS6_EEENSN_IJSD_SD_EEES6_PiJS6_EEE10hipError_tPvRmT3_T4_T5_T6_T7_T9_mT8_P12ihipStream_tbDpT10_ENKUlT_T0_E_clISt17integral_constantIbLb0EES1A_IbLb1EEEEDaS16_S17_EUlS16_E_NS1_11comp_targetILNS1_3genE5ELNS1_11target_archE942ELNS1_3gpuE9ELNS1_3repE0EEENS1_30default_config_static_selectorELNS0_4arch9wavefront6targetE0EEEvT1_.has_recursion, 0
	.set _ZN7rocprim17ROCPRIM_400000_NS6detail17trampoline_kernelINS0_14default_configENS1_25partition_config_selectorILNS1_17partition_subalgoE5ElNS0_10empty_typeEbEEZZNS1_14partition_implILS5_5ELb0ES3_mN6hipcub16HIPCUB_304000_NS21CountingInputIteratorIllEEPS6_NSA_22TransformInputIteratorIbN2at6native12_GLOBAL__N_19NonZeroOpIiEEPKilEENS0_5tupleIJPlS6_EEENSN_IJSD_SD_EEES6_PiJS6_EEE10hipError_tPvRmT3_T4_T5_T6_T7_T9_mT8_P12ihipStream_tbDpT10_ENKUlT_T0_E_clISt17integral_constantIbLb0EES1A_IbLb1EEEEDaS16_S17_EUlS16_E_NS1_11comp_targetILNS1_3genE5ELNS1_11target_archE942ELNS1_3gpuE9ELNS1_3repE0EEENS1_30default_config_static_selectorELNS0_4arch9wavefront6targetE0EEEvT1_.has_indirect_call, 0
	.section	.AMDGPU.csdata,"",@progbits
; Kernel info:
; codeLenInByte = 0
; TotalNumSgprs: 0
; NumVgprs: 0
; ScratchSize: 0
; MemoryBound: 0
; FloatMode: 240
; IeeeMode: 1
; LDSByteSize: 0 bytes/workgroup (compile time only)
; SGPRBlocks: 0
; VGPRBlocks: 0
; NumSGPRsForWavesPerEU: 1
; NumVGPRsForWavesPerEU: 1
; Occupancy: 16
; WaveLimiterHint : 0
; COMPUTE_PGM_RSRC2:SCRATCH_EN: 0
; COMPUTE_PGM_RSRC2:USER_SGPR: 2
; COMPUTE_PGM_RSRC2:TRAP_HANDLER: 0
; COMPUTE_PGM_RSRC2:TGID_X_EN: 1
; COMPUTE_PGM_RSRC2:TGID_Y_EN: 0
; COMPUTE_PGM_RSRC2:TGID_Z_EN: 0
; COMPUTE_PGM_RSRC2:TIDIG_COMP_CNT: 0
	.section	.text._ZN7rocprim17ROCPRIM_400000_NS6detail17trampoline_kernelINS0_14default_configENS1_25partition_config_selectorILNS1_17partition_subalgoE5ElNS0_10empty_typeEbEEZZNS1_14partition_implILS5_5ELb0ES3_mN6hipcub16HIPCUB_304000_NS21CountingInputIteratorIllEEPS6_NSA_22TransformInputIteratorIbN2at6native12_GLOBAL__N_19NonZeroOpIiEEPKilEENS0_5tupleIJPlS6_EEENSN_IJSD_SD_EEES6_PiJS6_EEE10hipError_tPvRmT3_T4_T5_T6_T7_T9_mT8_P12ihipStream_tbDpT10_ENKUlT_T0_E_clISt17integral_constantIbLb0EES1A_IbLb1EEEEDaS16_S17_EUlS16_E_NS1_11comp_targetILNS1_3genE4ELNS1_11target_archE910ELNS1_3gpuE8ELNS1_3repE0EEENS1_30default_config_static_selectorELNS0_4arch9wavefront6targetE0EEEvT1_,"axG",@progbits,_ZN7rocprim17ROCPRIM_400000_NS6detail17trampoline_kernelINS0_14default_configENS1_25partition_config_selectorILNS1_17partition_subalgoE5ElNS0_10empty_typeEbEEZZNS1_14partition_implILS5_5ELb0ES3_mN6hipcub16HIPCUB_304000_NS21CountingInputIteratorIllEEPS6_NSA_22TransformInputIteratorIbN2at6native12_GLOBAL__N_19NonZeroOpIiEEPKilEENS0_5tupleIJPlS6_EEENSN_IJSD_SD_EEES6_PiJS6_EEE10hipError_tPvRmT3_T4_T5_T6_T7_T9_mT8_P12ihipStream_tbDpT10_ENKUlT_T0_E_clISt17integral_constantIbLb0EES1A_IbLb1EEEEDaS16_S17_EUlS16_E_NS1_11comp_targetILNS1_3genE4ELNS1_11target_archE910ELNS1_3gpuE8ELNS1_3repE0EEENS1_30default_config_static_selectorELNS0_4arch9wavefront6targetE0EEEvT1_,comdat
	.globl	_ZN7rocprim17ROCPRIM_400000_NS6detail17trampoline_kernelINS0_14default_configENS1_25partition_config_selectorILNS1_17partition_subalgoE5ElNS0_10empty_typeEbEEZZNS1_14partition_implILS5_5ELb0ES3_mN6hipcub16HIPCUB_304000_NS21CountingInputIteratorIllEEPS6_NSA_22TransformInputIteratorIbN2at6native12_GLOBAL__N_19NonZeroOpIiEEPKilEENS0_5tupleIJPlS6_EEENSN_IJSD_SD_EEES6_PiJS6_EEE10hipError_tPvRmT3_T4_T5_T6_T7_T9_mT8_P12ihipStream_tbDpT10_ENKUlT_T0_E_clISt17integral_constantIbLb0EES1A_IbLb1EEEEDaS16_S17_EUlS16_E_NS1_11comp_targetILNS1_3genE4ELNS1_11target_archE910ELNS1_3gpuE8ELNS1_3repE0EEENS1_30default_config_static_selectorELNS0_4arch9wavefront6targetE0EEEvT1_ ; -- Begin function _ZN7rocprim17ROCPRIM_400000_NS6detail17trampoline_kernelINS0_14default_configENS1_25partition_config_selectorILNS1_17partition_subalgoE5ElNS0_10empty_typeEbEEZZNS1_14partition_implILS5_5ELb0ES3_mN6hipcub16HIPCUB_304000_NS21CountingInputIteratorIllEEPS6_NSA_22TransformInputIteratorIbN2at6native12_GLOBAL__N_19NonZeroOpIiEEPKilEENS0_5tupleIJPlS6_EEENSN_IJSD_SD_EEES6_PiJS6_EEE10hipError_tPvRmT3_T4_T5_T6_T7_T9_mT8_P12ihipStream_tbDpT10_ENKUlT_T0_E_clISt17integral_constantIbLb0EES1A_IbLb1EEEEDaS16_S17_EUlS16_E_NS1_11comp_targetILNS1_3genE4ELNS1_11target_archE910ELNS1_3gpuE8ELNS1_3repE0EEENS1_30default_config_static_selectorELNS0_4arch9wavefront6targetE0EEEvT1_
	.p2align	8
	.type	_ZN7rocprim17ROCPRIM_400000_NS6detail17trampoline_kernelINS0_14default_configENS1_25partition_config_selectorILNS1_17partition_subalgoE5ElNS0_10empty_typeEbEEZZNS1_14partition_implILS5_5ELb0ES3_mN6hipcub16HIPCUB_304000_NS21CountingInputIteratorIllEEPS6_NSA_22TransformInputIteratorIbN2at6native12_GLOBAL__N_19NonZeroOpIiEEPKilEENS0_5tupleIJPlS6_EEENSN_IJSD_SD_EEES6_PiJS6_EEE10hipError_tPvRmT3_T4_T5_T6_T7_T9_mT8_P12ihipStream_tbDpT10_ENKUlT_T0_E_clISt17integral_constantIbLb0EES1A_IbLb1EEEEDaS16_S17_EUlS16_E_NS1_11comp_targetILNS1_3genE4ELNS1_11target_archE910ELNS1_3gpuE8ELNS1_3repE0EEENS1_30default_config_static_selectorELNS0_4arch9wavefront6targetE0EEEvT1_,@function
_ZN7rocprim17ROCPRIM_400000_NS6detail17trampoline_kernelINS0_14default_configENS1_25partition_config_selectorILNS1_17partition_subalgoE5ElNS0_10empty_typeEbEEZZNS1_14partition_implILS5_5ELb0ES3_mN6hipcub16HIPCUB_304000_NS21CountingInputIteratorIllEEPS6_NSA_22TransformInputIteratorIbN2at6native12_GLOBAL__N_19NonZeroOpIiEEPKilEENS0_5tupleIJPlS6_EEENSN_IJSD_SD_EEES6_PiJS6_EEE10hipError_tPvRmT3_T4_T5_T6_T7_T9_mT8_P12ihipStream_tbDpT10_ENKUlT_T0_E_clISt17integral_constantIbLb0EES1A_IbLb1EEEEDaS16_S17_EUlS16_E_NS1_11comp_targetILNS1_3genE4ELNS1_11target_archE910ELNS1_3gpuE8ELNS1_3repE0EEENS1_30default_config_static_selectorELNS0_4arch9wavefront6targetE0EEEvT1_: ; @_ZN7rocprim17ROCPRIM_400000_NS6detail17trampoline_kernelINS0_14default_configENS1_25partition_config_selectorILNS1_17partition_subalgoE5ElNS0_10empty_typeEbEEZZNS1_14partition_implILS5_5ELb0ES3_mN6hipcub16HIPCUB_304000_NS21CountingInputIteratorIllEEPS6_NSA_22TransformInputIteratorIbN2at6native12_GLOBAL__N_19NonZeroOpIiEEPKilEENS0_5tupleIJPlS6_EEENSN_IJSD_SD_EEES6_PiJS6_EEE10hipError_tPvRmT3_T4_T5_T6_T7_T9_mT8_P12ihipStream_tbDpT10_ENKUlT_T0_E_clISt17integral_constantIbLb0EES1A_IbLb1EEEEDaS16_S17_EUlS16_E_NS1_11comp_targetILNS1_3genE4ELNS1_11target_archE910ELNS1_3gpuE8ELNS1_3repE0EEENS1_30default_config_static_selectorELNS0_4arch9wavefront6targetE0EEEvT1_
; %bb.0:
	.section	.rodata,"a",@progbits
	.p2align	6, 0x0
	.amdhsa_kernel _ZN7rocprim17ROCPRIM_400000_NS6detail17trampoline_kernelINS0_14default_configENS1_25partition_config_selectorILNS1_17partition_subalgoE5ElNS0_10empty_typeEbEEZZNS1_14partition_implILS5_5ELb0ES3_mN6hipcub16HIPCUB_304000_NS21CountingInputIteratorIllEEPS6_NSA_22TransformInputIteratorIbN2at6native12_GLOBAL__N_19NonZeroOpIiEEPKilEENS0_5tupleIJPlS6_EEENSN_IJSD_SD_EEES6_PiJS6_EEE10hipError_tPvRmT3_T4_T5_T6_T7_T9_mT8_P12ihipStream_tbDpT10_ENKUlT_T0_E_clISt17integral_constantIbLb0EES1A_IbLb1EEEEDaS16_S17_EUlS16_E_NS1_11comp_targetILNS1_3genE4ELNS1_11target_archE910ELNS1_3gpuE8ELNS1_3repE0EEENS1_30default_config_static_selectorELNS0_4arch9wavefront6targetE0EEEvT1_
		.amdhsa_group_segment_fixed_size 0
		.amdhsa_private_segment_fixed_size 0
		.amdhsa_kernarg_size 136
		.amdhsa_user_sgpr_count 2
		.amdhsa_user_sgpr_dispatch_ptr 0
		.amdhsa_user_sgpr_queue_ptr 0
		.amdhsa_user_sgpr_kernarg_segment_ptr 1
		.amdhsa_user_sgpr_dispatch_id 0
		.amdhsa_user_sgpr_private_segment_size 0
		.amdhsa_wavefront_size32 1
		.amdhsa_uses_dynamic_stack 0
		.amdhsa_enable_private_segment 0
		.amdhsa_system_sgpr_workgroup_id_x 1
		.amdhsa_system_sgpr_workgroup_id_y 0
		.amdhsa_system_sgpr_workgroup_id_z 0
		.amdhsa_system_sgpr_workgroup_info 0
		.amdhsa_system_vgpr_workitem_id 0
		.amdhsa_next_free_vgpr 1
		.amdhsa_next_free_sgpr 1
		.amdhsa_reserve_vcc 0
		.amdhsa_float_round_mode_32 0
		.amdhsa_float_round_mode_16_64 0
		.amdhsa_float_denorm_mode_32 3
		.amdhsa_float_denorm_mode_16_64 3
		.amdhsa_fp16_overflow 0
		.amdhsa_workgroup_processor_mode 1
		.amdhsa_memory_ordered 1
		.amdhsa_forward_progress 1
		.amdhsa_inst_pref_size 0
		.amdhsa_round_robin_scheduling 0
		.amdhsa_exception_fp_ieee_invalid_op 0
		.amdhsa_exception_fp_denorm_src 0
		.amdhsa_exception_fp_ieee_div_zero 0
		.amdhsa_exception_fp_ieee_overflow 0
		.amdhsa_exception_fp_ieee_underflow 0
		.amdhsa_exception_fp_ieee_inexact 0
		.amdhsa_exception_int_div_zero 0
	.end_amdhsa_kernel
	.section	.text._ZN7rocprim17ROCPRIM_400000_NS6detail17trampoline_kernelINS0_14default_configENS1_25partition_config_selectorILNS1_17partition_subalgoE5ElNS0_10empty_typeEbEEZZNS1_14partition_implILS5_5ELb0ES3_mN6hipcub16HIPCUB_304000_NS21CountingInputIteratorIllEEPS6_NSA_22TransformInputIteratorIbN2at6native12_GLOBAL__N_19NonZeroOpIiEEPKilEENS0_5tupleIJPlS6_EEENSN_IJSD_SD_EEES6_PiJS6_EEE10hipError_tPvRmT3_T4_T5_T6_T7_T9_mT8_P12ihipStream_tbDpT10_ENKUlT_T0_E_clISt17integral_constantIbLb0EES1A_IbLb1EEEEDaS16_S17_EUlS16_E_NS1_11comp_targetILNS1_3genE4ELNS1_11target_archE910ELNS1_3gpuE8ELNS1_3repE0EEENS1_30default_config_static_selectorELNS0_4arch9wavefront6targetE0EEEvT1_,"axG",@progbits,_ZN7rocprim17ROCPRIM_400000_NS6detail17trampoline_kernelINS0_14default_configENS1_25partition_config_selectorILNS1_17partition_subalgoE5ElNS0_10empty_typeEbEEZZNS1_14partition_implILS5_5ELb0ES3_mN6hipcub16HIPCUB_304000_NS21CountingInputIteratorIllEEPS6_NSA_22TransformInputIteratorIbN2at6native12_GLOBAL__N_19NonZeroOpIiEEPKilEENS0_5tupleIJPlS6_EEENSN_IJSD_SD_EEES6_PiJS6_EEE10hipError_tPvRmT3_T4_T5_T6_T7_T9_mT8_P12ihipStream_tbDpT10_ENKUlT_T0_E_clISt17integral_constantIbLb0EES1A_IbLb1EEEEDaS16_S17_EUlS16_E_NS1_11comp_targetILNS1_3genE4ELNS1_11target_archE910ELNS1_3gpuE8ELNS1_3repE0EEENS1_30default_config_static_selectorELNS0_4arch9wavefront6targetE0EEEvT1_,comdat
.Lfunc_end212:
	.size	_ZN7rocprim17ROCPRIM_400000_NS6detail17trampoline_kernelINS0_14default_configENS1_25partition_config_selectorILNS1_17partition_subalgoE5ElNS0_10empty_typeEbEEZZNS1_14partition_implILS5_5ELb0ES3_mN6hipcub16HIPCUB_304000_NS21CountingInputIteratorIllEEPS6_NSA_22TransformInputIteratorIbN2at6native12_GLOBAL__N_19NonZeroOpIiEEPKilEENS0_5tupleIJPlS6_EEENSN_IJSD_SD_EEES6_PiJS6_EEE10hipError_tPvRmT3_T4_T5_T6_T7_T9_mT8_P12ihipStream_tbDpT10_ENKUlT_T0_E_clISt17integral_constantIbLb0EES1A_IbLb1EEEEDaS16_S17_EUlS16_E_NS1_11comp_targetILNS1_3genE4ELNS1_11target_archE910ELNS1_3gpuE8ELNS1_3repE0EEENS1_30default_config_static_selectorELNS0_4arch9wavefront6targetE0EEEvT1_, .Lfunc_end212-_ZN7rocprim17ROCPRIM_400000_NS6detail17trampoline_kernelINS0_14default_configENS1_25partition_config_selectorILNS1_17partition_subalgoE5ElNS0_10empty_typeEbEEZZNS1_14partition_implILS5_5ELb0ES3_mN6hipcub16HIPCUB_304000_NS21CountingInputIteratorIllEEPS6_NSA_22TransformInputIteratorIbN2at6native12_GLOBAL__N_19NonZeroOpIiEEPKilEENS0_5tupleIJPlS6_EEENSN_IJSD_SD_EEES6_PiJS6_EEE10hipError_tPvRmT3_T4_T5_T6_T7_T9_mT8_P12ihipStream_tbDpT10_ENKUlT_T0_E_clISt17integral_constantIbLb0EES1A_IbLb1EEEEDaS16_S17_EUlS16_E_NS1_11comp_targetILNS1_3genE4ELNS1_11target_archE910ELNS1_3gpuE8ELNS1_3repE0EEENS1_30default_config_static_selectorELNS0_4arch9wavefront6targetE0EEEvT1_
                                        ; -- End function
	.set _ZN7rocprim17ROCPRIM_400000_NS6detail17trampoline_kernelINS0_14default_configENS1_25partition_config_selectorILNS1_17partition_subalgoE5ElNS0_10empty_typeEbEEZZNS1_14partition_implILS5_5ELb0ES3_mN6hipcub16HIPCUB_304000_NS21CountingInputIteratorIllEEPS6_NSA_22TransformInputIteratorIbN2at6native12_GLOBAL__N_19NonZeroOpIiEEPKilEENS0_5tupleIJPlS6_EEENSN_IJSD_SD_EEES6_PiJS6_EEE10hipError_tPvRmT3_T4_T5_T6_T7_T9_mT8_P12ihipStream_tbDpT10_ENKUlT_T0_E_clISt17integral_constantIbLb0EES1A_IbLb1EEEEDaS16_S17_EUlS16_E_NS1_11comp_targetILNS1_3genE4ELNS1_11target_archE910ELNS1_3gpuE8ELNS1_3repE0EEENS1_30default_config_static_selectorELNS0_4arch9wavefront6targetE0EEEvT1_.num_vgpr, 0
	.set _ZN7rocprim17ROCPRIM_400000_NS6detail17trampoline_kernelINS0_14default_configENS1_25partition_config_selectorILNS1_17partition_subalgoE5ElNS0_10empty_typeEbEEZZNS1_14partition_implILS5_5ELb0ES3_mN6hipcub16HIPCUB_304000_NS21CountingInputIteratorIllEEPS6_NSA_22TransformInputIteratorIbN2at6native12_GLOBAL__N_19NonZeroOpIiEEPKilEENS0_5tupleIJPlS6_EEENSN_IJSD_SD_EEES6_PiJS6_EEE10hipError_tPvRmT3_T4_T5_T6_T7_T9_mT8_P12ihipStream_tbDpT10_ENKUlT_T0_E_clISt17integral_constantIbLb0EES1A_IbLb1EEEEDaS16_S17_EUlS16_E_NS1_11comp_targetILNS1_3genE4ELNS1_11target_archE910ELNS1_3gpuE8ELNS1_3repE0EEENS1_30default_config_static_selectorELNS0_4arch9wavefront6targetE0EEEvT1_.num_agpr, 0
	.set _ZN7rocprim17ROCPRIM_400000_NS6detail17trampoline_kernelINS0_14default_configENS1_25partition_config_selectorILNS1_17partition_subalgoE5ElNS0_10empty_typeEbEEZZNS1_14partition_implILS5_5ELb0ES3_mN6hipcub16HIPCUB_304000_NS21CountingInputIteratorIllEEPS6_NSA_22TransformInputIteratorIbN2at6native12_GLOBAL__N_19NonZeroOpIiEEPKilEENS0_5tupleIJPlS6_EEENSN_IJSD_SD_EEES6_PiJS6_EEE10hipError_tPvRmT3_T4_T5_T6_T7_T9_mT8_P12ihipStream_tbDpT10_ENKUlT_T0_E_clISt17integral_constantIbLb0EES1A_IbLb1EEEEDaS16_S17_EUlS16_E_NS1_11comp_targetILNS1_3genE4ELNS1_11target_archE910ELNS1_3gpuE8ELNS1_3repE0EEENS1_30default_config_static_selectorELNS0_4arch9wavefront6targetE0EEEvT1_.numbered_sgpr, 0
	.set _ZN7rocprim17ROCPRIM_400000_NS6detail17trampoline_kernelINS0_14default_configENS1_25partition_config_selectorILNS1_17partition_subalgoE5ElNS0_10empty_typeEbEEZZNS1_14partition_implILS5_5ELb0ES3_mN6hipcub16HIPCUB_304000_NS21CountingInputIteratorIllEEPS6_NSA_22TransformInputIteratorIbN2at6native12_GLOBAL__N_19NonZeroOpIiEEPKilEENS0_5tupleIJPlS6_EEENSN_IJSD_SD_EEES6_PiJS6_EEE10hipError_tPvRmT3_T4_T5_T6_T7_T9_mT8_P12ihipStream_tbDpT10_ENKUlT_T0_E_clISt17integral_constantIbLb0EES1A_IbLb1EEEEDaS16_S17_EUlS16_E_NS1_11comp_targetILNS1_3genE4ELNS1_11target_archE910ELNS1_3gpuE8ELNS1_3repE0EEENS1_30default_config_static_selectorELNS0_4arch9wavefront6targetE0EEEvT1_.num_named_barrier, 0
	.set _ZN7rocprim17ROCPRIM_400000_NS6detail17trampoline_kernelINS0_14default_configENS1_25partition_config_selectorILNS1_17partition_subalgoE5ElNS0_10empty_typeEbEEZZNS1_14partition_implILS5_5ELb0ES3_mN6hipcub16HIPCUB_304000_NS21CountingInputIteratorIllEEPS6_NSA_22TransformInputIteratorIbN2at6native12_GLOBAL__N_19NonZeroOpIiEEPKilEENS0_5tupleIJPlS6_EEENSN_IJSD_SD_EEES6_PiJS6_EEE10hipError_tPvRmT3_T4_T5_T6_T7_T9_mT8_P12ihipStream_tbDpT10_ENKUlT_T0_E_clISt17integral_constantIbLb0EES1A_IbLb1EEEEDaS16_S17_EUlS16_E_NS1_11comp_targetILNS1_3genE4ELNS1_11target_archE910ELNS1_3gpuE8ELNS1_3repE0EEENS1_30default_config_static_selectorELNS0_4arch9wavefront6targetE0EEEvT1_.private_seg_size, 0
	.set _ZN7rocprim17ROCPRIM_400000_NS6detail17trampoline_kernelINS0_14default_configENS1_25partition_config_selectorILNS1_17partition_subalgoE5ElNS0_10empty_typeEbEEZZNS1_14partition_implILS5_5ELb0ES3_mN6hipcub16HIPCUB_304000_NS21CountingInputIteratorIllEEPS6_NSA_22TransformInputIteratorIbN2at6native12_GLOBAL__N_19NonZeroOpIiEEPKilEENS0_5tupleIJPlS6_EEENSN_IJSD_SD_EEES6_PiJS6_EEE10hipError_tPvRmT3_T4_T5_T6_T7_T9_mT8_P12ihipStream_tbDpT10_ENKUlT_T0_E_clISt17integral_constantIbLb0EES1A_IbLb1EEEEDaS16_S17_EUlS16_E_NS1_11comp_targetILNS1_3genE4ELNS1_11target_archE910ELNS1_3gpuE8ELNS1_3repE0EEENS1_30default_config_static_selectorELNS0_4arch9wavefront6targetE0EEEvT1_.uses_vcc, 0
	.set _ZN7rocprim17ROCPRIM_400000_NS6detail17trampoline_kernelINS0_14default_configENS1_25partition_config_selectorILNS1_17partition_subalgoE5ElNS0_10empty_typeEbEEZZNS1_14partition_implILS5_5ELb0ES3_mN6hipcub16HIPCUB_304000_NS21CountingInputIteratorIllEEPS6_NSA_22TransformInputIteratorIbN2at6native12_GLOBAL__N_19NonZeroOpIiEEPKilEENS0_5tupleIJPlS6_EEENSN_IJSD_SD_EEES6_PiJS6_EEE10hipError_tPvRmT3_T4_T5_T6_T7_T9_mT8_P12ihipStream_tbDpT10_ENKUlT_T0_E_clISt17integral_constantIbLb0EES1A_IbLb1EEEEDaS16_S17_EUlS16_E_NS1_11comp_targetILNS1_3genE4ELNS1_11target_archE910ELNS1_3gpuE8ELNS1_3repE0EEENS1_30default_config_static_selectorELNS0_4arch9wavefront6targetE0EEEvT1_.uses_flat_scratch, 0
	.set _ZN7rocprim17ROCPRIM_400000_NS6detail17trampoline_kernelINS0_14default_configENS1_25partition_config_selectorILNS1_17partition_subalgoE5ElNS0_10empty_typeEbEEZZNS1_14partition_implILS5_5ELb0ES3_mN6hipcub16HIPCUB_304000_NS21CountingInputIteratorIllEEPS6_NSA_22TransformInputIteratorIbN2at6native12_GLOBAL__N_19NonZeroOpIiEEPKilEENS0_5tupleIJPlS6_EEENSN_IJSD_SD_EEES6_PiJS6_EEE10hipError_tPvRmT3_T4_T5_T6_T7_T9_mT8_P12ihipStream_tbDpT10_ENKUlT_T0_E_clISt17integral_constantIbLb0EES1A_IbLb1EEEEDaS16_S17_EUlS16_E_NS1_11comp_targetILNS1_3genE4ELNS1_11target_archE910ELNS1_3gpuE8ELNS1_3repE0EEENS1_30default_config_static_selectorELNS0_4arch9wavefront6targetE0EEEvT1_.has_dyn_sized_stack, 0
	.set _ZN7rocprim17ROCPRIM_400000_NS6detail17trampoline_kernelINS0_14default_configENS1_25partition_config_selectorILNS1_17partition_subalgoE5ElNS0_10empty_typeEbEEZZNS1_14partition_implILS5_5ELb0ES3_mN6hipcub16HIPCUB_304000_NS21CountingInputIteratorIllEEPS6_NSA_22TransformInputIteratorIbN2at6native12_GLOBAL__N_19NonZeroOpIiEEPKilEENS0_5tupleIJPlS6_EEENSN_IJSD_SD_EEES6_PiJS6_EEE10hipError_tPvRmT3_T4_T5_T6_T7_T9_mT8_P12ihipStream_tbDpT10_ENKUlT_T0_E_clISt17integral_constantIbLb0EES1A_IbLb1EEEEDaS16_S17_EUlS16_E_NS1_11comp_targetILNS1_3genE4ELNS1_11target_archE910ELNS1_3gpuE8ELNS1_3repE0EEENS1_30default_config_static_selectorELNS0_4arch9wavefront6targetE0EEEvT1_.has_recursion, 0
	.set _ZN7rocprim17ROCPRIM_400000_NS6detail17trampoline_kernelINS0_14default_configENS1_25partition_config_selectorILNS1_17partition_subalgoE5ElNS0_10empty_typeEbEEZZNS1_14partition_implILS5_5ELb0ES3_mN6hipcub16HIPCUB_304000_NS21CountingInputIteratorIllEEPS6_NSA_22TransformInputIteratorIbN2at6native12_GLOBAL__N_19NonZeroOpIiEEPKilEENS0_5tupleIJPlS6_EEENSN_IJSD_SD_EEES6_PiJS6_EEE10hipError_tPvRmT3_T4_T5_T6_T7_T9_mT8_P12ihipStream_tbDpT10_ENKUlT_T0_E_clISt17integral_constantIbLb0EES1A_IbLb1EEEEDaS16_S17_EUlS16_E_NS1_11comp_targetILNS1_3genE4ELNS1_11target_archE910ELNS1_3gpuE8ELNS1_3repE0EEENS1_30default_config_static_selectorELNS0_4arch9wavefront6targetE0EEEvT1_.has_indirect_call, 0
	.section	.AMDGPU.csdata,"",@progbits
; Kernel info:
; codeLenInByte = 0
; TotalNumSgprs: 0
; NumVgprs: 0
; ScratchSize: 0
; MemoryBound: 0
; FloatMode: 240
; IeeeMode: 1
; LDSByteSize: 0 bytes/workgroup (compile time only)
; SGPRBlocks: 0
; VGPRBlocks: 0
; NumSGPRsForWavesPerEU: 1
; NumVGPRsForWavesPerEU: 1
; Occupancy: 16
; WaveLimiterHint : 0
; COMPUTE_PGM_RSRC2:SCRATCH_EN: 0
; COMPUTE_PGM_RSRC2:USER_SGPR: 2
; COMPUTE_PGM_RSRC2:TRAP_HANDLER: 0
; COMPUTE_PGM_RSRC2:TGID_X_EN: 1
; COMPUTE_PGM_RSRC2:TGID_Y_EN: 0
; COMPUTE_PGM_RSRC2:TGID_Z_EN: 0
; COMPUTE_PGM_RSRC2:TIDIG_COMP_CNT: 0
	.section	.text._ZN7rocprim17ROCPRIM_400000_NS6detail17trampoline_kernelINS0_14default_configENS1_25partition_config_selectorILNS1_17partition_subalgoE5ElNS0_10empty_typeEbEEZZNS1_14partition_implILS5_5ELb0ES3_mN6hipcub16HIPCUB_304000_NS21CountingInputIteratorIllEEPS6_NSA_22TransformInputIteratorIbN2at6native12_GLOBAL__N_19NonZeroOpIiEEPKilEENS0_5tupleIJPlS6_EEENSN_IJSD_SD_EEES6_PiJS6_EEE10hipError_tPvRmT3_T4_T5_T6_T7_T9_mT8_P12ihipStream_tbDpT10_ENKUlT_T0_E_clISt17integral_constantIbLb0EES1A_IbLb1EEEEDaS16_S17_EUlS16_E_NS1_11comp_targetILNS1_3genE3ELNS1_11target_archE908ELNS1_3gpuE7ELNS1_3repE0EEENS1_30default_config_static_selectorELNS0_4arch9wavefront6targetE0EEEvT1_,"axG",@progbits,_ZN7rocprim17ROCPRIM_400000_NS6detail17trampoline_kernelINS0_14default_configENS1_25partition_config_selectorILNS1_17partition_subalgoE5ElNS0_10empty_typeEbEEZZNS1_14partition_implILS5_5ELb0ES3_mN6hipcub16HIPCUB_304000_NS21CountingInputIteratorIllEEPS6_NSA_22TransformInputIteratorIbN2at6native12_GLOBAL__N_19NonZeroOpIiEEPKilEENS0_5tupleIJPlS6_EEENSN_IJSD_SD_EEES6_PiJS6_EEE10hipError_tPvRmT3_T4_T5_T6_T7_T9_mT8_P12ihipStream_tbDpT10_ENKUlT_T0_E_clISt17integral_constantIbLb0EES1A_IbLb1EEEEDaS16_S17_EUlS16_E_NS1_11comp_targetILNS1_3genE3ELNS1_11target_archE908ELNS1_3gpuE7ELNS1_3repE0EEENS1_30default_config_static_selectorELNS0_4arch9wavefront6targetE0EEEvT1_,comdat
	.globl	_ZN7rocprim17ROCPRIM_400000_NS6detail17trampoline_kernelINS0_14default_configENS1_25partition_config_selectorILNS1_17partition_subalgoE5ElNS0_10empty_typeEbEEZZNS1_14partition_implILS5_5ELb0ES3_mN6hipcub16HIPCUB_304000_NS21CountingInputIteratorIllEEPS6_NSA_22TransformInputIteratorIbN2at6native12_GLOBAL__N_19NonZeroOpIiEEPKilEENS0_5tupleIJPlS6_EEENSN_IJSD_SD_EEES6_PiJS6_EEE10hipError_tPvRmT3_T4_T5_T6_T7_T9_mT8_P12ihipStream_tbDpT10_ENKUlT_T0_E_clISt17integral_constantIbLb0EES1A_IbLb1EEEEDaS16_S17_EUlS16_E_NS1_11comp_targetILNS1_3genE3ELNS1_11target_archE908ELNS1_3gpuE7ELNS1_3repE0EEENS1_30default_config_static_selectorELNS0_4arch9wavefront6targetE0EEEvT1_ ; -- Begin function _ZN7rocprim17ROCPRIM_400000_NS6detail17trampoline_kernelINS0_14default_configENS1_25partition_config_selectorILNS1_17partition_subalgoE5ElNS0_10empty_typeEbEEZZNS1_14partition_implILS5_5ELb0ES3_mN6hipcub16HIPCUB_304000_NS21CountingInputIteratorIllEEPS6_NSA_22TransformInputIteratorIbN2at6native12_GLOBAL__N_19NonZeroOpIiEEPKilEENS0_5tupleIJPlS6_EEENSN_IJSD_SD_EEES6_PiJS6_EEE10hipError_tPvRmT3_T4_T5_T6_T7_T9_mT8_P12ihipStream_tbDpT10_ENKUlT_T0_E_clISt17integral_constantIbLb0EES1A_IbLb1EEEEDaS16_S17_EUlS16_E_NS1_11comp_targetILNS1_3genE3ELNS1_11target_archE908ELNS1_3gpuE7ELNS1_3repE0EEENS1_30default_config_static_selectorELNS0_4arch9wavefront6targetE0EEEvT1_
	.p2align	8
	.type	_ZN7rocprim17ROCPRIM_400000_NS6detail17trampoline_kernelINS0_14default_configENS1_25partition_config_selectorILNS1_17partition_subalgoE5ElNS0_10empty_typeEbEEZZNS1_14partition_implILS5_5ELb0ES3_mN6hipcub16HIPCUB_304000_NS21CountingInputIteratorIllEEPS6_NSA_22TransformInputIteratorIbN2at6native12_GLOBAL__N_19NonZeroOpIiEEPKilEENS0_5tupleIJPlS6_EEENSN_IJSD_SD_EEES6_PiJS6_EEE10hipError_tPvRmT3_T4_T5_T6_T7_T9_mT8_P12ihipStream_tbDpT10_ENKUlT_T0_E_clISt17integral_constantIbLb0EES1A_IbLb1EEEEDaS16_S17_EUlS16_E_NS1_11comp_targetILNS1_3genE3ELNS1_11target_archE908ELNS1_3gpuE7ELNS1_3repE0EEENS1_30default_config_static_selectorELNS0_4arch9wavefront6targetE0EEEvT1_,@function
_ZN7rocprim17ROCPRIM_400000_NS6detail17trampoline_kernelINS0_14default_configENS1_25partition_config_selectorILNS1_17partition_subalgoE5ElNS0_10empty_typeEbEEZZNS1_14partition_implILS5_5ELb0ES3_mN6hipcub16HIPCUB_304000_NS21CountingInputIteratorIllEEPS6_NSA_22TransformInputIteratorIbN2at6native12_GLOBAL__N_19NonZeroOpIiEEPKilEENS0_5tupleIJPlS6_EEENSN_IJSD_SD_EEES6_PiJS6_EEE10hipError_tPvRmT3_T4_T5_T6_T7_T9_mT8_P12ihipStream_tbDpT10_ENKUlT_T0_E_clISt17integral_constantIbLb0EES1A_IbLb1EEEEDaS16_S17_EUlS16_E_NS1_11comp_targetILNS1_3genE3ELNS1_11target_archE908ELNS1_3gpuE7ELNS1_3repE0EEENS1_30default_config_static_selectorELNS0_4arch9wavefront6targetE0EEEvT1_: ; @_ZN7rocprim17ROCPRIM_400000_NS6detail17trampoline_kernelINS0_14default_configENS1_25partition_config_selectorILNS1_17partition_subalgoE5ElNS0_10empty_typeEbEEZZNS1_14partition_implILS5_5ELb0ES3_mN6hipcub16HIPCUB_304000_NS21CountingInputIteratorIllEEPS6_NSA_22TransformInputIteratorIbN2at6native12_GLOBAL__N_19NonZeroOpIiEEPKilEENS0_5tupleIJPlS6_EEENSN_IJSD_SD_EEES6_PiJS6_EEE10hipError_tPvRmT3_T4_T5_T6_T7_T9_mT8_P12ihipStream_tbDpT10_ENKUlT_T0_E_clISt17integral_constantIbLb0EES1A_IbLb1EEEEDaS16_S17_EUlS16_E_NS1_11comp_targetILNS1_3genE3ELNS1_11target_archE908ELNS1_3gpuE7ELNS1_3repE0EEENS1_30default_config_static_selectorELNS0_4arch9wavefront6targetE0EEEvT1_
; %bb.0:
	.section	.rodata,"a",@progbits
	.p2align	6, 0x0
	.amdhsa_kernel _ZN7rocprim17ROCPRIM_400000_NS6detail17trampoline_kernelINS0_14default_configENS1_25partition_config_selectorILNS1_17partition_subalgoE5ElNS0_10empty_typeEbEEZZNS1_14partition_implILS5_5ELb0ES3_mN6hipcub16HIPCUB_304000_NS21CountingInputIteratorIllEEPS6_NSA_22TransformInputIteratorIbN2at6native12_GLOBAL__N_19NonZeroOpIiEEPKilEENS0_5tupleIJPlS6_EEENSN_IJSD_SD_EEES6_PiJS6_EEE10hipError_tPvRmT3_T4_T5_T6_T7_T9_mT8_P12ihipStream_tbDpT10_ENKUlT_T0_E_clISt17integral_constantIbLb0EES1A_IbLb1EEEEDaS16_S17_EUlS16_E_NS1_11comp_targetILNS1_3genE3ELNS1_11target_archE908ELNS1_3gpuE7ELNS1_3repE0EEENS1_30default_config_static_selectorELNS0_4arch9wavefront6targetE0EEEvT1_
		.amdhsa_group_segment_fixed_size 0
		.amdhsa_private_segment_fixed_size 0
		.amdhsa_kernarg_size 136
		.amdhsa_user_sgpr_count 2
		.amdhsa_user_sgpr_dispatch_ptr 0
		.amdhsa_user_sgpr_queue_ptr 0
		.amdhsa_user_sgpr_kernarg_segment_ptr 1
		.amdhsa_user_sgpr_dispatch_id 0
		.amdhsa_user_sgpr_private_segment_size 0
		.amdhsa_wavefront_size32 1
		.amdhsa_uses_dynamic_stack 0
		.amdhsa_enable_private_segment 0
		.amdhsa_system_sgpr_workgroup_id_x 1
		.amdhsa_system_sgpr_workgroup_id_y 0
		.amdhsa_system_sgpr_workgroup_id_z 0
		.amdhsa_system_sgpr_workgroup_info 0
		.amdhsa_system_vgpr_workitem_id 0
		.amdhsa_next_free_vgpr 1
		.amdhsa_next_free_sgpr 1
		.amdhsa_reserve_vcc 0
		.amdhsa_float_round_mode_32 0
		.amdhsa_float_round_mode_16_64 0
		.amdhsa_float_denorm_mode_32 3
		.amdhsa_float_denorm_mode_16_64 3
		.amdhsa_fp16_overflow 0
		.amdhsa_workgroup_processor_mode 1
		.amdhsa_memory_ordered 1
		.amdhsa_forward_progress 1
		.amdhsa_inst_pref_size 0
		.amdhsa_round_robin_scheduling 0
		.amdhsa_exception_fp_ieee_invalid_op 0
		.amdhsa_exception_fp_denorm_src 0
		.amdhsa_exception_fp_ieee_div_zero 0
		.amdhsa_exception_fp_ieee_overflow 0
		.amdhsa_exception_fp_ieee_underflow 0
		.amdhsa_exception_fp_ieee_inexact 0
		.amdhsa_exception_int_div_zero 0
	.end_amdhsa_kernel
	.section	.text._ZN7rocprim17ROCPRIM_400000_NS6detail17trampoline_kernelINS0_14default_configENS1_25partition_config_selectorILNS1_17partition_subalgoE5ElNS0_10empty_typeEbEEZZNS1_14partition_implILS5_5ELb0ES3_mN6hipcub16HIPCUB_304000_NS21CountingInputIteratorIllEEPS6_NSA_22TransformInputIteratorIbN2at6native12_GLOBAL__N_19NonZeroOpIiEEPKilEENS0_5tupleIJPlS6_EEENSN_IJSD_SD_EEES6_PiJS6_EEE10hipError_tPvRmT3_T4_T5_T6_T7_T9_mT8_P12ihipStream_tbDpT10_ENKUlT_T0_E_clISt17integral_constantIbLb0EES1A_IbLb1EEEEDaS16_S17_EUlS16_E_NS1_11comp_targetILNS1_3genE3ELNS1_11target_archE908ELNS1_3gpuE7ELNS1_3repE0EEENS1_30default_config_static_selectorELNS0_4arch9wavefront6targetE0EEEvT1_,"axG",@progbits,_ZN7rocprim17ROCPRIM_400000_NS6detail17trampoline_kernelINS0_14default_configENS1_25partition_config_selectorILNS1_17partition_subalgoE5ElNS0_10empty_typeEbEEZZNS1_14partition_implILS5_5ELb0ES3_mN6hipcub16HIPCUB_304000_NS21CountingInputIteratorIllEEPS6_NSA_22TransformInputIteratorIbN2at6native12_GLOBAL__N_19NonZeroOpIiEEPKilEENS0_5tupleIJPlS6_EEENSN_IJSD_SD_EEES6_PiJS6_EEE10hipError_tPvRmT3_T4_T5_T6_T7_T9_mT8_P12ihipStream_tbDpT10_ENKUlT_T0_E_clISt17integral_constantIbLb0EES1A_IbLb1EEEEDaS16_S17_EUlS16_E_NS1_11comp_targetILNS1_3genE3ELNS1_11target_archE908ELNS1_3gpuE7ELNS1_3repE0EEENS1_30default_config_static_selectorELNS0_4arch9wavefront6targetE0EEEvT1_,comdat
.Lfunc_end213:
	.size	_ZN7rocprim17ROCPRIM_400000_NS6detail17trampoline_kernelINS0_14default_configENS1_25partition_config_selectorILNS1_17partition_subalgoE5ElNS0_10empty_typeEbEEZZNS1_14partition_implILS5_5ELb0ES3_mN6hipcub16HIPCUB_304000_NS21CountingInputIteratorIllEEPS6_NSA_22TransformInputIteratorIbN2at6native12_GLOBAL__N_19NonZeroOpIiEEPKilEENS0_5tupleIJPlS6_EEENSN_IJSD_SD_EEES6_PiJS6_EEE10hipError_tPvRmT3_T4_T5_T6_T7_T9_mT8_P12ihipStream_tbDpT10_ENKUlT_T0_E_clISt17integral_constantIbLb0EES1A_IbLb1EEEEDaS16_S17_EUlS16_E_NS1_11comp_targetILNS1_3genE3ELNS1_11target_archE908ELNS1_3gpuE7ELNS1_3repE0EEENS1_30default_config_static_selectorELNS0_4arch9wavefront6targetE0EEEvT1_, .Lfunc_end213-_ZN7rocprim17ROCPRIM_400000_NS6detail17trampoline_kernelINS0_14default_configENS1_25partition_config_selectorILNS1_17partition_subalgoE5ElNS0_10empty_typeEbEEZZNS1_14partition_implILS5_5ELb0ES3_mN6hipcub16HIPCUB_304000_NS21CountingInputIteratorIllEEPS6_NSA_22TransformInputIteratorIbN2at6native12_GLOBAL__N_19NonZeroOpIiEEPKilEENS0_5tupleIJPlS6_EEENSN_IJSD_SD_EEES6_PiJS6_EEE10hipError_tPvRmT3_T4_T5_T6_T7_T9_mT8_P12ihipStream_tbDpT10_ENKUlT_T0_E_clISt17integral_constantIbLb0EES1A_IbLb1EEEEDaS16_S17_EUlS16_E_NS1_11comp_targetILNS1_3genE3ELNS1_11target_archE908ELNS1_3gpuE7ELNS1_3repE0EEENS1_30default_config_static_selectorELNS0_4arch9wavefront6targetE0EEEvT1_
                                        ; -- End function
	.set _ZN7rocprim17ROCPRIM_400000_NS6detail17trampoline_kernelINS0_14default_configENS1_25partition_config_selectorILNS1_17partition_subalgoE5ElNS0_10empty_typeEbEEZZNS1_14partition_implILS5_5ELb0ES3_mN6hipcub16HIPCUB_304000_NS21CountingInputIteratorIllEEPS6_NSA_22TransformInputIteratorIbN2at6native12_GLOBAL__N_19NonZeroOpIiEEPKilEENS0_5tupleIJPlS6_EEENSN_IJSD_SD_EEES6_PiJS6_EEE10hipError_tPvRmT3_T4_T5_T6_T7_T9_mT8_P12ihipStream_tbDpT10_ENKUlT_T0_E_clISt17integral_constantIbLb0EES1A_IbLb1EEEEDaS16_S17_EUlS16_E_NS1_11comp_targetILNS1_3genE3ELNS1_11target_archE908ELNS1_3gpuE7ELNS1_3repE0EEENS1_30default_config_static_selectorELNS0_4arch9wavefront6targetE0EEEvT1_.num_vgpr, 0
	.set _ZN7rocprim17ROCPRIM_400000_NS6detail17trampoline_kernelINS0_14default_configENS1_25partition_config_selectorILNS1_17partition_subalgoE5ElNS0_10empty_typeEbEEZZNS1_14partition_implILS5_5ELb0ES3_mN6hipcub16HIPCUB_304000_NS21CountingInputIteratorIllEEPS6_NSA_22TransformInputIteratorIbN2at6native12_GLOBAL__N_19NonZeroOpIiEEPKilEENS0_5tupleIJPlS6_EEENSN_IJSD_SD_EEES6_PiJS6_EEE10hipError_tPvRmT3_T4_T5_T6_T7_T9_mT8_P12ihipStream_tbDpT10_ENKUlT_T0_E_clISt17integral_constantIbLb0EES1A_IbLb1EEEEDaS16_S17_EUlS16_E_NS1_11comp_targetILNS1_3genE3ELNS1_11target_archE908ELNS1_3gpuE7ELNS1_3repE0EEENS1_30default_config_static_selectorELNS0_4arch9wavefront6targetE0EEEvT1_.num_agpr, 0
	.set _ZN7rocprim17ROCPRIM_400000_NS6detail17trampoline_kernelINS0_14default_configENS1_25partition_config_selectorILNS1_17partition_subalgoE5ElNS0_10empty_typeEbEEZZNS1_14partition_implILS5_5ELb0ES3_mN6hipcub16HIPCUB_304000_NS21CountingInputIteratorIllEEPS6_NSA_22TransformInputIteratorIbN2at6native12_GLOBAL__N_19NonZeroOpIiEEPKilEENS0_5tupleIJPlS6_EEENSN_IJSD_SD_EEES6_PiJS6_EEE10hipError_tPvRmT3_T4_T5_T6_T7_T9_mT8_P12ihipStream_tbDpT10_ENKUlT_T0_E_clISt17integral_constantIbLb0EES1A_IbLb1EEEEDaS16_S17_EUlS16_E_NS1_11comp_targetILNS1_3genE3ELNS1_11target_archE908ELNS1_3gpuE7ELNS1_3repE0EEENS1_30default_config_static_selectorELNS0_4arch9wavefront6targetE0EEEvT1_.numbered_sgpr, 0
	.set _ZN7rocprim17ROCPRIM_400000_NS6detail17trampoline_kernelINS0_14default_configENS1_25partition_config_selectorILNS1_17partition_subalgoE5ElNS0_10empty_typeEbEEZZNS1_14partition_implILS5_5ELb0ES3_mN6hipcub16HIPCUB_304000_NS21CountingInputIteratorIllEEPS6_NSA_22TransformInputIteratorIbN2at6native12_GLOBAL__N_19NonZeroOpIiEEPKilEENS0_5tupleIJPlS6_EEENSN_IJSD_SD_EEES6_PiJS6_EEE10hipError_tPvRmT3_T4_T5_T6_T7_T9_mT8_P12ihipStream_tbDpT10_ENKUlT_T0_E_clISt17integral_constantIbLb0EES1A_IbLb1EEEEDaS16_S17_EUlS16_E_NS1_11comp_targetILNS1_3genE3ELNS1_11target_archE908ELNS1_3gpuE7ELNS1_3repE0EEENS1_30default_config_static_selectorELNS0_4arch9wavefront6targetE0EEEvT1_.num_named_barrier, 0
	.set _ZN7rocprim17ROCPRIM_400000_NS6detail17trampoline_kernelINS0_14default_configENS1_25partition_config_selectorILNS1_17partition_subalgoE5ElNS0_10empty_typeEbEEZZNS1_14partition_implILS5_5ELb0ES3_mN6hipcub16HIPCUB_304000_NS21CountingInputIteratorIllEEPS6_NSA_22TransformInputIteratorIbN2at6native12_GLOBAL__N_19NonZeroOpIiEEPKilEENS0_5tupleIJPlS6_EEENSN_IJSD_SD_EEES6_PiJS6_EEE10hipError_tPvRmT3_T4_T5_T6_T7_T9_mT8_P12ihipStream_tbDpT10_ENKUlT_T0_E_clISt17integral_constantIbLb0EES1A_IbLb1EEEEDaS16_S17_EUlS16_E_NS1_11comp_targetILNS1_3genE3ELNS1_11target_archE908ELNS1_3gpuE7ELNS1_3repE0EEENS1_30default_config_static_selectorELNS0_4arch9wavefront6targetE0EEEvT1_.private_seg_size, 0
	.set _ZN7rocprim17ROCPRIM_400000_NS6detail17trampoline_kernelINS0_14default_configENS1_25partition_config_selectorILNS1_17partition_subalgoE5ElNS0_10empty_typeEbEEZZNS1_14partition_implILS5_5ELb0ES3_mN6hipcub16HIPCUB_304000_NS21CountingInputIteratorIllEEPS6_NSA_22TransformInputIteratorIbN2at6native12_GLOBAL__N_19NonZeroOpIiEEPKilEENS0_5tupleIJPlS6_EEENSN_IJSD_SD_EEES6_PiJS6_EEE10hipError_tPvRmT3_T4_T5_T6_T7_T9_mT8_P12ihipStream_tbDpT10_ENKUlT_T0_E_clISt17integral_constantIbLb0EES1A_IbLb1EEEEDaS16_S17_EUlS16_E_NS1_11comp_targetILNS1_3genE3ELNS1_11target_archE908ELNS1_3gpuE7ELNS1_3repE0EEENS1_30default_config_static_selectorELNS0_4arch9wavefront6targetE0EEEvT1_.uses_vcc, 0
	.set _ZN7rocprim17ROCPRIM_400000_NS6detail17trampoline_kernelINS0_14default_configENS1_25partition_config_selectorILNS1_17partition_subalgoE5ElNS0_10empty_typeEbEEZZNS1_14partition_implILS5_5ELb0ES3_mN6hipcub16HIPCUB_304000_NS21CountingInputIteratorIllEEPS6_NSA_22TransformInputIteratorIbN2at6native12_GLOBAL__N_19NonZeroOpIiEEPKilEENS0_5tupleIJPlS6_EEENSN_IJSD_SD_EEES6_PiJS6_EEE10hipError_tPvRmT3_T4_T5_T6_T7_T9_mT8_P12ihipStream_tbDpT10_ENKUlT_T0_E_clISt17integral_constantIbLb0EES1A_IbLb1EEEEDaS16_S17_EUlS16_E_NS1_11comp_targetILNS1_3genE3ELNS1_11target_archE908ELNS1_3gpuE7ELNS1_3repE0EEENS1_30default_config_static_selectorELNS0_4arch9wavefront6targetE0EEEvT1_.uses_flat_scratch, 0
	.set _ZN7rocprim17ROCPRIM_400000_NS6detail17trampoline_kernelINS0_14default_configENS1_25partition_config_selectorILNS1_17partition_subalgoE5ElNS0_10empty_typeEbEEZZNS1_14partition_implILS5_5ELb0ES3_mN6hipcub16HIPCUB_304000_NS21CountingInputIteratorIllEEPS6_NSA_22TransformInputIteratorIbN2at6native12_GLOBAL__N_19NonZeroOpIiEEPKilEENS0_5tupleIJPlS6_EEENSN_IJSD_SD_EEES6_PiJS6_EEE10hipError_tPvRmT3_T4_T5_T6_T7_T9_mT8_P12ihipStream_tbDpT10_ENKUlT_T0_E_clISt17integral_constantIbLb0EES1A_IbLb1EEEEDaS16_S17_EUlS16_E_NS1_11comp_targetILNS1_3genE3ELNS1_11target_archE908ELNS1_3gpuE7ELNS1_3repE0EEENS1_30default_config_static_selectorELNS0_4arch9wavefront6targetE0EEEvT1_.has_dyn_sized_stack, 0
	.set _ZN7rocprim17ROCPRIM_400000_NS6detail17trampoline_kernelINS0_14default_configENS1_25partition_config_selectorILNS1_17partition_subalgoE5ElNS0_10empty_typeEbEEZZNS1_14partition_implILS5_5ELb0ES3_mN6hipcub16HIPCUB_304000_NS21CountingInputIteratorIllEEPS6_NSA_22TransformInputIteratorIbN2at6native12_GLOBAL__N_19NonZeroOpIiEEPKilEENS0_5tupleIJPlS6_EEENSN_IJSD_SD_EEES6_PiJS6_EEE10hipError_tPvRmT3_T4_T5_T6_T7_T9_mT8_P12ihipStream_tbDpT10_ENKUlT_T0_E_clISt17integral_constantIbLb0EES1A_IbLb1EEEEDaS16_S17_EUlS16_E_NS1_11comp_targetILNS1_3genE3ELNS1_11target_archE908ELNS1_3gpuE7ELNS1_3repE0EEENS1_30default_config_static_selectorELNS0_4arch9wavefront6targetE0EEEvT1_.has_recursion, 0
	.set _ZN7rocprim17ROCPRIM_400000_NS6detail17trampoline_kernelINS0_14default_configENS1_25partition_config_selectorILNS1_17partition_subalgoE5ElNS0_10empty_typeEbEEZZNS1_14partition_implILS5_5ELb0ES3_mN6hipcub16HIPCUB_304000_NS21CountingInputIteratorIllEEPS6_NSA_22TransformInputIteratorIbN2at6native12_GLOBAL__N_19NonZeroOpIiEEPKilEENS0_5tupleIJPlS6_EEENSN_IJSD_SD_EEES6_PiJS6_EEE10hipError_tPvRmT3_T4_T5_T6_T7_T9_mT8_P12ihipStream_tbDpT10_ENKUlT_T0_E_clISt17integral_constantIbLb0EES1A_IbLb1EEEEDaS16_S17_EUlS16_E_NS1_11comp_targetILNS1_3genE3ELNS1_11target_archE908ELNS1_3gpuE7ELNS1_3repE0EEENS1_30default_config_static_selectorELNS0_4arch9wavefront6targetE0EEEvT1_.has_indirect_call, 0
	.section	.AMDGPU.csdata,"",@progbits
; Kernel info:
; codeLenInByte = 0
; TotalNumSgprs: 0
; NumVgprs: 0
; ScratchSize: 0
; MemoryBound: 0
; FloatMode: 240
; IeeeMode: 1
; LDSByteSize: 0 bytes/workgroup (compile time only)
; SGPRBlocks: 0
; VGPRBlocks: 0
; NumSGPRsForWavesPerEU: 1
; NumVGPRsForWavesPerEU: 1
; Occupancy: 16
; WaveLimiterHint : 0
; COMPUTE_PGM_RSRC2:SCRATCH_EN: 0
; COMPUTE_PGM_RSRC2:USER_SGPR: 2
; COMPUTE_PGM_RSRC2:TRAP_HANDLER: 0
; COMPUTE_PGM_RSRC2:TGID_X_EN: 1
; COMPUTE_PGM_RSRC2:TGID_Y_EN: 0
; COMPUTE_PGM_RSRC2:TGID_Z_EN: 0
; COMPUTE_PGM_RSRC2:TIDIG_COMP_CNT: 0
	.section	.text._ZN7rocprim17ROCPRIM_400000_NS6detail17trampoline_kernelINS0_14default_configENS1_25partition_config_selectorILNS1_17partition_subalgoE5ElNS0_10empty_typeEbEEZZNS1_14partition_implILS5_5ELb0ES3_mN6hipcub16HIPCUB_304000_NS21CountingInputIteratorIllEEPS6_NSA_22TransformInputIteratorIbN2at6native12_GLOBAL__N_19NonZeroOpIiEEPKilEENS0_5tupleIJPlS6_EEENSN_IJSD_SD_EEES6_PiJS6_EEE10hipError_tPvRmT3_T4_T5_T6_T7_T9_mT8_P12ihipStream_tbDpT10_ENKUlT_T0_E_clISt17integral_constantIbLb0EES1A_IbLb1EEEEDaS16_S17_EUlS16_E_NS1_11comp_targetILNS1_3genE2ELNS1_11target_archE906ELNS1_3gpuE6ELNS1_3repE0EEENS1_30default_config_static_selectorELNS0_4arch9wavefront6targetE0EEEvT1_,"axG",@progbits,_ZN7rocprim17ROCPRIM_400000_NS6detail17trampoline_kernelINS0_14default_configENS1_25partition_config_selectorILNS1_17partition_subalgoE5ElNS0_10empty_typeEbEEZZNS1_14partition_implILS5_5ELb0ES3_mN6hipcub16HIPCUB_304000_NS21CountingInputIteratorIllEEPS6_NSA_22TransformInputIteratorIbN2at6native12_GLOBAL__N_19NonZeroOpIiEEPKilEENS0_5tupleIJPlS6_EEENSN_IJSD_SD_EEES6_PiJS6_EEE10hipError_tPvRmT3_T4_T5_T6_T7_T9_mT8_P12ihipStream_tbDpT10_ENKUlT_T0_E_clISt17integral_constantIbLb0EES1A_IbLb1EEEEDaS16_S17_EUlS16_E_NS1_11comp_targetILNS1_3genE2ELNS1_11target_archE906ELNS1_3gpuE6ELNS1_3repE0EEENS1_30default_config_static_selectorELNS0_4arch9wavefront6targetE0EEEvT1_,comdat
	.globl	_ZN7rocprim17ROCPRIM_400000_NS6detail17trampoline_kernelINS0_14default_configENS1_25partition_config_selectorILNS1_17partition_subalgoE5ElNS0_10empty_typeEbEEZZNS1_14partition_implILS5_5ELb0ES3_mN6hipcub16HIPCUB_304000_NS21CountingInputIteratorIllEEPS6_NSA_22TransformInputIteratorIbN2at6native12_GLOBAL__N_19NonZeroOpIiEEPKilEENS0_5tupleIJPlS6_EEENSN_IJSD_SD_EEES6_PiJS6_EEE10hipError_tPvRmT3_T4_T5_T6_T7_T9_mT8_P12ihipStream_tbDpT10_ENKUlT_T0_E_clISt17integral_constantIbLb0EES1A_IbLb1EEEEDaS16_S17_EUlS16_E_NS1_11comp_targetILNS1_3genE2ELNS1_11target_archE906ELNS1_3gpuE6ELNS1_3repE0EEENS1_30default_config_static_selectorELNS0_4arch9wavefront6targetE0EEEvT1_ ; -- Begin function _ZN7rocprim17ROCPRIM_400000_NS6detail17trampoline_kernelINS0_14default_configENS1_25partition_config_selectorILNS1_17partition_subalgoE5ElNS0_10empty_typeEbEEZZNS1_14partition_implILS5_5ELb0ES3_mN6hipcub16HIPCUB_304000_NS21CountingInputIteratorIllEEPS6_NSA_22TransformInputIteratorIbN2at6native12_GLOBAL__N_19NonZeroOpIiEEPKilEENS0_5tupleIJPlS6_EEENSN_IJSD_SD_EEES6_PiJS6_EEE10hipError_tPvRmT3_T4_T5_T6_T7_T9_mT8_P12ihipStream_tbDpT10_ENKUlT_T0_E_clISt17integral_constantIbLb0EES1A_IbLb1EEEEDaS16_S17_EUlS16_E_NS1_11comp_targetILNS1_3genE2ELNS1_11target_archE906ELNS1_3gpuE6ELNS1_3repE0EEENS1_30default_config_static_selectorELNS0_4arch9wavefront6targetE0EEEvT1_
	.p2align	8
	.type	_ZN7rocprim17ROCPRIM_400000_NS6detail17trampoline_kernelINS0_14default_configENS1_25partition_config_selectorILNS1_17partition_subalgoE5ElNS0_10empty_typeEbEEZZNS1_14partition_implILS5_5ELb0ES3_mN6hipcub16HIPCUB_304000_NS21CountingInputIteratorIllEEPS6_NSA_22TransformInputIteratorIbN2at6native12_GLOBAL__N_19NonZeroOpIiEEPKilEENS0_5tupleIJPlS6_EEENSN_IJSD_SD_EEES6_PiJS6_EEE10hipError_tPvRmT3_T4_T5_T6_T7_T9_mT8_P12ihipStream_tbDpT10_ENKUlT_T0_E_clISt17integral_constantIbLb0EES1A_IbLb1EEEEDaS16_S17_EUlS16_E_NS1_11comp_targetILNS1_3genE2ELNS1_11target_archE906ELNS1_3gpuE6ELNS1_3repE0EEENS1_30default_config_static_selectorELNS0_4arch9wavefront6targetE0EEEvT1_,@function
_ZN7rocprim17ROCPRIM_400000_NS6detail17trampoline_kernelINS0_14default_configENS1_25partition_config_selectorILNS1_17partition_subalgoE5ElNS0_10empty_typeEbEEZZNS1_14partition_implILS5_5ELb0ES3_mN6hipcub16HIPCUB_304000_NS21CountingInputIteratorIllEEPS6_NSA_22TransformInputIteratorIbN2at6native12_GLOBAL__N_19NonZeroOpIiEEPKilEENS0_5tupleIJPlS6_EEENSN_IJSD_SD_EEES6_PiJS6_EEE10hipError_tPvRmT3_T4_T5_T6_T7_T9_mT8_P12ihipStream_tbDpT10_ENKUlT_T0_E_clISt17integral_constantIbLb0EES1A_IbLb1EEEEDaS16_S17_EUlS16_E_NS1_11comp_targetILNS1_3genE2ELNS1_11target_archE906ELNS1_3gpuE6ELNS1_3repE0EEENS1_30default_config_static_selectorELNS0_4arch9wavefront6targetE0EEEvT1_: ; @_ZN7rocprim17ROCPRIM_400000_NS6detail17trampoline_kernelINS0_14default_configENS1_25partition_config_selectorILNS1_17partition_subalgoE5ElNS0_10empty_typeEbEEZZNS1_14partition_implILS5_5ELb0ES3_mN6hipcub16HIPCUB_304000_NS21CountingInputIteratorIllEEPS6_NSA_22TransformInputIteratorIbN2at6native12_GLOBAL__N_19NonZeroOpIiEEPKilEENS0_5tupleIJPlS6_EEENSN_IJSD_SD_EEES6_PiJS6_EEE10hipError_tPvRmT3_T4_T5_T6_T7_T9_mT8_P12ihipStream_tbDpT10_ENKUlT_T0_E_clISt17integral_constantIbLb0EES1A_IbLb1EEEEDaS16_S17_EUlS16_E_NS1_11comp_targetILNS1_3genE2ELNS1_11target_archE906ELNS1_3gpuE6ELNS1_3repE0EEENS1_30default_config_static_selectorELNS0_4arch9wavefront6targetE0EEEvT1_
; %bb.0:
	.section	.rodata,"a",@progbits
	.p2align	6, 0x0
	.amdhsa_kernel _ZN7rocprim17ROCPRIM_400000_NS6detail17trampoline_kernelINS0_14default_configENS1_25partition_config_selectorILNS1_17partition_subalgoE5ElNS0_10empty_typeEbEEZZNS1_14partition_implILS5_5ELb0ES3_mN6hipcub16HIPCUB_304000_NS21CountingInputIteratorIllEEPS6_NSA_22TransformInputIteratorIbN2at6native12_GLOBAL__N_19NonZeroOpIiEEPKilEENS0_5tupleIJPlS6_EEENSN_IJSD_SD_EEES6_PiJS6_EEE10hipError_tPvRmT3_T4_T5_T6_T7_T9_mT8_P12ihipStream_tbDpT10_ENKUlT_T0_E_clISt17integral_constantIbLb0EES1A_IbLb1EEEEDaS16_S17_EUlS16_E_NS1_11comp_targetILNS1_3genE2ELNS1_11target_archE906ELNS1_3gpuE6ELNS1_3repE0EEENS1_30default_config_static_selectorELNS0_4arch9wavefront6targetE0EEEvT1_
		.amdhsa_group_segment_fixed_size 0
		.amdhsa_private_segment_fixed_size 0
		.amdhsa_kernarg_size 136
		.amdhsa_user_sgpr_count 2
		.amdhsa_user_sgpr_dispatch_ptr 0
		.amdhsa_user_sgpr_queue_ptr 0
		.amdhsa_user_sgpr_kernarg_segment_ptr 1
		.amdhsa_user_sgpr_dispatch_id 0
		.amdhsa_user_sgpr_private_segment_size 0
		.amdhsa_wavefront_size32 1
		.amdhsa_uses_dynamic_stack 0
		.amdhsa_enable_private_segment 0
		.amdhsa_system_sgpr_workgroup_id_x 1
		.amdhsa_system_sgpr_workgroup_id_y 0
		.amdhsa_system_sgpr_workgroup_id_z 0
		.amdhsa_system_sgpr_workgroup_info 0
		.amdhsa_system_vgpr_workitem_id 0
		.amdhsa_next_free_vgpr 1
		.amdhsa_next_free_sgpr 1
		.amdhsa_reserve_vcc 0
		.amdhsa_float_round_mode_32 0
		.amdhsa_float_round_mode_16_64 0
		.amdhsa_float_denorm_mode_32 3
		.amdhsa_float_denorm_mode_16_64 3
		.amdhsa_fp16_overflow 0
		.amdhsa_workgroup_processor_mode 1
		.amdhsa_memory_ordered 1
		.amdhsa_forward_progress 1
		.amdhsa_inst_pref_size 0
		.amdhsa_round_robin_scheduling 0
		.amdhsa_exception_fp_ieee_invalid_op 0
		.amdhsa_exception_fp_denorm_src 0
		.amdhsa_exception_fp_ieee_div_zero 0
		.amdhsa_exception_fp_ieee_overflow 0
		.amdhsa_exception_fp_ieee_underflow 0
		.amdhsa_exception_fp_ieee_inexact 0
		.amdhsa_exception_int_div_zero 0
	.end_amdhsa_kernel
	.section	.text._ZN7rocprim17ROCPRIM_400000_NS6detail17trampoline_kernelINS0_14default_configENS1_25partition_config_selectorILNS1_17partition_subalgoE5ElNS0_10empty_typeEbEEZZNS1_14partition_implILS5_5ELb0ES3_mN6hipcub16HIPCUB_304000_NS21CountingInputIteratorIllEEPS6_NSA_22TransformInputIteratorIbN2at6native12_GLOBAL__N_19NonZeroOpIiEEPKilEENS0_5tupleIJPlS6_EEENSN_IJSD_SD_EEES6_PiJS6_EEE10hipError_tPvRmT3_T4_T5_T6_T7_T9_mT8_P12ihipStream_tbDpT10_ENKUlT_T0_E_clISt17integral_constantIbLb0EES1A_IbLb1EEEEDaS16_S17_EUlS16_E_NS1_11comp_targetILNS1_3genE2ELNS1_11target_archE906ELNS1_3gpuE6ELNS1_3repE0EEENS1_30default_config_static_selectorELNS0_4arch9wavefront6targetE0EEEvT1_,"axG",@progbits,_ZN7rocprim17ROCPRIM_400000_NS6detail17trampoline_kernelINS0_14default_configENS1_25partition_config_selectorILNS1_17partition_subalgoE5ElNS0_10empty_typeEbEEZZNS1_14partition_implILS5_5ELb0ES3_mN6hipcub16HIPCUB_304000_NS21CountingInputIteratorIllEEPS6_NSA_22TransformInputIteratorIbN2at6native12_GLOBAL__N_19NonZeroOpIiEEPKilEENS0_5tupleIJPlS6_EEENSN_IJSD_SD_EEES6_PiJS6_EEE10hipError_tPvRmT3_T4_T5_T6_T7_T9_mT8_P12ihipStream_tbDpT10_ENKUlT_T0_E_clISt17integral_constantIbLb0EES1A_IbLb1EEEEDaS16_S17_EUlS16_E_NS1_11comp_targetILNS1_3genE2ELNS1_11target_archE906ELNS1_3gpuE6ELNS1_3repE0EEENS1_30default_config_static_selectorELNS0_4arch9wavefront6targetE0EEEvT1_,comdat
.Lfunc_end214:
	.size	_ZN7rocprim17ROCPRIM_400000_NS6detail17trampoline_kernelINS0_14default_configENS1_25partition_config_selectorILNS1_17partition_subalgoE5ElNS0_10empty_typeEbEEZZNS1_14partition_implILS5_5ELb0ES3_mN6hipcub16HIPCUB_304000_NS21CountingInputIteratorIllEEPS6_NSA_22TransformInputIteratorIbN2at6native12_GLOBAL__N_19NonZeroOpIiEEPKilEENS0_5tupleIJPlS6_EEENSN_IJSD_SD_EEES6_PiJS6_EEE10hipError_tPvRmT3_T4_T5_T6_T7_T9_mT8_P12ihipStream_tbDpT10_ENKUlT_T0_E_clISt17integral_constantIbLb0EES1A_IbLb1EEEEDaS16_S17_EUlS16_E_NS1_11comp_targetILNS1_3genE2ELNS1_11target_archE906ELNS1_3gpuE6ELNS1_3repE0EEENS1_30default_config_static_selectorELNS0_4arch9wavefront6targetE0EEEvT1_, .Lfunc_end214-_ZN7rocprim17ROCPRIM_400000_NS6detail17trampoline_kernelINS0_14default_configENS1_25partition_config_selectorILNS1_17partition_subalgoE5ElNS0_10empty_typeEbEEZZNS1_14partition_implILS5_5ELb0ES3_mN6hipcub16HIPCUB_304000_NS21CountingInputIteratorIllEEPS6_NSA_22TransformInputIteratorIbN2at6native12_GLOBAL__N_19NonZeroOpIiEEPKilEENS0_5tupleIJPlS6_EEENSN_IJSD_SD_EEES6_PiJS6_EEE10hipError_tPvRmT3_T4_T5_T6_T7_T9_mT8_P12ihipStream_tbDpT10_ENKUlT_T0_E_clISt17integral_constantIbLb0EES1A_IbLb1EEEEDaS16_S17_EUlS16_E_NS1_11comp_targetILNS1_3genE2ELNS1_11target_archE906ELNS1_3gpuE6ELNS1_3repE0EEENS1_30default_config_static_selectorELNS0_4arch9wavefront6targetE0EEEvT1_
                                        ; -- End function
	.set _ZN7rocprim17ROCPRIM_400000_NS6detail17trampoline_kernelINS0_14default_configENS1_25partition_config_selectorILNS1_17partition_subalgoE5ElNS0_10empty_typeEbEEZZNS1_14partition_implILS5_5ELb0ES3_mN6hipcub16HIPCUB_304000_NS21CountingInputIteratorIllEEPS6_NSA_22TransformInputIteratorIbN2at6native12_GLOBAL__N_19NonZeroOpIiEEPKilEENS0_5tupleIJPlS6_EEENSN_IJSD_SD_EEES6_PiJS6_EEE10hipError_tPvRmT3_T4_T5_T6_T7_T9_mT8_P12ihipStream_tbDpT10_ENKUlT_T0_E_clISt17integral_constantIbLb0EES1A_IbLb1EEEEDaS16_S17_EUlS16_E_NS1_11comp_targetILNS1_3genE2ELNS1_11target_archE906ELNS1_3gpuE6ELNS1_3repE0EEENS1_30default_config_static_selectorELNS0_4arch9wavefront6targetE0EEEvT1_.num_vgpr, 0
	.set _ZN7rocprim17ROCPRIM_400000_NS6detail17trampoline_kernelINS0_14default_configENS1_25partition_config_selectorILNS1_17partition_subalgoE5ElNS0_10empty_typeEbEEZZNS1_14partition_implILS5_5ELb0ES3_mN6hipcub16HIPCUB_304000_NS21CountingInputIteratorIllEEPS6_NSA_22TransformInputIteratorIbN2at6native12_GLOBAL__N_19NonZeroOpIiEEPKilEENS0_5tupleIJPlS6_EEENSN_IJSD_SD_EEES6_PiJS6_EEE10hipError_tPvRmT3_T4_T5_T6_T7_T9_mT8_P12ihipStream_tbDpT10_ENKUlT_T0_E_clISt17integral_constantIbLb0EES1A_IbLb1EEEEDaS16_S17_EUlS16_E_NS1_11comp_targetILNS1_3genE2ELNS1_11target_archE906ELNS1_3gpuE6ELNS1_3repE0EEENS1_30default_config_static_selectorELNS0_4arch9wavefront6targetE0EEEvT1_.num_agpr, 0
	.set _ZN7rocprim17ROCPRIM_400000_NS6detail17trampoline_kernelINS0_14default_configENS1_25partition_config_selectorILNS1_17partition_subalgoE5ElNS0_10empty_typeEbEEZZNS1_14partition_implILS5_5ELb0ES3_mN6hipcub16HIPCUB_304000_NS21CountingInputIteratorIllEEPS6_NSA_22TransformInputIteratorIbN2at6native12_GLOBAL__N_19NonZeroOpIiEEPKilEENS0_5tupleIJPlS6_EEENSN_IJSD_SD_EEES6_PiJS6_EEE10hipError_tPvRmT3_T4_T5_T6_T7_T9_mT8_P12ihipStream_tbDpT10_ENKUlT_T0_E_clISt17integral_constantIbLb0EES1A_IbLb1EEEEDaS16_S17_EUlS16_E_NS1_11comp_targetILNS1_3genE2ELNS1_11target_archE906ELNS1_3gpuE6ELNS1_3repE0EEENS1_30default_config_static_selectorELNS0_4arch9wavefront6targetE0EEEvT1_.numbered_sgpr, 0
	.set _ZN7rocprim17ROCPRIM_400000_NS6detail17trampoline_kernelINS0_14default_configENS1_25partition_config_selectorILNS1_17partition_subalgoE5ElNS0_10empty_typeEbEEZZNS1_14partition_implILS5_5ELb0ES3_mN6hipcub16HIPCUB_304000_NS21CountingInputIteratorIllEEPS6_NSA_22TransformInputIteratorIbN2at6native12_GLOBAL__N_19NonZeroOpIiEEPKilEENS0_5tupleIJPlS6_EEENSN_IJSD_SD_EEES6_PiJS6_EEE10hipError_tPvRmT3_T4_T5_T6_T7_T9_mT8_P12ihipStream_tbDpT10_ENKUlT_T0_E_clISt17integral_constantIbLb0EES1A_IbLb1EEEEDaS16_S17_EUlS16_E_NS1_11comp_targetILNS1_3genE2ELNS1_11target_archE906ELNS1_3gpuE6ELNS1_3repE0EEENS1_30default_config_static_selectorELNS0_4arch9wavefront6targetE0EEEvT1_.num_named_barrier, 0
	.set _ZN7rocprim17ROCPRIM_400000_NS6detail17trampoline_kernelINS0_14default_configENS1_25partition_config_selectorILNS1_17partition_subalgoE5ElNS0_10empty_typeEbEEZZNS1_14partition_implILS5_5ELb0ES3_mN6hipcub16HIPCUB_304000_NS21CountingInputIteratorIllEEPS6_NSA_22TransformInputIteratorIbN2at6native12_GLOBAL__N_19NonZeroOpIiEEPKilEENS0_5tupleIJPlS6_EEENSN_IJSD_SD_EEES6_PiJS6_EEE10hipError_tPvRmT3_T4_T5_T6_T7_T9_mT8_P12ihipStream_tbDpT10_ENKUlT_T0_E_clISt17integral_constantIbLb0EES1A_IbLb1EEEEDaS16_S17_EUlS16_E_NS1_11comp_targetILNS1_3genE2ELNS1_11target_archE906ELNS1_3gpuE6ELNS1_3repE0EEENS1_30default_config_static_selectorELNS0_4arch9wavefront6targetE0EEEvT1_.private_seg_size, 0
	.set _ZN7rocprim17ROCPRIM_400000_NS6detail17trampoline_kernelINS0_14default_configENS1_25partition_config_selectorILNS1_17partition_subalgoE5ElNS0_10empty_typeEbEEZZNS1_14partition_implILS5_5ELb0ES3_mN6hipcub16HIPCUB_304000_NS21CountingInputIteratorIllEEPS6_NSA_22TransformInputIteratorIbN2at6native12_GLOBAL__N_19NonZeroOpIiEEPKilEENS0_5tupleIJPlS6_EEENSN_IJSD_SD_EEES6_PiJS6_EEE10hipError_tPvRmT3_T4_T5_T6_T7_T9_mT8_P12ihipStream_tbDpT10_ENKUlT_T0_E_clISt17integral_constantIbLb0EES1A_IbLb1EEEEDaS16_S17_EUlS16_E_NS1_11comp_targetILNS1_3genE2ELNS1_11target_archE906ELNS1_3gpuE6ELNS1_3repE0EEENS1_30default_config_static_selectorELNS0_4arch9wavefront6targetE0EEEvT1_.uses_vcc, 0
	.set _ZN7rocprim17ROCPRIM_400000_NS6detail17trampoline_kernelINS0_14default_configENS1_25partition_config_selectorILNS1_17partition_subalgoE5ElNS0_10empty_typeEbEEZZNS1_14partition_implILS5_5ELb0ES3_mN6hipcub16HIPCUB_304000_NS21CountingInputIteratorIllEEPS6_NSA_22TransformInputIteratorIbN2at6native12_GLOBAL__N_19NonZeroOpIiEEPKilEENS0_5tupleIJPlS6_EEENSN_IJSD_SD_EEES6_PiJS6_EEE10hipError_tPvRmT3_T4_T5_T6_T7_T9_mT8_P12ihipStream_tbDpT10_ENKUlT_T0_E_clISt17integral_constantIbLb0EES1A_IbLb1EEEEDaS16_S17_EUlS16_E_NS1_11comp_targetILNS1_3genE2ELNS1_11target_archE906ELNS1_3gpuE6ELNS1_3repE0EEENS1_30default_config_static_selectorELNS0_4arch9wavefront6targetE0EEEvT1_.uses_flat_scratch, 0
	.set _ZN7rocprim17ROCPRIM_400000_NS6detail17trampoline_kernelINS0_14default_configENS1_25partition_config_selectorILNS1_17partition_subalgoE5ElNS0_10empty_typeEbEEZZNS1_14partition_implILS5_5ELb0ES3_mN6hipcub16HIPCUB_304000_NS21CountingInputIteratorIllEEPS6_NSA_22TransformInputIteratorIbN2at6native12_GLOBAL__N_19NonZeroOpIiEEPKilEENS0_5tupleIJPlS6_EEENSN_IJSD_SD_EEES6_PiJS6_EEE10hipError_tPvRmT3_T4_T5_T6_T7_T9_mT8_P12ihipStream_tbDpT10_ENKUlT_T0_E_clISt17integral_constantIbLb0EES1A_IbLb1EEEEDaS16_S17_EUlS16_E_NS1_11comp_targetILNS1_3genE2ELNS1_11target_archE906ELNS1_3gpuE6ELNS1_3repE0EEENS1_30default_config_static_selectorELNS0_4arch9wavefront6targetE0EEEvT1_.has_dyn_sized_stack, 0
	.set _ZN7rocprim17ROCPRIM_400000_NS6detail17trampoline_kernelINS0_14default_configENS1_25partition_config_selectorILNS1_17partition_subalgoE5ElNS0_10empty_typeEbEEZZNS1_14partition_implILS5_5ELb0ES3_mN6hipcub16HIPCUB_304000_NS21CountingInputIteratorIllEEPS6_NSA_22TransformInputIteratorIbN2at6native12_GLOBAL__N_19NonZeroOpIiEEPKilEENS0_5tupleIJPlS6_EEENSN_IJSD_SD_EEES6_PiJS6_EEE10hipError_tPvRmT3_T4_T5_T6_T7_T9_mT8_P12ihipStream_tbDpT10_ENKUlT_T0_E_clISt17integral_constantIbLb0EES1A_IbLb1EEEEDaS16_S17_EUlS16_E_NS1_11comp_targetILNS1_3genE2ELNS1_11target_archE906ELNS1_3gpuE6ELNS1_3repE0EEENS1_30default_config_static_selectorELNS0_4arch9wavefront6targetE0EEEvT1_.has_recursion, 0
	.set _ZN7rocprim17ROCPRIM_400000_NS6detail17trampoline_kernelINS0_14default_configENS1_25partition_config_selectorILNS1_17partition_subalgoE5ElNS0_10empty_typeEbEEZZNS1_14partition_implILS5_5ELb0ES3_mN6hipcub16HIPCUB_304000_NS21CountingInputIteratorIllEEPS6_NSA_22TransformInputIteratorIbN2at6native12_GLOBAL__N_19NonZeroOpIiEEPKilEENS0_5tupleIJPlS6_EEENSN_IJSD_SD_EEES6_PiJS6_EEE10hipError_tPvRmT3_T4_T5_T6_T7_T9_mT8_P12ihipStream_tbDpT10_ENKUlT_T0_E_clISt17integral_constantIbLb0EES1A_IbLb1EEEEDaS16_S17_EUlS16_E_NS1_11comp_targetILNS1_3genE2ELNS1_11target_archE906ELNS1_3gpuE6ELNS1_3repE0EEENS1_30default_config_static_selectorELNS0_4arch9wavefront6targetE0EEEvT1_.has_indirect_call, 0
	.section	.AMDGPU.csdata,"",@progbits
; Kernel info:
; codeLenInByte = 0
; TotalNumSgprs: 0
; NumVgprs: 0
; ScratchSize: 0
; MemoryBound: 0
; FloatMode: 240
; IeeeMode: 1
; LDSByteSize: 0 bytes/workgroup (compile time only)
; SGPRBlocks: 0
; VGPRBlocks: 0
; NumSGPRsForWavesPerEU: 1
; NumVGPRsForWavesPerEU: 1
; Occupancy: 16
; WaveLimiterHint : 0
; COMPUTE_PGM_RSRC2:SCRATCH_EN: 0
; COMPUTE_PGM_RSRC2:USER_SGPR: 2
; COMPUTE_PGM_RSRC2:TRAP_HANDLER: 0
; COMPUTE_PGM_RSRC2:TGID_X_EN: 1
; COMPUTE_PGM_RSRC2:TGID_Y_EN: 0
; COMPUTE_PGM_RSRC2:TGID_Z_EN: 0
; COMPUTE_PGM_RSRC2:TIDIG_COMP_CNT: 0
	.section	.text._ZN7rocprim17ROCPRIM_400000_NS6detail17trampoline_kernelINS0_14default_configENS1_25partition_config_selectorILNS1_17partition_subalgoE5ElNS0_10empty_typeEbEEZZNS1_14partition_implILS5_5ELb0ES3_mN6hipcub16HIPCUB_304000_NS21CountingInputIteratorIllEEPS6_NSA_22TransformInputIteratorIbN2at6native12_GLOBAL__N_19NonZeroOpIiEEPKilEENS0_5tupleIJPlS6_EEENSN_IJSD_SD_EEES6_PiJS6_EEE10hipError_tPvRmT3_T4_T5_T6_T7_T9_mT8_P12ihipStream_tbDpT10_ENKUlT_T0_E_clISt17integral_constantIbLb0EES1A_IbLb1EEEEDaS16_S17_EUlS16_E_NS1_11comp_targetILNS1_3genE10ELNS1_11target_archE1200ELNS1_3gpuE4ELNS1_3repE0EEENS1_30default_config_static_selectorELNS0_4arch9wavefront6targetE0EEEvT1_,"axG",@progbits,_ZN7rocprim17ROCPRIM_400000_NS6detail17trampoline_kernelINS0_14default_configENS1_25partition_config_selectorILNS1_17partition_subalgoE5ElNS0_10empty_typeEbEEZZNS1_14partition_implILS5_5ELb0ES3_mN6hipcub16HIPCUB_304000_NS21CountingInputIteratorIllEEPS6_NSA_22TransformInputIteratorIbN2at6native12_GLOBAL__N_19NonZeroOpIiEEPKilEENS0_5tupleIJPlS6_EEENSN_IJSD_SD_EEES6_PiJS6_EEE10hipError_tPvRmT3_T4_T5_T6_T7_T9_mT8_P12ihipStream_tbDpT10_ENKUlT_T0_E_clISt17integral_constantIbLb0EES1A_IbLb1EEEEDaS16_S17_EUlS16_E_NS1_11comp_targetILNS1_3genE10ELNS1_11target_archE1200ELNS1_3gpuE4ELNS1_3repE0EEENS1_30default_config_static_selectorELNS0_4arch9wavefront6targetE0EEEvT1_,comdat
	.globl	_ZN7rocprim17ROCPRIM_400000_NS6detail17trampoline_kernelINS0_14default_configENS1_25partition_config_selectorILNS1_17partition_subalgoE5ElNS0_10empty_typeEbEEZZNS1_14partition_implILS5_5ELb0ES3_mN6hipcub16HIPCUB_304000_NS21CountingInputIteratorIllEEPS6_NSA_22TransformInputIteratorIbN2at6native12_GLOBAL__N_19NonZeroOpIiEEPKilEENS0_5tupleIJPlS6_EEENSN_IJSD_SD_EEES6_PiJS6_EEE10hipError_tPvRmT3_T4_T5_T6_T7_T9_mT8_P12ihipStream_tbDpT10_ENKUlT_T0_E_clISt17integral_constantIbLb0EES1A_IbLb1EEEEDaS16_S17_EUlS16_E_NS1_11comp_targetILNS1_3genE10ELNS1_11target_archE1200ELNS1_3gpuE4ELNS1_3repE0EEENS1_30default_config_static_selectorELNS0_4arch9wavefront6targetE0EEEvT1_ ; -- Begin function _ZN7rocprim17ROCPRIM_400000_NS6detail17trampoline_kernelINS0_14default_configENS1_25partition_config_selectorILNS1_17partition_subalgoE5ElNS0_10empty_typeEbEEZZNS1_14partition_implILS5_5ELb0ES3_mN6hipcub16HIPCUB_304000_NS21CountingInputIteratorIllEEPS6_NSA_22TransformInputIteratorIbN2at6native12_GLOBAL__N_19NonZeroOpIiEEPKilEENS0_5tupleIJPlS6_EEENSN_IJSD_SD_EEES6_PiJS6_EEE10hipError_tPvRmT3_T4_T5_T6_T7_T9_mT8_P12ihipStream_tbDpT10_ENKUlT_T0_E_clISt17integral_constantIbLb0EES1A_IbLb1EEEEDaS16_S17_EUlS16_E_NS1_11comp_targetILNS1_3genE10ELNS1_11target_archE1200ELNS1_3gpuE4ELNS1_3repE0EEENS1_30default_config_static_selectorELNS0_4arch9wavefront6targetE0EEEvT1_
	.p2align	8
	.type	_ZN7rocprim17ROCPRIM_400000_NS6detail17trampoline_kernelINS0_14default_configENS1_25partition_config_selectorILNS1_17partition_subalgoE5ElNS0_10empty_typeEbEEZZNS1_14partition_implILS5_5ELb0ES3_mN6hipcub16HIPCUB_304000_NS21CountingInputIteratorIllEEPS6_NSA_22TransformInputIteratorIbN2at6native12_GLOBAL__N_19NonZeroOpIiEEPKilEENS0_5tupleIJPlS6_EEENSN_IJSD_SD_EEES6_PiJS6_EEE10hipError_tPvRmT3_T4_T5_T6_T7_T9_mT8_P12ihipStream_tbDpT10_ENKUlT_T0_E_clISt17integral_constantIbLb0EES1A_IbLb1EEEEDaS16_S17_EUlS16_E_NS1_11comp_targetILNS1_3genE10ELNS1_11target_archE1200ELNS1_3gpuE4ELNS1_3repE0EEENS1_30default_config_static_selectorELNS0_4arch9wavefront6targetE0EEEvT1_,@function
_ZN7rocprim17ROCPRIM_400000_NS6detail17trampoline_kernelINS0_14default_configENS1_25partition_config_selectorILNS1_17partition_subalgoE5ElNS0_10empty_typeEbEEZZNS1_14partition_implILS5_5ELb0ES3_mN6hipcub16HIPCUB_304000_NS21CountingInputIteratorIllEEPS6_NSA_22TransformInputIteratorIbN2at6native12_GLOBAL__N_19NonZeroOpIiEEPKilEENS0_5tupleIJPlS6_EEENSN_IJSD_SD_EEES6_PiJS6_EEE10hipError_tPvRmT3_T4_T5_T6_T7_T9_mT8_P12ihipStream_tbDpT10_ENKUlT_T0_E_clISt17integral_constantIbLb0EES1A_IbLb1EEEEDaS16_S17_EUlS16_E_NS1_11comp_targetILNS1_3genE10ELNS1_11target_archE1200ELNS1_3gpuE4ELNS1_3repE0EEENS1_30default_config_static_selectorELNS0_4arch9wavefront6targetE0EEEvT1_: ; @_ZN7rocprim17ROCPRIM_400000_NS6detail17trampoline_kernelINS0_14default_configENS1_25partition_config_selectorILNS1_17partition_subalgoE5ElNS0_10empty_typeEbEEZZNS1_14partition_implILS5_5ELb0ES3_mN6hipcub16HIPCUB_304000_NS21CountingInputIteratorIllEEPS6_NSA_22TransformInputIteratorIbN2at6native12_GLOBAL__N_19NonZeroOpIiEEPKilEENS0_5tupleIJPlS6_EEENSN_IJSD_SD_EEES6_PiJS6_EEE10hipError_tPvRmT3_T4_T5_T6_T7_T9_mT8_P12ihipStream_tbDpT10_ENKUlT_T0_E_clISt17integral_constantIbLb0EES1A_IbLb1EEEEDaS16_S17_EUlS16_E_NS1_11comp_targetILNS1_3genE10ELNS1_11target_archE1200ELNS1_3gpuE4ELNS1_3repE0EEENS1_30default_config_static_selectorELNS0_4arch9wavefront6targetE0EEEvT1_
; %bb.0:
	s_clause 0x3
	s_load_b64 s[12:13], s[0:1], 0x30
	s_load_b128 s[4:7], s[0:1], 0x48
	s_load_b64 s[18:19], s[0:1], 0x58
	s_load_b64 s[14:15], s[0:1], 0x68
	v_cmp_eq_u32_e64 s2, 0, v0
	s_and_saveexec_b32 s3, s2
	s_cbranch_execz .LBB215_4
; %bb.1:
	s_mov_b32 s9, exec_lo
	s_mov_b32 s8, exec_lo
	v_mbcnt_lo_u32_b32 v1, s9, 0
                                        ; implicit-def: $vgpr2
	s_delay_alu instid0(VALU_DEP_1)
	v_cmpx_eq_u32_e32 0, v1
	s_cbranch_execz .LBB215_3
; %bb.2:
	s_load_b64 s[10:11], s[0:1], 0x78
	s_bcnt1_i32_b32 s9, s9
	s_wait_alu 0xfffe
	v_dual_mov_b32 v2, 0 :: v_dual_mov_b32 v3, s9
	s_wait_kmcnt 0x0
	global_atomic_add_u32 v2, v2, v3, s[10:11] th:TH_ATOMIC_RETURN scope:SCOPE_DEV
.LBB215_3:
	s_or_b32 exec_lo, exec_lo, s8
	s_wait_loadcnt 0x0
	v_readfirstlane_b32 s8, v2
	s_wait_alu 0xf1ff
	s_delay_alu instid0(VALU_DEP_1)
	v_dual_mov_b32 v2, 0 :: v_dual_add_nc_u32 v1, s8, v1
	ds_store_b32 v2, v1
.LBB215_4:
	s_or_b32 exec_lo, exec_lo, s3
	v_mov_b32_e32 v1, 0
	s_clause 0x2
	s_load_b128 s[8:11], s[0:1], 0x8
	s_load_b64 s[16:17], s[0:1], 0x20
	s_load_b32 s0, s[0:1], 0x70
	s_wait_dscnt 0x0
	s_barrier_signal -1
	s_barrier_wait -1
	global_inv scope:SCOPE_SE
	ds_load_b32 v2, v1
	s_wait_loadcnt_dscnt 0x0
	s_barrier_signal -1
	s_barrier_wait -1
	global_inv scope:SCOPE_SE
	s_wait_kmcnt 0x0
	global_load_b64 v[17:18], v1, s[6:7]
	s_mov_b32 s7, 0
	v_lshrrev_b32_e32 v1, 2, v0
	v_or_b32_e32 v10, 0x200, v0
	v_or_b32_e32 v9, 0x300, v0
	s_add_nc_u64 s[8:9], s[10:11], s[8:9]
	s_lshl_b32 s6, s0, 10
	s_add_co_i32 s20, s0, -1
	s_add_nc_u64 s[0:1], s[10:11], s[6:7]
	s_lshl_b32 s6, s20, 10
	v_cmp_le_u64_e64 s1, s[18:19], s[0:1]
	v_readfirstlane_b32 s21, v2
	s_add_co_i32 s0, s10, s6
	s_lshl_b32 s3, s21, 10
	s_cmp_eq_u32 s21, s20
	s_mov_b32 s6, s3
	s_cselect_b32 s19, -1, 0
	s_wait_alu 0xfffe
	s_and_b32 s1, s1, s19
	s_wait_alu 0xfffe
	s_xor_b32 s20, s1, -1
	s_mov_b32 s1, -1
	s_and_b32 vcc_lo, exec_lo, s20
	s_cbranch_vccz .LBB215_6
; %bb.5:
	v_or_b32_e32 v8, 0x100, v0
	s_add_nc_u64 s[22:23], s[6:7], s[8:9]
	v_lshrrev_b32_e32 v11, 2, v10
	v_add_co_u32 v2, s1, s22, v0
	s_delay_alu instid0(VALU_DEP_3)
	v_lshrrev_b32_e32 v8, 2, v8
	v_lshrrev_b32_e32 v12, 2, v9
	s_wait_alu 0xf1fe
	v_add_co_ci_u32_e64 v3, null, s23, 0, s1
	v_and_b32_e32 v13, 56, v1
	v_lshlrev_b32_e32 v14, 3, v0
	v_and_b32_e32 v8, 0x78, v8
	v_add_co_u32 v4, vcc_lo, 0x100, v2
	v_and_b32_e32 v15, 0xb8, v11
	v_and_b32_e32 v16, 0xf8, v12
	v_add_co_ci_u32_e64 v5, null, 0, v3, vcc_lo
	v_add_co_u32 v6, vcc_lo, 0x200, v2
	v_add_nc_u32_e32 v13, v13, v14
	s_wait_alu 0xfffd
	v_add_co_ci_u32_e64 v7, null, 0, v3, vcc_lo
	v_add_co_u32 v11, vcc_lo, 0x300, v2
	v_add_nc_u32_e32 v8, v8, v14
	v_add_nc_u32_e32 v15, v15, v14
	s_wait_alu 0xfffd
	v_add_co_ci_u32_e64 v12, null, 0, v3, vcc_lo
	v_add_nc_u32_e32 v14, v16, v14
	ds_store_b64 v13, v[2:3]
	ds_store_b64 v8, v[4:5] offset:2048
	ds_store_b64 v15, v[6:7] offset:4096
	;; [unrolled: 1-line block ×3, first 2 shown]
	s_wait_loadcnt_dscnt 0x0
	s_barrier_signal -1
	s_mov_b32 s1, s7
	s_barrier_wait -1
.LBB215_6:
	s_sub_co_i32 s3, s18, s0
	s_wait_alu 0xfffe
	s_and_not1_b32 vcc_lo, exec_lo, s1
	v_cmp_gt_u32_e64 s0, s3, v0
	s_wait_alu 0xfffe
	s_cbranch_vccnz .LBB215_8
; %bb.7:
	v_or_b32_e32 v8, 0x100, v0
	s_add_nc_u64 s[8:9], s[8:9], s[6:7]
	v_lshrrev_b32_e32 v13, 2, v10
	s_wait_alu 0xfffe
	v_add_co_u32 v2, s1, s8, v0
	s_wait_alu 0xf1ff
	v_add_co_ci_u32_e64 v3, null, s9, 0, s1
	v_add_co_u32 v4, s1, s8, v8
	s_wait_alu 0xf1ff
	v_add_co_ci_u32_e64 v5, null, s9, 0, s1
	v_cmp_gt_u32_e32 vcc_lo, s3, v8
	v_add_co_u32 v11, s1, s8, v9
	s_wait_alu 0xf1ff
	v_add_co_ci_u32_e64 v12, null, s9, 0, s1
	s_wait_alu 0xfffd
	v_dual_cndmask_b32 v5, 0, v5 :: v_dual_cndmask_b32 v4, 0, v4
	v_cmp_gt_u32_e32 vcc_lo, s3, v9
	v_lshrrev_b32_e32 v8, 2, v8
	v_lshrrev_b32_e32 v14, 2, v9
	v_cndmask_b32_e64 v3, 0, v3, s0
	v_cndmask_b32_e64 v2, 0, v2, s0
	v_add_co_u32 v6, s0, s8, v10
	s_wait_alu 0xfffd
	v_dual_cndmask_b32 v12, 0, v12 :: v_dual_and_b32 v1, 56, v1
	v_lshlrev_b32_e32 v15, 3, v0
	v_dual_cndmask_b32 v11, 0, v11 :: v_dual_and_b32 v8, 0x78, v8
	s_wait_alu 0xf1ff
	v_add_co_ci_u32_e64 v7, null, s9, 0, s0
	v_cmp_gt_u32_e64 s0, s3, v10
	v_and_b32_e32 v13, 0xb8, v13
	v_and_b32_e32 v14, 0xf8, v14
	v_add_nc_u32_e32 v1, v1, v15
	v_add_nc_u32_e32 v8, v8, v15
	s_wait_alu 0xf1ff
	v_cndmask_b32_e64 v7, 0, v7, s0
	v_cndmask_b32_e64 v6, 0, v6, s0
	v_add_nc_u32_e32 v13, v13, v15
	v_add_nc_u32_e32 v14, v14, v15
	ds_store_b64 v1, v[2:3]
	ds_store_b64 v8, v[4:5] offset:2048
	ds_store_b64 v13, v[6:7] offset:4096
	;; [unrolled: 1-line block ×3, first 2 shown]
	s_wait_loadcnt_dscnt 0x0
	s_barrier_signal -1
	s_barrier_wait -1
.LBB215_8:
	v_and_b32_e32 v1, 0xf8, v0
	s_wait_loadcnt 0x0
	global_inv scope:SCOPE_SE
	s_lshl_b64 s[0:1], s[10:11], 2
	v_lshlrev_b32_e32 v11, 2, v0
	v_lshrrev_b32_e32 v28, 5, v0
	v_lshl_add_u32 v1, v0, 5, v1
	s_wait_alu 0xfffe
	s_add_nc_u64 s[0:1], s[16:17], s[0:1]
	s_lshl_b64 s[6:7], s[6:7], 2
	s_and_b32 vcc_lo, exec_lo, s20
	s_wait_alu 0xfffe
	s_add_nc_u64 s[0:1], s[0:1], s[6:7]
	ds_load_2addr_b64 v[5:8], v1 offset1:1
	ds_load_2addr_b64 v[1:4], v1 offset0:2 offset1:3
	s_mov_b32 s6, -1
	s_wait_loadcnt_dscnt 0x0
	s_barrier_signal -1
	s_barrier_wait -1
	global_inv scope:SCOPE_SE
	s_cbranch_vccz .LBB215_10
; %bb.9:
	s_clause 0x3
	global_load_b32 v12, v11, s[0:1]
	global_load_b32 v13, v11, s[0:1] offset:1024
	global_load_b32 v14, v11, s[0:1] offset:2048
	;; [unrolled: 1-line block ×3, first 2 shown]
	v_or_b32_e32 v16, 0x100, v0
	v_lshrrev_b32_e32 v19, 5, v10
	v_lshrrev_b32_e32 v20, 5, v9
	v_and_b32_e32 v21, 4, v28
	s_mov_b32 s6, 0
	v_lshrrev_b32_e32 v16, 5, v16
	v_and_b32_e32 v19, 20, v19
	v_and_b32_e32 v20, 28, v20
	v_add_nc_u32_e32 v21, v21, v0
	s_delay_alu instid0(VALU_DEP_4) | instskip(NEXT) | instid1(VALU_DEP_4)
	v_and_b32_e32 v16, 12, v16
	v_add_nc_u32_e32 v19, v19, v0
	s_delay_alu instid0(VALU_DEP_4) | instskip(NEXT) | instid1(VALU_DEP_3)
	v_add_nc_u32_e32 v20, v20, v0
	v_add_nc_u32_e32 v16, v16, v0
	s_wait_loadcnt 0x3
	v_cmp_ne_u32_e32 vcc_lo, 0, v12
	s_wait_alu 0xfffd
	v_cndmask_b32_e64 v12, 0, 1, vcc_lo
	s_wait_loadcnt 0x2
	v_cmp_ne_u32_e32 vcc_lo, 0, v13
	s_wait_alu 0xfffd
	v_cndmask_b32_e64 v13, 0, 1, vcc_lo
	s_wait_loadcnt 0x1
	v_cmp_ne_u32_e32 vcc_lo, 0, v14
	s_wait_alu 0xfffd
	v_cndmask_b32_e64 v14, 0, 1, vcc_lo
	s_wait_loadcnt 0x0
	v_cmp_ne_u32_e32 vcc_lo, 0, v15
	s_wait_alu 0xfffd
	v_cndmask_b32_e64 v15, 0, 1, vcc_lo
	ds_store_b8 v21, v12
	ds_store_b8 v16, v13 offset:256
	ds_store_b8 v19, v14 offset:512
	;; [unrolled: 1-line block ×3, first 2 shown]
	s_wait_dscnt 0x0
	s_barrier_signal -1
	s_barrier_wait -1
.LBB215_10:
	v_lshrrev_b32_e32 v12, 3, v0
	s_and_not1_b32 vcc_lo, exec_lo, s6
	s_wait_alu 0xfffe
	s_cbranch_vccnz .LBB215_18
; %bb.11:
	v_dual_mov_b32 v13, 0 :: v_dual_mov_b32 v14, 0
	s_mov_b32 s6, exec_lo
	v_cmpx_gt_u32_e64 s3, v0
	s_cbranch_execz .LBB215_13
; %bb.12:
	global_load_b32 v13, v11, s[0:1]
	s_wait_loadcnt 0x0
	v_cmp_ne_u32_e32 vcc_lo, 0, v13
	s_wait_alu 0xfffd
	v_cndmask_b32_e64 v13, 0, 1, vcc_lo
	v_cndmask_b32_e64 v14, 0, 1, vcc_lo
.LBB215_13:
	s_or_b32 exec_lo, exec_lo, s6
	v_or_b32_e32 v15, 0x100, v0
	s_mov_b32 s6, exec_lo
	s_delay_alu instid0(VALU_DEP_1)
	v_cmpx_gt_u32_e64 s3, v15
	s_cbranch_execnz .LBB215_132
; %bb.14:
	s_or_b32 exec_lo, exec_lo, s6
	s_delay_alu instid0(SALU_CYCLE_1)
	s_mov_b32 s6, exec_lo
	v_cmpx_gt_u32_e64 s3, v10
	s_cbranch_execnz .LBB215_133
.LBB215_15:
	s_or_b32 exec_lo, exec_lo, s6
	v_cmp_gt_u32_e32 vcc_lo, s3, v9
	s_and_saveexec_b32 s3, vcc_lo
	s_cbranch_execz .LBB215_17
.LBB215_16:
	global_load_b32 v16, v11, s[0:1] offset:3072
	v_lshrrev_b32_e32 v19, 16, v14
	s_wait_loadcnt 0x0
	v_cmp_ne_u32_e32 vcc_lo, 0, v16
	s_wait_alu 0xfffd
	v_cndmask_b32_e64 v16, 0, 1, vcc_lo
	s_delay_alu instid0(VALU_DEP_1) | instskip(NEXT) | instid1(VALU_DEP_1)
	v_lshlrev_b16 v16, 8, v16
	v_or_b32_e32 v16, v19, v16
	s_delay_alu instid0(VALU_DEP_1) | instskip(NEXT) | instid1(VALU_DEP_1)
	v_lshlrev_b32_e32 v16, 16, v16
	v_and_or_b32 v14, 0xffff, v14, v16
.LBB215_17:
	s_wait_alu 0xfffe
	s_or_b32 exec_lo, exec_lo, s3
	v_lshrrev_b32_e32 v15, 5, v15
	v_lshrrev_b32_e32 v10, 5, v10
	;; [unrolled: 1-line block ×3, first 2 shown]
	v_and_b32_e32 v16, 4, v28
	v_lshrrev_b32_e32 v19, 8, v14
	v_and_b32_e32 v15, 12, v15
	v_and_b32_e32 v10, 28, v10
	;; [unrolled: 1-line block ×3, first 2 shown]
	v_add_nc_u32_e32 v16, v16, v0
	v_lshrrev_b32_e32 v20, 24, v14
	v_add_nc_u32_e32 v15, v15, v0
	v_add_nc_u32_e32 v10, v10, v0
	;; [unrolled: 1-line block ×3, first 2 shown]
	ds_store_b8 v16, v13
	ds_store_b8 v15, v19 offset:256
	ds_store_b8_d16_hi v10, v14 offset:512
	ds_store_b8 v9, v20 offset:768
	s_wait_loadcnt_dscnt 0x0
	s_barrier_signal -1
	s_barrier_wait -1
.LBB215_18:
	s_delay_alu instid0(VALU_DEP_1)
	v_dual_mov_b32 v10, 0 :: v_dual_and_b32 v9, 28, v12
	s_wait_loadcnt 0x0
	global_inv scope:SCOPE_SE
	v_mbcnt_lo_u32_b32 v33, -1, 0
	s_cmp_lg_u32 s21, 0
	v_add_nc_u32_e32 v9, v9, v11
	s_mov_b32 s1, -1
	s_delay_alu instid0(VALU_DEP_2)
	v_and_b32_e32 v34, 15, v33
	ds_load_b32 v29, v9
	s_wait_loadcnt_dscnt 0x0
	s_barrier_signal -1
	s_barrier_wait -1
	global_inv scope:SCOPE_SE
	v_and_b32_e32 v32, 0xff, v29
	v_bfe_u32 v31, v29, 8, 8
	v_bfe_u32 v30, v29, 16, 8
	v_lshrrev_b32_e32 v27, 24, v29
	s_delay_alu instid0(VALU_DEP_2) | instskip(NEXT) | instid1(VALU_DEP_1)
	v_add3_u32 v9, v31, v32, v30
	v_add_co_u32 v19, s0, v9, v27
	s_wait_alu 0xf1ff
	v_add_co_ci_u32_e64 v20, null, 0, 0, s0
	v_cmp_ne_u32_e64 s0, 0, v34
	s_cbranch_scc0 .LBB215_75
; %bb.19:
	v_mov_b32_e32 v11, v19
	v_mov_b32_dpp v9, v19 row_shr:1 row_mask:0xf bank_mask:0xf
	v_mov_b32_dpp v14, v10 row_shr:1 row_mask:0xf bank_mask:0xf
	v_dual_mov_b32 v13, v19 :: v_dual_mov_b32 v12, v20
	s_and_saveexec_b32 s1, s0
; %bb.20:
	s_delay_alu instid0(VALU_DEP_3) | instskip(SKIP_2) | instid1(VALU_DEP_2)
	v_add_co_u32 v13, vcc_lo, v19, v9
	s_wait_alu 0xfffd
	v_add_co_ci_u32_e64 v10, null, 0, v20, vcc_lo
	v_add_co_u32 v9, vcc_lo, 0, v13
	s_wait_alu 0xfffd
	s_delay_alu instid0(VALU_DEP_2) | instskip(NEXT) | instid1(VALU_DEP_1)
	v_add_co_ci_u32_e64 v10, null, v14, v10, vcc_lo
	v_dual_mov_b32 v12, v10 :: v_dual_mov_b32 v11, v9
; %bb.21:
	s_wait_alu 0xfffe
	s_or_b32 exec_lo, exec_lo, s1
	v_mov_b32_dpp v9, v13 row_shr:2 row_mask:0xf bank_mask:0xf
	v_mov_b32_dpp v14, v10 row_shr:2 row_mask:0xf bank_mask:0xf
	s_mov_b32 s1, exec_lo
	v_cmpx_lt_u32_e32 1, v34
; %bb.22:
	s_delay_alu instid0(VALU_DEP_3) | instskip(SKIP_2) | instid1(VALU_DEP_2)
	v_add_co_u32 v13, vcc_lo, v11, v9
	s_wait_alu 0xfffd
	v_add_co_ci_u32_e64 v10, null, 0, v12, vcc_lo
	v_add_co_u32 v9, vcc_lo, 0, v13
	s_wait_alu 0xfffd
	s_delay_alu instid0(VALU_DEP_2) | instskip(NEXT) | instid1(VALU_DEP_1)
	v_add_co_ci_u32_e64 v10, null, v14, v10, vcc_lo
	v_dual_mov_b32 v12, v10 :: v_dual_mov_b32 v11, v9
; %bb.23:
	s_wait_alu 0xfffe
	s_or_b32 exec_lo, exec_lo, s1
	v_mov_b32_dpp v9, v13 row_shr:4 row_mask:0xf bank_mask:0xf
	v_mov_b32_dpp v14, v10 row_shr:4 row_mask:0xf bank_mask:0xf
	s_mov_b32 s1, exec_lo
	v_cmpx_lt_u32_e32 3, v34
	;; [unrolled: 17-line block ×3, first 2 shown]
; %bb.26:
	s_delay_alu instid0(VALU_DEP_3) | instskip(SKIP_2) | instid1(VALU_DEP_2)
	v_add_co_u32 v13, vcc_lo, v11, v14
	s_wait_alu 0xfffd
	v_add_co_ci_u32_e64 v10, null, 0, v12, vcc_lo
	v_add_co_u32 v11, vcc_lo, 0, v13
	s_wait_alu 0xfffd
	s_delay_alu instid0(VALU_DEP_2) | instskip(NEXT) | instid1(VALU_DEP_1)
	v_add_co_ci_u32_e64 v12, null, v9, v10, vcc_lo
	v_mov_b32_e32 v10, v12
; %bb.27:
	s_wait_alu 0xfffe
	s_or_b32 exec_lo, exec_lo, s1
	ds_swizzle_b32 v9, v13 offset:swizzle(BROADCAST,32,15)
	ds_swizzle_b32 v14, v10 offset:swizzle(BROADCAST,32,15)
	v_and_b32_e32 v15, 16, v33
	s_mov_b32 s1, exec_lo
	s_delay_alu instid0(VALU_DEP_1)
	v_cmpx_ne_u32_e32 0, v15
	s_cbranch_execz .LBB215_29
; %bb.28:
	s_wait_dscnt 0x1
	v_add_co_u32 v13, vcc_lo, v11, v9
	s_wait_alu 0xfffd
	v_add_co_ci_u32_e64 v10, null, 0, v12, vcc_lo
	s_delay_alu instid0(VALU_DEP_2) | instskip(SKIP_2) | instid1(VALU_DEP_2)
	v_add_co_u32 v9, vcc_lo, 0, v13
	s_wait_dscnt 0x0
	s_wait_alu 0xfffd
	v_add_co_ci_u32_e64 v10, null, v14, v10, vcc_lo
	s_delay_alu instid0(VALU_DEP_1)
	v_dual_mov_b32 v12, v10 :: v_dual_mov_b32 v11, v9
.LBB215_29:
	s_wait_alu 0xfffe
	s_or_b32 exec_lo, exec_lo, s1
	s_wait_dscnt 0x1
	v_or_b32_e32 v9, 31, v0
	s_mov_b32 s1, exec_lo
	s_delay_alu instid0(VALU_DEP_1)
	v_cmpx_eq_u32_e64 v0, v9
; %bb.30:
	v_lshlrev_b32_e32 v9, 3, v28
	ds_store_b64 v9, v[11:12]
; %bb.31:
	s_wait_alu 0xfffe
	s_or_b32 exec_lo, exec_lo, s1
	s_delay_alu instid0(SALU_CYCLE_1)
	s_mov_b32 s1, exec_lo
	s_wait_loadcnt_dscnt 0x0
	s_barrier_signal -1
	s_barrier_wait -1
	global_inv scope:SCOPE_SE
	v_cmpx_gt_u32_e32 8, v0
	s_cbranch_execz .LBB215_39
; %bb.32:
	v_lshlrev_b32_e32 v9, 3, v0
	s_mov_b32 s3, exec_lo
	ds_load_b64 v[11:12], v9
	s_wait_dscnt 0x0
	v_dual_mov_b32 v15, v11 :: v_dual_and_b32 v14, 7, v33
	v_mov_b32_dpp v21, v11 row_shr:1 row_mask:0xf bank_mask:0xf
	v_mov_b32_dpp v16, v12 row_shr:1 row_mask:0xf bank_mask:0xf
	s_delay_alu instid0(VALU_DEP_3)
	v_cmpx_ne_u32_e32 0, v14
; %bb.33:
	s_delay_alu instid0(VALU_DEP_3) | instskip(SKIP_2) | instid1(VALU_DEP_2)
	v_add_co_u32 v15, vcc_lo, v11, v21
	s_wait_alu 0xfffd
	v_add_co_ci_u32_e64 v12, null, 0, v12, vcc_lo
	v_add_co_u32 v11, vcc_lo, 0, v15
	s_wait_alu 0xfffd
	s_delay_alu instid0(VALU_DEP_2)
	v_add_co_ci_u32_e64 v12, null, v16, v12, vcc_lo
; %bb.34:
	s_wait_alu 0xfffe
	s_or_b32 exec_lo, exec_lo, s3
	v_mov_b32_dpp v21, v15 row_shr:2 row_mask:0xf bank_mask:0xf
	s_delay_alu instid0(VALU_DEP_2)
	v_mov_b32_dpp v16, v12 row_shr:2 row_mask:0xf bank_mask:0xf
	s_mov_b32 s3, exec_lo
	v_cmpx_lt_u32_e32 1, v14
; %bb.35:
	s_delay_alu instid0(VALU_DEP_3) | instskip(SKIP_2) | instid1(VALU_DEP_2)
	v_add_co_u32 v15, vcc_lo, v11, v21
	s_wait_alu 0xfffd
	v_add_co_ci_u32_e64 v12, null, 0, v12, vcc_lo
	v_add_co_u32 v11, vcc_lo, 0, v15
	s_wait_alu 0xfffd
	s_delay_alu instid0(VALU_DEP_2)
	v_add_co_ci_u32_e64 v12, null, v16, v12, vcc_lo
; %bb.36:
	s_wait_alu 0xfffe
	s_or_b32 exec_lo, exec_lo, s3
	v_mov_b32_dpp v16, v15 row_shr:4 row_mask:0xf bank_mask:0xf
	s_delay_alu instid0(VALU_DEP_2)
	v_mov_b32_dpp v15, v12 row_shr:4 row_mask:0xf bank_mask:0xf
	s_mov_b32 s3, exec_lo
	v_cmpx_lt_u32_e32 3, v14
; %bb.37:
	s_delay_alu instid0(VALU_DEP_3) | instskip(SKIP_2) | instid1(VALU_DEP_2)
	v_add_co_u32 v11, vcc_lo, v11, v16
	s_wait_alu 0xfffd
	v_add_co_ci_u32_e64 v12, null, 0, v12, vcc_lo
	v_add_co_u32 v11, vcc_lo, v11, 0
	s_wait_alu 0xfffd
	s_delay_alu instid0(VALU_DEP_2)
	v_add_co_ci_u32_e64 v12, null, v12, v15, vcc_lo
; %bb.38:
	s_wait_alu 0xfffe
	s_or_b32 exec_lo, exec_lo, s3
	ds_store_b64 v9, v[11:12]
.LBB215_39:
	s_wait_alu 0xfffe
	s_or_b32 exec_lo, exec_lo, s1
	s_delay_alu instid0(SALU_CYCLE_1)
	s_mov_b32 s3, exec_lo
	v_cmp_gt_u32_e32 vcc_lo, 32, v0
	s_wait_loadcnt_dscnt 0x0
	s_barrier_signal -1
	s_barrier_wait -1
	global_inv scope:SCOPE_SE
                                        ; implicit-def: $vgpr21_vgpr22
	v_cmpx_lt_u32_e32 31, v0
	s_cbranch_execz .LBB215_41
; %bb.40:
	v_lshl_add_u32 v9, v28, 3, -8
	ds_load_b64 v[21:22], v9
	s_wait_dscnt 0x0
	v_add_co_u32 v13, s1, v13, v21
	s_wait_alu 0xf1ff
	v_add_co_ci_u32_e64 v10, null, v10, v22, s1
.LBB215_41:
	s_wait_alu 0xfffe
	s_or_b32 exec_lo, exec_lo, s3
	v_sub_co_u32 v9, s1, v33, 1
	s_delay_alu instid0(VALU_DEP_1) | instskip(SKIP_1) | instid1(VALU_DEP_1)
	v_cmp_gt_i32_e64 s3, 0, v9
	s_wait_alu 0xf1ff
	v_cndmask_b32_e64 v9, v9, v33, s3
	s_delay_alu instid0(VALU_DEP_1)
	v_lshlrev_b32_e32 v9, 2, v9
	ds_bpermute_b32 v35, v9, v13
	ds_bpermute_b32 v36, v9, v10
	s_and_saveexec_b32 s3, vcc_lo
	s_cbranch_execz .LBB215_80
; %bb.42:
	v_mov_b32_e32 v12, 0
	ds_load_b64 v[9:10], v12 offset:56
	s_and_saveexec_b32 s6, s1
	s_cbranch_execz .LBB215_44
; %bb.43:
	s_add_co_i32 s8, s21, 32
	s_mov_b32 s9, 0
	s_wait_alu 0xfffe
	s_lshl_b64 s[8:9], s[8:9], 4
	s_wait_alu 0xfffe
	s_add_nc_u64 s[8:9], s[14:15], s[8:9]
	s_wait_alu 0xfffe
	v_dual_mov_b32 v11, 1 :: v_dual_mov_b32 v14, s9
	v_mov_b32_e32 v13, s8
	s_wait_dscnt 0x0
	;;#ASMSTART
	global_store_b128 v[13:14], v[9:12] off scope:SCOPE_DEV	
s_wait_storecnt 0x0
	;;#ASMEND
.LBB215_44:
	s_or_b32 exec_lo, exec_lo, s6
	v_xad_u32 v23, v33, -1, s21
	s_mov_b32 s7, 0
	s_mov_b32 s6, exec_lo
	s_delay_alu instid0(VALU_DEP_1) | instskip(NEXT) | instid1(VALU_DEP_1)
	v_add_nc_u32_e32 v11, 32, v23
	v_lshlrev_b64_e32 v[11:12], 4, v[11:12]
	s_delay_alu instid0(VALU_DEP_1) | instskip(SKIP_1) | instid1(VALU_DEP_2)
	v_add_co_u32 v11, vcc_lo, s14, v11
	s_wait_alu 0xfffd
	v_add_co_ci_u32_e64 v12, null, s15, v12, vcc_lo
	;;#ASMSTART
	global_load_b128 v[13:16], v[11:12] off scope:SCOPE_DEV	
s_wait_loadcnt 0x0
	;;#ASMEND
	v_and_b32_e32 v16, 0xff, v15
	s_delay_alu instid0(VALU_DEP_1)
	v_cmpx_eq_u16_e32 0, v16
	s_cbranch_execz .LBB215_47
.LBB215_45:                             ; =>This Inner Loop Header: Depth=1
	;;#ASMSTART
	global_load_b128 v[13:16], v[11:12] off scope:SCOPE_DEV	
s_wait_loadcnt 0x0
	;;#ASMEND
	v_and_b32_e32 v16, 0xff, v15
	s_delay_alu instid0(VALU_DEP_1) | instskip(SKIP_1) | instid1(SALU_CYCLE_1)
	v_cmp_ne_u16_e32 vcc_lo, 0, v16
	s_or_b32 s7, vcc_lo, s7
	s_and_not1_b32 exec_lo, exec_lo, s7
	s_cbranch_execnz .LBB215_45
; %bb.46:
	s_or_b32 exec_lo, exec_lo, s7
.LBB215_47:
	s_delay_alu instid0(SALU_CYCLE_1)
	s_or_b32 exec_lo, exec_lo, s6
	v_cmp_ne_u32_e32 vcc_lo, 31, v33
	v_and_b32_e32 v12, 0xff, v15
	v_lshlrev_b32_e64 v38, v33, -1
	s_mov_b32 s6, exec_lo
	s_wait_alu 0xfffd
	v_add_co_ci_u32_e64 v11, null, 0, v33, vcc_lo
	v_cmp_eq_u16_e32 vcc_lo, 2, v12
	s_delay_alu instid0(VALU_DEP_2)
	v_dual_mov_b32 v12, v13 :: v_dual_lshlrev_b32 v37, 2, v11
	s_wait_alu 0xfffd
	v_and_or_b32 v11, vcc_lo, v38, 0x80000000
	ds_bpermute_b32 v24, v37, v13
	ds_bpermute_b32 v16, v37, v14
	v_ctz_i32_b32_e32 v11, v11
	s_delay_alu instid0(VALU_DEP_1)
	v_cmpx_lt_u32_e64 v33, v11
	s_cbranch_execz .LBB215_49
; %bb.48:
	s_wait_dscnt 0x1
	v_add_co_u32 v12, vcc_lo, v13, v24
	s_wait_alu 0xfffd
	v_add_co_ci_u32_e64 v14, null, 0, v14, vcc_lo
	s_delay_alu instid0(VALU_DEP_2) | instskip(SKIP_2) | instid1(VALU_DEP_2)
	v_add_co_u32 v13, vcc_lo, 0, v12
	s_wait_dscnt 0x0
	s_wait_alu 0xfffd
	v_add_co_ci_u32_e64 v14, null, v16, v14, vcc_lo
.LBB215_49:
	s_or_b32 exec_lo, exec_lo, s6
	v_cmp_gt_u32_e32 vcc_lo, 30, v33
	v_add_nc_u32_e32 v40, 2, v33
	s_mov_b32 s6, exec_lo
	s_wait_dscnt 0x0
	s_wait_alu 0xfffd
	v_cndmask_b32_e64 v16, 0, 2, vcc_lo
	s_delay_alu instid0(VALU_DEP_1)
	v_add_lshl_u32 v39, v16, v33, 2
	ds_bpermute_b32 v24, v39, v12
	ds_bpermute_b32 v16, v39, v14
	v_cmpx_le_u32_e64 v40, v11
	s_cbranch_execz .LBB215_51
; %bb.50:
	s_wait_dscnt 0x1
	v_add_co_u32 v12, vcc_lo, v13, v24
	s_wait_alu 0xfffd
	v_add_co_ci_u32_e64 v14, null, 0, v14, vcc_lo
	s_delay_alu instid0(VALU_DEP_2) | instskip(SKIP_2) | instid1(VALU_DEP_2)
	v_add_co_u32 v13, vcc_lo, 0, v12
	s_wait_dscnt 0x0
	s_wait_alu 0xfffd
	v_add_co_ci_u32_e64 v14, null, v16, v14, vcc_lo
.LBB215_51:
	s_or_b32 exec_lo, exec_lo, s6
	v_cmp_gt_u32_e32 vcc_lo, 28, v33
	v_add_nc_u32_e32 v42, 4, v33
	s_mov_b32 s6, exec_lo
	s_wait_dscnt 0x0
	s_wait_alu 0xfffd
	v_cndmask_b32_e64 v16, 0, 4, vcc_lo
	s_delay_alu instid0(VALU_DEP_1)
	v_add_lshl_u32 v41, v16, v33, 2
	ds_bpermute_b32 v24, v41, v12
	ds_bpermute_b32 v16, v41, v14
	v_cmpx_le_u32_e64 v42, v11
	;; [unrolled: 24-line block ×3, first 2 shown]
	s_cbranch_execz .LBB215_55
; %bb.54:
	s_wait_dscnt 0x1
	v_add_co_u32 v12, vcc_lo, v13, v24
	s_wait_alu 0xfffd
	v_add_co_ci_u32_e64 v14, null, 0, v14, vcc_lo
	s_delay_alu instid0(VALU_DEP_2) | instskip(SKIP_2) | instid1(VALU_DEP_2)
	v_add_co_u32 v13, vcc_lo, 0, v12
	s_wait_dscnt 0x0
	s_wait_alu 0xfffd
	v_add_co_ci_u32_e64 v14, null, v16, v14, vcc_lo
.LBB215_55:
	s_or_b32 exec_lo, exec_lo, s6
	v_lshl_or_b32 v45, v33, 2, 64
	v_add_nc_u32_e32 v46, 16, v33
	s_mov_b32 s6, exec_lo
	s_wait_dscnt 0x0
	ds_bpermute_b32 v16, v45, v12
	ds_bpermute_b32 v12, v45, v14
	v_cmpx_le_u32_e64 v46, v11
	s_cbranch_execz .LBB215_57
; %bb.56:
	s_wait_dscnt 0x1
	v_add_co_u32 v11, vcc_lo, v13, v16
	s_wait_alu 0xfffd
	v_add_co_ci_u32_e64 v14, null, 0, v14, vcc_lo
	s_delay_alu instid0(VALU_DEP_2) | instskip(SKIP_2) | instid1(VALU_DEP_2)
	v_add_co_u32 v13, vcc_lo, v11, 0
	s_wait_dscnt 0x0
	s_wait_alu 0xfffd
	v_add_co_ci_u32_e64 v14, null, v14, v12, vcc_lo
.LBB215_57:
	s_or_b32 exec_lo, exec_lo, s6
	v_mov_b32_e32 v24, 0
	s_branch .LBB215_60
.LBB215_58:                             ;   in Loop: Header=BB215_60 Depth=1
	s_or_b32 exec_lo, exec_lo, s6
	v_add_co_u32 v13, vcc_lo, v13, v11
	v_subrev_nc_u32_e32 v23, 32, v23
	s_wait_alu 0xfffd
	v_add_co_ci_u32_e64 v14, null, v14, v12, vcc_lo
	s_mov_b32 s6, 0
.LBB215_59:                             ;   in Loop: Header=BB215_60 Depth=1
	s_delay_alu instid0(SALU_CYCLE_1)
	s_and_b32 vcc_lo, exec_lo, s6
	s_wait_alu 0xfffe
	s_cbranch_vccnz .LBB215_76
.LBB215_60:                             ; =>This Loop Header: Depth=1
                                        ;     Child Loop BB215_63 Depth 2
	v_and_b32_e32 v11, 0xff, v15
	s_mov_b32 s6, -1
	s_delay_alu instid0(VALU_DEP_1)
	v_cmp_ne_u16_e32 vcc_lo, 2, v11
	s_wait_dscnt 0x0
	v_dual_mov_b32 v11, v13 :: v_dual_mov_b32 v12, v14
                                        ; implicit-def: $vgpr13_vgpr14
	s_cmp_lg_u32 vcc_lo, exec_lo
	s_cbranch_scc1 .LBB215_59
; %bb.61:                               ;   in Loop: Header=BB215_60 Depth=1
	v_lshlrev_b64_e32 v[13:14], 4, v[23:24]
	s_mov_b32 s6, exec_lo
	s_delay_alu instid0(VALU_DEP_1) | instskip(SKIP_1) | instid1(VALU_DEP_2)
	v_add_co_u32 v25, vcc_lo, s14, v13
	s_wait_alu 0xfffd
	v_add_co_ci_u32_e64 v26, null, s15, v14, vcc_lo
	;;#ASMSTART
	global_load_b128 v[13:16], v[25:26] off scope:SCOPE_DEV	
s_wait_loadcnt 0x0
	;;#ASMEND
	v_and_b32_e32 v16, 0xff, v15
	s_delay_alu instid0(VALU_DEP_1)
	v_cmpx_eq_u16_e32 0, v16
	s_cbranch_execz .LBB215_65
; %bb.62:                               ;   in Loop: Header=BB215_60 Depth=1
	s_mov_b32 s7, 0
.LBB215_63:                             ;   Parent Loop BB215_60 Depth=1
                                        ; =>  This Inner Loop Header: Depth=2
	;;#ASMSTART
	global_load_b128 v[13:16], v[25:26] off scope:SCOPE_DEV	
s_wait_loadcnt 0x0
	;;#ASMEND
	v_and_b32_e32 v16, 0xff, v15
	s_delay_alu instid0(VALU_DEP_1) | instskip(SKIP_1) | instid1(SALU_CYCLE_1)
	v_cmp_ne_u16_e32 vcc_lo, 0, v16
	s_or_b32 s7, vcc_lo, s7
	s_and_not1_b32 exec_lo, exec_lo, s7
	s_cbranch_execnz .LBB215_63
; %bb.64:                               ;   in Loop: Header=BB215_60 Depth=1
	s_or_b32 exec_lo, exec_lo, s7
.LBB215_65:                             ;   in Loop: Header=BB215_60 Depth=1
	s_delay_alu instid0(SALU_CYCLE_1)
	s_or_b32 exec_lo, exec_lo, s6
	v_dual_mov_b32 v25, v13 :: v_dual_and_b32 v16, 0xff, v15
	ds_bpermute_b32 v47, v37, v13
	ds_bpermute_b32 v26, v37, v14
	s_mov_b32 s6, exec_lo
	v_cmp_eq_u16_e32 vcc_lo, 2, v16
	s_wait_alu 0xfffd
	v_and_or_b32 v16, vcc_lo, v38, 0x80000000
	s_delay_alu instid0(VALU_DEP_1) | instskip(NEXT) | instid1(VALU_DEP_1)
	v_ctz_i32_b32_e32 v16, v16
	v_cmpx_lt_u32_e64 v33, v16
	s_cbranch_execz .LBB215_67
; %bb.66:                               ;   in Loop: Header=BB215_60 Depth=1
	s_wait_dscnt 0x1
	v_add_co_u32 v25, vcc_lo, v13, v47
	s_wait_alu 0xfffd
	v_add_co_ci_u32_e64 v14, null, 0, v14, vcc_lo
	s_delay_alu instid0(VALU_DEP_2) | instskip(SKIP_2) | instid1(VALU_DEP_2)
	v_add_co_u32 v13, vcc_lo, 0, v25
	s_wait_dscnt 0x0
	s_wait_alu 0xfffd
	v_add_co_ci_u32_e64 v14, null, v26, v14, vcc_lo
.LBB215_67:                             ;   in Loop: Header=BB215_60 Depth=1
	s_or_b32 exec_lo, exec_lo, s6
	s_wait_dscnt 0x1
	ds_bpermute_b32 v47, v39, v25
	s_wait_dscnt 0x1
	ds_bpermute_b32 v26, v39, v14
	s_mov_b32 s6, exec_lo
	v_cmpx_le_u32_e64 v40, v16
	s_cbranch_execz .LBB215_69
; %bb.68:                               ;   in Loop: Header=BB215_60 Depth=1
	s_wait_dscnt 0x1
	v_add_co_u32 v25, vcc_lo, v13, v47
	s_wait_alu 0xfffd
	v_add_co_ci_u32_e64 v14, null, 0, v14, vcc_lo
	s_delay_alu instid0(VALU_DEP_2) | instskip(SKIP_2) | instid1(VALU_DEP_2)
	v_add_co_u32 v13, vcc_lo, 0, v25
	s_wait_dscnt 0x0
	s_wait_alu 0xfffd
	v_add_co_ci_u32_e64 v14, null, v26, v14, vcc_lo
.LBB215_69:                             ;   in Loop: Header=BB215_60 Depth=1
	s_or_b32 exec_lo, exec_lo, s6
	s_wait_dscnt 0x1
	ds_bpermute_b32 v47, v41, v25
	s_wait_dscnt 0x1
	ds_bpermute_b32 v26, v41, v14
	s_mov_b32 s6, exec_lo
	v_cmpx_le_u32_e64 v42, v16
	s_cbranch_execz .LBB215_71
; %bb.70:                               ;   in Loop: Header=BB215_60 Depth=1
	s_wait_dscnt 0x1
	v_add_co_u32 v25, vcc_lo, v13, v47
	s_wait_alu 0xfffd
	v_add_co_ci_u32_e64 v14, null, 0, v14, vcc_lo
	s_delay_alu instid0(VALU_DEP_2) | instskip(SKIP_2) | instid1(VALU_DEP_2)
	v_add_co_u32 v13, vcc_lo, 0, v25
	s_wait_dscnt 0x0
	s_wait_alu 0xfffd
	v_add_co_ci_u32_e64 v14, null, v26, v14, vcc_lo
.LBB215_71:                             ;   in Loop: Header=BB215_60 Depth=1
	s_or_b32 exec_lo, exec_lo, s6
	s_wait_dscnt 0x1
	ds_bpermute_b32 v47, v43, v25
	s_wait_dscnt 0x1
	ds_bpermute_b32 v26, v43, v14
	s_mov_b32 s6, exec_lo
	v_cmpx_le_u32_e64 v44, v16
	s_cbranch_execz .LBB215_73
; %bb.72:                               ;   in Loop: Header=BB215_60 Depth=1
	s_wait_dscnt 0x1
	v_add_co_u32 v25, vcc_lo, v13, v47
	s_wait_alu 0xfffd
	v_add_co_ci_u32_e64 v14, null, 0, v14, vcc_lo
	s_delay_alu instid0(VALU_DEP_2) | instskip(SKIP_2) | instid1(VALU_DEP_2)
	v_add_co_u32 v13, vcc_lo, 0, v25
	s_wait_dscnt 0x0
	s_wait_alu 0xfffd
	v_add_co_ci_u32_e64 v14, null, v26, v14, vcc_lo
.LBB215_73:                             ;   in Loop: Header=BB215_60 Depth=1
	s_or_b32 exec_lo, exec_lo, s6
	s_wait_dscnt 0x0
	ds_bpermute_b32 v26, v45, v25
	ds_bpermute_b32 v25, v45, v14
	s_mov_b32 s6, exec_lo
	v_cmpx_le_u32_e64 v46, v16
	s_cbranch_execz .LBB215_58
; %bb.74:                               ;   in Loop: Header=BB215_60 Depth=1
	s_wait_dscnt 0x1
	v_add_co_u32 v13, vcc_lo, v13, v26
	s_wait_alu 0xfffd
	v_add_co_ci_u32_e64 v14, null, 0, v14, vcc_lo
	s_delay_alu instid0(VALU_DEP_2) | instskip(SKIP_2) | instid1(VALU_DEP_2)
	v_add_co_u32 v13, vcc_lo, v13, 0
	s_wait_dscnt 0x0
	s_wait_alu 0xfffd
	v_add_co_ci_u32_e64 v14, null, v14, v25, vcc_lo
	s_branch .LBB215_58
.LBB215_75:
                                        ; implicit-def: $vgpr15_vgpr16
                                        ; implicit-def: $vgpr13_vgpr14
                                        ; implicit-def: $vgpr21_vgpr22
                                        ; implicit-def: $vgpr23_vgpr24
                                        ; implicit-def: $vgpr11_vgpr12
	s_wait_alu 0xfffe
	s_and_b32 vcc_lo, exec_lo, s1
	s_wait_alu 0xfffe
	s_cbranch_vccnz .LBB215_81
	s_branch .LBB215_106
.LBB215_76:
	s_and_saveexec_b32 s6, s1
	s_cbranch_execz .LBB215_78
; %bb.77:
	s_add_co_i32 s8, s21, 32
	s_mov_b32 s9, 0
	v_add_co_u32 v13, vcc_lo, v11, v9
	s_wait_alu 0xfffe
	s_lshl_b64 s[8:9], s[8:9], 4
	v_dual_mov_b32 v15, 2 :: v_dual_mov_b32 v16, 0
	s_wait_alu 0xfffe
	s_add_nc_u64 s[8:9], s[14:15], s[8:9]
	s_wait_alu 0xfffd
	v_add_co_ci_u32_e64 v14, null, v12, v10, vcc_lo
	s_wait_alu 0xfffe
	v_dual_mov_b32 v24, s9 :: v_dual_mov_b32 v23, s8
	;;#ASMSTART
	global_store_b128 v[23:24], v[13:16] off scope:SCOPE_DEV	
s_wait_storecnt 0x0
	;;#ASMEND
	ds_store_b128 v16, v[9:12] offset:8448
.LBB215_78:
	s_or_b32 exec_lo, exec_lo, s6
	s_delay_alu instid0(SALU_CYCLE_1)
	s_and_b32 exec_lo, exec_lo, s2
; %bb.79:
	v_mov_b32_e32 v9, 0
	ds_store_b64 v9, v[11:12] offset:56
.LBB215_80:
	s_wait_alu 0xfffe
	s_or_b32 exec_lo, exec_lo, s3
	v_mov_b32_e32 v9, 0
	s_wait_loadcnt_dscnt 0x0
	s_barrier_signal -1
	s_barrier_wait -1
	global_inv scope:SCOPE_SE
	ds_load_b64 v[13:14], v9 offset:56
	v_cndmask_b32_e64 v11, v35, v21, s1
	v_cndmask_b32_e64 v10, v36, v22, s1
	s_wait_loadcnt_dscnt 0x0
	s_barrier_signal -1
	s_barrier_wait -1
	v_cndmask_b32_e64 v16, v11, 0, s2
	v_cndmask_b32_e64 v15, v10, 0, s2
	global_inv scope:SCOPE_SE
	ds_load_b128 v[9:12], v9 offset:8448
	v_add_co_u32 v23, vcc_lo, v13, v16
	s_wait_alu 0xfffd
	v_add_co_ci_u32_e64 v24, null, v14, v15, vcc_lo
	s_delay_alu instid0(VALU_DEP_2) | instskip(SKIP_1) | instid1(VALU_DEP_2)
	v_add_co_u32 v21, vcc_lo, v23, v32
	s_wait_alu 0xfffd
	v_add_co_ci_u32_e64 v22, null, 0, v24, vcc_lo
	s_delay_alu instid0(VALU_DEP_2) | instskip(SKIP_1) | instid1(VALU_DEP_2)
	;; [unrolled: 4-line block ×3, first 2 shown]
	v_add_co_u32 v15, vcc_lo, v13, v30
	s_wait_alu 0xfffd
	v_add_co_ci_u32_e64 v16, null, 0, v14, vcc_lo
	s_branch .LBB215_106
.LBB215_81:
	s_wait_dscnt 0x0
	v_dual_mov_b32 v10, 0 :: v_dual_mov_b32 v11, v19
	v_mov_b32_dpp v12, v19 row_shr:1 row_mask:0xf bank_mask:0xf
	s_delay_alu instid0(VALU_DEP_2)
	v_mov_b32_dpp v9, v10 row_shr:1 row_mask:0xf bank_mask:0xf
	s_and_saveexec_b32 s1, s0
; %bb.82:
	s_delay_alu instid0(VALU_DEP_2) | instskip(SKIP_2) | instid1(VALU_DEP_2)
	v_add_co_u32 v11, vcc_lo, v19, v12
	s_wait_alu 0xfffd
	v_add_co_ci_u32_e64 v10, null, 0, v20, vcc_lo
	v_add_co_u32 v19, vcc_lo, 0, v11
	s_wait_alu 0xfffd
	s_delay_alu instid0(VALU_DEP_2) | instskip(NEXT) | instid1(VALU_DEP_1)
	v_add_co_ci_u32_e64 v20, null, v9, v10, vcc_lo
	v_mov_b32_e32 v10, v20
; %bb.83:
	s_wait_alu 0xfffe
	s_or_b32 exec_lo, exec_lo, s1
	v_mov_b32_dpp v9, v11 row_shr:2 row_mask:0xf bank_mask:0xf
	s_delay_alu instid0(VALU_DEP_2)
	v_mov_b32_dpp v12, v10 row_shr:2 row_mask:0xf bank_mask:0xf
	s_mov_b32 s0, exec_lo
	v_cmpx_lt_u32_e32 1, v34
; %bb.84:
	s_delay_alu instid0(VALU_DEP_3) | instskip(SKIP_2) | instid1(VALU_DEP_2)
	v_add_co_u32 v11, vcc_lo, v19, v9
	s_wait_alu 0xfffd
	v_add_co_ci_u32_e64 v10, null, 0, v20, vcc_lo
	v_add_co_u32 v9, vcc_lo, 0, v11
	s_wait_alu 0xfffd
	s_delay_alu instid0(VALU_DEP_2) | instskip(NEXT) | instid1(VALU_DEP_1)
	v_add_co_ci_u32_e64 v10, null, v12, v10, vcc_lo
	v_dual_mov_b32 v20, v10 :: v_dual_mov_b32 v19, v9
; %bb.85:
	s_wait_alu 0xfffe
	s_or_b32 exec_lo, exec_lo, s0
	v_mov_b32_dpp v9, v11 row_shr:4 row_mask:0xf bank_mask:0xf
	v_mov_b32_dpp v12, v10 row_shr:4 row_mask:0xf bank_mask:0xf
	s_mov_b32 s0, exec_lo
	v_cmpx_lt_u32_e32 3, v34
; %bb.86:
	s_delay_alu instid0(VALU_DEP_3) | instskip(SKIP_2) | instid1(VALU_DEP_2)
	v_add_co_u32 v11, vcc_lo, v19, v9
	s_wait_alu 0xfffd
	v_add_co_ci_u32_e64 v10, null, 0, v20, vcc_lo
	v_add_co_u32 v9, vcc_lo, 0, v11
	s_wait_alu 0xfffd
	s_delay_alu instid0(VALU_DEP_2) | instskip(NEXT) | instid1(VALU_DEP_1)
	v_add_co_ci_u32_e64 v10, null, v12, v10, vcc_lo
	v_dual_mov_b32 v20, v10 :: v_dual_mov_b32 v19, v9
; %bb.87:
	s_wait_alu 0xfffe
	s_or_b32 exec_lo, exec_lo, s0
	v_mov_b32_dpp v12, v11 row_shr:8 row_mask:0xf bank_mask:0xf
	v_mov_b32_dpp v9, v10 row_shr:8 row_mask:0xf bank_mask:0xf
	s_mov_b32 s0, exec_lo
	v_cmpx_lt_u32_e32 7, v34
; %bb.88:
	s_delay_alu instid0(VALU_DEP_3) | instskip(SKIP_2) | instid1(VALU_DEP_2)
	v_add_co_u32 v11, vcc_lo, v19, v12
	s_wait_alu 0xfffd
	v_add_co_ci_u32_e64 v10, null, 0, v20, vcc_lo
	v_add_co_u32 v19, vcc_lo, 0, v11
	s_wait_alu 0xfffd
	s_delay_alu instid0(VALU_DEP_2) | instskip(NEXT) | instid1(VALU_DEP_1)
	v_add_co_ci_u32_e64 v20, null, v9, v10, vcc_lo
	v_mov_b32_e32 v10, v20
; %bb.89:
	s_wait_alu 0xfffe
	s_or_b32 exec_lo, exec_lo, s0
	ds_swizzle_b32 v11, v11 offset:swizzle(BROADCAST,32,15)
	ds_swizzle_b32 v9, v10 offset:swizzle(BROADCAST,32,15)
	v_and_b32_e32 v10, 16, v33
	s_mov_b32 s0, exec_lo
	s_delay_alu instid0(VALU_DEP_1)
	v_cmpx_ne_u32_e32 0, v10
	s_cbranch_execz .LBB215_91
; %bb.90:
	s_wait_dscnt 0x1
	v_add_co_u32 v10, vcc_lo, v19, v11
	s_wait_alu 0xfffd
	v_add_co_ci_u32_e64 v11, null, 0, v20, vcc_lo
	s_delay_alu instid0(VALU_DEP_2) | instskip(SKIP_2) | instid1(VALU_DEP_2)
	v_add_co_u32 v19, vcc_lo, v10, 0
	s_wait_dscnt 0x0
	s_wait_alu 0xfffd
	v_add_co_ci_u32_e64 v20, null, v11, v9, vcc_lo
.LBB215_91:
	s_wait_alu 0xfffe
	s_or_b32 exec_lo, exec_lo, s0
	s_wait_dscnt 0x0
	v_or_b32_e32 v9, 31, v0
	s_mov_b32 s0, exec_lo
	s_delay_alu instid0(VALU_DEP_1)
	v_cmpx_eq_u32_e64 v0, v9
; %bb.92:
	v_lshlrev_b32_e32 v9, 3, v28
	ds_store_b64 v9, v[19:20]
; %bb.93:
	s_wait_alu 0xfffe
	s_or_b32 exec_lo, exec_lo, s0
	s_delay_alu instid0(SALU_CYCLE_1)
	s_mov_b32 s0, exec_lo
	s_wait_loadcnt_dscnt 0x0
	s_barrier_signal -1
	s_barrier_wait -1
	global_inv scope:SCOPE_SE
	v_cmpx_gt_u32_e32 8, v0
	s_cbranch_execz .LBB215_101
; %bb.94:
	v_lshlrev_b32_e32 v11, 3, v0
	s_mov_b32 s1, exec_lo
	ds_load_b64 v[9:10], v11
	s_wait_dscnt 0x0
	v_dual_mov_b32 v13, v9 :: v_dual_and_b32 v12, 7, v33
	v_mov_b32_dpp v15, v9 row_shr:1 row_mask:0xf bank_mask:0xf
	v_mov_b32_dpp v14, v10 row_shr:1 row_mask:0xf bank_mask:0xf
	s_delay_alu instid0(VALU_DEP_3)
	v_cmpx_ne_u32_e32 0, v12
; %bb.95:
	s_delay_alu instid0(VALU_DEP_3) | instskip(SKIP_2) | instid1(VALU_DEP_2)
	v_add_co_u32 v13, vcc_lo, v9, v15
	s_wait_alu 0xfffd
	v_add_co_ci_u32_e64 v10, null, 0, v10, vcc_lo
	v_add_co_u32 v9, vcc_lo, 0, v13
	s_wait_alu 0xfffd
	s_delay_alu instid0(VALU_DEP_2)
	v_add_co_ci_u32_e64 v10, null, v14, v10, vcc_lo
; %bb.96:
	s_wait_alu 0xfffe
	s_or_b32 exec_lo, exec_lo, s1
	v_mov_b32_dpp v15, v13 row_shr:2 row_mask:0xf bank_mask:0xf
	s_delay_alu instid0(VALU_DEP_2)
	v_mov_b32_dpp v14, v10 row_shr:2 row_mask:0xf bank_mask:0xf
	s_mov_b32 s1, exec_lo
	v_cmpx_lt_u32_e32 1, v12
; %bb.97:
	s_delay_alu instid0(VALU_DEP_3) | instskip(SKIP_2) | instid1(VALU_DEP_2)
	v_add_co_u32 v13, vcc_lo, v9, v15
	s_wait_alu 0xfffd
	v_add_co_ci_u32_e64 v10, null, 0, v10, vcc_lo
	v_add_co_u32 v9, vcc_lo, 0, v13
	s_wait_alu 0xfffd
	s_delay_alu instid0(VALU_DEP_2)
	v_add_co_ci_u32_e64 v10, null, v14, v10, vcc_lo
; %bb.98:
	s_wait_alu 0xfffe
	s_or_b32 exec_lo, exec_lo, s1
	v_mov_b32_dpp v14, v13 row_shr:4 row_mask:0xf bank_mask:0xf
	s_delay_alu instid0(VALU_DEP_2)
	v_mov_b32_dpp v13, v10 row_shr:4 row_mask:0xf bank_mask:0xf
	s_mov_b32 s1, exec_lo
	v_cmpx_lt_u32_e32 3, v12
; %bb.99:
	s_delay_alu instid0(VALU_DEP_3) | instskip(SKIP_2) | instid1(VALU_DEP_2)
	v_add_co_u32 v9, vcc_lo, v9, v14
	s_wait_alu 0xfffd
	v_add_co_ci_u32_e64 v10, null, 0, v10, vcc_lo
	v_add_co_u32 v9, vcc_lo, v9, 0
	s_wait_alu 0xfffd
	s_delay_alu instid0(VALU_DEP_2)
	v_add_co_ci_u32_e64 v10, null, v10, v13, vcc_lo
; %bb.100:
	s_wait_alu 0xfffe
	s_or_b32 exec_lo, exec_lo, s1
	ds_store_b64 v11, v[9:10]
.LBB215_101:
	s_wait_alu 0xfffe
	s_or_b32 exec_lo, exec_lo, s0
	v_mov_b32_e32 v13, 0
	v_mov_b32_e32 v14, 0
	s_mov_b32 s0, exec_lo
	s_wait_loadcnt_dscnt 0x0
	s_barrier_signal -1
	s_barrier_wait -1
	global_inv scope:SCOPE_SE
	v_cmpx_lt_u32_e32 31, v0
; %bb.102:
	v_lshl_add_u32 v9, v28, 3, -8
	ds_load_b64 v[13:14], v9
; %bb.103:
	s_wait_alu 0xfffe
	s_or_b32 exec_lo, exec_lo, s0
	v_sub_co_u32 v9, vcc_lo, v33, 1
	v_mov_b32_e32 v12, 0
	s_delay_alu instid0(VALU_DEP_2) | instskip(SKIP_1) | instid1(VALU_DEP_1)
	v_cmp_gt_i32_e64 s0, 0, v9
	s_wait_alu 0xf1ff
	v_cndmask_b32_e64 v9, v9, v33, s0
	s_wait_dscnt 0x0
	v_add_co_u32 v10, s0, v13, v19
	s_wait_alu 0xf1ff
	v_add_co_ci_u32_e64 v11, null, v14, v20, s0
	v_lshlrev_b32_e32 v9, 2, v9
	ds_bpermute_b32 v15, v9, v10
	ds_bpermute_b32 v16, v9, v11
	ds_load_b64 v[9:10], v12 offset:56
	s_and_saveexec_b32 s0, s2
	s_cbranch_execz .LBB215_105
; %bb.104:
	s_add_nc_u64 s[6:7], s[14:15], 0x200
	s_delay_alu instid0(SALU_CYCLE_1)
	v_dual_mov_b32 v11, 2 :: v_dual_mov_b32 v20, s7
	v_mov_b32_e32 v19, s6
	s_wait_dscnt 0x0
	;;#ASMSTART
	global_store_b128 v[19:20], v[9:12] off scope:SCOPE_DEV	
s_wait_storecnt 0x0
	;;#ASMEND
.LBB215_105:
	s_wait_alu 0xfffe
	s_or_b32 exec_lo, exec_lo, s0
	s_wait_dscnt 0x1
	s_wait_alu 0xfffd
	v_dual_cndmask_b32 v11, v15, v13 :: v_dual_cndmask_b32 v12, v16, v14
	s_wait_loadcnt_dscnt 0x0
	s_barrier_signal -1
	s_barrier_wait -1
	s_delay_alu instid0(VALU_DEP_1)
	v_cndmask_b32_e64 v23, v11, 0, s2
	v_cndmask_b32_e64 v24, v12, 0, s2
	v_mov_b32_e32 v11, 0
	v_mov_b32_e32 v12, 0
	global_inv scope:SCOPE_SE
	v_add_co_u32 v21, vcc_lo, v23, v32
	s_wait_alu 0xfffd
	v_add_co_ci_u32_e64 v22, null, 0, v24, vcc_lo
	s_delay_alu instid0(VALU_DEP_2) | instskip(SKIP_1) | instid1(VALU_DEP_2)
	v_add_co_u32 v13, vcc_lo, v21, v31
	s_wait_alu 0xfffd
	v_add_co_ci_u32_e64 v14, null, 0, v22, vcc_lo
	s_delay_alu instid0(VALU_DEP_2) | instskip(SKIP_1) | instid1(VALU_DEP_2)
	v_add_co_u32 v15, vcc_lo, v13, v30
	s_wait_alu 0xfffd
	v_add_co_ci_u32_e64 v16, null, 0, v14, vcc_lo
.LBB215_106:
	v_and_b32_e32 v28, 1, v29
	s_wait_dscnt 0x0
	v_cmp_gt_u64_e32 vcc_lo, 0x101, v[9:10]
	v_lshrrev_b32_e32 v25, 16, v29
	v_lshrrev_b32_e32 v26, 8, v29
	s_mov_b32 s1, -1
	v_cmp_eq_u32_e64 s0, 1, v28
	s_cbranch_vccnz .LBB215_110
; %bb.107:
	s_wait_alu 0xfffe
	s_and_b32 vcc_lo, exec_lo, s1
	s_wait_alu 0xfffe
	s_cbranch_vccnz .LBB215_119
.LBB215_108:
	s_and_b32 s0, s2, s19
	s_wait_alu 0xfffe
	s_and_saveexec_b32 s1, s0
	s_cbranch_execnz .LBB215_131
.LBB215_109:
	s_endpgm
.LBB215_110:
	v_add_co_u32 v19, vcc_lo, v11, v9
	s_wait_alu 0xfffd
	v_add_co_ci_u32_e64 v20, null, v12, v10, vcc_lo
	s_delay_alu instid0(VALU_DEP_1)
	v_cmp_lt_u64_e32 vcc_lo, v[23:24], v[19:20]
	s_or_b32 s1, s20, vcc_lo
	s_wait_alu 0xfffe
	s_and_b32 s1, s1, s0
	s_wait_alu 0xfffe
	s_and_saveexec_b32 s0, s1
	s_cbranch_execz .LBB215_112
; %bb.111:
	v_lshlrev_b64_e32 v[29:30], 3, v[17:18]
	v_lshlrev_b64_e32 v[31:32], 3, v[23:24]
	s_delay_alu instid0(VALU_DEP_2) | instskip(SKIP_1) | instid1(VALU_DEP_3)
	v_add_co_u32 v24, vcc_lo, s12, v29
	s_wait_alu 0xfffd
	v_add_co_ci_u32_e64 v30, null, s13, v30, vcc_lo
	s_delay_alu instid0(VALU_DEP_2) | instskip(SKIP_1) | instid1(VALU_DEP_2)
	v_add_co_u32 v29, vcc_lo, v24, v31
	s_wait_alu 0xfffd
	v_add_co_ci_u32_e64 v30, null, v30, v32, vcc_lo
	global_store_b64 v[29:30], v[5:6], off
.LBB215_112:
	s_wait_alu 0xfffe
	s_or_b32 exec_lo, exec_lo, s0
	v_and_b32_e32 v24, 1, v26
	v_cmp_lt_u64_e32 vcc_lo, v[21:22], v[19:20]
	s_delay_alu instid0(VALU_DEP_2)
	v_cmp_eq_u32_e64 s0, 1, v24
	s_or_b32 s1, s20, vcc_lo
	s_wait_alu 0xfffe
	s_and_b32 s1, s1, s0
	s_wait_alu 0xfffe
	s_and_saveexec_b32 s0, s1
	s_cbranch_execz .LBB215_114
; %bb.113:
	v_lshlrev_b64_e32 v[29:30], 3, v[17:18]
	v_lshlrev_b64_e32 v[31:32], 3, v[21:22]
	s_delay_alu instid0(VALU_DEP_2) | instskip(SKIP_1) | instid1(VALU_DEP_3)
	v_add_co_u32 v22, vcc_lo, s12, v29
	s_wait_alu 0xfffd
	v_add_co_ci_u32_e64 v24, null, s13, v30, vcc_lo
	s_delay_alu instid0(VALU_DEP_2) | instskip(SKIP_1) | instid1(VALU_DEP_2)
	v_add_co_u32 v29, vcc_lo, v22, v31
	s_wait_alu 0xfffd
	v_add_co_ci_u32_e64 v30, null, v24, v32, vcc_lo
	global_store_b64 v[29:30], v[7:8], off
.LBB215_114:
	s_wait_alu 0xfffe
	s_or_b32 exec_lo, exec_lo, s0
	v_and_b32_e32 v22, 1, v25
	v_cmp_lt_u64_e32 vcc_lo, v[13:14], v[19:20]
	s_delay_alu instid0(VALU_DEP_2)
	v_cmp_eq_u32_e64 s0, 1, v22
	;; [unrolled: 25-line block ×3, first 2 shown]
	s_or_b32 s1, s20, vcc_lo
	s_wait_alu 0xfffe
	s_and_b32 s1, s1, s0
	s_wait_alu 0xfffe
	s_and_saveexec_b32 s0, s1
	s_cbranch_execz .LBB215_118
; %bb.117:
	v_lshlrev_b64_e32 v[19:20], 3, v[17:18]
	v_lshlrev_b64_e32 v[29:30], 3, v[15:16]
	s_delay_alu instid0(VALU_DEP_2) | instskip(SKIP_1) | instid1(VALU_DEP_3)
	v_add_co_u32 v14, vcc_lo, s12, v19
	s_wait_alu 0xfffd
	v_add_co_ci_u32_e64 v16, null, s13, v20, vcc_lo
	s_delay_alu instid0(VALU_DEP_2) | instskip(SKIP_1) | instid1(VALU_DEP_2)
	v_add_co_u32 v19, vcc_lo, v14, v29
	s_wait_alu 0xfffd
	v_add_co_ci_u32_e64 v20, null, v16, v30, vcc_lo
	global_store_b64 v[19:20], v[3:4], off
.LBB215_118:
	s_wait_alu 0xfffe
	s_or_b32 exec_lo, exec_lo, s0
	s_branch .LBB215_108
.LBB215_119:
	s_mov_b32 s0, exec_lo
	v_cmpx_eq_u32_e32 1, v28
; %bb.120:
	v_sub_nc_u32_e32 v14, v23, v11
	s_delay_alu instid0(VALU_DEP_1)
	v_lshlrev_b32_e32 v14, 3, v14
	ds_store_b64 v14, v[5:6]
; %bb.121:
	s_wait_alu 0xfffe
	s_or_b32 exec_lo, exec_lo, s0
	v_and_b32_e32 v5, 1, v26
	s_mov_b32 s0, exec_lo
	s_delay_alu instid0(VALU_DEP_1)
	v_cmpx_eq_u32_e32 1, v5
; %bb.122:
	v_sub_nc_u32_e32 v5, v21, v11
	s_delay_alu instid0(VALU_DEP_1)
	v_lshlrev_b32_e32 v5, 3, v5
	ds_store_b64 v5, v[7:8]
; %bb.123:
	s_wait_alu 0xfffe
	s_or_b32 exec_lo, exec_lo, s0
	v_and_b32_e32 v5, 1, v25
	s_mov_b32 s0, exec_lo
	s_delay_alu instid0(VALU_DEP_1)
	;; [unrolled: 12-line block ×3, first 2 shown]
	v_cmpx_eq_u32_e32 1, v1
; %bb.126:
	v_sub_nc_u32_e32 v1, v15, v11
	s_delay_alu instid0(VALU_DEP_1)
	v_lshlrev_b32_e32 v1, 3, v1
	ds_store_b64 v1, v[3:4]
; %bb.127:
	s_wait_alu 0xfffe
	s_or_b32 exec_lo, exec_lo, s0
	v_mov_b32_e32 v1, 0
	s_mov_b32 s1, exec_lo
	s_wait_storecnt 0x0
	s_wait_loadcnt_dscnt 0x0
	s_barrier_signal -1
	s_barrier_wait -1
	global_inv scope:SCOPE_SE
	v_cmpx_gt_u64_e64 v[9:10], v[0:1]
	s_cbranch_execz .LBB215_130
; %bb.128:
	v_lshlrev_b64_e32 v[2:3], 3, v[11:12]
	v_lshlrev_b64_e32 v[4:5], 3, v[17:18]
	s_mov_b32 s3, 0
	s_delay_alu instid0(VALU_DEP_2) | instskip(SKIP_1) | instid1(VALU_DEP_3)
	v_add_co_u32 v6, vcc_lo, s12, v2
	s_wait_alu 0xfffd
	v_add_co_ci_u32_e64 v7, null, s13, v3, vcc_lo
	v_dual_mov_b32 v3, v1 :: v_dual_mov_b32 v2, v0
	s_delay_alu instid0(VALU_DEP_3) | instskip(SKIP_1) | instid1(VALU_DEP_3)
	v_add_co_u32 v4, vcc_lo, v6, v4
	s_wait_alu 0xfffd
	v_add_co_ci_u32_e64 v5, null, v7, v5, vcc_lo
	v_or_b32_e32 v0, 0x100, v0
.LBB215_129:                            ; =>This Inner Loop Header: Depth=1
	v_lshlrev_b32_e32 v6, 3, v2
	v_lshlrev_b64_e32 v[13:14], 3, v[2:3]
	v_mov_b32_e32 v3, v1
	s_delay_alu instid0(VALU_DEP_4)
	v_cmp_le_u64_e32 vcc_lo, v[9:10], v[0:1]
	v_mov_b32_e32 v2, v0
	ds_load_b64 v[6:7], v6
	v_add_nc_u32_e32 v0, 0x100, v0
	v_add_co_u32 v13, s0, v4, v13
	s_wait_alu 0xf1ff
	v_add_co_ci_u32_e64 v14, null, v5, v14, s0
	s_wait_alu 0xfffe
	s_or_b32 s3, vcc_lo, s3
	s_wait_dscnt 0x0
	global_store_b64 v[13:14], v[6:7], off
	s_wait_alu 0xfffe
	s_and_not1_b32 exec_lo, exec_lo, s3
	s_cbranch_execnz .LBB215_129
.LBB215_130:
	s_wait_alu 0xfffe
	s_or_b32 exec_lo, exec_lo, s1
	s_and_b32 s0, s2, s19
	s_wait_alu 0xfffe
	s_and_saveexec_b32 s1, s0
	s_cbranch_execz .LBB215_109
.LBB215_131:
	v_add_co_u32 v0, vcc_lo, v11, v9
	s_wait_alu 0xfffd
	v_add_co_ci_u32_e64 v1, null, v12, v10, vcc_lo
	v_mov_b32_e32 v2, 0
	s_delay_alu instid0(VALU_DEP_3) | instskip(SKIP_1) | instid1(VALU_DEP_3)
	v_add_co_u32 v0, vcc_lo, v0, v17
	s_wait_alu 0xfffd
	v_add_co_ci_u32_e64 v1, null, v1, v18, vcc_lo
	global_store_b64 v2, v[0:1], s[4:5]
	s_endpgm
.LBB215_132:
	global_load_b32 v16, v11, s[0:1] offset:1024
	s_wait_loadcnt 0x0
	v_cmp_ne_u32_e32 vcc_lo, 0, v16
	s_wait_alu 0xfffd
	v_cndmask_b32_e64 v16, 0, 1, vcc_lo
	s_delay_alu instid0(VALU_DEP_1) | instskip(NEXT) | instid1(VALU_DEP_1)
	v_lshlrev_b16 v16, 8, v16
	v_or_b32_e32 v14, v14, v16
	s_delay_alu instid0(VALU_DEP_1) | instskip(SKIP_1) | instid1(SALU_CYCLE_1)
	v_and_b32_e32 v14, 0xffff, v14
	s_or_b32 exec_lo, exec_lo, s6
	s_mov_b32 s6, exec_lo
	v_cmpx_gt_u32_e64 s3, v10
	s_cbranch_execz .LBB215_15
.LBB215_133:
	global_load_b32 v16, v11, s[0:1] offset:2048
	s_wait_loadcnt 0x0
	v_cmp_ne_u32_e32 vcc_lo, 0, v16
	s_wait_alu 0xfffd
	v_cndmask_b32_e64 v16, 0, 1, vcc_lo
	s_delay_alu instid0(VALU_DEP_1)
	v_lshl_or_b32 v14, v16, 16, v14
	s_or_b32 exec_lo, exec_lo, s6
	v_cmp_gt_u32_e32 vcc_lo, s3, v9
	s_and_saveexec_b32 s3, vcc_lo
	s_cbranch_execnz .LBB215_16
	s_branch .LBB215_17
	.section	.rodata,"a",@progbits
	.p2align	6, 0x0
	.amdhsa_kernel _ZN7rocprim17ROCPRIM_400000_NS6detail17trampoline_kernelINS0_14default_configENS1_25partition_config_selectorILNS1_17partition_subalgoE5ElNS0_10empty_typeEbEEZZNS1_14partition_implILS5_5ELb0ES3_mN6hipcub16HIPCUB_304000_NS21CountingInputIteratorIllEEPS6_NSA_22TransformInputIteratorIbN2at6native12_GLOBAL__N_19NonZeroOpIiEEPKilEENS0_5tupleIJPlS6_EEENSN_IJSD_SD_EEES6_PiJS6_EEE10hipError_tPvRmT3_T4_T5_T6_T7_T9_mT8_P12ihipStream_tbDpT10_ENKUlT_T0_E_clISt17integral_constantIbLb0EES1A_IbLb1EEEEDaS16_S17_EUlS16_E_NS1_11comp_targetILNS1_3genE10ELNS1_11target_archE1200ELNS1_3gpuE4ELNS1_3repE0EEENS1_30default_config_static_selectorELNS0_4arch9wavefront6targetE0EEEvT1_
		.amdhsa_group_segment_fixed_size 8464
		.amdhsa_private_segment_fixed_size 0
		.amdhsa_kernarg_size 136
		.amdhsa_user_sgpr_count 2
		.amdhsa_user_sgpr_dispatch_ptr 0
		.amdhsa_user_sgpr_queue_ptr 0
		.amdhsa_user_sgpr_kernarg_segment_ptr 1
		.amdhsa_user_sgpr_dispatch_id 0
		.amdhsa_user_sgpr_private_segment_size 0
		.amdhsa_wavefront_size32 1
		.amdhsa_uses_dynamic_stack 0
		.amdhsa_enable_private_segment 0
		.amdhsa_system_sgpr_workgroup_id_x 1
		.amdhsa_system_sgpr_workgroup_id_y 0
		.amdhsa_system_sgpr_workgroup_id_z 0
		.amdhsa_system_sgpr_workgroup_info 0
		.amdhsa_system_vgpr_workitem_id 0
		.amdhsa_next_free_vgpr 48
		.amdhsa_next_free_sgpr 24
		.amdhsa_reserve_vcc 1
		.amdhsa_float_round_mode_32 0
		.amdhsa_float_round_mode_16_64 0
		.amdhsa_float_denorm_mode_32 3
		.amdhsa_float_denorm_mode_16_64 3
		.amdhsa_fp16_overflow 0
		.amdhsa_workgroup_processor_mode 1
		.amdhsa_memory_ordered 1
		.amdhsa_forward_progress 1
		.amdhsa_inst_pref_size 55
		.amdhsa_round_robin_scheduling 0
		.amdhsa_exception_fp_ieee_invalid_op 0
		.amdhsa_exception_fp_denorm_src 0
		.amdhsa_exception_fp_ieee_div_zero 0
		.amdhsa_exception_fp_ieee_overflow 0
		.amdhsa_exception_fp_ieee_underflow 0
		.amdhsa_exception_fp_ieee_inexact 0
		.amdhsa_exception_int_div_zero 0
	.end_amdhsa_kernel
	.section	.text._ZN7rocprim17ROCPRIM_400000_NS6detail17trampoline_kernelINS0_14default_configENS1_25partition_config_selectorILNS1_17partition_subalgoE5ElNS0_10empty_typeEbEEZZNS1_14partition_implILS5_5ELb0ES3_mN6hipcub16HIPCUB_304000_NS21CountingInputIteratorIllEEPS6_NSA_22TransformInputIteratorIbN2at6native12_GLOBAL__N_19NonZeroOpIiEEPKilEENS0_5tupleIJPlS6_EEENSN_IJSD_SD_EEES6_PiJS6_EEE10hipError_tPvRmT3_T4_T5_T6_T7_T9_mT8_P12ihipStream_tbDpT10_ENKUlT_T0_E_clISt17integral_constantIbLb0EES1A_IbLb1EEEEDaS16_S17_EUlS16_E_NS1_11comp_targetILNS1_3genE10ELNS1_11target_archE1200ELNS1_3gpuE4ELNS1_3repE0EEENS1_30default_config_static_selectorELNS0_4arch9wavefront6targetE0EEEvT1_,"axG",@progbits,_ZN7rocprim17ROCPRIM_400000_NS6detail17trampoline_kernelINS0_14default_configENS1_25partition_config_selectorILNS1_17partition_subalgoE5ElNS0_10empty_typeEbEEZZNS1_14partition_implILS5_5ELb0ES3_mN6hipcub16HIPCUB_304000_NS21CountingInputIteratorIllEEPS6_NSA_22TransformInputIteratorIbN2at6native12_GLOBAL__N_19NonZeroOpIiEEPKilEENS0_5tupleIJPlS6_EEENSN_IJSD_SD_EEES6_PiJS6_EEE10hipError_tPvRmT3_T4_T5_T6_T7_T9_mT8_P12ihipStream_tbDpT10_ENKUlT_T0_E_clISt17integral_constantIbLb0EES1A_IbLb1EEEEDaS16_S17_EUlS16_E_NS1_11comp_targetILNS1_3genE10ELNS1_11target_archE1200ELNS1_3gpuE4ELNS1_3repE0EEENS1_30default_config_static_selectorELNS0_4arch9wavefront6targetE0EEEvT1_,comdat
.Lfunc_end215:
	.size	_ZN7rocprim17ROCPRIM_400000_NS6detail17trampoline_kernelINS0_14default_configENS1_25partition_config_selectorILNS1_17partition_subalgoE5ElNS0_10empty_typeEbEEZZNS1_14partition_implILS5_5ELb0ES3_mN6hipcub16HIPCUB_304000_NS21CountingInputIteratorIllEEPS6_NSA_22TransformInputIteratorIbN2at6native12_GLOBAL__N_19NonZeroOpIiEEPKilEENS0_5tupleIJPlS6_EEENSN_IJSD_SD_EEES6_PiJS6_EEE10hipError_tPvRmT3_T4_T5_T6_T7_T9_mT8_P12ihipStream_tbDpT10_ENKUlT_T0_E_clISt17integral_constantIbLb0EES1A_IbLb1EEEEDaS16_S17_EUlS16_E_NS1_11comp_targetILNS1_3genE10ELNS1_11target_archE1200ELNS1_3gpuE4ELNS1_3repE0EEENS1_30default_config_static_selectorELNS0_4arch9wavefront6targetE0EEEvT1_, .Lfunc_end215-_ZN7rocprim17ROCPRIM_400000_NS6detail17trampoline_kernelINS0_14default_configENS1_25partition_config_selectorILNS1_17partition_subalgoE5ElNS0_10empty_typeEbEEZZNS1_14partition_implILS5_5ELb0ES3_mN6hipcub16HIPCUB_304000_NS21CountingInputIteratorIllEEPS6_NSA_22TransformInputIteratorIbN2at6native12_GLOBAL__N_19NonZeroOpIiEEPKilEENS0_5tupleIJPlS6_EEENSN_IJSD_SD_EEES6_PiJS6_EEE10hipError_tPvRmT3_T4_T5_T6_T7_T9_mT8_P12ihipStream_tbDpT10_ENKUlT_T0_E_clISt17integral_constantIbLb0EES1A_IbLb1EEEEDaS16_S17_EUlS16_E_NS1_11comp_targetILNS1_3genE10ELNS1_11target_archE1200ELNS1_3gpuE4ELNS1_3repE0EEENS1_30default_config_static_selectorELNS0_4arch9wavefront6targetE0EEEvT1_
                                        ; -- End function
	.set _ZN7rocprim17ROCPRIM_400000_NS6detail17trampoline_kernelINS0_14default_configENS1_25partition_config_selectorILNS1_17partition_subalgoE5ElNS0_10empty_typeEbEEZZNS1_14partition_implILS5_5ELb0ES3_mN6hipcub16HIPCUB_304000_NS21CountingInputIteratorIllEEPS6_NSA_22TransformInputIteratorIbN2at6native12_GLOBAL__N_19NonZeroOpIiEEPKilEENS0_5tupleIJPlS6_EEENSN_IJSD_SD_EEES6_PiJS6_EEE10hipError_tPvRmT3_T4_T5_T6_T7_T9_mT8_P12ihipStream_tbDpT10_ENKUlT_T0_E_clISt17integral_constantIbLb0EES1A_IbLb1EEEEDaS16_S17_EUlS16_E_NS1_11comp_targetILNS1_3genE10ELNS1_11target_archE1200ELNS1_3gpuE4ELNS1_3repE0EEENS1_30default_config_static_selectorELNS0_4arch9wavefront6targetE0EEEvT1_.num_vgpr, 48
	.set _ZN7rocprim17ROCPRIM_400000_NS6detail17trampoline_kernelINS0_14default_configENS1_25partition_config_selectorILNS1_17partition_subalgoE5ElNS0_10empty_typeEbEEZZNS1_14partition_implILS5_5ELb0ES3_mN6hipcub16HIPCUB_304000_NS21CountingInputIteratorIllEEPS6_NSA_22TransformInputIteratorIbN2at6native12_GLOBAL__N_19NonZeroOpIiEEPKilEENS0_5tupleIJPlS6_EEENSN_IJSD_SD_EEES6_PiJS6_EEE10hipError_tPvRmT3_T4_T5_T6_T7_T9_mT8_P12ihipStream_tbDpT10_ENKUlT_T0_E_clISt17integral_constantIbLb0EES1A_IbLb1EEEEDaS16_S17_EUlS16_E_NS1_11comp_targetILNS1_3genE10ELNS1_11target_archE1200ELNS1_3gpuE4ELNS1_3repE0EEENS1_30default_config_static_selectorELNS0_4arch9wavefront6targetE0EEEvT1_.num_agpr, 0
	.set _ZN7rocprim17ROCPRIM_400000_NS6detail17trampoline_kernelINS0_14default_configENS1_25partition_config_selectorILNS1_17partition_subalgoE5ElNS0_10empty_typeEbEEZZNS1_14partition_implILS5_5ELb0ES3_mN6hipcub16HIPCUB_304000_NS21CountingInputIteratorIllEEPS6_NSA_22TransformInputIteratorIbN2at6native12_GLOBAL__N_19NonZeroOpIiEEPKilEENS0_5tupleIJPlS6_EEENSN_IJSD_SD_EEES6_PiJS6_EEE10hipError_tPvRmT3_T4_T5_T6_T7_T9_mT8_P12ihipStream_tbDpT10_ENKUlT_T0_E_clISt17integral_constantIbLb0EES1A_IbLb1EEEEDaS16_S17_EUlS16_E_NS1_11comp_targetILNS1_3genE10ELNS1_11target_archE1200ELNS1_3gpuE4ELNS1_3repE0EEENS1_30default_config_static_selectorELNS0_4arch9wavefront6targetE0EEEvT1_.numbered_sgpr, 24
	.set _ZN7rocprim17ROCPRIM_400000_NS6detail17trampoline_kernelINS0_14default_configENS1_25partition_config_selectorILNS1_17partition_subalgoE5ElNS0_10empty_typeEbEEZZNS1_14partition_implILS5_5ELb0ES3_mN6hipcub16HIPCUB_304000_NS21CountingInputIteratorIllEEPS6_NSA_22TransformInputIteratorIbN2at6native12_GLOBAL__N_19NonZeroOpIiEEPKilEENS0_5tupleIJPlS6_EEENSN_IJSD_SD_EEES6_PiJS6_EEE10hipError_tPvRmT3_T4_T5_T6_T7_T9_mT8_P12ihipStream_tbDpT10_ENKUlT_T0_E_clISt17integral_constantIbLb0EES1A_IbLb1EEEEDaS16_S17_EUlS16_E_NS1_11comp_targetILNS1_3genE10ELNS1_11target_archE1200ELNS1_3gpuE4ELNS1_3repE0EEENS1_30default_config_static_selectorELNS0_4arch9wavefront6targetE0EEEvT1_.num_named_barrier, 0
	.set _ZN7rocprim17ROCPRIM_400000_NS6detail17trampoline_kernelINS0_14default_configENS1_25partition_config_selectorILNS1_17partition_subalgoE5ElNS0_10empty_typeEbEEZZNS1_14partition_implILS5_5ELb0ES3_mN6hipcub16HIPCUB_304000_NS21CountingInputIteratorIllEEPS6_NSA_22TransformInputIteratorIbN2at6native12_GLOBAL__N_19NonZeroOpIiEEPKilEENS0_5tupleIJPlS6_EEENSN_IJSD_SD_EEES6_PiJS6_EEE10hipError_tPvRmT3_T4_T5_T6_T7_T9_mT8_P12ihipStream_tbDpT10_ENKUlT_T0_E_clISt17integral_constantIbLb0EES1A_IbLb1EEEEDaS16_S17_EUlS16_E_NS1_11comp_targetILNS1_3genE10ELNS1_11target_archE1200ELNS1_3gpuE4ELNS1_3repE0EEENS1_30default_config_static_selectorELNS0_4arch9wavefront6targetE0EEEvT1_.private_seg_size, 0
	.set _ZN7rocprim17ROCPRIM_400000_NS6detail17trampoline_kernelINS0_14default_configENS1_25partition_config_selectorILNS1_17partition_subalgoE5ElNS0_10empty_typeEbEEZZNS1_14partition_implILS5_5ELb0ES3_mN6hipcub16HIPCUB_304000_NS21CountingInputIteratorIllEEPS6_NSA_22TransformInputIteratorIbN2at6native12_GLOBAL__N_19NonZeroOpIiEEPKilEENS0_5tupleIJPlS6_EEENSN_IJSD_SD_EEES6_PiJS6_EEE10hipError_tPvRmT3_T4_T5_T6_T7_T9_mT8_P12ihipStream_tbDpT10_ENKUlT_T0_E_clISt17integral_constantIbLb0EES1A_IbLb1EEEEDaS16_S17_EUlS16_E_NS1_11comp_targetILNS1_3genE10ELNS1_11target_archE1200ELNS1_3gpuE4ELNS1_3repE0EEENS1_30default_config_static_selectorELNS0_4arch9wavefront6targetE0EEEvT1_.uses_vcc, 1
	.set _ZN7rocprim17ROCPRIM_400000_NS6detail17trampoline_kernelINS0_14default_configENS1_25partition_config_selectorILNS1_17partition_subalgoE5ElNS0_10empty_typeEbEEZZNS1_14partition_implILS5_5ELb0ES3_mN6hipcub16HIPCUB_304000_NS21CountingInputIteratorIllEEPS6_NSA_22TransformInputIteratorIbN2at6native12_GLOBAL__N_19NonZeroOpIiEEPKilEENS0_5tupleIJPlS6_EEENSN_IJSD_SD_EEES6_PiJS6_EEE10hipError_tPvRmT3_T4_T5_T6_T7_T9_mT8_P12ihipStream_tbDpT10_ENKUlT_T0_E_clISt17integral_constantIbLb0EES1A_IbLb1EEEEDaS16_S17_EUlS16_E_NS1_11comp_targetILNS1_3genE10ELNS1_11target_archE1200ELNS1_3gpuE4ELNS1_3repE0EEENS1_30default_config_static_selectorELNS0_4arch9wavefront6targetE0EEEvT1_.uses_flat_scratch, 0
	.set _ZN7rocprim17ROCPRIM_400000_NS6detail17trampoline_kernelINS0_14default_configENS1_25partition_config_selectorILNS1_17partition_subalgoE5ElNS0_10empty_typeEbEEZZNS1_14partition_implILS5_5ELb0ES3_mN6hipcub16HIPCUB_304000_NS21CountingInputIteratorIllEEPS6_NSA_22TransformInputIteratorIbN2at6native12_GLOBAL__N_19NonZeroOpIiEEPKilEENS0_5tupleIJPlS6_EEENSN_IJSD_SD_EEES6_PiJS6_EEE10hipError_tPvRmT3_T4_T5_T6_T7_T9_mT8_P12ihipStream_tbDpT10_ENKUlT_T0_E_clISt17integral_constantIbLb0EES1A_IbLb1EEEEDaS16_S17_EUlS16_E_NS1_11comp_targetILNS1_3genE10ELNS1_11target_archE1200ELNS1_3gpuE4ELNS1_3repE0EEENS1_30default_config_static_selectorELNS0_4arch9wavefront6targetE0EEEvT1_.has_dyn_sized_stack, 0
	.set _ZN7rocprim17ROCPRIM_400000_NS6detail17trampoline_kernelINS0_14default_configENS1_25partition_config_selectorILNS1_17partition_subalgoE5ElNS0_10empty_typeEbEEZZNS1_14partition_implILS5_5ELb0ES3_mN6hipcub16HIPCUB_304000_NS21CountingInputIteratorIllEEPS6_NSA_22TransformInputIteratorIbN2at6native12_GLOBAL__N_19NonZeroOpIiEEPKilEENS0_5tupleIJPlS6_EEENSN_IJSD_SD_EEES6_PiJS6_EEE10hipError_tPvRmT3_T4_T5_T6_T7_T9_mT8_P12ihipStream_tbDpT10_ENKUlT_T0_E_clISt17integral_constantIbLb0EES1A_IbLb1EEEEDaS16_S17_EUlS16_E_NS1_11comp_targetILNS1_3genE10ELNS1_11target_archE1200ELNS1_3gpuE4ELNS1_3repE0EEENS1_30default_config_static_selectorELNS0_4arch9wavefront6targetE0EEEvT1_.has_recursion, 0
	.set _ZN7rocprim17ROCPRIM_400000_NS6detail17trampoline_kernelINS0_14default_configENS1_25partition_config_selectorILNS1_17partition_subalgoE5ElNS0_10empty_typeEbEEZZNS1_14partition_implILS5_5ELb0ES3_mN6hipcub16HIPCUB_304000_NS21CountingInputIteratorIllEEPS6_NSA_22TransformInputIteratorIbN2at6native12_GLOBAL__N_19NonZeroOpIiEEPKilEENS0_5tupleIJPlS6_EEENSN_IJSD_SD_EEES6_PiJS6_EEE10hipError_tPvRmT3_T4_T5_T6_T7_T9_mT8_P12ihipStream_tbDpT10_ENKUlT_T0_E_clISt17integral_constantIbLb0EES1A_IbLb1EEEEDaS16_S17_EUlS16_E_NS1_11comp_targetILNS1_3genE10ELNS1_11target_archE1200ELNS1_3gpuE4ELNS1_3repE0EEENS1_30default_config_static_selectorELNS0_4arch9wavefront6targetE0EEEvT1_.has_indirect_call, 0
	.section	.AMDGPU.csdata,"",@progbits
; Kernel info:
; codeLenInByte = 6920
; TotalNumSgprs: 26
; NumVgprs: 48
; ScratchSize: 0
; MemoryBound: 0
; FloatMode: 240
; IeeeMode: 1
; LDSByteSize: 8464 bytes/workgroup (compile time only)
; SGPRBlocks: 0
; VGPRBlocks: 5
; NumSGPRsForWavesPerEU: 26
; NumVGPRsForWavesPerEU: 48
; Occupancy: 16
; WaveLimiterHint : 1
; COMPUTE_PGM_RSRC2:SCRATCH_EN: 0
; COMPUTE_PGM_RSRC2:USER_SGPR: 2
; COMPUTE_PGM_RSRC2:TRAP_HANDLER: 0
; COMPUTE_PGM_RSRC2:TGID_X_EN: 1
; COMPUTE_PGM_RSRC2:TGID_Y_EN: 0
; COMPUTE_PGM_RSRC2:TGID_Z_EN: 0
; COMPUTE_PGM_RSRC2:TIDIG_COMP_CNT: 0
	.section	.text._ZN7rocprim17ROCPRIM_400000_NS6detail17trampoline_kernelINS0_14default_configENS1_25partition_config_selectorILNS1_17partition_subalgoE5ElNS0_10empty_typeEbEEZZNS1_14partition_implILS5_5ELb0ES3_mN6hipcub16HIPCUB_304000_NS21CountingInputIteratorIllEEPS6_NSA_22TransformInputIteratorIbN2at6native12_GLOBAL__N_19NonZeroOpIiEEPKilEENS0_5tupleIJPlS6_EEENSN_IJSD_SD_EEES6_PiJS6_EEE10hipError_tPvRmT3_T4_T5_T6_T7_T9_mT8_P12ihipStream_tbDpT10_ENKUlT_T0_E_clISt17integral_constantIbLb0EES1A_IbLb1EEEEDaS16_S17_EUlS16_E_NS1_11comp_targetILNS1_3genE9ELNS1_11target_archE1100ELNS1_3gpuE3ELNS1_3repE0EEENS1_30default_config_static_selectorELNS0_4arch9wavefront6targetE0EEEvT1_,"axG",@progbits,_ZN7rocprim17ROCPRIM_400000_NS6detail17trampoline_kernelINS0_14default_configENS1_25partition_config_selectorILNS1_17partition_subalgoE5ElNS0_10empty_typeEbEEZZNS1_14partition_implILS5_5ELb0ES3_mN6hipcub16HIPCUB_304000_NS21CountingInputIteratorIllEEPS6_NSA_22TransformInputIteratorIbN2at6native12_GLOBAL__N_19NonZeroOpIiEEPKilEENS0_5tupleIJPlS6_EEENSN_IJSD_SD_EEES6_PiJS6_EEE10hipError_tPvRmT3_T4_T5_T6_T7_T9_mT8_P12ihipStream_tbDpT10_ENKUlT_T0_E_clISt17integral_constantIbLb0EES1A_IbLb1EEEEDaS16_S17_EUlS16_E_NS1_11comp_targetILNS1_3genE9ELNS1_11target_archE1100ELNS1_3gpuE3ELNS1_3repE0EEENS1_30default_config_static_selectorELNS0_4arch9wavefront6targetE0EEEvT1_,comdat
	.globl	_ZN7rocprim17ROCPRIM_400000_NS6detail17trampoline_kernelINS0_14default_configENS1_25partition_config_selectorILNS1_17partition_subalgoE5ElNS0_10empty_typeEbEEZZNS1_14partition_implILS5_5ELb0ES3_mN6hipcub16HIPCUB_304000_NS21CountingInputIteratorIllEEPS6_NSA_22TransformInputIteratorIbN2at6native12_GLOBAL__N_19NonZeroOpIiEEPKilEENS0_5tupleIJPlS6_EEENSN_IJSD_SD_EEES6_PiJS6_EEE10hipError_tPvRmT3_T4_T5_T6_T7_T9_mT8_P12ihipStream_tbDpT10_ENKUlT_T0_E_clISt17integral_constantIbLb0EES1A_IbLb1EEEEDaS16_S17_EUlS16_E_NS1_11comp_targetILNS1_3genE9ELNS1_11target_archE1100ELNS1_3gpuE3ELNS1_3repE0EEENS1_30default_config_static_selectorELNS0_4arch9wavefront6targetE0EEEvT1_ ; -- Begin function _ZN7rocprim17ROCPRIM_400000_NS6detail17trampoline_kernelINS0_14default_configENS1_25partition_config_selectorILNS1_17partition_subalgoE5ElNS0_10empty_typeEbEEZZNS1_14partition_implILS5_5ELb0ES3_mN6hipcub16HIPCUB_304000_NS21CountingInputIteratorIllEEPS6_NSA_22TransformInputIteratorIbN2at6native12_GLOBAL__N_19NonZeroOpIiEEPKilEENS0_5tupleIJPlS6_EEENSN_IJSD_SD_EEES6_PiJS6_EEE10hipError_tPvRmT3_T4_T5_T6_T7_T9_mT8_P12ihipStream_tbDpT10_ENKUlT_T0_E_clISt17integral_constantIbLb0EES1A_IbLb1EEEEDaS16_S17_EUlS16_E_NS1_11comp_targetILNS1_3genE9ELNS1_11target_archE1100ELNS1_3gpuE3ELNS1_3repE0EEENS1_30default_config_static_selectorELNS0_4arch9wavefront6targetE0EEEvT1_
	.p2align	8
	.type	_ZN7rocprim17ROCPRIM_400000_NS6detail17trampoline_kernelINS0_14default_configENS1_25partition_config_selectorILNS1_17partition_subalgoE5ElNS0_10empty_typeEbEEZZNS1_14partition_implILS5_5ELb0ES3_mN6hipcub16HIPCUB_304000_NS21CountingInputIteratorIllEEPS6_NSA_22TransformInputIteratorIbN2at6native12_GLOBAL__N_19NonZeroOpIiEEPKilEENS0_5tupleIJPlS6_EEENSN_IJSD_SD_EEES6_PiJS6_EEE10hipError_tPvRmT3_T4_T5_T6_T7_T9_mT8_P12ihipStream_tbDpT10_ENKUlT_T0_E_clISt17integral_constantIbLb0EES1A_IbLb1EEEEDaS16_S17_EUlS16_E_NS1_11comp_targetILNS1_3genE9ELNS1_11target_archE1100ELNS1_3gpuE3ELNS1_3repE0EEENS1_30default_config_static_selectorELNS0_4arch9wavefront6targetE0EEEvT1_,@function
_ZN7rocprim17ROCPRIM_400000_NS6detail17trampoline_kernelINS0_14default_configENS1_25partition_config_selectorILNS1_17partition_subalgoE5ElNS0_10empty_typeEbEEZZNS1_14partition_implILS5_5ELb0ES3_mN6hipcub16HIPCUB_304000_NS21CountingInputIteratorIllEEPS6_NSA_22TransformInputIteratorIbN2at6native12_GLOBAL__N_19NonZeroOpIiEEPKilEENS0_5tupleIJPlS6_EEENSN_IJSD_SD_EEES6_PiJS6_EEE10hipError_tPvRmT3_T4_T5_T6_T7_T9_mT8_P12ihipStream_tbDpT10_ENKUlT_T0_E_clISt17integral_constantIbLb0EES1A_IbLb1EEEEDaS16_S17_EUlS16_E_NS1_11comp_targetILNS1_3genE9ELNS1_11target_archE1100ELNS1_3gpuE3ELNS1_3repE0EEENS1_30default_config_static_selectorELNS0_4arch9wavefront6targetE0EEEvT1_: ; @_ZN7rocprim17ROCPRIM_400000_NS6detail17trampoline_kernelINS0_14default_configENS1_25partition_config_selectorILNS1_17partition_subalgoE5ElNS0_10empty_typeEbEEZZNS1_14partition_implILS5_5ELb0ES3_mN6hipcub16HIPCUB_304000_NS21CountingInputIteratorIllEEPS6_NSA_22TransformInputIteratorIbN2at6native12_GLOBAL__N_19NonZeroOpIiEEPKilEENS0_5tupleIJPlS6_EEENSN_IJSD_SD_EEES6_PiJS6_EEE10hipError_tPvRmT3_T4_T5_T6_T7_T9_mT8_P12ihipStream_tbDpT10_ENKUlT_T0_E_clISt17integral_constantIbLb0EES1A_IbLb1EEEEDaS16_S17_EUlS16_E_NS1_11comp_targetILNS1_3genE9ELNS1_11target_archE1100ELNS1_3gpuE3ELNS1_3repE0EEENS1_30default_config_static_selectorELNS0_4arch9wavefront6targetE0EEEvT1_
; %bb.0:
	.section	.rodata,"a",@progbits
	.p2align	6, 0x0
	.amdhsa_kernel _ZN7rocprim17ROCPRIM_400000_NS6detail17trampoline_kernelINS0_14default_configENS1_25partition_config_selectorILNS1_17partition_subalgoE5ElNS0_10empty_typeEbEEZZNS1_14partition_implILS5_5ELb0ES3_mN6hipcub16HIPCUB_304000_NS21CountingInputIteratorIllEEPS6_NSA_22TransformInputIteratorIbN2at6native12_GLOBAL__N_19NonZeroOpIiEEPKilEENS0_5tupleIJPlS6_EEENSN_IJSD_SD_EEES6_PiJS6_EEE10hipError_tPvRmT3_T4_T5_T6_T7_T9_mT8_P12ihipStream_tbDpT10_ENKUlT_T0_E_clISt17integral_constantIbLb0EES1A_IbLb1EEEEDaS16_S17_EUlS16_E_NS1_11comp_targetILNS1_3genE9ELNS1_11target_archE1100ELNS1_3gpuE3ELNS1_3repE0EEENS1_30default_config_static_selectorELNS0_4arch9wavefront6targetE0EEEvT1_
		.amdhsa_group_segment_fixed_size 0
		.amdhsa_private_segment_fixed_size 0
		.amdhsa_kernarg_size 136
		.amdhsa_user_sgpr_count 2
		.amdhsa_user_sgpr_dispatch_ptr 0
		.amdhsa_user_sgpr_queue_ptr 0
		.amdhsa_user_sgpr_kernarg_segment_ptr 1
		.amdhsa_user_sgpr_dispatch_id 0
		.amdhsa_user_sgpr_private_segment_size 0
		.amdhsa_wavefront_size32 1
		.amdhsa_uses_dynamic_stack 0
		.amdhsa_enable_private_segment 0
		.amdhsa_system_sgpr_workgroup_id_x 1
		.amdhsa_system_sgpr_workgroup_id_y 0
		.amdhsa_system_sgpr_workgroup_id_z 0
		.amdhsa_system_sgpr_workgroup_info 0
		.amdhsa_system_vgpr_workitem_id 0
		.amdhsa_next_free_vgpr 1
		.amdhsa_next_free_sgpr 1
		.amdhsa_reserve_vcc 0
		.amdhsa_float_round_mode_32 0
		.amdhsa_float_round_mode_16_64 0
		.amdhsa_float_denorm_mode_32 3
		.amdhsa_float_denorm_mode_16_64 3
		.amdhsa_fp16_overflow 0
		.amdhsa_workgroup_processor_mode 1
		.amdhsa_memory_ordered 1
		.amdhsa_forward_progress 1
		.amdhsa_inst_pref_size 0
		.amdhsa_round_robin_scheduling 0
		.amdhsa_exception_fp_ieee_invalid_op 0
		.amdhsa_exception_fp_denorm_src 0
		.amdhsa_exception_fp_ieee_div_zero 0
		.amdhsa_exception_fp_ieee_overflow 0
		.amdhsa_exception_fp_ieee_underflow 0
		.amdhsa_exception_fp_ieee_inexact 0
		.amdhsa_exception_int_div_zero 0
	.end_amdhsa_kernel
	.section	.text._ZN7rocprim17ROCPRIM_400000_NS6detail17trampoline_kernelINS0_14default_configENS1_25partition_config_selectorILNS1_17partition_subalgoE5ElNS0_10empty_typeEbEEZZNS1_14partition_implILS5_5ELb0ES3_mN6hipcub16HIPCUB_304000_NS21CountingInputIteratorIllEEPS6_NSA_22TransformInputIteratorIbN2at6native12_GLOBAL__N_19NonZeroOpIiEEPKilEENS0_5tupleIJPlS6_EEENSN_IJSD_SD_EEES6_PiJS6_EEE10hipError_tPvRmT3_T4_T5_T6_T7_T9_mT8_P12ihipStream_tbDpT10_ENKUlT_T0_E_clISt17integral_constantIbLb0EES1A_IbLb1EEEEDaS16_S17_EUlS16_E_NS1_11comp_targetILNS1_3genE9ELNS1_11target_archE1100ELNS1_3gpuE3ELNS1_3repE0EEENS1_30default_config_static_selectorELNS0_4arch9wavefront6targetE0EEEvT1_,"axG",@progbits,_ZN7rocprim17ROCPRIM_400000_NS6detail17trampoline_kernelINS0_14default_configENS1_25partition_config_selectorILNS1_17partition_subalgoE5ElNS0_10empty_typeEbEEZZNS1_14partition_implILS5_5ELb0ES3_mN6hipcub16HIPCUB_304000_NS21CountingInputIteratorIllEEPS6_NSA_22TransformInputIteratorIbN2at6native12_GLOBAL__N_19NonZeroOpIiEEPKilEENS0_5tupleIJPlS6_EEENSN_IJSD_SD_EEES6_PiJS6_EEE10hipError_tPvRmT3_T4_T5_T6_T7_T9_mT8_P12ihipStream_tbDpT10_ENKUlT_T0_E_clISt17integral_constantIbLb0EES1A_IbLb1EEEEDaS16_S17_EUlS16_E_NS1_11comp_targetILNS1_3genE9ELNS1_11target_archE1100ELNS1_3gpuE3ELNS1_3repE0EEENS1_30default_config_static_selectorELNS0_4arch9wavefront6targetE0EEEvT1_,comdat
.Lfunc_end216:
	.size	_ZN7rocprim17ROCPRIM_400000_NS6detail17trampoline_kernelINS0_14default_configENS1_25partition_config_selectorILNS1_17partition_subalgoE5ElNS0_10empty_typeEbEEZZNS1_14partition_implILS5_5ELb0ES3_mN6hipcub16HIPCUB_304000_NS21CountingInputIteratorIllEEPS6_NSA_22TransformInputIteratorIbN2at6native12_GLOBAL__N_19NonZeroOpIiEEPKilEENS0_5tupleIJPlS6_EEENSN_IJSD_SD_EEES6_PiJS6_EEE10hipError_tPvRmT3_T4_T5_T6_T7_T9_mT8_P12ihipStream_tbDpT10_ENKUlT_T0_E_clISt17integral_constantIbLb0EES1A_IbLb1EEEEDaS16_S17_EUlS16_E_NS1_11comp_targetILNS1_3genE9ELNS1_11target_archE1100ELNS1_3gpuE3ELNS1_3repE0EEENS1_30default_config_static_selectorELNS0_4arch9wavefront6targetE0EEEvT1_, .Lfunc_end216-_ZN7rocprim17ROCPRIM_400000_NS6detail17trampoline_kernelINS0_14default_configENS1_25partition_config_selectorILNS1_17partition_subalgoE5ElNS0_10empty_typeEbEEZZNS1_14partition_implILS5_5ELb0ES3_mN6hipcub16HIPCUB_304000_NS21CountingInputIteratorIllEEPS6_NSA_22TransformInputIteratorIbN2at6native12_GLOBAL__N_19NonZeroOpIiEEPKilEENS0_5tupleIJPlS6_EEENSN_IJSD_SD_EEES6_PiJS6_EEE10hipError_tPvRmT3_T4_T5_T6_T7_T9_mT8_P12ihipStream_tbDpT10_ENKUlT_T0_E_clISt17integral_constantIbLb0EES1A_IbLb1EEEEDaS16_S17_EUlS16_E_NS1_11comp_targetILNS1_3genE9ELNS1_11target_archE1100ELNS1_3gpuE3ELNS1_3repE0EEENS1_30default_config_static_selectorELNS0_4arch9wavefront6targetE0EEEvT1_
                                        ; -- End function
	.set _ZN7rocprim17ROCPRIM_400000_NS6detail17trampoline_kernelINS0_14default_configENS1_25partition_config_selectorILNS1_17partition_subalgoE5ElNS0_10empty_typeEbEEZZNS1_14partition_implILS5_5ELb0ES3_mN6hipcub16HIPCUB_304000_NS21CountingInputIteratorIllEEPS6_NSA_22TransformInputIteratorIbN2at6native12_GLOBAL__N_19NonZeroOpIiEEPKilEENS0_5tupleIJPlS6_EEENSN_IJSD_SD_EEES6_PiJS6_EEE10hipError_tPvRmT3_T4_T5_T6_T7_T9_mT8_P12ihipStream_tbDpT10_ENKUlT_T0_E_clISt17integral_constantIbLb0EES1A_IbLb1EEEEDaS16_S17_EUlS16_E_NS1_11comp_targetILNS1_3genE9ELNS1_11target_archE1100ELNS1_3gpuE3ELNS1_3repE0EEENS1_30default_config_static_selectorELNS0_4arch9wavefront6targetE0EEEvT1_.num_vgpr, 0
	.set _ZN7rocprim17ROCPRIM_400000_NS6detail17trampoline_kernelINS0_14default_configENS1_25partition_config_selectorILNS1_17partition_subalgoE5ElNS0_10empty_typeEbEEZZNS1_14partition_implILS5_5ELb0ES3_mN6hipcub16HIPCUB_304000_NS21CountingInputIteratorIllEEPS6_NSA_22TransformInputIteratorIbN2at6native12_GLOBAL__N_19NonZeroOpIiEEPKilEENS0_5tupleIJPlS6_EEENSN_IJSD_SD_EEES6_PiJS6_EEE10hipError_tPvRmT3_T4_T5_T6_T7_T9_mT8_P12ihipStream_tbDpT10_ENKUlT_T0_E_clISt17integral_constantIbLb0EES1A_IbLb1EEEEDaS16_S17_EUlS16_E_NS1_11comp_targetILNS1_3genE9ELNS1_11target_archE1100ELNS1_3gpuE3ELNS1_3repE0EEENS1_30default_config_static_selectorELNS0_4arch9wavefront6targetE0EEEvT1_.num_agpr, 0
	.set _ZN7rocprim17ROCPRIM_400000_NS6detail17trampoline_kernelINS0_14default_configENS1_25partition_config_selectorILNS1_17partition_subalgoE5ElNS0_10empty_typeEbEEZZNS1_14partition_implILS5_5ELb0ES3_mN6hipcub16HIPCUB_304000_NS21CountingInputIteratorIllEEPS6_NSA_22TransformInputIteratorIbN2at6native12_GLOBAL__N_19NonZeroOpIiEEPKilEENS0_5tupleIJPlS6_EEENSN_IJSD_SD_EEES6_PiJS6_EEE10hipError_tPvRmT3_T4_T5_T6_T7_T9_mT8_P12ihipStream_tbDpT10_ENKUlT_T0_E_clISt17integral_constantIbLb0EES1A_IbLb1EEEEDaS16_S17_EUlS16_E_NS1_11comp_targetILNS1_3genE9ELNS1_11target_archE1100ELNS1_3gpuE3ELNS1_3repE0EEENS1_30default_config_static_selectorELNS0_4arch9wavefront6targetE0EEEvT1_.numbered_sgpr, 0
	.set _ZN7rocprim17ROCPRIM_400000_NS6detail17trampoline_kernelINS0_14default_configENS1_25partition_config_selectorILNS1_17partition_subalgoE5ElNS0_10empty_typeEbEEZZNS1_14partition_implILS5_5ELb0ES3_mN6hipcub16HIPCUB_304000_NS21CountingInputIteratorIllEEPS6_NSA_22TransformInputIteratorIbN2at6native12_GLOBAL__N_19NonZeroOpIiEEPKilEENS0_5tupleIJPlS6_EEENSN_IJSD_SD_EEES6_PiJS6_EEE10hipError_tPvRmT3_T4_T5_T6_T7_T9_mT8_P12ihipStream_tbDpT10_ENKUlT_T0_E_clISt17integral_constantIbLb0EES1A_IbLb1EEEEDaS16_S17_EUlS16_E_NS1_11comp_targetILNS1_3genE9ELNS1_11target_archE1100ELNS1_3gpuE3ELNS1_3repE0EEENS1_30default_config_static_selectorELNS0_4arch9wavefront6targetE0EEEvT1_.num_named_barrier, 0
	.set _ZN7rocprim17ROCPRIM_400000_NS6detail17trampoline_kernelINS0_14default_configENS1_25partition_config_selectorILNS1_17partition_subalgoE5ElNS0_10empty_typeEbEEZZNS1_14partition_implILS5_5ELb0ES3_mN6hipcub16HIPCUB_304000_NS21CountingInputIteratorIllEEPS6_NSA_22TransformInputIteratorIbN2at6native12_GLOBAL__N_19NonZeroOpIiEEPKilEENS0_5tupleIJPlS6_EEENSN_IJSD_SD_EEES6_PiJS6_EEE10hipError_tPvRmT3_T4_T5_T6_T7_T9_mT8_P12ihipStream_tbDpT10_ENKUlT_T0_E_clISt17integral_constantIbLb0EES1A_IbLb1EEEEDaS16_S17_EUlS16_E_NS1_11comp_targetILNS1_3genE9ELNS1_11target_archE1100ELNS1_3gpuE3ELNS1_3repE0EEENS1_30default_config_static_selectorELNS0_4arch9wavefront6targetE0EEEvT1_.private_seg_size, 0
	.set _ZN7rocprim17ROCPRIM_400000_NS6detail17trampoline_kernelINS0_14default_configENS1_25partition_config_selectorILNS1_17partition_subalgoE5ElNS0_10empty_typeEbEEZZNS1_14partition_implILS5_5ELb0ES3_mN6hipcub16HIPCUB_304000_NS21CountingInputIteratorIllEEPS6_NSA_22TransformInputIteratorIbN2at6native12_GLOBAL__N_19NonZeroOpIiEEPKilEENS0_5tupleIJPlS6_EEENSN_IJSD_SD_EEES6_PiJS6_EEE10hipError_tPvRmT3_T4_T5_T6_T7_T9_mT8_P12ihipStream_tbDpT10_ENKUlT_T0_E_clISt17integral_constantIbLb0EES1A_IbLb1EEEEDaS16_S17_EUlS16_E_NS1_11comp_targetILNS1_3genE9ELNS1_11target_archE1100ELNS1_3gpuE3ELNS1_3repE0EEENS1_30default_config_static_selectorELNS0_4arch9wavefront6targetE0EEEvT1_.uses_vcc, 0
	.set _ZN7rocprim17ROCPRIM_400000_NS6detail17trampoline_kernelINS0_14default_configENS1_25partition_config_selectorILNS1_17partition_subalgoE5ElNS0_10empty_typeEbEEZZNS1_14partition_implILS5_5ELb0ES3_mN6hipcub16HIPCUB_304000_NS21CountingInputIteratorIllEEPS6_NSA_22TransformInputIteratorIbN2at6native12_GLOBAL__N_19NonZeroOpIiEEPKilEENS0_5tupleIJPlS6_EEENSN_IJSD_SD_EEES6_PiJS6_EEE10hipError_tPvRmT3_T4_T5_T6_T7_T9_mT8_P12ihipStream_tbDpT10_ENKUlT_T0_E_clISt17integral_constantIbLb0EES1A_IbLb1EEEEDaS16_S17_EUlS16_E_NS1_11comp_targetILNS1_3genE9ELNS1_11target_archE1100ELNS1_3gpuE3ELNS1_3repE0EEENS1_30default_config_static_selectorELNS0_4arch9wavefront6targetE0EEEvT1_.uses_flat_scratch, 0
	.set _ZN7rocprim17ROCPRIM_400000_NS6detail17trampoline_kernelINS0_14default_configENS1_25partition_config_selectorILNS1_17partition_subalgoE5ElNS0_10empty_typeEbEEZZNS1_14partition_implILS5_5ELb0ES3_mN6hipcub16HIPCUB_304000_NS21CountingInputIteratorIllEEPS6_NSA_22TransformInputIteratorIbN2at6native12_GLOBAL__N_19NonZeroOpIiEEPKilEENS0_5tupleIJPlS6_EEENSN_IJSD_SD_EEES6_PiJS6_EEE10hipError_tPvRmT3_T4_T5_T6_T7_T9_mT8_P12ihipStream_tbDpT10_ENKUlT_T0_E_clISt17integral_constantIbLb0EES1A_IbLb1EEEEDaS16_S17_EUlS16_E_NS1_11comp_targetILNS1_3genE9ELNS1_11target_archE1100ELNS1_3gpuE3ELNS1_3repE0EEENS1_30default_config_static_selectorELNS0_4arch9wavefront6targetE0EEEvT1_.has_dyn_sized_stack, 0
	.set _ZN7rocprim17ROCPRIM_400000_NS6detail17trampoline_kernelINS0_14default_configENS1_25partition_config_selectorILNS1_17partition_subalgoE5ElNS0_10empty_typeEbEEZZNS1_14partition_implILS5_5ELb0ES3_mN6hipcub16HIPCUB_304000_NS21CountingInputIteratorIllEEPS6_NSA_22TransformInputIteratorIbN2at6native12_GLOBAL__N_19NonZeroOpIiEEPKilEENS0_5tupleIJPlS6_EEENSN_IJSD_SD_EEES6_PiJS6_EEE10hipError_tPvRmT3_T4_T5_T6_T7_T9_mT8_P12ihipStream_tbDpT10_ENKUlT_T0_E_clISt17integral_constantIbLb0EES1A_IbLb1EEEEDaS16_S17_EUlS16_E_NS1_11comp_targetILNS1_3genE9ELNS1_11target_archE1100ELNS1_3gpuE3ELNS1_3repE0EEENS1_30default_config_static_selectorELNS0_4arch9wavefront6targetE0EEEvT1_.has_recursion, 0
	.set _ZN7rocprim17ROCPRIM_400000_NS6detail17trampoline_kernelINS0_14default_configENS1_25partition_config_selectorILNS1_17partition_subalgoE5ElNS0_10empty_typeEbEEZZNS1_14partition_implILS5_5ELb0ES3_mN6hipcub16HIPCUB_304000_NS21CountingInputIteratorIllEEPS6_NSA_22TransformInputIteratorIbN2at6native12_GLOBAL__N_19NonZeroOpIiEEPKilEENS0_5tupleIJPlS6_EEENSN_IJSD_SD_EEES6_PiJS6_EEE10hipError_tPvRmT3_T4_T5_T6_T7_T9_mT8_P12ihipStream_tbDpT10_ENKUlT_T0_E_clISt17integral_constantIbLb0EES1A_IbLb1EEEEDaS16_S17_EUlS16_E_NS1_11comp_targetILNS1_3genE9ELNS1_11target_archE1100ELNS1_3gpuE3ELNS1_3repE0EEENS1_30default_config_static_selectorELNS0_4arch9wavefront6targetE0EEEvT1_.has_indirect_call, 0
	.section	.AMDGPU.csdata,"",@progbits
; Kernel info:
; codeLenInByte = 0
; TotalNumSgprs: 0
; NumVgprs: 0
; ScratchSize: 0
; MemoryBound: 0
; FloatMode: 240
; IeeeMode: 1
; LDSByteSize: 0 bytes/workgroup (compile time only)
; SGPRBlocks: 0
; VGPRBlocks: 0
; NumSGPRsForWavesPerEU: 1
; NumVGPRsForWavesPerEU: 1
; Occupancy: 16
; WaveLimiterHint : 0
; COMPUTE_PGM_RSRC2:SCRATCH_EN: 0
; COMPUTE_PGM_RSRC2:USER_SGPR: 2
; COMPUTE_PGM_RSRC2:TRAP_HANDLER: 0
; COMPUTE_PGM_RSRC2:TGID_X_EN: 1
; COMPUTE_PGM_RSRC2:TGID_Y_EN: 0
; COMPUTE_PGM_RSRC2:TGID_Z_EN: 0
; COMPUTE_PGM_RSRC2:TIDIG_COMP_CNT: 0
	.section	.text._ZN7rocprim17ROCPRIM_400000_NS6detail17trampoline_kernelINS0_14default_configENS1_25partition_config_selectorILNS1_17partition_subalgoE5ElNS0_10empty_typeEbEEZZNS1_14partition_implILS5_5ELb0ES3_mN6hipcub16HIPCUB_304000_NS21CountingInputIteratorIllEEPS6_NSA_22TransformInputIteratorIbN2at6native12_GLOBAL__N_19NonZeroOpIiEEPKilEENS0_5tupleIJPlS6_EEENSN_IJSD_SD_EEES6_PiJS6_EEE10hipError_tPvRmT3_T4_T5_T6_T7_T9_mT8_P12ihipStream_tbDpT10_ENKUlT_T0_E_clISt17integral_constantIbLb0EES1A_IbLb1EEEEDaS16_S17_EUlS16_E_NS1_11comp_targetILNS1_3genE8ELNS1_11target_archE1030ELNS1_3gpuE2ELNS1_3repE0EEENS1_30default_config_static_selectorELNS0_4arch9wavefront6targetE0EEEvT1_,"axG",@progbits,_ZN7rocprim17ROCPRIM_400000_NS6detail17trampoline_kernelINS0_14default_configENS1_25partition_config_selectorILNS1_17partition_subalgoE5ElNS0_10empty_typeEbEEZZNS1_14partition_implILS5_5ELb0ES3_mN6hipcub16HIPCUB_304000_NS21CountingInputIteratorIllEEPS6_NSA_22TransformInputIteratorIbN2at6native12_GLOBAL__N_19NonZeroOpIiEEPKilEENS0_5tupleIJPlS6_EEENSN_IJSD_SD_EEES6_PiJS6_EEE10hipError_tPvRmT3_T4_T5_T6_T7_T9_mT8_P12ihipStream_tbDpT10_ENKUlT_T0_E_clISt17integral_constantIbLb0EES1A_IbLb1EEEEDaS16_S17_EUlS16_E_NS1_11comp_targetILNS1_3genE8ELNS1_11target_archE1030ELNS1_3gpuE2ELNS1_3repE0EEENS1_30default_config_static_selectorELNS0_4arch9wavefront6targetE0EEEvT1_,comdat
	.globl	_ZN7rocprim17ROCPRIM_400000_NS6detail17trampoline_kernelINS0_14default_configENS1_25partition_config_selectorILNS1_17partition_subalgoE5ElNS0_10empty_typeEbEEZZNS1_14partition_implILS5_5ELb0ES3_mN6hipcub16HIPCUB_304000_NS21CountingInputIteratorIllEEPS6_NSA_22TransformInputIteratorIbN2at6native12_GLOBAL__N_19NonZeroOpIiEEPKilEENS0_5tupleIJPlS6_EEENSN_IJSD_SD_EEES6_PiJS6_EEE10hipError_tPvRmT3_T4_T5_T6_T7_T9_mT8_P12ihipStream_tbDpT10_ENKUlT_T0_E_clISt17integral_constantIbLb0EES1A_IbLb1EEEEDaS16_S17_EUlS16_E_NS1_11comp_targetILNS1_3genE8ELNS1_11target_archE1030ELNS1_3gpuE2ELNS1_3repE0EEENS1_30default_config_static_selectorELNS0_4arch9wavefront6targetE0EEEvT1_ ; -- Begin function _ZN7rocprim17ROCPRIM_400000_NS6detail17trampoline_kernelINS0_14default_configENS1_25partition_config_selectorILNS1_17partition_subalgoE5ElNS0_10empty_typeEbEEZZNS1_14partition_implILS5_5ELb0ES3_mN6hipcub16HIPCUB_304000_NS21CountingInputIteratorIllEEPS6_NSA_22TransformInputIteratorIbN2at6native12_GLOBAL__N_19NonZeroOpIiEEPKilEENS0_5tupleIJPlS6_EEENSN_IJSD_SD_EEES6_PiJS6_EEE10hipError_tPvRmT3_T4_T5_T6_T7_T9_mT8_P12ihipStream_tbDpT10_ENKUlT_T0_E_clISt17integral_constantIbLb0EES1A_IbLb1EEEEDaS16_S17_EUlS16_E_NS1_11comp_targetILNS1_3genE8ELNS1_11target_archE1030ELNS1_3gpuE2ELNS1_3repE0EEENS1_30default_config_static_selectorELNS0_4arch9wavefront6targetE0EEEvT1_
	.p2align	8
	.type	_ZN7rocprim17ROCPRIM_400000_NS6detail17trampoline_kernelINS0_14default_configENS1_25partition_config_selectorILNS1_17partition_subalgoE5ElNS0_10empty_typeEbEEZZNS1_14partition_implILS5_5ELb0ES3_mN6hipcub16HIPCUB_304000_NS21CountingInputIteratorIllEEPS6_NSA_22TransformInputIteratorIbN2at6native12_GLOBAL__N_19NonZeroOpIiEEPKilEENS0_5tupleIJPlS6_EEENSN_IJSD_SD_EEES6_PiJS6_EEE10hipError_tPvRmT3_T4_T5_T6_T7_T9_mT8_P12ihipStream_tbDpT10_ENKUlT_T0_E_clISt17integral_constantIbLb0EES1A_IbLb1EEEEDaS16_S17_EUlS16_E_NS1_11comp_targetILNS1_3genE8ELNS1_11target_archE1030ELNS1_3gpuE2ELNS1_3repE0EEENS1_30default_config_static_selectorELNS0_4arch9wavefront6targetE0EEEvT1_,@function
_ZN7rocprim17ROCPRIM_400000_NS6detail17trampoline_kernelINS0_14default_configENS1_25partition_config_selectorILNS1_17partition_subalgoE5ElNS0_10empty_typeEbEEZZNS1_14partition_implILS5_5ELb0ES3_mN6hipcub16HIPCUB_304000_NS21CountingInputIteratorIllEEPS6_NSA_22TransformInputIteratorIbN2at6native12_GLOBAL__N_19NonZeroOpIiEEPKilEENS0_5tupleIJPlS6_EEENSN_IJSD_SD_EEES6_PiJS6_EEE10hipError_tPvRmT3_T4_T5_T6_T7_T9_mT8_P12ihipStream_tbDpT10_ENKUlT_T0_E_clISt17integral_constantIbLb0EES1A_IbLb1EEEEDaS16_S17_EUlS16_E_NS1_11comp_targetILNS1_3genE8ELNS1_11target_archE1030ELNS1_3gpuE2ELNS1_3repE0EEENS1_30default_config_static_selectorELNS0_4arch9wavefront6targetE0EEEvT1_: ; @_ZN7rocprim17ROCPRIM_400000_NS6detail17trampoline_kernelINS0_14default_configENS1_25partition_config_selectorILNS1_17partition_subalgoE5ElNS0_10empty_typeEbEEZZNS1_14partition_implILS5_5ELb0ES3_mN6hipcub16HIPCUB_304000_NS21CountingInputIteratorIllEEPS6_NSA_22TransformInputIteratorIbN2at6native12_GLOBAL__N_19NonZeroOpIiEEPKilEENS0_5tupleIJPlS6_EEENSN_IJSD_SD_EEES6_PiJS6_EEE10hipError_tPvRmT3_T4_T5_T6_T7_T9_mT8_P12ihipStream_tbDpT10_ENKUlT_T0_E_clISt17integral_constantIbLb0EES1A_IbLb1EEEEDaS16_S17_EUlS16_E_NS1_11comp_targetILNS1_3genE8ELNS1_11target_archE1030ELNS1_3gpuE2ELNS1_3repE0EEENS1_30default_config_static_selectorELNS0_4arch9wavefront6targetE0EEEvT1_
; %bb.0:
	.section	.rodata,"a",@progbits
	.p2align	6, 0x0
	.amdhsa_kernel _ZN7rocprim17ROCPRIM_400000_NS6detail17trampoline_kernelINS0_14default_configENS1_25partition_config_selectorILNS1_17partition_subalgoE5ElNS0_10empty_typeEbEEZZNS1_14partition_implILS5_5ELb0ES3_mN6hipcub16HIPCUB_304000_NS21CountingInputIteratorIllEEPS6_NSA_22TransformInputIteratorIbN2at6native12_GLOBAL__N_19NonZeroOpIiEEPKilEENS0_5tupleIJPlS6_EEENSN_IJSD_SD_EEES6_PiJS6_EEE10hipError_tPvRmT3_T4_T5_T6_T7_T9_mT8_P12ihipStream_tbDpT10_ENKUlT_T0_E_clISt17integral_constantIbLb0EES1A_IbLb1EEEEDaS16_S17_EUlS16_E_NS1_11comp_targetILNS1_3genE8ELNS1_11target_archE1030ELNS1_3gpuE2ELNS1_3repE0EEENS1_30default_config_static_selectorELNS0_4arch9wavefront6targetE0EEEvT1_
		.amdhsa_group_segment_fixed_size 0
		.amdhsa_private_segment_fixed_size 0
		.amdhsa_kernarg_size 136
		.amdhsa_user_sgpr_count 2
		.amdhsa_user_sgpr_dispatch_ptr 0
		.amdhsa_user_sgpr_queue_ptr 0
		.amdhsa_user_sgpr_kernarg_segment_ptr 1
		.amdhsa_user_sgpr_dispatch_id 0
		.amdhsa_user_sgpr_private_segment_size 0
		.amdhsa_wavefront_size32 1
		.amdhsa_uses_dynamic_stack 0
		.amdhsa_enable_private_segment 0
		.amdhsa_system_sgpr_workgroup_id_x 1
		.amdhsa_system_sgpr_workgroup_id_y 0
		.amdhsa_system_sgpr_workgroup_id_z 0
		.amdhsa_system_sgpr_workgroup_info 0
		.amdhsa_system_vgpr_workitem_id 0
		.amdhsa_next_free_vgpr 1
		.amdhsa_next_free_sgpr 1
		.amdhsa_reserve_vcc 0
		.amdhsa_float_round_mode_32 0
		.amdhsa_float_round_mode_16_64 0
		.amdhsa_float_denorm_mode_32 3
		.amdhsa_float_denorm_mode_16_64 3
		.amdhsa_fp16_overflow 0
		.amdhsa_workgroup_processor_mode 1
		.amdhsa_memory_ordered 1
		.amdhsa_forward_progress 1
		.amdhsa_inst_pref_size 0
		.amdhsa_round_robin_scheduling 0
		.amdhsa_exception_fp_ieee_invalid_op 0
		.amdhsa_exception_fp_denorm_src 0
		.amdhsa_exception_fp_ieee_div_zero 0
		.amdhsa_exception_fp_ieee_overflow 0
		.amdhsa_exception_fp_ieee_underflow 0
		.amdhsa_exception_fp_ieee_inexact 0
		.amdhsa_exception_int_div_zero 0
	.end_amdhsa_kernel
	.section	.text._ZN7rocprim17ROCPRIM_400000_NS6detail17trampoline_kernelINS0_14default_configENS1_25partition_config_selectorILNS1_17partition_subalgoE5ElNS0_10empty_typeEbEEZZNS1_14partition_implILS5_5ELb0ES3_mN6hipcub16HIPCUB_304000_NS21CountingInputIteratorIllEEPS6_NSA_22TransformInputIteratorIbN2at6native12_GLOBAL__N_19NonZeroOpIiEEPKilEENS0_5tupleIJPlS6_EEENSN_IJSD_SD_EEES6_PiJS6_EEE10hipError_tPvRmT3_T4_T5_T6_T7_T9_mT8_P12ihipStream_tbDpT10_ENKUlT_T0_E_clISt17integral_constantIbLb0EES1A_IbLb1EEEEDaS16_S17_EUlS16_E_NS1_11comp_targetILNS1_3genE8ELNS1_11target_archE1030ELNS1_3gpuE2ELNS1_3repE0EEENS1_30default_config_static_selectorELNS0_4arch9wavefront6targetE0EEEvT1_,"axG",@progbits,_ZN7rocprim17ROCPRIM_400000_NS6detail17trampoline_kernelINS0_14default_configENS1_25partition_config_selectorILNS1_17partition_subalgoE5ElNS0_10empty_typeEbEEZZNS1_14partition_implILS5_5ELb0ES3_mN6hipcub16HIPCUB_304000_NS21CountingInputIteratorIllEEPS6_NSA_22TransformInputIteratorIbN2at6native12_GLOBAL__N_19NonZeroOpIiEEPKilEENS0_5tupleIJPlS6_EEENSN_IJSD_SD_EEES6_PiJS6_EEE10hipError_tPvRmT3_T4_T5_T6_T7_T9_mT8_P12ihipStream_tbDpT10_ENKUlT_T0_E_clISt17integral_constantIbLb0EES1A_IbLb1EEEEDaS16_S17_EUlS16_E_NS1_11comp_targetILNS1_3genE8ELNS1_11target_archE1030ELNS1_3gpuE2ELNS1_3repE0EEENS1_30default_config_static_selectorELNS0_4arch9wavefront6targetE0EEEvT1_,comdat
.Lfunc_end217:
	.size	_ZN7rocprim17ROCPRIM_400000_NS6detail17trampoline_kernelINS0_14default_configENS1_25partition_config_selectorILNS1_17partition_subalgoE5ElNS0_10empty_typeEbEEZZNS1_14partition_implILS5_5ELb0ES3_mN6hipcub16HIPCUB_304000_NS21CountingInputIteratorIllEEPS6_NSA_22TransformInputIteratorIbN2at6native12_GLOBAL__N_19NonZeroOpIiEEPKilEENS0_5tupleIJPlS6_EEENSN_IJSD_SD_EEES6_PiJS6_EEE10hipError_tPvRmT3_T4_T5_T6_T7_T9_mT8_P12ihipStream_tbDpT10_ENKUlT_T0_E_clISt17integral_constantIbLb0EES1A_IbLb1EEEEDaS16_S17_EUlS16_E_NS1_11comp_targetILNS1_3genE8ELNS1_11target_archE1030ELNS1_3gpuE2ELNS1_3repE0EEENS1_30default_config_static_selectorELNS0_4arch9wavefront6targetE0EEEvT1_, .Lfunc_end217-_ZN7rocprim17ROCPRIM_400000_NS6detail17trampoline_kernelINS0_14default_configENS1_25partition_config_selectorILNS1_17partition_subalgoE5ElNS0_10empty_typeEbEEZZNS1_14partition_implILS5_5ELb0ES3_mN6hipcub16HIPCUB_304000_NS21CountingInputIteratorIllEEPS6_NSA_22TransformInputIteratorIbN2at6native12_GLOBAL__N_19NonZeroOpIiEEPKilEENS0_5tupleIJPlS6_EEENSN_IJSD_SD_EEES6_PiJS6_EEE10hipError_tPvRmT3_T4_T5_T6_T7_T9_mT8_P12ihipStream_tbDpT10_ENKUlT_T0_E_clISt17integral_constantIbLb0EES1A_IbLb1EEEEDaS16_S17_EUlS16_E_NS1_11comp_targetILNS1_3genE8ELNS1_11target_archE1030ELNS1_3gpuE2ELNS1_3repE0EEENS1_30default_config_static_selectorELNS0_4arch9wavefront6targetE0EEEvT1_
                                        ; -- End function
	.set _ZN7rocprim17ROCPRIM_400000_NS6detail17trampoline_kernelINS0_14default_configENS1_25partition_config_selectorILNS1_17partition_subalgoE5ElNS0_10empty_typeEbEEZZNS1_14partition_implILS5_5ELb0ES3_mN6hipcub16HIPCUB_304000_NS21CountingInputIteratorIllEEPS6_NSA_22TransformInputIteratorIbN2at6native12_GLOBAL__N_19NonZeroOpIiEEPKilEENS0_5tupleIJPlS6_EEENSN_IJSD_SD_EEES6_PiJS6_EEE10hipError_tPvRmT3_T4_T5_T6_T7_T9_mT8_P12ihipStream_tbDpT10_ENKUlT_T0_E_clISt17integral_constantIbLb0EES1A_IbLb1EEEEDaS16_S17_EUlS16_E_NS1_11comp_targetILNS1_3genE8ELNS1_11target_archE1030ELNS1_3gpuE2ELNS1_3repE0EEENS1_30default_config_static_selectorELNS0_4arch9wavefront6targetE0EEEvT1_.num_vgpr, 0
	.set _ZN7rocprim17ROCPRIM_400000_NS6detail17trampoline_kernelINS0_14default_configENS1_25partition_config_selectorILNS1_17partition_subalgoE5ElNS0_10empty_typeEbEEZZNS1_14partition_implILS5_5ELb0ES3_mN6hipcub16HIPCUB_304000_NS21CountingInputIteratorIllEEPS6_NSA_22TransformInputIteratorIbN2at6native12_GLOBAL__N_19NonZeroOpIiEEPKilEENS0_5tupleIJPlS6_EEENSN_IJSD_SD_EEES6_PiJS6_EEE10hipError_tPvRmT3_T4_T5_T6_T7_T9_mT8_P12ihipStream_tbDpT10_ENKUlT_T0_E_clISt17integral_constantIbLb0EES1A_IbLb1EEEEDaS16_S17_EUlS16_E_NS1_11comp_targetILNS1_3genE8ELNS1_11target_archE1030ELNS1_3gpuE2ELNS1_3repE0EEENS1_30default_config_static_selectorELNS0_4arch9wavefront6targetE0EEEvT1_.num_agpr, 0
	.set _ZN7rocprim17ROCPRIM_400000_NS6detail17trampoline_kernelINS0_14default_configENS1_25partition_config_selectorILNS1_17partition_subalgoE5ElNS0_10empty_typeEbEEZZNS1_14partition_implILS5_5ELb0ES3_mN6hipcub16HIPCUB_304000_NS21CountingInputIteratorIllEEPS6_NSA_22TransformInputIteratorIbN2at6native12_GLOBAL__N_19NonZeroOpIiEEPKilEENS0_5tupleIJPlS6_EEENSN_IJSD_SD_EEES6_PiJS6_EEE10hipError_tPvRmT3_T4_T5_T6_T7_T9_mT8_P12ihipStream_tbDpT10_ENKUlT_T0_E_clISt17integral_constantIbLb0EES1A_IbLb1EEEEDaS16_S17_EUlS16_E_NS1_11comp_targetILNS1_3genE8ELNS1_11target_archE1030ELNS1_3gpuE2ELNS1_3repE0EEENS1_30default_config_static_selectorELNS0_4arch9wavefront6targetE0EEEvT1_.numbered_sgpr, 0
	.set _ZN7rocprim17ROCPRIM_400000_NS6detail17trampoline_kernelINS0_14default_configENS1_25partition_config_selectorILNS1_17partition_subalgoE5ElNS0_10empty_typeEbEEZZNS1_14partition_implILS5_5ELb0ES3_mN6hipcub16HIPCUB_304000_NS21CountingInputIteratorIllEEPS6_NSA_22TransformInputIteratorIbN2at6native12_GLOBAL__N_19NonZeroOpIiEEPKilEENS0_5tupleIJPlS6_EEENSN_IJSD_SD_EEES6_PiJS6_EEE10hipError_tPvRmT3_T4_T5_T6_T7_T9_mT8_P12ihipStream_tbDpT10_ENKUlT_T0_E_clISt17integral_constantIbLb0EES1A_IbLb1EEEEDaS16_S17_EUlS16_E_NS1_11comp_targetILNS1_3genE8ELNS1_11target_archE1030ELNS1_3gpuE2ELNS1_3repE0EEENS1_30default_config_static_selectorELNS0_4arch9wavefront6targetE0EEEvT1_.num_named_barrier, 0
	.set _ZN7rocprim17ROCPRIM_400000_NS6detail17trampoline_kernelINS0_14default_configENS1_25partition_config_selectorILNS1_17partition_subalgoE5ElNS0_10empty_typeEbEEZZNS1_14partition_implILS5_5ELb0ES3_mN6hipcub16HIPCUB_304000_NS21CountingInputIteratorIllEEPS6_NSA_22TransformInputIteratorIbN2at6native12_GLOBAL__N_19NonZeroOpIiEEPKilEENS0_5tupleIJPlS6_EEENSN_IJSD_SD_EEES6_PiJS6_EEE10hipError_tPvRmT3_T4_T5_T6_T7_T9_mT8_P12ihipStream_tbDpT10_ENKUlT_T0_E_clISt17integral_constantIbLb0EES1A_IbLb1EEEEDaS16_S17_EUlS16_E_NS1_11comp_targetILNS1_3genE8ELNS1_11target_archE1030ELNS1_3gpuE2ELNS1_3repE0EEENS1_30default_config_static_selectorELNS0_4arch9wavefront6targetE0EEEvT1_.private_seg_size, 0
	.set _ZN7rocprim17ROCPRIM_400000_NS6detail17trampoline_kernelINS0_14default_configENS1_25partition_config_selectorILNS1_17partition_subalgoE5ElNS0_10empty_typeEbEEZZNS1_14partition_implILS5_5ELb0ES3_mN6hipcub16HIPCUB_304000_NS21CountingInputIteratorIllEEPS6_NSA_22TransformInputIteratorIbN2at6native12_GLOBAL__N_19NonZeroOpIiEEPKilEENS0_5tupleIJPlS6_EEENSN_IJSD_SD_EEES6_PiJS6_EEE10hipError_tPvRmT3_T4_T5_T6_T7_T9_mT8_P12ihipStream_tbDpT10_ENKUlT_T0_E_clISt17integral_constantIbLb0EES1A_IbLb1EEEEDaS16_S17_EUlS16_E_NS1_11comp_targetILNS1_3genE8ELNS1_11target_archE1030ELNS1_3gpuE2ELNS1_3repE0EEENS1_30default_config_static_selectorELNS0_4arch9wavefront6targetE0EEEvT1_.uses_vcc, 0
	.set _ZN7rocprim17ROCPRIM_400000_NS6detail17trampoline_kernelINS0_14default_configENS1_25partition_config_selectorILNS1_17partition_subalgoE5ElNS0_10empty_typeEbEEZZNS1_14partition_implILS5_5ELb0ES3_mN6hipcub16HIPCUB_304000_NS21CountingInputIteratorIllEEPS6_NSA_22TransformInputIteratorIbN2at6native12_GLOBAL__N_19NonZeroOpIiEEPKilEENS0_5tupleIJPlS6_EEENSN_IJSD_SD_EEES6_PiJS6_EEE10hipError_tPvRmT3_T4_T5_T6_T7_T9_mT8_P12ihipStream_tbDpT10_ENKUlT_T0_E_clISt17integral_constantIbLb0EES1A_IbLb1EEEEDaS16_S17_EUlS16_E_NS1_11comp_targetILNS1_3genE8ELNS1_11target_archE1030ELNS1_3gpuE2ELNS1_3repE0EEENS1_30default_config_static_selectorELNS0_4arch9wavefront6targetE0EEEvT1_.uses_flat_scratch, 0
	.set _ZN7rocprim17ROCPRIM_400000_NS6detail17trampoline_kernelINS0_14default_configENS1_25partition_config_selectorILNS1_17partition_subalgoE5ElNS0_10empty_typeEbEEZZNS1_14partition_implILS5_5ELb0ES3_mN6hipcub16HIPCUB_304000_NS21CountingInputIteratorIllEEPS6_NSA_22TransformInputIteratorIbN2at6native12_GLOBAL__N_19NonZeroOpIiEEPKilEENS0_5tupleIJPlS6_EEENSN_IJSD_SD_EEES6_PiJS6_EEE10hipError_tPvRmT3_T4_T5_T6_T7_T9_mT8_P12ihipStream_tbDpT10_ENKUlT_T0_E_clISt17integral_constantIbLb0EES1A_IbLb1EEEEDaS16_S17_EUlS16_E_NS1_11comp_targetILNS1_3genE8ELNS1_11target_archE1030ELNS1_3gpuE2ELNS1_3repE0EEENS1_30default_config_static_selectorELNS0_4arch9wavefront6targetE0EEEvT1_.has_dyn_sized_stack, 0
	.set _ZN7rocprim17ROCPRIM_400000_NS6detail17trampoline_kernelINS0_14default_configENS1_25partition_config_selectorILNS1_17partition_subalgoE5ElNS0_10empty_typeEbEEZZNS1_14partition_implILS5_5ELb0ES3_mN6hipcub16HIPCUB_304000_NS21CountingInputIteratorIllEEPS6_NSA_22TransformInputIteratorIbN2at6native12_GLOBAL__N_19NonZeroOpIiEEPKilEENS0_5tupleIJPlS6_EEENSN_IJSD_SD_EEES6_PiJS6_EEE10hipError_tPvRmT3_T4_T5_T6_T7_T9_mT8_P12ihipStream_tbDpT10_ENKUlT_T0_E_clISt17integral_constantIbLb0EES1A_IbLb1EEEEDaS16_S17_EUlS16_E_NS1_11comp_targetILNS1_3genE8ELNS1_11target_archE1030ELNS1_3gpuE2ELNS1_3repE0EEENS1_30default_config_static_selectorELNS0_4arch9wavefront6targetE0EEEvT1_.has_recursion, 0
	.set _ZN7rocprim17ROCPRIM_400000_NS6detail17trampoline_kernelINS0_14default_configENS1_25partition_config_selectorILNS1_17partition_subalgoE5ElNS0_10empty_typeEbEEZZNS1_14partition_implILS5_5ELb0ES3_mN6hipcub16HIPCUB_304000_NS21CountingInputIteratorIllEEPS6_NSA_22TransformInputIteratorIbN2at6native12_GLOBAL__N_19NonZeroOpIiEEPKilEENS0_5tupleIJPlS6_EEENSN_IJSD_SD_EEES6_PiJS6_EEE10hipError_tPvRmT3_T4_T5_T6_T7_T9_mT8_P12ihipStream_tbDpT10_ENKUlT_T0_E_clISt17integral_constantIbLb0EES1A_IbLb1EEEEDaS16_S17_EUlS16_E_NS1_11comp_targetILNS1_3genE8ELNS1_11target_archE1030ELNS1_3gpuE2ELNS1_3repE0EEENS1_30default_config_static_selectorELNS0_4arch9wavefront6targetE0EEEvT1_.has_indirect_call, 0
	.section	.AMDGPU.csdata,"",@progbits
; Kernel info:
; codeLenInByte = 0
; TotalNumSgprs: 0
; NumVgprs: 0
; ScratchSize: 0
; MemoryBound: 0
; FloatMode: 240
; IeeeMode: 1
; LDSByteSize: 0 bytes/workgroup (compile time only)
; SGPRBlocks: 0
; VGPRBlocks: 0
; NumSGPRsForWavesPerEU: 1
; NumVGPRsForWavesPerEU: 1
; Occupancy: 16
; WaveLimiterHint : 0
; COMPUTE_PGM_RSRC2:SCRATCH_EN: 0
; COMPUTE_PGM_RSRC2:USER_SGPR: 2
; COMPUTE_PGM_RSRC2:TRAP_HANDLER: 0
; COMPUTE_PGM_RSRC2:TGID_X_EN: 1
; COMPUTE_PGM_RSRC2:TGID_Y_EN: 0
; COMPUTE_PGM_RSRC2:TGID_Z_EN: 0
; COMPUTE_PGM_RSRC2:TIDIG_COMP_CNT: 0
	.section	.text._ZN7rocprim17ROCPRIM_400000_NS6detail17trampoline_kernelINS0_14default_configENS1_22reduce_config_selectorIiEEZNS1_11reduce_implILb1ES3_PiS7_iN6hipcub16HIPCUB_304000_NS6detail34convert_binary_result_type_wrapperINS9_3SumENS9_22TransformInputIteratorIbN2at6native12_GLOBAL__N_19NonZeroOpIlEEPKllEEiEEEE10hipError_tPvRmT1_T2_T3_mT4_P12ihipStream_tbEUlT_E0_NS1_11comp_targetILNS1_3genE0ELNS1_11target_archE4294967295ELNS1_3gpuE0ELNS1_3repE0EEENS1_30default_config_static_selectorELNS0_4arch9wavefront6targetE0EEEvSQ_,"axG",@progbits,_ZN7rocprim17ROCPRIM_400000_NS6detail17trampoline_kernelINS0_14default_configENS1_22reduce_config_selectorIiEEZNS1_11reduce_implILb1ES3_PiS7_iN6hipcub16HIPCUB_304000_NS6detail34convert_binary_result_type_wrapperINS9_3SumENS9_22TransformInputIteratorIbN2at6native12_GLOBAL__N_19NonZeroOpIlEEPKllEEiEEEE10hipError_tPvRmT1_T2_T3_mT4_P12ihipStream_tbEUlT_E0_NS1_11comp_targetILNS1_3genE0ELNS1_11target_archE4294967295ELNS1_3gpuE0ELNS1_3repE0EEENS1_30default_config_static_selectorELNS0_4arch9wavefront6targetE0EEEvSQ_,comdat
	.globl	_ZN7rocprim17ROCPRIM_400000_NS6detail17trampoline_kernelINS0_14default_configENS1_22reduce_config_selectorIiEEZNS1_11reduce_implILb1ES3_PiS7_iN6hipcub16HIPCUB_304000_NS6detail34convert_binary_result_type_wrapperINS9_3SumENS9_22TransformInputIteratorIbN2at6native12_GLOBAL__N_19NonZeroOpIlEEPKllEEiEEEE10hipError_tPvRmT1_T2_T3_mT4_P12ihipStream_tbEUlT_E0_NS1_11comp_targetILNS1_3genE0ELNS1_11target_archE4294967295ELNS1_3gpuE0ELNS1_3repE0EEENS1_30default_config_static_selectorELNS0_4arch9wavefront6targetE0EEEvSQ_ ; -- Begin function _ZN7rocprim17ROCPRIM_400000_NS6detail17trampoline_kernelINS0_14default_configENS1_22reduce_config_selectorIiEEZNS1_11reduce_implILb1ES3_PiS7_iN6hipcub16HIPCUB_304000_NS6detail34convert_binary_result_type_wrapperINS9_3SumENS9_22TransformInputIteratorIbN2at6native12_GLOBAL__N_19NonZeroOpIlEEPKllEEiEEEE10hipError_tPvRmT1_T2_T3_mT4_P12ihipStream_tbEUlT_E0_NS1_11comp_targetILNS1_3genE0ELNS1_11target_archE4294967295ELNS1_3gpuE0ELNS1_3repE0EEENS1_30default_config_static_selectorELNS0_4arch9wavefront6targetE0EEEvSQ_
	.p2align	8
	.type	_ZN7rocprim17ROCPRIM_400000_NS6detail17trampoline_kernelINS0_14default_configENS1_22reduce_config_selectorIiEEZNS1_11reduce_implILb1ES3_PiS7_iN6hipcub16HIPCUB_304000_NS6detail34convert_binary_result_type_wrapperINS9_3SumENS9_22TransformInputIteratorIbN2at6native12_GLOBAL__N_19NonZeroOpIlEEPKllEEiEEEE10hipError_tPvRmT1_T2_T3_mT4_P12ihipStream_tbEUlT_E0_NS1_11comp_targetILNS1_3genE0ELNS1_11target_archE4294967295ELNS1_3gpuE0ELNS1_3repE0EEENS1_30default_config_static_selectorELNS0_4arch9wavefront6targetE0EEEvSQ_,@function
_ZN7rocprim17ROCPRIM_400000_NS6detail17trampoline_kernelINS0_14default_configENS1_22reduce_config_selectorIiEEZNS1_11reduce_implILb1ES3_PiS7_iN6hipcub16HIPCUB_304000_NS6detail34convert_binary_result_type_wrapperINS9_3SumENS9_22TransformInputIteratorIbN2at6native12_GLOBAL__N_19NonZeroOpIlEEPKllEEiEEEE10hipError_tPvRmT1_T2_T3_mT4_P12ihipStream_tbEUlT_E0_NS1_11comp_targetILNS1_3genE0ELNS1_11target_archE4294967295ELNS1_3gpuE0ELNS1_3repE0EEENS1_30default_config_static_selectorELNS0_4arch9wavefront6targetE0EEEvSQ_: ; @_ZN7rocprim17ROCPRIM_400000_NS6detail17trampoline_kernelINS0_14default_configENS1_22reduce_config_selectorIiEEZNS1_11reduce_implILb1ES3_PiS7_iN6hipcub16HIPCUB_304000_NS6detail34convert_binary_result_type_wrapperINS9_3SumENS9_22TransformInputIteratorIbN2at6native12_GLOBAL__N_19NonZeroOpIlEEPKllEEiEEEE10hipError_tPvRmT1_T2_T3_mT4_P12ihipStream_tbEUlT_E0_NS1_11comp_targetILNS1_3genE0ELNS1_11target_archE4294967295ELNS1_3gpuE0ELNS1_3repE0EEENS1_30default_config_static_selectorELNS0_4arch9wavefront6targetE0EEEvSQ_
; %bb.0:
	.section	.rodata,"a",@progbits
	.p2align	6, 0x0
	.amdhsa_kernel _ZN7rocprim17ROCPRIM_400000_NS6detail17trampoline_kernelINS0_14default_configENS1_22reduce_config_selectorIiEEZNS1_11reduce_implILb1ES3_PiS7_iN6hipcub16HIPCUB_304000_NS6detail34convert_binary_result_type_wrapperINS9_3SumENS9_22TransformInputIteratorIbN2at6native12_GLOBAL__N_19NonZeroOpIlEEPKllEEiEEEE10hipError_tPvRmT1_T2_T3_mT4_P12ihipStream_tbEUlT_E0_NS1_11comp_targetILNS1_3genE0ELNS1_11target_archE4294967295ELNS1_3gpuE0ELNS1_3repE0EEENS1_30default_config_static_selectorELNS0_4arch9wavefront6targetE0EEEvSQ_
		.amdhsa_group_segment_fixed_size 0
		.amdhsa_private_segment_fixed_size 0
		.amdhsa_kernarg_size 56
		.amdhsa_user_sgpr_count 2
		.amdhsa_user_sgpr_dispatch_ptr 0
		.amdhsa_user_sgpr_queue_ptr 0
		.amdhsa_user_sgpr_kernarg_segment_ptr 1
		.amdhsa_user_sgpr_dispatch_id 0
		.amdhsa_user_sgpr_private_segment_size 0
		.amdhsa_wavefront_size32 1
		.amdhsa_uses_dynamic_stack 0
		.amdhsa_enable_private_segment 0
		.amdhsa_system_sgpr_workgroup_id_x 1
		.amdhsa_system_sgpr_workgroup_id_y 0
		.amdhsa_system_sgpr_workgroup_id_z 0
		.amdhsa_system_sgpr_workgroup_info 0
		.amdhsa_system_vgpr_workitem_id 0
		.amdhsa_next_free_vgpr 1
		.amdhsa_next_free_sgpr 1
		.amdhsa_reserve_vcc 0
		.amdhsa_float_round_mode_32 0
		.amdhsa_float_round_mode_16_64 0
		.amdhsa_float_denorm_mode_32 3
		.amdhsa_float_denorm_mode_16_64 3
		.amdhsa_fp16_overflow 0
		.amdhsa_workgroup_processor_mode 1
		.amdhsa_memory_ordered 1
		.amdhsa_forward_progress 1
		.amdhsa_inst_pref_size 0
		.amdhsa_round_robin_scheduling 0
		.amdhsa_exception_fp_ieee_invalid_op 0
		.amdhsa_exception_fp_denorm_src 0
		.amdhsa_exception_fp_ieee_div_zero 0
		.amdhsa_exception_fp_ieee_overflow 0
		.amdhsa_exception_fp_ieee_underflow 0
		.amdhsa_exception_fp_ieee_inexact 0
		.amdhsa_exception_int_div_zero 0
	.end_amdhsa_kernel
	.section	.text._ZN7rocprim17ROCPRIM_400000_NS6detail17trampoline_kernelINS0_14default_configENS1_22reduce_config_selectorIiEEZNS1_11reduce_implILb1ES3_PiS7_iN6hipcub16HIPCUB_304000_NS6detail34convert_binary_result_type_wrapperINS9_3SumENS9_22TransformInputIteratorIbN2at6native12_GLOBAL__N_19NonZeroOpIlEEPKllEEiEEEE10hipError_tPvRmT1_T2_T3_mT4_P12ihipStream_tbEUlT_E0_NS1_11comp_targetILNS1_3genE0ELNS1_11target_archE4294967295ELNS1_3gpuE0ELNS1_3repE0EEENS1_30default_config_static_selectorELNS0_4arch9wavefront6targetE0EEEvSQ_,"axG",@progbits,_ZN7rocprim17ROCPRIM_400000_NS6detail17trampoline_kernelINS0_14default_configENS1_22reduce_config_selectorIiEEZNS1_11reduce_implILb1ES3_PiS7_iN6hipcub16HIPCUB_304000_NS6detail34convert_binary_result_type_wrapperINS9_3SumENS9_22TransformInputIteratorIbN2at6native12_GLOBAL__N_19NonZeroOpIlEEPKllEEiEEEE10hipError_tPvRmT1_T2_T3_mT4_P12ihipStream_tbEUlT_E0_NS1_11comp_targetILNS1_3genE0ELNS1_11target_archE4294967295ELNS1_3gpuE0ELNS1_3repE0EEENS1_30default_config_static_selectorELNS0_4arch9wavefront6targetE0EEEvSQ_,comdat
.Lfunc_end218:
	.size	_ZN7rocprim17ROCPRIM_400000_NS6detail17trampoline_kernelINS0_14default_configENS1_22reduce_config_selectorIiEEZNS1_11reduce_implILb1ES3_PiS7_iN6hipcub16HIPCUB_304000_NS6detail34convert_binary_result_type_wrapperINS9_3SumENS9_22TransformInputIteratorIbN2at6native12_GLOBAL__N_19NonZeroOpIlEEPKllEEiEEEE10hipError_tPvRmT1_T2_T3_mT4_P12ihipStream_tbEUlT_E0_NS1_11comp_targetILNS1_3genE0ELNS1_11target_archE4294967295ELNS1_3gpuE0ELNS1_3repE0EEENS1_30default_config_static_selectorELNS0_4arch9wavefront6targetE0EEEvSQ_, .Lfunc_end218-_ZN7rocprim17ROCPRIM_400000_NS6detail17trampoline_kernelINS0_14default_configENS1_22reduce_config_selectorIiEEZNS1_11reduce_implILb1ES3_PiS7_iN6hipcub16HIPCUB_304000_NS6detail34convert_binary_result_type_wrapperINS9_3SumENS9_22TransformInputIteratorIbN2at6native12_GLOBAL__N_19NonZeroOpIlEEPKllEEiEEEE10hipError_tPvRmT1_T2_T3_mT4_P12ihipStream_tbEUlT_E0_NS1_11comp_targetILNS1_3genE0ELNS1_11target_archE4294967295ELNS1_3gpuE0ELNS1_3repE0EEENS1_30default_config_static_selectorELNS0_4arch9wavefront6targetE0EEEvSQ_
                                        ; -- End function
	.set _ZN7rocprim17ROCPRIM_400000_NS6detail17trampoline_kernelINS0_14default_configENS1_22reduce_config_selectorIiEEZNS1_11reduce_implILb1ES3_PiS7_iN6hipcub16HIPCUB_304000_NS6detail34convert_binary_result_type_wrapperINS9_3SumENS9_22TransformInputIteratorIbN2at6native12_GLOBAL__N_19NonZeroOpIlEEPKllEEiEEEE10hipError_tPvRmT1_T2_T3_mT4_P12ihipStream_tbEUlT_E0_NS1_11comp_targetILNS1_3genE0ELNS1_11target_archE4294967295ELNS1_3gpuE0ELNS1_3repE0EEENS1_30default_config_static_selectorELNS0_4arch9wavefront6targetE0EEEvSQ_.num_vgpr, 0
	.set _ZN7rocprim17ROCPRIM_400000_NS6detail17trampoline_kernelINS0_14default_configENS1_22reduce_config_selectorIiEEZNS1_11reduce_implILb1ES3_PiS7_iN6hipcub16HIPCUB_304000_NS6detail34convert_binary_result_type_wrapperINS9_3SumENS9_22TransformInputIteratorIbN2at6native12_GLOBAL__N_19NonZeroOpIlEEPKllEEiEEEE10hipError_tPvRmT1_T2_T3_mT4_P12ihipStream_tbEUlT_E0_NS1_11comp_targetILNS1_3genE0ELNS1_11target_archE4294967295ELNS1_3gpuE0ELNS1_3repE0EEENS1_30default_config_static_selectorELNS0_4arch9wavefront6targetE0EEEvSQ_.num_agpr, 0
	.set _ZN7rocprim17ROCPRIM_400000_NS6detail17trampoline_kernelINS0_14default_configENS1_22reduce_config_selectorIiEEZNS1_11reduce_implILb1ES3_PiS7_iN6hipcub16HIPCUB_304000_NS6detail34convert_binary_result_type_wrapperINS9_3SumENS9_22TransformInputIteratorIbN2at6native12_GLOBAL__N_19NonZeroOpIlEEPKllEEiEEEE10hipError_tPvRmT1_T2_T3_mT4_P12ihipStream_tbEUlT_E0_NS1_11comp_targetILNS1_3genE0ELNS1_11target_archE4294967295ELNS1_3gpuE0ELNS1_3repE0EEENS1_30default_config_static_selectorELNS0_4arch9wavefront6targetE0EEEvSQ_.numbered_sgpr, 0
	.set _ZN7rocprim17ROCPRIM_400000_NS6detail17trampoline_kernelINS0_14default_configENS1_22reduce_config_selectorIiEEZNS1_11reduce_implILb1ES3_PiS7_iN6hipcub16HIPCUB_304000_NS6detail34convert_binary_result_type_wrapperINS9_3SumENS9_22TransformInputIteratorIbN2at6native12_GLOBAL__N_19NonZeroOpIlEEPKllEEiEEEE10hipError_tPvRmT1_T2_T3_mT4_P12ihipStream_tbEUlT_E0_NS1_11comp_targetILNS1_3genE0ELNS1_11target_archE4294967295ELNS1_3gpuE0ELNS1_3repE0EEENS1_30default_config_static_selectorELNS0_4arch9wavefront6targetE0EEEvSQ_.num_named_barrier, 0
	.set _ZN7rocprim17ROCPRIM_400000_NS6detail17trampoline_kernelINS0_14default_configENS1_22reduce_config_selectorIiEEZNS1_11reduce_implILb1ES3_PiS7_iN6hipcub16HIPCUB_304000_NS6detail34convert_binary_result_type_wrapperINS9_3SumENS9_22TransformInputIteratorIbN2at6native12_GLOBAL__N_19NonZeroOpIlEEPKllEEiEEEE10hipError_tPvRmT1_T2_T3_mT4_P12ihipStream_tbEUlT_E0_NS1_11comp_targetILNS1_3genE0ELNS1_11target_archE4294967295ELNS1_3gpuE0ELNS1_3repE0EEENS1_30default_config_static_selectorELNS0_4arch9wavefront6targetE0EEEvSQ_.private_seg_size, 0
	.set _ZN7rocprim17ROCPRIM_400000_NS6detail17trampoline_kernelINS0_14default_configENS1_22reduce_config_selectorIiEEZNS1_11reduce_implILb1ES3_PiS7_iN6hipcub16HIPCUB_304000_NS6detail34convert_binary_result_type_wrapperINS9_3SumENS9_22TransformInputIteratorIbN2at6native12_GLOBAL__N_19NonZeroOpIlEEPKllEEiEEEE10hipError_tPvRmT1_T2_T3_mT4_P12ihipStream_tbEUlT_E0_NS1_11comp_targetILNS1_3genE0ELNS1_11target_archE4294967295ELNS1_3gpuE0ELNS1_3repE0EEENS1_30default_config_static_selectorELNS0_4arch9wavefront6targetE0EEEvSQ_.uses_vcc, 0
	.set _ZN7rocprim17ROCPRIM_400000_NS6detail17trampoline_kernelINS0_14default_configENS1_22reduce_config_selectorIiEEZNS1_11reduce_implILb1ES3_PiS7_iN6hipcub16HIPCUB_304000_NS6detail34convert_binary_result_type_wrapperINS9_3SumENS9_22TransformInputIteratorIbN2at6native12_GLOBAL__N_19NonZeroOpIlEEPKllEEiEEEE10hipError_tPvRmT1_T2_T3_mT4_P12ihipStream_tbEUlT_E0_NS1_11comp_targetILNS1_3genE0ELNS1_11target_archE4294967295ELNS1_3gpuE0ELNS1_3repE0EEENS1_30default_config_static_selectorELNS0_4arch9wavefront6targetE0EEEvSQ_.uses_flat_scratch, 0
	.set _ZN7rocprim17ROCPRIM_400000_NS6detail17trampoline_kernelINS0_14default_configENS1_22reduce_config_selectorIiEEZNS1_11reduce_implILb1ES3_PiS7_iN6hipcub16HIPCUB_304000_NS6detail34convert_binary_result_type_wrapperINS9_3SumENS9_22TransformInputIteratorIbN2at6native12_GLOBAL__N_19NonZeroOpIlEEPKllEEiEEEE10hipError_tPvRmT1_T2_T3_mT4_P12ihipStream_tbEUlT_E0_NS1_11comp_targetILNS1_3genE0ELNS1_11target_archE4294967295ELNS1_3gpuE0ELNS1_3repE0EEENS1_30default_config_static_selectorELNS0_4arch9wavefront6targetE0EEEvSQ_.has_dyn_sized_stack, 0
	.set _ZN7rocprim17ROCPRIM_400000_NS6detail17trampoline_kernelINS0_14default_configENS1_22reduce_config_selectorIiEEZNS1_11reduce_implILb1ES3_PiS7_iN6hipcub16HIPCUB_304000_NS6detail34convert_binary_result_type_wrapperINS9_3SumENS9_22TransformInputIteratorIbN2at6native12_GLOBAL__N_19NonZeroOpIlEEPKllEEiEEEE10hipError_tPvRmT1_T2_T3_mT4_P12ihipStream_tbEUlT_E0_NS1_11comp_targetILNS1_3genE0ELNS1_11target_archE4294967295ELNS1_3gpuE0ELNS1_3repE0EEENS1_30default_config_static_selectorELNS0_4arch9wavefront6targetE0EEEvSQ_.has_recursion, 0
	.set _ZN7rocprim17ROCPRIM_400000_NS6detail17trampoline_kernelINS0_14default_configENS1_22reduce_config_selectorIiEEZNS1_11reduce_implILb1ES3_PiS7_iN6hipcub16HIPCUB_304000_NS6detail34convert_binary_result_type_wrapperINS9_3SumENS9_22TransformInputIteratorIbN2at6native12_GLOBAL__N_19NonZeroOpIlEEPKllEEiEEEE10hipError_tPvRmT1_T2_T3_mT4_P12ihipStream_tbEUlT_E0_NS1_11comp_targetILNS1_3genE0ELNS1_11target_archE4294967295ELNS1_3gpuE0ELNS1_3repE0EEENS1_30default_config_static_selectorELNS0_4arch9wavefront6targetE0EEEvSQ_.has_indirect_call, 0
	.section	.AMDGPU.csdata,"",@progbits
; Kernel info:
; codeLenInByte = 0
; TotalNumSgprs: 0
; NumVgprs: 0
; ScratchSize: 0
; MemoryBound: 0
; FloatMode: 240
; IeeeMode: 1
; LDSByteSize: 0 bytes/workgroup (compile time only)
; SGPRBlocks: 0
; VGPRBlocks: 0
; NumSGPRsForWavesPerEU: 1
; NumVGPRsForWavesPerEU: 1
; Occupancy: 16
; WaveLimiterHint : 0
; COMPUTE_PGM_RSRC2:SCRATCH_EN: 0
; COMPUTE_PGM_RSRC2:USER_SGPR: 2
; COMPUTE_PGM_RSRC2:TRAP_HANDLER: 0
; COMPUTE_PGM_RSRC2:TGID_X_EN: 1
; COMPUTE_PGM_RSRC2:TGID_Y_EN: 0
; COMPUTE_PGM_RSRC2:TGID_Z_EN: 0
; COMPUTE_PGM_RSRC2:TIDIG_COMP_CNT: 0
	.section	.text._ZN7rocprim17ROCPRIM_400000_NS6detail17trampoline_kernelINS0_14default_configENS1_22reduce_config_selectorIiEEZNS1_11reduce_implILb1ES3_PiS7_iN6hipcub16HIPCUB_304000_NS6detail34convert_binary_result_type_wrapperINS9_3SumENS9_22TransformInputIteratorIbN2at6native12_GLOBAL__N_19NonZeroOpIlEEPKllEEiEEEE10hipError_tPvRmT1_T2_T3_mT4_P12ihipStream_tbEUlT_E0_NS1_11comp_targetILNS1_3genE5ELNS1_11target_archE942ELNS1_3gpuE9ELNS1_3repE0EEENS1_30default_config_static_selectorELNS0_4arch9wavefront6targetE0EEEvSQ_,"axG",@progbits,_ZN7rocprim17ROCPRIM_400000_NS6detail17trampoline_kernelINS0_14default_configENS1_22reduce_config_selectorIiEEZNS1_11reduce_implILb1ES3_PiS7_iN6hipcub16HIPCUB_304000_NS6detail34convert_binary_result_type_wrapperINS9_3SumENS9_22TransformInputIteratorIbN2at6native12_GLOBAL__N_19NonZeroOpIlEEPKllEEiEEEE10hipError_tPvRmT1_T2_T3_mT4_P12ihipStream_tbEUlT_E0_NS1_11comp_targetILNS1_3genE5ELNS1_11target_archE942ELNS1_3gpuE9ELNS1_3repE0EEENS1_30default_config_static_selectorELNS0_4arch9wavefront6targetE0EEEvSQ_,comdat
	.globl	_ZN7rocprim17ROCPRIM_400000_NS6detail17trampoline_kernelINS0_14default_configENS1_22reduce_config_selectorIiEEZNS1_11reduce_implILb1ES3_PiS7_iN6hipcub16HIPCUB_304000_NS6detail34convert_binary_result_type_wrapperINS9_3SumENS9_22TransformInputIteratorIbN2at6native12_GLOBAL__N_19NonZeroOpIlEEPKllEEiEEEE10hipError_tPvRmT1_T2_T3_mT4_P12ihipStream_tbEUlT_E0_NS1_11comp_targetILNS1_3genE5ELNS1_11target_archE942ELNS1_3gpuE9ELNS1_3repE0EEENS1_30default_config_static_selectorELNS0_4arch9wavefront6targetE0EEEvSQ_ ; -- Begin function _ZN7rocprim17ROCPRIM_400000_NS6detail17trampoline_kernelINS0_14default_configENS1_22reduce_config_selectorIiEEZNS1_11reduce_implILb1ES3_PiS7_iN6hipcub16HIPCUB_304000_NS6detail34convert_binary_result_type_wrapperINS9_3SumENS9_22TransformInputIteratorIbN2at6native12_GLOBAL__N_19NonZeroOpIlEEPKllEEiEEEE10hipError_tPvRmT1_T2_T3_mT4_P12ihipStream_tbEUlT_E0_NS1_11comp_targetILNS1_3genE5ELNS1_11target_archE942ELNS1_3gpuE9ELNS1_3repE0EEENS1_30default_config_static_selectorELNS0_4arch9wavefront6targetE0EEEvSQ_
	.p2align	8
	.type	_ZN7rocprim17ROCPRIM_400000_NS6detail17trampoline_kernelINS0_14default_configENS1_22reduce_config_selectorIiEEZNS1_11reduce_implILb1ES3_PiS7_iN6hipcub16HIPCUB_304000_NS6detail34convert_binary_result_type_wrapperINS9_3SumENS9_22TransformInputIteratorIbN2at6native12_GLOBAL__N_19NonZeroOpIlEEPKllEEiEEEE10hipError_tPvRmT1_T2_T3_mT4_P12ihipStream_tbEUlT_E0_NS1_11comp_targetILNS1_3genE5ELNS1_11target_archE942ELNS1_3gpuE9ELNS1_3repE0EEENS1_30default_config_static_selectorELNS0_4arch9wavefront6targetE0EEEvSQ_,@function
_ZN7rocprim17ROCPRIM_400000_NS6detail17trampoline_kernelINS0_14default_configENS1_22reduce_config_selectorIiEEZNS1_11reduce_implILb1ES3_PiS7_iN6hipcub16HIPCUB_304000_NS6detail34convert_binary_result_type_wrapperINS9_3SumENS9_22TransformInputIteratorIbN2at6native12_GLOBAL__N_19NonZeroOpIlEEPKllEEiEEEE10hipError_tPvRmT1_T2_T3_mT4_P12ihipStream_tbEUlT_E0_NS1_11comp_targetILNS1_3genE5ELNS1_11target_archE942ELNS1_3gpuE9ELNS1_3repE0EEENS1_30default_config_static_selectorELNS0_4arch9wavefront6targetE0EEEvSQ_: ; @_ZN7rocprim17ROCPRIM_400000_NS6detail17trampoline_kernelINS0_14default_configENS1_22reduce_config_selectorIiEEZNS1_11reduce_implILb1ES3_PiS7_iN6hipcub16HIPCUB_304000_NS6detail34convert_binary_result_type_wrapperINS9_3SumENS9_22TransformInputIteratorIbN2at6native12_GLOBAL__N_19NonZeroOpIlEEPKllEEiEEEE10hipError_tPvRmT1_T2_T3_mT4_P12ihipStream_tbEUlT_E0_NS1_11comp_targetILNS1_3genE5ELNS1_11target_archE942ELNS1_3gpuE9ELNS1_3repE0EEENS1_30default_config_static_selectorELNS0_4arch9wavefront6targetE0EEEvSQ_
; %bb.0:
	.section	.rodata,"a",@progbits
	.p2align	6, 0x0
	.amdhsa_kernel _ZN7rocprim17ROCPRIM_400000_NS6detail17trampoline_kernelINS0_14default_configENS1_22reduce_config_selectorIiEEZNS1_11reduce_implILb1ES3_PiS7_iN6hipcub16HIPCUB_304000_NS6detail34convert_binary_result_type_wrapperINS9_3SumENS9_22TransformInputIteratorIbN2at6native12_GLOBAL__N_19NonZeroOpIlEEPKllEEiEEEE10hipError_tPvRmT1_T2_T3_mT4_P12ihipStream_tbEUlT_E0_NS1_11comp_targetILNS1_3genE5ELNS1_11target_archE942ELNS1_3gpuE9ELNS1_3repE0EEENS1_30default_config_static_selectorELNS0_4arch9wavefront6targetE0EEEvSQ_
		.amdhsa_group_segment_fixed_size 0
		.amdhsa_private_segment_fixed_size 0
		.amdhsa_kernarg_size 56
		.amdhsa_user_sgpr_count 2
		.amdhsa_user_sgpr_dispatch_ptr 0
		.amdhsa_user_sgpr_queue_ptr 0
		.amdhsa_user_sgpr_kernarg_segment_ptr 1
		.amdhsa_user_sgpr_dispatch_id 0
		.amdhsa_user_sgpr_private_segment_size 0
		.amdhsa_wavefront_size32 1
		.amdhsa_uses_dynamic_stack 0
		.amdhsa_enable_private_segment 0
		.amdhsa_system_sgpr_workgroup_id_x 1
		.amdhsa_system_sgpr_workgroup_id_y 0
		.amdhsa_system_sgpr_workgroup_id_z 0
		.amdhsa_system_sgpr_workgroup_info 0
		.amdhsa_system_vgpr_workitem_id 0
		.amdhsa_next_free_vgpr 1
		.amdhsa_next_free_sgpr 1
		.amdhsa_reserve_vcc 0
		.amdhsa_float_round_mode_32 0
		.amdhsa_float_round_mode_16_64 0
		.amdhsa_float_denorm_mode_32 3
		.amdhsa_float_denorm_mode_16_64 3
		.amdhsa_fp16_overflow 0
		.amdhsa_workgroup_processor_mode 1
		.amdhsa_memory_ordered 1
		.amdhsa_forward_progress 1
		.amdhsa_inst_pref_size 0
		.amdhsa_round_robin_scheduling 0
		.amdhsa_exception_fp_ieee_invalid_op 0
		.amdhsa_exception_fp_denorm_src 0
		.amdhsa_exception_fp_ieee_div_zero 0
		.amdhsa_exception_fp_ieee_overflow 0
		.amdhsa_exception_fp_ieee_underflow 0
		.amdhsa_exception_fp_ieee_inexact 0
		.amdhsa_exception_int_div_zero 0
	.end_amdhsa_kernel
	.section	.text._ZN7rocprim17ROCPRIM_400000_NS6detail17trampoline_kernelINS0_14default_configENS1_22reduce_config_selectorIiEEZNS1_11reduce_implILb1ES3_PiS7_iN6hipcub16HIPCUB_304000_NS6detail34convert_binary_result_type_wrapperINS9_3SumENS9_22TransformInputIteratorIbN2at6native12_GLOBAL__N_19NonZeroOpIlEEPKllEEiEEEE10hipError_tPvRmT1_T2_T3_mT4_P12ihipStream_tbEUlT_E0_NS1_11comp_targetILNS1_3genE5ELNS1_11target_archE942ELNS1_3gpuE9ELNS1_3repE0EEENS1_30default_config_static_selectorELNS0_4arch9wavefront6targetE0EEEvSQ_,"axG",@progbits,_ZN7rocprim17ROCPRIM_400000_NS6detail17trampoline_kernelINS0_14default_configENS1_22reduce_config_selectorIiEEZNS1_11reduce_implILb1ES3_PiS7_iN6hipcub16HIPCUB_304000_NS6detail34convert_binary_result_type_wrapperINS9_3SumENS9_22TransformInputIteratorIbN2at6native12_GLOBAL__N_19NonZeroOpIlEEPKllEEiEEEE10hipError_tPvRmT1_T2_T3_mT4_P12ihipStream_tbEUlT_E0_NS1_11comp_targetILNS1_3genE5ELNS1_11target_archE942ELNS1_3gpuE9ELNS1_3repE0EEENS1_30default_config_static_selectorELNS0_4arch9wavefront6targetE0EEEvSQ_,comdat
.Lfunc_end219:
	.size	_ZN7rocprim17ROCPRIM_400000_NS6detail17trampoline_kernelINS0_14default_configENS1_22reduce_config_selectorIiEEZNS1_11reduce_implILb1ES3_PiS7_iN6hipcub16HIPCUB_304000_NS6detail34convert_binary_result_type_wrapperINS9_3SumENS9_22TransformInputIteratorIbN2at6native12_GLOBAL__N_19NonZeroOpIlEEPKllEEiEEEE10hipError_tPvRmT1_T2_T3_mT4_P12ihipStream_tbEUlT_E0_NS1_11comp_targetILNS1_3genE5ELNS1_11target_archE942ELNS1_3gpuE9ELNS1_3repE0EEENS1_30default_config_static_selectorELNS0_4arch9wavefront6targetE0EEEvSQ_, .Lfunc_end219-_ZN7rocprim17ROCPRIM_400000_NS6detail17trampoline_kernelINS0_14default_configENS1_22reduce_config_selectorIiEEZNS1_11reduce_implILb1ES3_PiS7_iN6hipcub16HIPCUB_304000_NS6detail34convert_binary_result_type_wrapperINS9_3SumENS9_22TransformInputIteratorIbN2at6native12_GLOBAL__N_19NonZeroOpIlEEPKllEEiEEEE10hipError_tPvRmT1_T2_T3_mT4_P12ihipStream_tbEUlT_E0_NS1_11comp_targetILNS1_3genE5ELNS1_11target_archE942ELNS1_3gpuE9ELNS1_3repE0EEENS1_30default_config_static_selectorELNS0_4arch9wavefront6targetE0EEEvSQ_
                                        ; -- End function
	.set _ZN7rocprim17ROCPRIM_400000_NS6detail17trampoline_kernelINS0_14default_configENS1_22reduce_config_selectorIiEEZNS1_11reduce_implILb1ES3_PiS7_iN6hipcub16HIPCUB_304000_NS6detail34convert_binary_result_type_wrapperINS9_3SumENS9_22TransformInputIteratorIbN2at6native12_GLOBAL__N_19NonZeroOpIlEEPKllEEiEEEE10hipError_tPvRmT1_T2_T3_mT4_P12ihipStream_tbEUlT_E0_NS1_11comp_targetILNS1_3genE5ELNS1_11target_archE942ELNS1_3gpuE9ELNS1_3repE0EEENS1_30default_config_static_selectorELNS0_4arch9wavefront6targetE0EEEvSQ_.num_vgpr, 0
	.set _ZN7rocprim17ROCPRIM_400000_NS6detail17trampoline_kernelINS0_14default_configENS1_22reduce_config_selectorIiEEZNS1_11reduce_implILb1ES3_PiS7_iN6hipcub16HIPCUB_304000_NS6detail34convert_binary_result_type_wrapperINS9_3SumENS9_22TransformInputIteratorIbN2at6native12_GLOBAL__N_19NonZeroOpIlEEPKllEEiEEEE10hipError_tPvRmT1_T2_T3_mT4_P12ihipStream_tbEUlT_E0_NS1_11comp_targetILNS1_3genE5ELNS1_11target_archE942ELNS1_3gpuE9ELNS1_3repE0EEENS1_30default_config_static_selectorELNS0_4arch9wavefront6targetE0EEEvSQ_.num_agpr, 0
	.set _ZN7rocprim17ROCPRIM_400000_NS6detail17trampoline_kernelINS0_14default_configENS1_22reduce_config_selectorIiEEZNS1_11reduce_implILb1ES3_PiS7_iN6hipcub16HIPCUB_304000_NS6detail34convert_binary_result_type_wrapperINS9_3SumENS9_22TransformInputIteratorIbN2at6native12_GLOBAL__N_19NonZeroOpIlEEPKllEEiEEEE10hipError_tPvRmT1_T2_T3_mT4_P12ihipStream_tbEUlT_E0_NS1_11comp_targetILNS1_3genE5ELNS1_11target_archE942ELNS1_3gpuE9ELNS1_3repE0EEENS1_30default_config_static_selectorELNS0_4arch9wavefront6targetE0EEEvSQ_.numbered_sgpr, 0
	.set _ZN7rocprim17ROCPRIM_400000_NS6detail17trampoline_kernelINS0_14default_configENS1_22reduce_config_selectorIiEEZNS1_11reduce_implILb1ES3_PiS7_iN6hipcub16HIPCUB_304000_NS6detail34convert_binary_result_type_wrapperINS9_3SumENS9_22TransformInputIteratorIbN2at6native12_GLOBAL__N_19NonZeroOpIlEEPKllEEiEEEE10hipError_tPvRmT1_T2_T3_mT4_P12ihipStream_tbEUlT_E0_NS1_11comp_targetILNS1_3genE5ELNS1_11target_archE942ELNS1_3gpuE9ELNS1_3repE0EEENS1_30default_config_static_selectorELNS0_4arch9wavefront6targetE0EEEvSQ_.num_named_barrier, 0
	.set _ZN7rocprim17ROCPRIM_400000_NS6detail17trampoline_kernelINS0_14default_configENS1_22reduce_config_selectorIiEEZNS1_11reduce_implILb1ES3_PiS7_iN6hipcub16HIPCUB_304000_NS6detail34convert_binary_result_type_wrapperINS9_3SumENS9_22TransformInputIteratorIbN2at6native12_GLOBAL__N_19NonZeroOpIlEEPKllEEiEEEE10hipError_tPvRmT1_T2_T3_mT4_P12ihipStream_tbEUlT_E0_NS1_11comp_targetILNS1_3genE5ELNS1_11target_archE942ELNS1_3gpuE9ELNS1_3repE0EEENS1_30default_config_static_selectorELNS0_4arch9wavefront6targetE0EEEvSQ_.private_seg_size, 0
	.set _ZN7rocprim17ROCPRIM_400000_NS6detail17trampoline_kernelINS0_14default_configENS1_22reduce_config_selectorIiEEZNS1_11reduce_implILb1ES3_PiS7_iN6hipcub16HIPCUB_304000_NS6detail34convert_binary_result_type_wrapperINS9_3SumENS9_22TransformInputIteratorIbN2at6native12_GLOBAL__N_19NonZeroOpIlEEPKllEEiEEEE10hipError_tPvRmT1_T2_T3_mT4_P12ihipStream_tbEUlT_E0_NS1_11comp_targetILNS1_3genE5ELNS1_11target_archE942ELNS1_3gpuE9ELNS1_3repE0EEENS1_30default_config_static_selectorELNS0_4arch9wavefront6targetE0EEEvSQ_.uses_vcc, 0
	.set _ZN7rocprim17ROCPRIM_400000_NS6detail17trampoline_kernelINS0_14default_configENS1_22reduce_config_selectorIiEEZNS1_11reduce_implILb1ES3_PiS7_iN6hipcub16HIPCUB_304000_NS6detail34convert_binary_result_type_wrapperINS9_3SumENS9_22TransformInputIteratorIbN2at6native12_GLOBAL__N_19NonZeroOpIlEEPKllEEiEEEE10hipError_tPvRmT1_T2_T3_mT4_P12ihipStream_tbEUlT_E0_NS1_11comp_targetILNS1_3genE5ELNS1_11target_archE942ELNS1_3gpuE9ELNS1_3repE0EEENS1_30default_config_static_selectorELNS0_4arch9wavefront6targetE0EEEvSQ_.uses_flat_scratch, 0
	.set _ZN7rocprim17ROCPRIM_400000_NS6detail17trampoline_kernelINS0_14default_configENS1_22reduce_config_selectorIiEEZNS1_11reduce_implILb1ES3_PiS7_iN6hipcub16HIPCUB_304000_NS6detail34convert_binary_result_type_wrapperINS9_3SumENS9_22TransformInputIteratorIbN2at6native12_GLOBAL__N_19NonZeroOpIlEEPKllEEiEEEE10hipError_tPvRmT1_T2_T3_mT4_P12ihipStream_tbEUlT_E0_NS1_11comp_targetILNS1_3genE5ELNS1_11target_archE942ELNS1_3gpuE9ELNS1_3repE0EEENS1_30default_config_static_selectorELNS0_4arch9wavefront6targetE0EEEvSQ_.has_dyn_sized_stack, 0
	.set _ZN7rocprim17ROCPRIM_400000_NS6detail17trampoline_kernelINS0_14default_configENS1_22reduce_config_selectorIiEEZNS1_11reduce_implILb1ES3_PiS7_iN6hipcub16HIPCUB_304000_NS6detail34convert_binary_result_type_wrapperINS9_3SumENS9_22TransformInputIteratorIbN2at6native12_GLOBAL__N_19NonZeroOpIlEEPKllEEiEEEE10hipError_tPvRmT1_T2_T3_mT4_P12ihipStream_tbEUlT_E0_NS1_11comp_targetILNS1_3genE5ELNS1_11target_archE942ELNS1_3gpuE9ELNS1_3repE0EEENS1_30default_config_static_selectorELNS0_4arch9wavefront6targetE0EEEvSQ_.has_recursion, 0
	.set _ZN7rocprim17ROCPRIM_400000_NS6detail17trampoline_kernelINS0_14default_configENS1_22reduce_config_selectorIiEEZNS1_11reduce_implILb1ES3_PiS7_iN6hipcub16HIPCUB_304000_NS6detail34convert_binary_result_type_wrapperINS9_3SumENS9_22TransformInputIteratorIbN2at6native12_GLOBAL__N_19NonZeroOpIlEEPKllEEiEEEE10hipError_tPvRmT1_T2_T3_mT4_P12ihipStream_tbEUlT_E0_NS1_11comp_targetILNS1_3genE5ELNS1_11target_archE942ELNS1_3gpuE9ELNS1_3repE0EEENS1_30default_config_static_selectorELNS0_4arch9wavefront6targetE0EEEvSQ_.has_indirect_call, 0
	.section	.AMDGPU.csdata,"",@progbits
; Kernel info:
; codeLenInByte = 0
; TotalNumSgprs: 0
; NumVgprs: 0
; ScratchSize: 0
; MemoryBound: 0
; FloatMode: 240
; IeeeMode: 1
; LDSByteSize: 0 bytes/workgroup (compile time only)
; SGPRBlocks: 0
; VGPRBlocks: 0
; NumSGPRsForWavesPerEU: 1
; NumVGPRsForWavesPerEU: 1
; Occupancy: 16
; WaveLimiterHint : 0
; COMPUTE_PGM_RSRC2:SCRATCH_EN: 0
; COMPUTE_PGM_RSRC2:USER_SGPR: 2
; COMPUTE_PGM_RSRC2:TRAP_HANDLER: 0
; COMPUTE_PGM_RSRC2:TGID_X_EN: 1
; COMPUTE_PGM_RSRC2:TGID_Y_EN: 0
; COMPUTE_PGM_RSRC2:TGID_Z_EN: 0
; COMPUTE_PGM_RSRC2:TIDIG_COMP_CNT: 0
	.section	.text._ZN7rocprim17ROCPRIM_400000_NS6detail17trampoline_kernelINS0_14default_configENS1_22reduce_config_selectorIiEEZNS1_11reduce_implILb1ES3_PiS7_iN6hipcub16HIPCUB_304000_NS6detail34convert_binary_result_type_wrapperINS9_3SumENS9_22TransformInputIteratorIbN2at6native12_GLOBAL__N_19NonZeroOpIlEEPKllEEiEEEE10hipError_tPvRmT1_T2_T3_mT4_P12ihipStream_tbEUlT_E0_NS1_11comp_targetILNS1_3genE4ELNS1_11target_archE910ELNS1_3gpuE8ELNS1_3repE0EEENS1_30default_config_static_selectorELNS0_4arch9wavefront6targetE0EEEvSQ_,"axG",@progbits,_ZN7rocprim17ROCPRIM_400000_NS6detail17trampoline_kernelINS0_14default_configENS1_22reduce_config_selectorIiEEZNS1_11reduce_implILb1ES3_PiS7_iN6hipcub16HIPCUB_304000_NS6detail34convert_binary_result_type_wrapperINS9_3SumENS9_22TransformInputIteratorIbN2at6native12_GLOBAL__N_19NonZeroOpIlEEPKllEEiEEEE10hipError_tPvRmT1_T2_T3_mT4_P12ihipStream_tbEUlT_E0_NS1_11comp_targetILNS1_3genE4ELNS1_11target_archE910ELNS1_3gpuE8ELNS1_3repE0EEENS1_30default_config_static_selectorELNS0_4arch9wavefront6targetE0EEEvSQ_,comdat
	.globl	_ZN7rocprim17ROCPRIM_400000_NS6detail17trampoline_kernelINS0_14default_configENS1_22reduce_config_selectorIiEEZNS1_11reduce_implILb1ES3_PiS7_iN6hipcub16HIPCUB_304000_NS6detail34convert_binary_result_type_wrapperINS9_3SumENS9_22TransformInputIteratorIbN2at6native12_GLOBAL__N_19NonZeroOpIlEEPKllEEiEEEE10hipError_tPvRmT1_T2_T3_mT4_P12ihipStream_tbEUlT_E0_NS1_11comp_targetILNS1_3genE4ELNS1_11target_archE910ELNS1_3gpuE8ELNS1_3repE0EEENS1_30default_config_static_selectorELNS0_4arch9wavefront6targetE0EEEvSQ_ ; -- Begin function _ZN7rocprim17ROCPRIM_400000_NS6detail17trampoline_kernelINS0_14default_configENS1_22reduce_config_selectorIiEEZNS1_11reduce_implILb1ES3_PiS7_iN6hipcub16HIPCUB_304000_NS6detail34convert_binary_result_type_wrapperINS9_3SumENS9_22TransformInputIteratorIbN2at6native12_GLOBAL__N_19NonZeroOpIlEEPKllEEiEEEE10hipError_tPvRmT1_T2_T3_mT4_P12ihipStream_tbEUlT_E0_NS1_11comp_targetILNS1_3genE4ELNS1_11target_archE910ELNS1_3gpuE8ELNS1_3repE0EEENS1_30default_config_static_selectorELNS0_4arch9wavefront6targetE0EEEvSQ_
	.p2align	8
	.type	_ZN7rocprim17ROCPRIM_400000_NS6detail17trampoline_kernelINS0_14default_configENS1_22reduce_config_selectorIiEEZNS1_11reduce_implILb1ES3_PiS7_iN6hipcub16HIPCUB_304000_NS6detail34convert_binary_result_type_wrapperINS9_3SumENS9_22TransformInputIteratorIbN2at6native12_GLOBAL__N_19NonZeroOpIlEEPKllEEiEEEE10hipError_tPvRmT1_T2_T3_mT4_P12ihipStream_tbEUlT_E0_NS1_11comp_targetILNS1_3genE4ELNS1_11target_archE910ELNS1_3gpuE8ELNS1_3repE0EEENS1_30default_config_static_selectorELNS0_4arch9wavefront6targetE0EEEvSQ_,@function
_ZN7rocprim17ROCPRIM_400000_NS6detail17trampoline_kernelINS0_14default_configENS1_22reduce_config_selectorIiEEZNS1_11reduce_implILb1ES3_PiS7_iN6hipcub16HIPCUB_304000_NS6detail34convert_binary_result_type_wrapperINS9_3SumENS9_22TransformInputIteratorIbN2at6native12_GLOBAL__N_19NonZeroOpIlEEPKllEEiEEEE10hipError_tPvRmT1_T2_T3_mT4_P12ihipStream_tbEUlT_E0_NS1_11comp_targetILNS1_3genE4ELNS1_11target_archE910ELNS1_3gpuE8ELNS1_3repE0EEENS1_30default_config_static_selectorELNS0_4arch9wavefront6targetE0EEEvSQ_: ; @_ZN7rocprim17ROCPRIM_400000_NS6detail17trampoline_kernelINS0_14default_configENS1_22reduce_config_selectorIiEEZNS1_11reduce_implILb1ES3_PiS7_iN6hipcub16HIPCUB_304000_NS6detail34convert_binary_result_type_wrapperINS9_3SumENS9_22TransformInputIteratorIbN2at6native12_GLOBAL__N_19NonZeroOpIlEEPKllEEiEEEE10hipError_tPvRmT1_T2_T3_mT4_P12ihipStream_tbEUlT_E0_NS1_11comp_targetILNS1_3genE4ELNS1_11target_archE910ELNS1_3gpuE8ELNS1_3repE0EEENS1_30default_config_static_selectorELNS0_4arch9wavefront6targetE0EEEvSQ_
; %bb.0:
	.section	.rodata,"a",@progbits
	.p2align	6, 0x0
	.amdhsa_kernel _ZN7rocprim17ROCPRIM_400000_NS6detail17trampoline_kernelINS0_14default_configENS1_22reduce_config_selectorIiEEZNS1_11reduce_implILb1ES3_PiS7_iN6hipcub16HIPCUB_304000_NS6detail34convert_binary_result_type_wrapperINS9_3SumENS9_22TransformInputIteratorIbN2at6native12_GLOBAL__N_19NonZeroOpIlEEPKllEEiEEEE10hipError_tPvRmT1_T2_T3_mT4_P12ihipStream_tbEUlT_E0_NS1_11comp_targetILNS1_3genE4ELNS1_11target_archE910ELNS1_3gpuE8ELNS1_3repE0EEENS1_30default_config_static_selectorELNS0_4arch9wavefront6targetE0EEEvSQ_
		.amdhsa_group_segment_fixed_size 0
		.amdhsa_private_segment_fixed_size 0
		.amdhsa_kernarg_size 56
		.amdhsa_user_sgpr_count 2
		.amdhsa_user_sgpr_dispatch_ptr 0
		.amdhsa_user_sgpr_queue_ptr 0
		.amdhsa_user_sgpr_kernarg_segment_ptr 1
		.amdhsa_user_sgpr_dispatch_id 0
		.amdhsa_user_sgpr_private_segment_size 0
		.amdhsa_wavefront_size32 1
		.amdhsa_uses_dynamic_stack 0
		.amdhsa_enable_private_segment 0
		.amdhsa_system_sgpr_workgroup_id_x 1
		.amdhsa_system_sgpr_workgroup_id_y 0
		.amdhsa_system_sgpr_workgroup_id_z 0
		.amdhsa_system_sgpr_workgroup_info 0
		.amdhsa_system_vgpr_workitem_id 0
		.amdhsa_next_free_vgpr 1
		.amdhsa_next_free_sgpr 1
		.amdhsa_reserve_vcc 0
		.amdhsa_float_round_mode_32 0
		.amdhsa_float_round_mode_16_64 0
		.amdhsa_float_denorm_mode_32 3
		.amdhsa_float_denorm_mode_16_64 3
		.amdhsa_fp16_overflow 0
		.amdhsa_workgroup_processor_mode 1
		.amdhsa_memory_ordered 1
		.amdhsa_forward_progress 1
		.amdhsa_inst_pref_size 0
		.amdhsa_round_robin_scheduling 0
		.amdhsa_exception_fp_ieee_invalid_op 0
		.amdhsa_exception_fp_denorm_src 0
		.amdhsa_exception_fp_ieee_div_zero 0
		.amdhsa_exception_fp_ieee_overflow 0
		.amdhsa_exception_fp_ieee_underflow 0
		.amdhsa_exception_fp_ieee_inexact 0
		.amdhsa_exception_int_div_zero 0
	.end_amdhsa_kernel
	.section	.text._ZN7rocprim17ROCPRIM_400000_NS6detail17trampoline_kernelINS0_14default_configENS1_22reduce_config_selectorIiEEZNS1_11reduce_implILb1ES3_PiS7_iN6hipcub16HIPCUB_304000_NS6detail34convert_binary_result_type_wrapperINS9_3SumENS9_22TransformInputIteratorIbN2at6native12_GLOBAL__N_19NonZeroOpIlEEPKllEEiEEEE10hipError_tPvRmT1_T2_T3_mT4_P12ihipStream_tbEUlT_E0_NS1_11comp_targetILNS1_3genE4ELNS1_11target_archE910ELNS1_3gpuE8ELNS1_3repE0EEENS1_30default_config_static_selectorELNS0_4arch9wavefront6targetE0EEEvSQ_,"axG",@progbits,_ZN7rocprim17ROCPRIM_400000_NS6detail17trampoline_kernelINS0_14default_configENS1_22reduce_config_selectorIiEEZNS1_11reduce_implILb1ES3_PiS7_iN6hipcub16HIPCUB_304000_NS6detail34convert_binary_result_type_wrapperINS9_3SumENS9_22TransformInputIteratorIbN2at6native12_GLOBAL__N_19NonZeroOpIlEEPKllEEiEEEE10hipError_tPvRmT1_T2_T3_mT4_P12ihipStream_tbEUlT_E0_NS1_11comp_targetILNS1_3genE4ELNS1_11target_archE910ELNS1_3gpuE8ELNS1_3repE0EEENS1_30default_config_static_selectorELNS0_4arch9wavefront6targetE0EEEvSQ_,comdat
.Lfunc_end220:
	.size	_ZN7rocprim17ROCPRIM_400000_NS6detail17trampoline_kernelINS0_14default_configENS1_22reduce_config_selectorIiEEZNS1_11reduce_implILb1ES3_PiS7_iN6hipcub16HIPCUB_304000_NS6detail34convert_binary_result_type_wrapperINS9_3SumENS9_22TransformInputIteratorIbN2at6native12_GLOBAL__N_19NonZeroOpIlEEPKllEEiEEEE10hipError_tPvRmT1_T2_T3_mT4_P12ihipStream_tbEUlT_E0_NS1_11comp_targetILNS1_3genE4ELNS1_11target_archE910ELNS1_3gpuE8ELNS1_3repE0EEENS1_30default_config_static_selectorELNS0_4arch9wavefront6targetE0EEEvSQ_, .Lfunc_end220-_ZN7rocprim17ROCPRIM_400000_NS6detail17trampoline_kernelINS0_14default_configENS1_22reduce_config_selectorIiEEZNS1_11reduce_implILb1ES3_PiS7_iN6hipcub16HIPCUB_304000_NS6detail34convert_binary_result_type_wrapperINS9_3SumENS9_22TransformInputIteratorIbN2at6native12_GLOBAL__N_19NonZeroOpIlEEPKllEEiEEEE10hipError_tPvRmT1_T2_T3_mT4_P12ihipStream_tbEUlT_E0_NS1_11comp_targetILNS1_3genE4ELNS1_11target_archE910ELNS1_3gpuE8ELNS1_3repE0EEENS1_30default_config_static_selectorELNS0_4arch9wavefront6targetE0EEEvSQ_
                                        ; -- End function
	.set _ZN7rocprim17ROCPRIM_400000_NS6detail17trampoline_kernelINS0_14default_configENS1_22reduce_config_selectorIiEEZNS1_11reduce_implILb1ES3_PiS7_iN6hipcub16HIPCUB_304000_NS6detail34convert_binary_result_type_wrapperINS9_3SumENS9_22TransformInputIteratorIbN2at6native12_GLOBAL__N_19NonZeroOpIlEEPKllEEiEEEE10hipError_tPvRmT1_T2_T3_mT4_P12ihipStream_tbEUlT_E0_NS1_11comp_targetILNS1_3genE4ELNS1_11target_archE910ELNS1_3gpuE8ELNS1_3repE0EEENS1_30default_config_static_selectorELNS0_4arch9wavefront6targetE0EEEvSQ_.num_vgpr, 0
	.set _ZN7rocprim17ROCPRIM_400000_NS6detail17trampoline_kernelINS0_14default_configENS1_22reduce_config_selectorIiEEZNS1_11reduce_implILb1ES3_PiS7_iN6hipcub16HIPCUB_304000_NS6detail34convert_binary_result_type_wrapperINS9_3SumENS9_22TransformInputIteratorIbN2at6native12_GLOBAL__N_19NonZeroOpIlEEPKllEEiEEEE10hipError_tPvRmT1_T2_T3_mT4_P12ihipStream_tbEUlT_E0_NS1_11comp_targetILNS1_3genE4ELNS1_11target_archE910ELNS1_3gpuE8ELNS1_3repE0EEENS1_30default_config_static_selectorELNS0_4arch9wavefront6targetE0EEEvSQ_.num_agpr, 0
	.set _ZN7rocprim17ROCPRIM_400000_NS6detail17trampoline_kernelINS0_14default_configENS1_22reduce_config_selectorIiEEZNS1_11reduce_implILb1ES3_PiS7_iN6hipcub16HIPCUB_304000_NS6detail34convert_binary_result_type_wrapperINS9_3SumENS9_22TransformInputIteratorIbN2at6native12_GLOBAL__N_19NonZeroOpIlEEPKllEEiEEEE10hipError_tPvRmT1_T2_T3_mT4_P12ihipStream_tbEUlT_E0_NS1_11comp_targetILNS1_3genE4ELNS1_11target_archE910ELNS1_3gpuE8ELNS1_3repE0EEENS1_30default_config_static_selectorELNS0_4arch9wavefront6targetE0EEEvSQ_.numbered_sgpr, 0
	.set _ZN7rocprim17ROCPRIM_400000_NS6detail17trampoline_kernelINS0_14default_configENS1_22reduce_config_selectorIiEEZNS1_11reduce_implILb1ES3_PiS7_iN6hipcub16HIPCUB_304000_NS6detail34convert_binary_result_type_wrapperINS9_3SumENS9_22TransformInputIteratorIbN2at6native12_GLOBAL__N_19NonZeroOpIlEEPKllEEiEEEE10hipError_tPvRmT1_T2_T3_mT4_P12ihipStream_tbEUlT_E0_NS1_11comp_targetILNS1_3genE4ELNS1_11target_archE910ELNS1_3gpuE8ELNS1_3repE0EEENS1_30default_config_static_selectorELNS0_4arch9wavefront6targetE0EEEvSQ_.num_named_barrier, 0
	.set _ZN7rocprim17ROCPRIM_400000_NS6detail17trampoline_kernelINS0_14default_configENS1_22reduce_config_selectorIiEEZNS1_11reduce_implILb1ES3_PiS7_iN6hipcub16HIPCUB_304000_NS6detail34convert_binary_result_type_wrapperINS9_3SumENS9_22TransformInputIteratorIbN2at6native12_GLOBAL__N_19NonZeroOpIlEEPKllEEiEEEE10hipError_tPvRmT1_T2_T3_mT4_P12ihipStream_tbEUlT_E0_NS1_11comp_targetILNS1_3genE4ELNS1_11target_archE910ELNS1_3gpuE8ELNS1_3repE0EEENS1_30default_config_static_selectorELNS0_4arch9wavefront6targetE0EEEvSQ_.private_seg_size, 0
	.set _ZN7rocprim17ROCPRIM_400000_NS6detail17trampoline_kernelINS0_14default_configENS1_22reduce_config_selectorIiEEZNS1_11reduce_implILb1ES3_PiS7_iN6hipcub16HIPCUB_304000_NS6detail34convert_binary_result_type_wrapperINS9_3SumENS9_22TransformInputIteratorIbN2at6native12_GLOBAL__N_19NonZeroOpIlEEPKllEEiEEEE10hipError_tPvRmT1_T2_T3_mT4_P12ihipStream_tbEUlT_E0_NS1_11comp_targetILNS1_3genE4ELNS1_11target_archE910ELNS1_3gpuE8ELNS1_3repE0EEENS1_30default_config_static_selectorELNS0_4arch9wavefront6targetE0EEEvSQ_.uses_vcc, 0
	.set _ZN7rocprim17ROCPRIM_400000_NS6detail17trampoline_kernelINS0_14default_configENS1_22reduce_config_selectorIiEEZNS1_11reduce_implILb1ES3_PiS7_iN6hipcub16HIPCUB_304000_NS6detail34convert_binary_result_type_wrapperINS9_3SumENS9_22TransformInputIteratorIbN2at6native12_GLOBAL__N_19NonZeroOpIlEEPKllEEiEEEE10hipError_tPvRmT1_T2_T3_mT4_P12ihipStream_tbEUlT_E0_NS1_11comp_targetILNS1_3genE4ELNS1_11target_archE910ELNS1_3gpuE8ELNS1_3repE0EEENS1_30default_config_static_selectorELNS0_4arch9wavefront6targetE0EEEvSQ_.uses_flat_scratch, 0
	.set _ZN7rocprim17ROCPRIM_400000_NS6detail17trampoline_kernelINS0_14default_configENS1_22reduce_config_selectorIiEEZNS1_11reduce_implILb1ES3_PiS7_iN6hipcub16HIPCUB_304000_NS6detail34convert_binary_result_type_wrapperINS9_3SumENS9_22TransformInputIteratorIbN2at6native12_GLOBAL__N_19NonZeroOpIlEEPKllEEiEEEE10hipError_tPvRmT1_T2_T3_mT4_P12ihipStream_tbEUlT_E0_NS1_11comp_targetILNS1_3genE4ELNS1_11target_archE910ELNS1_3gpuE8ELNS1_3repE0EEENS1_30default_config_static_selectorELNS0_4arch9wavefront6targetE0EEEvSQ_.has_dyn_sized_stack, 0
	.set _ZN7rocprim17ROCPRIM_400000_NS6detail17trampoline_kernelINS0_14default_configENS1_22reduce_config_selectorIiEEZNS1_11reduce_implILb1ES3_PiS7_iN6hipcub16HIPCUB_304000_NS6detail34convert_binary_result_type_wrapperINS9_3SumENS9_22TransformInputIteratorIbN2at6native12_GLOBAL__N_19NonZeroOpIlEEPKllEEiEEEE10hipError_tPvRmT1_T2_T3_mT4_P12ihipStream_tbEUlT_E0_NS1_11comp_targetILNS1_3genE4ELNS1_11target_archE910ELNS1_3gpuE8ELNS1_3repE0EEENS1_30default_config_static_selectorELNS0_4arch9wavefront6targetE0EEEvSQ_.has_recursion, 0
	.set _ZN7rocprim17ROCPRIM_400000_NS6detail17trampoline_kernelINS0_14default_configENS1_22reduce_config_selectorIiEEZNS1_11reduce_implILb1ES3_PiS7_iN6hipcub16HIPCUB_304000_NS6detail34convert_binary_result_type_wrapperINS9_3SumENS9_22TransformInputIteratorIbN2at6native12_GLOBAL__N_19NonZeroOpIlEEPKllEEiEEEE10hipError_tPvRmT1_T2_T3_mT4_P12ihipStream_tbEUlT_E0_NS1_11comp_targetILNS1_3genE4ELNS1_11target_archE910ELNS1_3gpuE8ELNS1_3repE0EEENS1_30default_config_static_selectorELNS0_4arch9wavefront6targetE0EEEvSQ_.has_indirect_call, 0
	.section	.AMDGPU.csdata,"",@progbits
; Kernel info:
; codeLenInByte = 0
; TotalNumSgprs: 0
; NumVgprs: 0
; ScratchSize: 0
; MemoryBound: 0
; FloatMode: 240
; IeeeMode: 1
; LDSByteSize: 0 bytes/workgroup (compile time only)
; SGPRBlocks: 0
; VGPRBlocks: 0
; NumSGPRsForWavesPerEU: 1
; NumVGPRsForWavesPerEU: 1
; Occupancy: 16
; WaveLimiterHint : 0
; COMPUTE_PGM_RSRC2:SCRATCH_EN: 0
; COMPUTE_PGM_RSRC2:USER_SGPR: 2
; COMPUTE_PGM_RSRC2:TRAP_HANDLER: 0
; COMPUTE_PGM_RSRC2:TGID_X_EN: 1
; COMPUTE_PGM_RSRC2:TGID_Y_EN: 0
; COMPUTE_PGM_RSRC2:TGID_Z_EN: 0
; COMPUTE_PGM_RSRC2:TIDIG_COMP_CNT: 0
	.section	.text._ZN7rocprim17ROCPRIM_400000_NS6detail17trampoline_kernelINS0_14default_configENS1_22reduce_config_selectorIiEEZNS1_11reduce_implILb1ES3_PiS7_iN6hipcub16HIPCUB_304000_NS6detail34convert_binary_result_type_wrapperINS9_3SumENS9_22TransformInputIteratorIbN2at6native12_GLOBAL__N_19NonZeroOpIlEEPKllEEiEEEE10hipError_tPvRmT1_T2_T3_mT4_P12ihipStream_tbEUlT_E0_NS1_11comp_targetILNS1_3genE3ELNS1_11target_archE908ELNS1_3gpuE7ELNS1_3repE0EEENS1_30default_config_static_selectorELNS0_4arch9wavefront6targetE0EEEvSQ_,"axG",@progbits,_ZN7rocprim17ROCPRIM_400000_NS6detail17trampoline_kernelINS0_14default_configENS1_22reduce_config_selectorIiEEZNS1_11reduce_implILb1ES3_PiS7_iN6hipcub16HIPCUB_304000_NS6detail34convert_binary_result_type_wrapperINS9_3SumENS9_22TransformInputIteratorIbN2at6native12_GLOBAL__N_19NonZeroOpIlEEPKllEEiEEEE10hipError_tPvRmT1_T2_T3_mT4_P12ihipStream_tbEUlT_E0_NS1_11comp_targetILNS1_3genE3ELNS1_11target_archE908ELNS1_3gpuE7ELNS1_3repE0EEENS1_30default_config_static_selectorELNS0_4arch9wavefront6targetE0EEEvSQ_,comdat
	.globl	_ZN7rocprim17ROCPRIM_400000_NS6detail17trampoline_kernelINS0_14default_configENS1_22reduce_config_selectorIiEEZNS1_11reduce_implILb1ES3_PiS7_iN6hipcub16HIPCUB_304000_NS6detail34convert_binary_result_type_wrapperINS9_3SumENS9_22TransformInputIteratorIbN2at6native12_GLOBAL__N_19NonZeroOpIlEEPKllEEiEEEE10hipError_tPvRmT1_T2_T3_mT4_P12ihipStream_tbEUlT_E0_NS1_11comp_targetILNS1_3genE3ELNS1_11target_archE908ELNS1_3gpuE7ELNS1_3repE0EEENS1_30default_config_static_selectorELNS0_4arch9wavefront6targetE0EEEvSQ_ ; -- Begin function _ZN7rocprim17ROCPRIM_400000_NS6detail17trampoline_kernelINS0_14default_configENS1_22reduce_config_selectorIiEEZNS1_11reduce_implILb1ES3_PiS7_iN6hipcub16HIPCUB_304000_NS6detail34convert_binary_result_type_wrapperINS9_3SumENS9_22TransformInputIteratorIbN2at6native12_GLOBAL__N_19NonZeroOpIlEEPKllEEiEEEE10hipError_tPvRmT1_T2_T3_mT4_P12ihipStream_tbEUlT_E0_NS1_11comp_targetILNS1_3genE3ELNS1_11target_archE908ELNS1_3gpuE7ELNS1_3repE0EEENS1_30default_config_static_selectorELNS0_4arch9wavefront6targetE0EEEvSQ_
	.p2align	8
	.type	_ZN7rocprim17ROCPRIM_400000_NS6detail17trampoline_kernelINS0_14default_configENS1_22reduce_config_selectorIiEEZNS1_11reduce_implILb1ES3_PiS7_iN6hipcub16HIPCUB_304000_NS6detail34convert_binary_result_type_wrapperINS9_3SumENS9_22TransformInputIteratorIbN2at6native12_GLOBAL__N_19NonZeroOpIlEEPKllEEiEEEE10hipError_tPvRmT1_T2_T3_mT4_P12ihipStream_tbEUlT_E0_NS1_11comp_targetILNS1_3genE3ELNS1_11target_archE908ELNS1_3gpuE7ELNS1_3repE0EEENS1_30default_config_static_selectorELNS0_4arch9wavefront6targetE0EEEvSQ_,@function
_ZN7rocprim17ROCPRIM_400000_NS6detail17trampoline_kernelINS0_14default_configENS1_22reduce_config_selectorIiEEZNS1_11reduce_implILb1ES3_PiS7_iN6hipcub16HIPCUB_304000_NS6detail34convert_binary_result_type_wrapperINS9_3SumENS9_22TransformInputIteratorIbN2at6native12_GLOBAL__N_19NonZeroOpIlEEPKllEEiEEEE10hipError_tPvRmT1_T2_T3_mT4_P12ihipStream_tbEUlT_E0_NS1_11comp_targetILNS1_3genE3ELNS1_11target_archE908ELNS1_3gpuE7ELNS1_3repE0EEENS1_30default_config_static_selectorELNS0_4arch9wavefront6targetE0EEEvSQ_: ; @_ZN7rocprim17ROCPRIM_400000_NS6detail17trampoline_kernelINS0_14default_configENS1_22reduce_config_selectorIiEEZNS1_11reduce_implILb1ES3_PiS7_iN6hipcub16HIPCUB_304000_NS6detail34convert_binary_result_type_wrapperINS9_3SumENS9_22TransformInputIteratorIbN2at6native12_GLOBAL__N_19NonZeroOpIlEEPKllEEiEEEE10hipError_tPvRmT1_T2_T3_mT4_P12ihipStream_tbEUlT_E0_NS1_11comp_targetILNS1_3genE3ELNS1_11target_archE908ELNS1_3gpuE7ELNS1_3repE0EEENS1_30default_config_static_selectorELNS0_4arch9wavefront6targetE0EEEvSQ_
; %bb.0:
	.section	.rodata,"a",@progbits
	.p2align	6, 0x0
	.amdhsa_kernel _ZN7rocprim17ROCPRIM_400000_NS6detail17trampoline_kernelINS0_14default_configENS1_22reduce_config_selectorIiEEZNS1_11reduce_implILb1ES3_PiS7_iN6hipcub16HIPCUB_304000_NS6detail34convert_binary_result_type_wrapperINS9_3SumENS9_22TransformInputIteratorIbN2at6native12_GLOBAL__N_19NonZeroOpIlEEPKllEEiEEEE10hipError_tPvRmT1_T2_T3_mT4_P12ihipStream_tbEUlT_E0_NS1_11comp_targetILNS1_3genE3ELNS1_11target_archE908ELNS1_3gpuE7ELNS1_3repE0EEENS1_30default_config_static_selectorELNS0_4arch9wavefront6targetE0EEEvSQ_
		.amdhsa_group_segment_fixed_size 0
		.amdhsa_private_segment_fixed_size 0
		.amdhsa_kernarg_size 56
		.amdhsa_user_sgpr_count 2
		.amdhsa_user_sgpr_dispatch_ptr 0
		.amdhsa_user_sgpr_queue_ptr 0
		.amdhsa_user_sgpr_kernarg_segment_ptr 1
		.amdhsa_user_sgpr_dispatch_id 0
		.amdhsa_user_sgpr_private_segment_size 0
		.amdhsa_wavefront_size32 1
		.amdhsa_uses_dynamic_stack 0
		.amdhsa_enable_private_segment 0
		.amdhsa_system_sgpr_workgroup_id_x 1
		.amdhsa_system_sgpr_workgroup_id_y 0
		.amdhsa_system_sgpr_workgroup_id_z 0
		.amdhsa_system_sgpr_workgroup_info 0
		.amdhsa_system_vgpr_workitem_id 0
		.amdhsa_next_free_vgpr 1
		.amdhsa_next_free_sgpr 1
		.amdhsa_reserve_vcc 0
		.amdhsa_float_round_mode_32 0
		.amdhsa_float_round_mode_16_64 0
		.amdhsa_float_denorm_mode_32 3
		.amdhsa_float_denorm_mode_16_64 3
		.amdhsa_fp16_overflow 0
		.amdhsa_workgroup_processor_mode 1
		.amdhsa_memory_ordered 1
		.amdhsa_forward_progress 1
		.amdhsa_inst_pref_size 0
		.amdhsa_round_robin_scheduling 0
		.amdhsa_exception_fp_ieee_invalid_op 0
		.amdhsa_exception_fp_denorm_src 0
		.amdhsa_exception_fp_ieee_div_zero 0
		.amdhsa_exception_fp_ieee_overflow 0
		.amdhsa_exception_fp_ieee_underflow 0
		.amdhsa_exception_fp_ieee_inexact 0
		.amdhsa_exception_int_div_zero 0
	.end_amdhsa_kernel
	.section	.text._ZN7rocprim17ROCPRIM_400000_NS6detail17trampoline_kernelINS0_14default_configENS1_22reduce_config_selectorIiEEZNS1_11reduce_implILb1ES3_PiS7_iN6hipcub16HIPCUB_304000_NS6detail34convert_binary_result_type_wrapperINS9_3SumENS9_22TransformInputIteratorIbN2at6native12_GLOBAL__N_19NonZeroOpIlEEPKllEEiEEEE10hipError_tPvRmT1_T2_T3_mT4_P12ihipStream_tbEUlT_E0_NS1_11comp_targetILNS1_3genE3ELNS1_11target_archE908ELNS1_3gpuE7ELNS1_3repE0EEENS1_30default_config_static_selectorELNS0_4arch9wavefront6targetE0EEEvSQ_,"axG",@progbits,_ZN7rocprim17ROCPRIM_400000_NS6detail17trampoline_kernelINS0_14default_configENS1_22reduce_config_selectorIiEEZNS1_11reduce_implILb1ES3_PiS7_iN6hipcub16HIPCUB_304000_NS6detail34convert_binary_result_type_wrapperINS9_3SumENS9_22TransformInputIteratorIbN2at6native12_GLOBAL__N_19NonZeroOpIlEEPKllEEiEEEE10hipError_tPvRmT1_T2_T3_mT4_P12ihipStream_tbEUlT_E0_NS1_11comp_targetILNS1_3genE3ELNS1_11target_archE908ELNS1_3gpuE7ELNS1_3repE0EEENS1_30default_config_static_selectorELNS0_4arch9wavefront6targetE0EEEvSQ_,comdat
.Lfunc_end221:
	.size	_ZN7rocprim17ROCPRIM_400000_NS6detail17trampoline_kernelINS0_14default_configENS1_22reduce_config_selectorIiEEZNS1_11reduce_implILb1ES3_PiS7_iN6hipcub16HIPCUB_304000_NS6detail34convert_binary_result_type_wrapperINS9_3SumENS9_22TransformInputIteratorIbN2at6native12_GLOBAL__N_19NonZeroOpIlEEPKllEEiEEEE10hipError_tPvRmT1_T2_T3_mT4_P12ihipStream_tbEUlT_E0_NS1_11comp_targetILNS1_3genE3ELNS1_11target_archE908ELNS1_3gpuE7ELNS1_3repE0EEENS1_30default_config_static_selectorELNS0_4arch9wavefront6targetE0EEEvSQ_, .Lfunc_end221-_ZN7rocprim17ROCPRIM_400000_NS6detail17trampoline_kernelINS0_14default_configENS1_22reduce_config_selectorIiEEZNS1_11reduce_implILb1ES3_PiS7_iN6hipcub16HIPCUB_304000_NS6detail34convert_binary_result_type_wrapperINS9_3SumENS9_22TransformInputIteratorIbN2at6native12_GLOBAL__N_19NonZeroOpIlEEPKllEEiEEEE10hipError_tPvRmT1_T2_T3_mT4_P12ihipStream_tbEUlT_E0_NS1_11comp_targetILNS1_3genE3ELNS1_11target_archE908ELNS1_3gpuE7ELNS1_3repE0EEENS1_30default_config_static_selectorELNS0_4arch9wavefront6targetE0EEEvSQ_
                                        ; -- End function
	.set _ZN7rocprim17ROCPRIM_400000_NS6detail17trampoline_kernelINS0_14default_configENS1_22reduce_config_selectorIiEEZNS1_11reduce_implILb1ES3_PiS7_iN6hipcub16HIPCUB_304000_NS6detail34convert_binary_result_type_wrapperINS9_3SumENS9_22TransformInputIteratorIbN2at6native12_GLOBAL__N_19NonZeroOpIlEEPKllEEiEEEE10hipError_tPvRmT1_T2_T3_mT4_P12ihipStream_tbEUlT_E0_NS1_11comp_targetILNS1_3genE3ELNS1_11target_archE908ELNS1_3gpuE7ELNS1_3repE0EEENS1_30default_config_static_selectorELNS0_4arch9wavefront6targetE0EEEvSQ_.num_vgpr, 0
	.set _ZN7rocprim17ROCPRIM_400000_NS6detail17trampoline_kernelINS0_14default_configENS1_22reduce_config_selectorIiEEZNS1_11reduce_implILb1ES3_PiS7_iN6hipcub16HIPCUB_304000_NS6detail34convert_binary_result_type_wrapperINS9_3SumENS9_22TransformInputIteratorIbN2at6native12_GLOBAL__N_19NonZeroOpIlEEPKllEEiEEEE10hipError_tPvRmT1_T2_T3_mT4_P12ihipStream_tbEUlT_E0_NS1_11comp_targetILNS1_3genE3ELNS1_11target_archE908ELNS1_3gpuE7ELNS1_3repE0EEENS1_30default_config_static_selectorELNS0_4arch9wavefront6targetE0EEEvSQ_.num_agpr, 0
	.set _ZN7rocprim17ROCPRIM_400000_NS6detail17trampoline_kernelINS0_14default_configENS1_22reduce_config_selectorIiEEZNS1_11reduce_implILb1ES3_PiS7_iN6hipcub16HIPCUB_304000_NS6detail34convert_binary_result_type_wrapperINS9_3SumENS9_22TransformInputIteratorIbN2at6native12_GLOBAL__N_19NonZeroOpIlEEPKllEEiEEEE10hipError_tPvRmT1_T2_T3_mT4_P12ihipStream_tbEUlT_E0_NS1_11comp_targetILNS1_3genE3ELNS1_11target_archE908ELNS1_3gpuE7ELNS1_3repE0EEENS1_30default_config_static_selectorELNS0_4arch9wavefront6targetE0EEEvSQ_.numbered_sgpr, 0
	.set _ZN7rocprim17ROCPRIM_400000_NS6detail17trampoline_kernelINS0_14default_configENS1_22reduce_config_selectorIiEEZNS1_11reduce_implILb1ES3_PiS7_iN6hipcub16HIPCUB_304000_NS6detail34convert_binary_result_type_wrapperINS9_3SumENS9_22TransformInputIteratorIbN2at6native12_GLOBAL__N_19NonZeroOpIlEEPKllEEiEEEE10hipError_tPvRmT1_T2_T3_mT4_P12ihipStream_tbEUlT_E0_NS1_11comp_targetILNS1_3genE3ELNS1_11target_archE908ELNS1_3gpuE7ELNS1_3repE0EEENS1_30default_config_static_selectorELNS0_4arch9wavefront6targetE0EEEvSQ_.num_named_barrier, 0
	.set _ZN7rocprim17ROCPRIM_400000_NS6detail17trampoline_kernelINS0_14default_configENS1_22reduce_config_selectorIiEEZNS1_11reduce_implILb1ES3_PiS7_iN6hipcub16HIPCUB_304000_NS6detail34convert_binary_result_type_wrapperINS9_3SumENS9_22TransformInputIteratorIbN2at6native12_GLOBAL__N_19NonZeroOpIlEEPKllEEiEEEE10hipError_tPvRmT1_T2_T3_mT4_P12ihipStream_tbEUlT_E0_NS1_11comp_targetILNS1_3genE3ELNS1_11target_archE908ELNS1_3gpuE7ELNS1_3repE0EEENS1_30default_config_static_selectorELNS0_4arch9wavefront6targetE0EEEvSQ_.private_seg_size, 0
	.set _ZN7rocprim17ROCPRIM_400000_NS6detail17trampoline_kernelINS0_14default_configENS1_22reduce_config_selectorIiEEZNS1_11reduce_implILb1ES3_PiS7_iN6hipcub16HIPCUB_304000_NS6detail34convert_binary_result_type_wrapperINS9_3SumENS9_22TransformInputIteratorIbN2at6native12_GLOBAL__N_19NonZeroOpIlEEPKllEEiEEEE10hipError_tPvRmT1_T2_T3_mT4_P12ihipStream_tbEUlT_E0_NS1_11comp_targetILNS1_3genE3ELNS1_11target_archE908ELNS1_3gpuE7ELNS1_3repE0EEENS1_30default_config_static_selectorELNS0_4arch9wavefront6targetE0EEEvSQ_.uses_vcc, 0
	.set _ZN7rocprim17ROCPRIM_400000_NS6detail17trampoline_kernelINS0_14default_configENS1_22reduce_config_selectorIiEEZNS1_11reduce_implILb1ES3_PiS7_iN6hipcub16HIPCUB_304000_NS6detail34convert_binary_result_type_wrapperINS9_3SumENS9_22TransformInputIteratorIbN2at6native12_GLOBAL__N_19NonZeroOpIlEEPKllEEiEEEE10hipError_tPvRmT1_T2_T3_mT4_P12ihipStream_tbEUlT_E0_NS1_11comp_targetILNS1_3genE3ELNS1_11target_archE908ELNS1_3gpuE7ELNS1_3repE0EEENS1_30default_config_static_selectorELNS0_4arch9wavefront6targetE0EEEvSQ_.uses_flat_scratch, 0
	.set _ZN7rocprim17ROCPRIM_400000_NS6detail17trampoline_kernelINS0_14default_configENS1_22reduce_config_selectorIiEEZNS1_11reduce_implILb1ES3_PiS7_iN6hipcub16HIPCUB_304000_NS6detail34convert_binary_result_type_wrapperINS9_3SumENS9_22TransformInputIteratorIbN2at6native12_GLOBAL__N_19NonZeroOpIlEEPKllEEiEEEE10hipError_tPvRmT1_T2_T3_mT4_P12ihipStream_tbEUlT_E0_NS1_11comp_targetILNS1_3genE3ELNS1_11target_archE908ELNS1_3gpuE7ELNS1_3repE0EEENS1_30default_config_static_selectorELNS0_4arch9wavefront6targetE0EEEvSQ_.has_dyn_sized_stack, 0
	.set _ZN7rocprim17ROCPRIM_400000_NS6detail17trampoline_kernelINS0_14default_configENS1_22reduce_config_selectorIiEEZNS1_11reduce_implILb1ES3_PiS7_iN6hipcub16HIPCUB_304000_NS6detail34convert_binary_result_type_wrapperINS9_3SumENS9_22TransformInputIteratorIbN2at6native12_GLOBAL__N_19NonZeroOpIlEEPKllEEiEEEE10hipError_tPvRmT1_T2_T3_mT4_P12ihipStream_tbEUlT_E0_NS1_11comp_targetILNS1_3genE3ELNS1_11target_archE908ELNS1_3gpuE7ELNS1_3repE0EEENS1_30default_config_static_selectorELNS0_4arch9wavefront6targetE0EEEvSQ_.has_recursion, 0
	.set _ZN7rocprim17ROCPRIM_400000_NS6detail17trampoline_kernelINS0_14default_configENS1_22reduce_config_selectorIiEEZNS1_11reduce_implILb1ES3_PiS7_iN6hipcub16HIPCUB_304000_NS6detail34convert_binary_result_type_wrapperINS9_3SumENS9_22TransformInputIteratorIbN2at6native12_GLOBAL__N_19NonZeroOpIlEEPKllEEiEEEE10hipError_tPvRmT1_T2_T3_mT4_P12ihipStream_tbEUlT_E0_NS1_11comp_targetILNS1_3genE3ELNS1_11target_archE908ELNS1_3gpuE7ELNS1_3repE0EEENS1_30default_config_static_selectorELNS0_4arch9wavefront6targetE0EEEvSQ_.has_indirect_call, 0
	.section	.AMDGPU.csdata,"",@progbits
; Kernel info:
; codeLenInByte = 0
; TotalNumSgprs: 0
; NumVgprs: 0
; ScratchSize: 0
; MemoryBound: 0
; FloatMode: 240
; IeeeMode: 1
; LDSByteSize: 0 bytes/workgroup (compile time only)
; SGPRBlocks: 0
; VGPRBlocks: 0
; NumSGPRsForWavesPerEU: 1
; NumVGPRsForWavesPerEU: 1
; Occupancy: 16
; WaveLimiterHint : 0
; COMPUTE_PGM_RSRC2:SCRATCH_EN: 0
; COMPUTE_PGM_RSRC2:USER_SGPR: 2
; COMPUTE_PGM_RSRC2:TRAP_HANDLER: 0
; COMPUTE_PGM_RSRC2:TGID_X_EN: 1
; COMPUTE_PGM_RSRC2:TGID_Y_EN: 0
; COMPUTE_PGM_RSRC2:TGID_Z_EN: 0
; COMPUTE_PGM_RSRC2:TIDIG_COMP_CNT: 0
	.section	.text._ZN7rocprim17ROCPRIM_400000_NS6detail17trampoline_kernelINS0_14default_configENS1_22reduce_config_selectorIiEEZNS1_11reduce_implILb1ES3_PiS7_iN6hipcub16HIPCUB_304000_NS6detail34convert_binary_result_type_wrapperINS9_3SumENS9_22TransformInputIteratorIbN2at6native12_GLOBAL__N_19NonZeroOpIlEEPKllEEiEEEE10hipError_tPvRmT1_T2_T3_mT4_P12ihipStream_tbEUlT_E0_NS1_11comp_targetILNS1_3genE2ELNS1_11target_archE906ELNS1_3gpuE6ELNS1_3repE0EEENS1_30default_config_static_selectorELNS0_4arch9wavefront6targetE0EEEvSQ_,"axG",@progbits,_ZN7rocprim17ROCPRIM_400000_NS6detail17trampoline_kernelINS0_14default_configENS1_22reduce_config_selectorIiEEZNS1_11reduce_implILb1ES3_PiS7_iN6hipcub16HIPCUB_304000_NS6detail34convert_binary_result_type_wrapperINS9_3SumENS9_22TransformInputIteratorIbN2at6native12_GLOBAL__N_19NonZeroOpIlEEPKllEEiEEEE10hipError_tPvRmT1_T2_T3_mT4_P12ihipStream_tbEUlT_E0_NS1_11comp_targetILNS1_3genE2ELNS1_11target_archE906ELNS1_3gpuE6ELNS1_3repE0EEENS1_30default_config_static_selectorELNS0_4arch9wavefront6targetE0EEEvSQ_,comdat
	.globl	_ZN7rocprim17ROCPRIM_400000_NS6detail17trampoline_kernelINS0_14default_configENS1_22reduce_config_selectorIiEEZNS1_11reduce_implILb1ES3_PiS7_iN6hipcub16HIPCUB_304000_NS6detail34convert_binary_result_type_wrapperINS9_3SumENS9_22TransformInputIteratorIbN2at6native12_GLOBAL__N_19NonZeroOpIlEEPKllEEiEEEE10hipError_tPvRmT1_T2_T3_mT4_P12ihipStream_tbEUlT_E0_NS1_11comp_targetILNS1_3genE2ELNS1_11target_archE906ELNS1_3gpuE6ELNS1_3repE0EEENS1_30default_config_static_selectorELNS0_4arch9wavefront6targetE0EEEvSQ_ ; -- Begin function _ZN7rocprim17ROCPRIM_400000_NS6detail17trampoline_kernelINS0_14default_configENS1_22reduce_config_selectorIiEEZNS1_11reduce_implILb1ES3_PiS7_iN6hipcub16HIPCUB_304000_NS6detail34convert_binary_result_type_wrapperINS9_3SumENS9_22TransformInputIteratorIbN2at6native12_GLOBAL__N_19NonZeroOpIlEEPKllEEiEEEE10hipError_tPvRmT1_T2_T3_mT4_P12ihipStream_tbEUlT_E0_NS1_11comp_targetILNS1_3genE2ELNS1_11target_archE906ELNS1_3gpuE6ELNS1_3repE0EEENS1_30default_config_static_selectorELNS0_4arch9wavefront6targetE0EEEvSQ_
	.p2align	8
	.type	_ZN7rocprim17ROCPRIM_400000_NS6detail17trampoline_kernelINS0_14default_configENS1_22reduce_config_selectorIiEEZNS1_11reduce_implILb1ES3_PiS7_iN6hipcub16HIPCUB_304000_NS6detail34convert_binary_result_type_wrapperINS9_3SumENS9_22TransformInputIteratorIbN2at6native12_GLOBAL__N_19NonZeroOpIlEEPKllEEiEEEE10hipError_tPvRmT1_T2_T3_mT4_P12ihipStream_tbEUlT_E0_NS1_11comp_targetILNS1_3genE2ELNS1_11target_archE906ELNS1_3gpuE6ELNS1_3repE0EEENS1_30default_config_static_selectorELNS0_4arch9wavefront6targetE0EEEvSQ_,@function
_ZN7rocprim17ROCPRIM_400000_NS6detail17trampoline_kernelINS0_14default_configENS1_22reduce_config_selectorIiEEZNS1_11reduce_implILb1ES3_PiS7_iN6hipcub16HIPCUB_304000_NS6detail34convert_binary_result_type_wrapperINS9_3SumENS9_22TransformInputIteratorIbN2at6native12_GLOBAL__N_19NonZeroOpIlEEPKllEEiEEEE10hipError_tPvRmT1_T2_T3_mT4_P12ihipStream_tbEUlT_E0_NS1_11comp_targetILNS1_3genE2ELNS1_11target_archE906ELNS1_3gpuE6ELNS1_3repE0EEENS1_30default_config_static_selectorELNS0_4arch9wavefront6targetE0EEEvSQ_: ; @_ZN7rocprim17ROCPRIM_400000_NS6detail17trampoline_kernelINS0_14default_configENS1_22reduce_config_selectorIiEEZNS1_11reduce_implILb1ES3_PiS7_iN6hipcub16HIPCUB_304000_NS6detail34convert_binary_result_type_wrapperINS9_3SumENS9_22TransformInputIteratorIbN2at6native12_GLOBAL__N_19NonZeroOpIlEEPKllEEiEEEE10hipError_tPvRmT1_T2_T3_mT4_P12ihipStream_tbEUlT_E0_NS1_11comp_targetILNS1_3genE2ELNS1_11target_archE906ELNS1_3gpuE6ELNS1_3repE0EEENS1_30default_config_static_selectorELNS0_4arch9wavefront6targetE0EEEvSQ_
; %bb.0:
	.section	.rodata,"a",@progbits
	.p2align	6, 0x0
	.amdhsa_kernel _ZN7rocprim17ROCPRIM_400000_NS6detail17trampoline_kernelINS0_14default_configENS1_22reduce_config_selectorIiEEZNS1_11reduce_implILb1ES3_PiS7_iN6hipcub16HIPCUB_304000_NS6detail34convert_binary_result_type_wrapperINS9_3SumENS9_22TransformInputIteratorIbN2at6native12_GLOBAL__N_19NonZeroOpIlEEPKllEEiEEEE10hipError_tPvRmT1_T2_T3_mT4_P12ihipStream_tbEUlT_E0_NS1_11comp_targetILNS1_3genE2ELNS1_11target_archE906ELNS1_3gpuE6ELNS1_3repE0EEENS1_30default_config_static_selectorELNS0_4arch9wavefront6targetE0EEEvSQ_
		.amdhsa_group_segment_fixed_size 0
		.amdhsa_private_segment_fixed_size 0
		.amdhsa_kernarg_size 56
		.amdhsa_user_sgpr_count 2
		.amdhsa_user_sgpr_dispatch_ptr 0
		.amdhsa_user_sgpr_queue_ptr 0
		.amdhsa_user_sgpr_kernarg_segment_ptr 1
		.amdhsa_user_sgpr_dispatch_id 0
		.amdhsa_user_sgpr_private_segment_size 0
		.amdhsa_wavefront_size32 1
		.amdhsa_uses_dynamic_stack 0
		.amdhsa_enable_private_segment 0
		.amdhsa_system_sgpr_workgroup_id_x 1
		.amdhsa_system_sgpr_workgroup_id_y 0
		.amdhsa_system_sgpr_workgroup_id_z 0
		.amdhsa_system_sgpr_workgroup_info 0
		.amdhsa_system_vgpr_workitem_id 0
		.amdhsa_next_free_vgpr 1
		.amdhsa_next_free_sgpr 1
		.amdhsa_reserve_vcc 0
		.amdhsa_float_round_mode_32 0
		.amdhsa_float_round_mode_16_64 0
		.amdhsa_float_denorm_mode_32 3
		.amdhsa_float_denorm_mode_16_64 3
		.amdhsa_fp16_overflow 0
		.amdhsa_workgroup_processor_mode 1
		.amdhsa_memory_ordered 1
		.amdhsa_forward_progress 1
		.amdhsa_inst_pref_size 0
		.amdhsa_round_robin_scheduling 0
		.amdhsa_exception_fp_ieee_invalid_op 0
		.amdhsa_exception_fp_denorm_src 0
		.amdhsa_exception_fp_ieee_div_zero 0
		.amdhsa_exception_fp_ieee_overflow 0
		.amdhsa_exception_fp_ieee_underflow 0
		.amdhsa_exception_fp_ieee_inexact 0
		.amdhsa_exception_int_div_zero 0
	.end_amdhsa_kernel
	.section	.text._ZN7rocprim17ROCPRIM_400000_NS6detail17trampoline_kernelINS0_14default_configENS1_22reduce_config_selectorIiEEZNS1_11reduce_implILb1ES3_PiS7_iN6hipcub16HIPCUB_304000_NS6detail34convert_binary_result_type_wrapperINS9_3SumENS9_22TransformInputIteratorIbN2at6native12_GLOBAL__N_19NonZeroOpIlEEPKllEEiEEEE10hipError_tPvRmT1_T2_T3_mT4_P12ihipStream_tbEUlT_E0_NS1_11comp_targetILNS1_3genE2ELNS1_11target_archE906ELNS1_3gpuE6ELNS1_3repE0EEENS1_30default_config_static_selectorELNS0_4arch9wavefront6targetE0EEEvSQ_,"axG",@progbits,_ZN7rocprim17ROCPRIM_400000_NS6detail17trampoline_kernelINS0_14default_configENS1_22reduce_config_selectorIiEEZNS1_11reduce_implILb1ES3_PiS7_iN6hipcub16HIPCUB_304000_NS6detail34convert_binary_result_type_wrapperINS9_3SumENS9_22TransformInputIteratorIbN2at6native12_GLOBAL__N_19NonZeroOpIlEEPKllEEiEEEE10hipError_tPvRmT1_T2_T3_mT4_P12ihipStream_tbEUlT_E0_NS1_11comp_targetILNS1_3genE2ELNS1_11target_archE906ELNS1_3gpuE6ELNS1_3repE0EEENS1_30default_config_static_selectorELNS0_4arch9wavefront6targetE0EEEvSQ_,comdat
.Lfunc_end222:
	.size	_ZN7rocprim17ROCPRIM_400000_NS6detail17trampoline_kernelINS0_14default_configENS1_22reduce_config_selectorIiEEZNS1_11reduce_implILb1ES3_PiS7_iN6hipcub16HIPCUB_304000_NS6detail34convert_binary_result_type_wrapperINS9_3SumENS9_22TransformInputIteratorIbN2at6native12_GLOBAL__N_19NonZeroOpIlEEPKllEEiEEEE10hipError_tPvRmT1_T2_T3_mT4_P12ihipStream_tbEUlT_E0_NS1_11comp_targetILNS1_3genE2ELNS1_11target_archE906ELNS1_3gpuE6ELNS1_3repE0EEENS1_30default_config_static_selectorELNS0_4arch9wavefront6targetE0EEEvSQ_, .Lfunc_end222-_ZN7rocprim17ROCPRIM_400000_NS6detail17trampoline_kernelINS0_14default_configENS1_22reduce_config_selectorIiEEZNS1_11reduce_implILb1ES3_PiS7_iN6hipcub16HIPCUB_304000_NS6detail34convert_binary_result_type_wrapperINS9_3SumENS9_22TransformInputIteratorIbN2at6native12_GLOBAL__N_19NonZeroOpIlEEPKllEEiEEEE10hipError_tPvRmT1_T2_T3_mT4_P12ihipStream_tbEUlT_E0_NS1_11comp_targetILNS1_3genE2ELNS1_11target_archE906ELNS1_3gpuE6ELNS1_3repE0EEENS1_30default_config_static_selectorELNS0_4arch9wavefront6targetE0EEEvSQ_
                                        ; -- End function
	.set _ZN7rocprim17ROCPRIM_400000_NS6detail17trampoline_kernelINS0_14default_configENS1_22reduce_config_selectorIiEEZNS1_11reduce_implILb1ES3_PiS7_iN6hipcub16HIPCUB_304000_NS6detail34convert_binary_result_type_wrapperINS9_3SumENS9_22TransformInputIteratorIbN2at6native12_GLOBAL__N_19NonZeroOpIlEEPKllEEiEEEE10hipError_tPvRmT1_T2_T3_mT4_P12ihipStream_tbEUlT_E0_NS1_11comp_targetILNS1_3genE2ELNS1_11target_archE906ELNS1_3gpuE6ELNS1_3repE0EEENS1_30default_config_static_selectorELNS0_4arch9wavefront6targetE0EEEvSQ_.num_vgpr, 0
	.set _ZN7rocprim17ROCPRIM_400000_NS6detail17trampoline_kernelINS0_14default_configENS1_22reduce_config_selectorIiEEZNS1_11reduce_implILb1ES3_PiS7_iN6hipcub16HIPCUB_304000_NS6detail34convert_binary_result_type_wrapperINS9_3SumENS9_22TransformInputIteratorIbN2at6native12_GLOBAL__N_19NonZeroOpIlEEPKllEEiEEEE10hipError_tPvRmT1_T2_T3_mT4_P12ihipStream_tbEUlT_E0_NS1_11comp_targetILNS1_3genE2ELNS1_11target_archE906ELNS1_3gpuE6ELNS1_3repE0EEENS1_30default_config_static_selectorELNS0_4arch9wavefront6targetE0EEEvSQ_.num_agpr, 0
	.set _ZN7rocprim17ROCPRIM_400000_NS6detail17trampoline_kernelINS0_14default_configENS1_22reduce_config_selectorIiEEZNS1_11reduce_implILb1ES3_PiS7_iN6hipcub16HIPCUB_304000_NS6detail34convert_binary_result_type_wrapperINS9_3SumENS9_22TransformInputIteratorIbN2at6native12_GLOBAL__N_19NonZeroOpIlEEPKllEEiEEEE10hipError_tPvRmT1_T2_T3_mT4_P12ihipStream_tbEUlT_E0_NS1_11comp_targetILNS1_3genE2ELNS1_11target_archE906ELNS1_3gpuE6ELNS1_3repE0EEENS1_30default_config_static_selectorELNS0_4arch9wavefront6targetE0EEEvSQ_.numbered_sgpr, 0
	.set _ZN7rocprim17ROCPRIM_400000_NS6detail17trampoline_kernelINS0_14default_configENS1_22reduce_config_selectorIiEEZNS1_11reduce_implILb1ES3_PiS7_iN6hipcub16HIPCUB_304000_NS6detail34convert_binary_result_type_wrapperINS9_3SumENS9_22TransformInputIteratorIbN2at6native12_GLOBAL__N_19NonZeroOpIlEEPKllEEiEEEE10hipError_tPvRmT1_T2_T3_mT4_P12ihipStream_tbEUlT_E0_NS1_11comp_targetILNS1_3genE2ELNS1_11target_archE906ELNS1_3gpuE6ELNS1_3repE0EEENS1_30default_config_static_selectorELNS0_4arch9wavefront6targetE0EEEvSQ_.num_named_barrier, 0
	.set _ZN7rocprim17ROCPRIM_400000_NS6detail17trampoline_kernelINS0_14default_configENS1_22reduce_config_selectorIiEEZNS1_11reduce_implILb1ES3_PiS7_iN6hipcub16HIPCUB_304000_NS6detail34convert_binary_result_type_wrapperINS9_3SumENS9_22TransformInputIteratorIbN2at6native12_GLOBAL__N_19NonZeroOpIlEEPKllEEiEEEE10hipError_tPvRmT1_T2_T3_mT4_P12ihipStream_tbEUlT_E0_NS1_11comp_targetILNS1_3genE2ELNS1_11target_archE906ELNS1_3gpuE6ELNS1_3repE0EEENS1_30default_config_static_selectorELNS0_4arch9wavefront6targetE0EEEvSQ_.private_seg_size, 0
	.set _ZN7rocprim17ROCPRIM_400000_NS6detail17trampoline_kernelINS0_14default_configENS1_22reduce_config_selectorIiEEZNS1_11reduce_implILb1ES3_PiS7_iN6hipcub16HIPCUB_304000_NS6detail34convert_binary_result_type_wrapperINS9_3SumENS9_22TransformInputIteratorIbN2at6native12_GLOBAL__N_19NonZeroOpIlEEPKllEEiEEEE10hipError_tPvRmT1_T2_T3_mT4_P12ihipStream_tbEUlT_E0_NS1_11comp_targetILNS1_3genE2ELNS1_11target_archE906ELNS1_3gpuE6ELNS1_3repE0EEENS1_30default_config_static_selectorELNS0_4arch9wavefront6targetE0EEEvSQ_.uses_vcc, 0
	.set _ZN7rocprim17ROCPRIM_400000_NS6detail17trampoline_kernelINS0_14default_configENS1_22reduce_config_selectorIiEEZNS1_11reduce_implILb1ES3_PiS7_iN6hipcub16HIPCUB_304000_NS6detail34convert_binary_result_type_wrapperINS9_3SumENS9_22TransformInputIteratorIbN2at6native12_GLOBAL__N_19NonZeroOpIlEEPKllEEiEEEE10hipError_tPvRmT1_T2_T3_mT4_P12ihipStream_tbEUlT_E0_NS1_11comp_targetILNS1_3genE2ELNS1_11target_archE906ELNS1_3gpuE6ELNS1_3repE0EEENS1_30default_config_static_selectorELNS0_4arch9wavefront6targetE0EEEvSQ_.uses_flat_scratch, 0
	.set _ZN7rocprim17ROCPRIM_400000_NS6detail17trampoline_kernelINS0_14default_configENS1_22reduce_config_selectorIiEEZNS1_11reduce_implILb1ES3_PiS7_iN6hipcub16HIPCUB_304000_NS6detail34convert_binary_result_type_wrapperINS9_3SumENS9_22TransformInputIteratorIbN2at6native12_GLOBAL__N_19NonZeroOpIlEEPKllEEiEEEE10hipError_tPvRmT1_T2_T3_mT4_P12ihipStream_tbEUlT_E0_NS1_11comp_targetILNS1_3genE2ELNS1_11target_archE906ELNS1_3gpuE6ELNS1_3repE0EEENS1_30default_config_static_selectorELNS0_4arch9wavefront6targetE0EEEvSQ_.has_dyn_sized_stack, 0
	.set _ZN7rocprim17ROCPRIM_400000_NS6detail17trampoline_kernelINS0_14default_configENS1_22reduce_config_selectorIiEEZNS1_11reduce_implILb1ES3_PiS7_iN6hipcub16HIPCUB_304000_NS6detail34convert_binary_result_type_wrapperINS9_3SumENS9_22TransformInputIteratorIbN2at6native12_GLOBAL__N_19NonZeroOpIlEEPKllEEiEEEE10hipError_tPvRmT1_T2_T3_mT4_P12ihipStream_tbEUlT_E0_NS1_11comp_targetILNS1_3genE2ELNS1_11target_archE906ELNS1_3gpuE6ELNS1_3repE0EEENS1_30default_config_static_selectorELNS0_4arch9wavefront6targetE0EEEvSQ_.has_recursion, 0
	.set _ZN7rocprim17ROCPRIM_400000_NS6detail17trampoline_kernelINS0_14default_configENS1_22reduce_config_selectorIiEEZNS1_11reduce_implILb1ES3_PiS7_iN6hipcub16HIPCUB_304000_NS6detail34convert_binary_result_type_wrapperINS9_3SumENS9_22TransformInputIteratorIbN2at6native12_GLOBAL__N_19NonZeroOpIlEEPKllEEiEEEE10hipError_tPvRmT1_T2_T3_mT4_P12ihipStream_tbEUlT_E0_NS1_11comp_targetILNS1_3genE2ELNS1_11target_archE906ELNS1_3gpuE6ELNS1_3repE0EEENS1_30default_config_static_selectorELNS0_4arch9wavefront6targetE0EEEvSQ_.has_indirect_call, 0
	.section	.AMDGPU.csdata,"",@progbits
; Kernel info:
; codeLenInByte = 0
; TotalNumSgprs: 0
; NumVgprs: 0
; ScratchSize: 0
; MemoryBound: 0
; FloatMode: 240
; IeeeMode: 1
; LDSByteSize: 0 bytes/workgroup (compile time only)
; SGPRBlocks: 0
; VGPRBlocks: 0
; NumSGPRsForWavesPerEU: 1
; NumVGPRsForWavesPerEU: 1
; Occupancy: 16
; WaveLimiterHint : 0
; COMPUTE_PGM_RSRC2:SCRATCH_EN: 0
; COMPUTE_PGM_RSRC2:USER_SGPR: 2
; COMPUTE_PGM_RSRC2:TRAP_HANDLER: 0
; COMPUTE_PGM_RSRC2:TGID_X_EN: 1
; COMPUTE_PGM_RSRC2:TGID_Y_EN: 0
; COMPUTE_PGM_RSRC2:TGID_Z_EN: 0
; COMPUTE_PGM_RSRC2:TIDIG_COMP_CNT: 0
	.section	.text._ZN7rocprim17ROCPRIM_400000_NS6detail17trampoline_kernelINS0_14default_configENS1_22reduce_config_selectorIiEEZNS1_11reduce_implILb1ES3_PiS7_iN6hipcub16HIPCUB_304000_NS6detail34convert_binary_result_type_wrapperINS9_3SumENS9_22TransformInputIteratorIbN2at6native12_GLOBAL__N_19NonZeroOpIlEEPKllEEiEEEE10hipError_tPvRmT1_T2_T3_mT4_P12ihipStream_tbEUlT_E0_NS1_11comp_targetILNS1_3genE10ELNS1_11target_archE1201ELNS1_3gpuE5ELNS1_3repE0EEENS1_30default_config_static_selectorELNS0_4arch9wavefront6targetE0EEEvSQ_,"axG",@progbits,_ZN7rocprim17ROCPRIM_400000_NS6detail17trampoline_kernelINS0_14default_configENS1_22reduce_config_selectorIiEEZNS1_11reduce_implILb1ES3_PiS7_iN6hipcub16HIPCUB_304000_NS6detail34convert_binary_result_type_wrapperINS9_3SumENS9_22TransformInputIteratorIbN2at6native12_GLOBAL__N_19NonZeroOpIlEEPKllEEiEEEE10hipError_tPvRmT1_T2_T3_mT4_P12ihipStream_tbEUlT_E0_NS1_11comp_targetILNS1_3genE10ELNS1_11target_archE1201ELNS1_3gpuE5ELNS1_3repE0EEENS1_30default_config_static_selectorELNS0_4arch9wavefront6targetE0EEEvSQ_,comdat
	.globl	_ZN7rocprim17ROCPRIM_400000_NS6detail17trampoline_kernelINS0_14default_configENS1_22reduce_config_selectorIiEEZNS1_11reduce_implILb1ES3_PiS7_iN6hipcub16HIPCUB_304000_NS6detail34convert_binary_result_type_wrapperINS9_3SumENS9_22TransformInputIteratorIbN2at6native12_GLOBAL__N_19NonZeroOpIlEEPKllEEiEEEE10hipError_tPvRmT1_T2_T3_mT4_P12ihipStream_tbEUlT_E0_NS1_11comp_targetILNS1_3genE10ELNS1_11target_archE1201ELNS1_3gpuE5ELNS1_3repE0EEENS1_30default_config_static_selectorELNS0_4arch9wavefront6targetE0EEEvSQ_ ; -- Begin function _ZN7rocprim17ROCPRIM_400000_NS6detail17trampoline_kernelINS0_14default_configENS1_22reduce_config_selectorIiEEZNS1_11reduce_implILb1ES3_PiS7_iN6hipcub16HIPCUB_304000_NS6detail34convert_binary_result_type_wrapperINS9_3SumENS9_22TransformInputIteratorIbN2at6native12_GLOBAL__N_19NonZeroOpIlEEPKllEEiEEEE10hipError_tPvRmT1_T2_T3_mT4_P12ihipStream_tbEUlT_E0_NS1_11comp_targetILNS1_3genE10ELNS1_11target_archE1201ELNS1_3gpuE5ELNS1_3repE0EEENS1_30default_config_static_selectorELNS0_4arch9wavefront6targetE0EEEvSQ_
	.p2align	8
	.type	_ZN7rocprim17ROCPRIM_400000_NS6detail17trampoline_kernelINS0_14default_configENS1_22reduce_config_selectorIiEEZNS1_11reduce_implILb1ES3_PiS7_iN6hipcub16HIPCUB_304000_NS6detail34convert_binary_result_type_wrapperINS9_3SumENS9_22TransformInputIteratorIbN2at6native12_GLOBAL__N_19NonZeroOpIlEEPKllEEiEEEE10hipError_tPvRmT1_T2_T3_mT4_P12ihipStream_tbEUlT_E0_NS1_11comp_targetILNS1_3genE10ELNS1_11target_archE1201ELNS1_3gpuE5ELNS1_3repE0EEENS1_30default_config_static_selectorELNS0_4arch9wavefront6targetE0EEEvSQ_,@function
_ZN7rocprim17ROCPRIM_400000_NS6detail17trampoline_kernelINS0_14default_configENS1_22reduce_config_selectorIiEEZNS1_11reduce_implILb1ES3_PiS7_iN6hipcub16HIPCUB_304000_NS6detail34convert_binary_result_type_wrapperINS9_3SumENS9_22TransformInputIteratorIbN2at6native12_GLOBAL__N_19NonZeroOpIlEEPKllEEiEEEE10hipError_tPvRmT1_T2_T3_mT4_P12ihipStream_tbEUlT_E0_NS1_11comp_targetILNS1_3genE10ELNS1_11target_archE1201ELNS1_3gpuE5ELNS1_3repE0EEENS1_30default_config_static_selectorELNS0_4arch9wavefront6targetE0EEEvSQ_: ; @_ZN7rocprim17ROCPRIM_400000_NS6detail17trampoline_kernelINS0_14default_configENS1_22reduce_config_selectorIiEEZNS1_11reduce_implILb1ES3_PiS7_iN6hipcub16HIPCUB_304000_NS6detail34convert_binary_result_type_wrapperINS9_3SumENS9_22TransformInputIteratorIbN2at6native12_GLOBAL__N_19NonZeroOpIlEEPKllEEiEEEE10hipError_tPvRmT1_T2_T3_mT4_P12ihipStream_tbEUlT_E0_NS1_11comp_targetILNS1_3genE10ELNS1_11target_archE1201ELNS1_3gpuE5ELNS1_3repE0EEENS1_30default_config_static_selectorELNS0_4arch9wavefront6targetE0EEEvSQ_
; %bb.0:
	s_clause 0x1
	s_load_b256 s[12:19], s[0:1], 0x0
	s_load_b128 s[20:23], s[0:1], 0x20
	s_lshl_b32 s2, ttmp9, 12
	s_mov_b32 s3, 0
	v_mbcnt_lo_u32_b32 v18, -1, 0
	v_lshlrev_b32_e32 v19, 2, v0
	s_mov_b32 s24, ttmp9
	s_mov_b32 s25, s3
	s_lshl_b64 s[8:9], s[2:3], 2
	s_wait_kmcnt 0x0
	s_lshl_b64 s[4:5], s[14:15], 2
	s_lshr_b64 s[6:7], s[16:17], 12
	s_add_nc_u64 s[4:5], s[12:13], s[4:5]
	s_cmp_lg_u64 s[6:7], s[24:25]
	s_add_nc_u64 s[26:27], s[4:5], s[8:9]
	s_cbranch_scc0 .LBB223_6
; %bb.1:
	s_clause 0xf
	global_load_b32 v1, v19, s[26:27]
	global_load_b32 v2, v19, s[26:27] offset:1024
	global_load_b32 v3, v19, s[26:27] offset:2048
	;; [unrolled: 1-line block ×15, first 2 shown]
	s_mov_b32 s3, exec_lo
	s_wait_loadcnt 0xe
	v_add_nc_u32_e32 v1, v2, v1
	s_wait_loadcnt 0xc
	s_delay_alu instid0(VALU_DEP_1) | instskip(SKIP_1) | instid1(VALU_DEP_1)
	v_add3_u32 v1, v1, v3, v4
	s_wait_loadcnt 0xa
	v_add3_u32 v1, v1, v5, v6
	s_wait_loadcnt 0x8
	s_delay_alu instid0(VALU_DEP_1) | instskip(SKIP_1) | instid1(VALU_DEP_1)
	v_add3_u32 v1, v1, v7, v8
	s_wait_loadcnt 0x6
	v_add3_u32 v1, v1, v9, v10
	s_wait_loadcnt 0x4
	s_delay_alu instid0(VALU_DEP_1) | instskip(SKIP_1) | instid1(VALU_DEP_1)
	v_add3_u32 v1, v1, v11, v12
	s_wait_loadcnt 0x2
	v_add3_u32 v1, v1, v13, v14
	s_wait_loadcnt 0x0
	s_delay_alu instid0(VALU_DEP_1) | instskip(NEXT) | instid1(VALU_DEP_1)
	v_add3_u32 v1, v1, v15, v16
	v_mov_b32_dpp v2, v1 quad_perm:[1,0,3,2] row_mask:0xf bank_mask:0xf
	s_delay_alu instid0(VALU_DEP_1) | instskip(NEXT) | instid1(VALU_DEP_1)
	v_add_nc_u32_e32 v1, v2, v1
	v_mov_b32_dpp v2, v1 quad_perm:[2,3,0,1] row_mask:0xf bank_mask:0xf
	s_delay_alu instid0(VALU_DEP_1) | instskip(NEXT) | instid1(VALU_DEP_1)
	v_add_nc_u32_e32 v1, v1, v2
	v_mov_b32_dpp v2, v1 row_ror:4 row_mask:0xf bank_mask:0xf
	s_delay_alu instid0(VALU_DEP_1) | instskip(NEXT) | instid1(VALU_DEP_1)
	v_add_nc_u32_e32 v1, v1, v2
	v_mov_b32_dpp v2, v1 row_ror:8 row_mask:0xf bank_mask:0xf
	s_delay_alu instid0(VALU_DEP_1)
	v_add_nc_u32_e32 v1, v1, v2
	ds_swizzle_b32 v2, v1 offset:swizzle(BROADCAST,32,15)
	s_wait_dscnt 0x0
	v_dual_mov_b32 v2, 0 :: v_dual_add_nc_u32 v1, v1, v2
	ds_bpermute_b32 v1, v2, v1 offset:124
	v_cmpx_eq_u32_e32 0, v18
	s_cbranch_execz .LBB223_3
; %bb.2:
	v_lshrrev_b32_e32 v2, 3, v0
	s_delay_alu instid0(VALU_DEP_1)
	v_and_b32_e32 v2, 28, v2
	s_wait_dscnt 0x0
	ds_store_b32 v2, v1
.LBB223_3:
	s_or_b32 exec_lo, exec_lo, s3
	s_delay_alu instid0(SALU_CYCLE_1)
	s_mov_b32 s3, exec_lo
	s_wait_dscnt 0x0
	s_barrier_signal -1
	s_barrier_wait -1
	global_inv scope:SCOPE_SE
	v_cmpx_gt_u32_e32 32, v0
	s_cbranch_execz .LBB223_5
; %bb.4:
	v_and_b32_e32 v1, 7, v18
	s_delay_alu instid0(VALU_DEP_1) | instskip(SKIP_4) | instid1(VALU_DEP_2)
	v_lshlrev_b32_e32 v2, 2, v1
	v_cmp_ne_u32_e32 vcc_lo, 7, v1
	ds_load_b32 v2, v2
	v_add_co_ci_u32_e64 v3, null, 0, v18, vcc_lo
	v_cmp_gt_u32_e32 vcc_lo, 6, v1
	v_lshlrev_b32_e32 v3, 2, v3
	s_wait_alu 0xfffd
	v_cndmask_b32_e64 v1, 0, 2, vcc_lo
	s_delay_alu instid0(VALU_DEP_1)
	v_add_lshl_u32 v1, v1, v18, 2
	s_wait_dscnt 0x0
	ds_bpermute_b32 v3, v3, v2
	s_wait_dscnt 0x0
	v_add_nc_u32_e32 v2, v3, v2
	v_lshlrev_b32_e32 v3, 2, v18
	ds_bpermute_b32 v1, v1, v2
	s_wait_dscnt 0x0
	v_add_nc_u32_e32 v1, v1, v2
	v_or_b32_e32 v2, 16, v3
	ds_bpermute_b32 v2, v2, v1
	s_wait_dscnt 0x0
	v_add_nc_u32_e32 v1, v2, v1
.LBB223_5:
	s_or_b32 exec_lo, exec_lo, s3
	s_branch .LBB223_44
.LBB223_6:
                                        ; implicit-def: $vgpr1
	s_cbranch_execz .LBB223_44
; %bb.7:
	v_mov_b32_e32 v1, 0
	s_sub_co_i32 s28, s16, s2
	s_mov_b32 s2, exec_lo
	s_delay_alu instid0(VALU_DEP_1)
	v_dual_mov_b32 v2, v1 :: v_dual_mov_b32 v3, v1
	v_dual_mov_b32 v4, v1 :: v_dual_mov_b32 v5, v1
	;; [unrolled: 1-line block ×7, first 2 shown]
	v_mov_b32_e32 v16, v1
	v_cmpx_gt_u32_e64 s28, v0
	s_cbranch_execz .LBB223_9
; %bb.8:
	global_load_b32 v2, v19, s[26:27]
	v_mov_b32_e32 v17, v1
	v_dual_mov_b32 v3, v1 :: v_dual_mov_b32 v4, v1
	v_dual_mov_b32 v5, v1 :: v_dual_mov_b32 v6, v1
	;; [unrolled: 1-line block ×7, first 2 shown]
	s_wait_loadcnt 0x0
	v_mov_b32_e32 v1, v2
	v_mov_b32_e32 v2, v3
	v_mov_b32_e32 v3, v4
	v_mov_b32_e32 v4, v5
	v_mov_b32_e32 v5, v6
	v_mov_b32_e32 v6, v7
	v_mov_b32_e32 v7, v8
	v_mov_b32_e32 v8, v9
	v_mov_b32_e32 v9, v10
	v_mov_b32_e32 v10, v11
	v_mov_b32_e32 v11, v12
	v_mov_b32_e32 v12, v13
	v_mov_b32_e32 v13, v14
	v_mov_b32_e32 v14, v15
	v_mov_b32_e32 v15, v16
	v_mov_b32_e32 v16, v17
.LBB223_9:
	s_or_b32 exec_lo, exec_lo, s2
	v_or_b32_e32 v17, 0x100, v0
	s_delay_alu instid0(VALU_DEP_1)
	v_cmp_gt_u32_e32 vcc_lo, s28, v17
	s_and_saveexec_b32 s2, vcc_lo
	s_cbranch_execz .LBB223_11
; %bb.10:
	global_load_b32 v2, v19, s[26:27] offset:1024
.LBB223_11:
	s_or_b32 exec_lo, exec_lo, s2
	v_or_b32_e32 v17, 0x200, v0
	s_delay_alu instid0(VALU_DEP_1)
	v_cmp_gt_u32_e64 s2, s28, v17
	s_and_saveexec_b32 s3, s2
	s_cbranch_execz .LBB223_13
; %bb.12:
	global_load_b32 v3, v19, s[26:27] offset:2048
.LBB223_13:
	s_or_b32 exec_lo, exec_lo, s3
	v_or_b32_e32 v17, 0x300, v0
	s_delay_alu instid0(VALU_DEP_1)
	v_cmp_gt_u32_e64 s3, s28, v17
	s_and_saveexec_b32 s4, s3
	;; [unrolled: 9-line block ×14, first 2 shown]
	s_cbranch_execz .LBB223_39
; %bb.38:
	global_load_b32 v16, v19, s[26:27] offset:15360
.LBB223_39:
	s_wait_alu 0xfffe
	s_or_b32 exec_lo, exec_lo, s29
	s_wait_loadcnt 0x0
	v_cndmask_b32_e32 v2, 0, v2, vcc_lo
	v_cndmask_b32_e64 v3, 0, v3, s2
	v_cndmask_b32_e64 v4, 0, v4, s3
	v_cmp_ne_u32_e32 vcc_lo, 31, v18
	s_min_u32 s2, s28, 0x100
	v_add_nc_u32_e32 v1, v2, v1
	v_cndmask_b32_e64 v2, 0, v5, s4
	v_cndmask_b32_e64 v5, 0, v6, s5
	v_cndmask_b32_e64 v6, 0, v15, s14
	s_mov_b32 s3, exec_lo
	v_add3_u32 v1, v1, v3, v4
	v_cndmask_b32_e64 v3, 0, v7, s6
	v_cndmask_b32_e64 v4, 0, v8, s7
	s_delay_alu instid0(VALU_DEP_3) | instskip(SKIP_2) | instid1(VALU_DEP_3)
	v_add3_u32 v1, v1, v2, v5
	v_cndmask_b32_e64 v2, 0, v9, s8
	v_cndmask_b32_e64 v5, 0, v10, s9
	v_add3_u32 v1, v1, v3, v4
	v_cndmask_b32_e64 v3, 0, v11, s10
	v_cndmask_b32_e64 v4, 0, v12, s11
	s_delay_alu instid0(VALU_DEP_3) | instskip(SKIP_2) | instid1(VALU_DEP_3)
	v_add3_u32 v1, v1, v2, v5
	v_cndmask_b32_e64 v2, 0, v13, s12
	v_cndmask_b32_e64 v5, 0, v14, s13
	v_add3_u32 v1, v1, v3, v4
	v_cndmask_b32_e64 v3, 0, v16, s15
	s_wait_alu 0xfffd
	v_add_co_ci_u32_e64 v4, null, 0, v18, vcc_lo
	v_cmp_gt_u32_e32 vcc_lo, 30, v18
	v_add3_u32 v1, v1, v2, v5
	s_delay_alu instid0(VALU_DEP_3)
	v_lshlrev_b32_e32 v2, 2, v4
	v_add_nc_u32_e32 v4, 1, v18
	s_wait_alu 0xfffd
	v_cndmask_b32_e64 v5, 0, 2, vcc_lo
	v_add3_u32 v1, v1, v6, v3
	v_and_b32_e32 v3, 0xe0, v0
	ds_bpermute_b32 v2, v2, v1
	s_wait_alu 0xfffe
	v_sub_nc_u32_e64 v3, s2, v3 clamp
	s_delay_alu instid0(VALU_DEP_1)
	v_cmp_lt_u32_e32 vcc_lo, v4, v3
	v_add_lshl_u32 v4, v5, v18, 2
	s_wait_dscnt 0x0
	s_wait_alu 0xfffd
	v_cndmask_b32_e32 v2, 0, v2, vcc_lo
	v_cmp_gt_u32_e32 vcc_lo, 28, v18
	s_delay_alu instid0(VALU_DEP_2) | instskip(SKIP_4) | instid1(VALU_DEP_1)
	v_add_nc_u32_e32 v1, v1, v2
	s_wait_alu 0xfffd
	v_cndmask_b32_e64 v5, 0, 4, vcc_lo
	ds_bpermute_b32 v2, v4, v1
	v_add_nc_u32_e32 v4, 2, v18
	v_cmp_lt_u32_e32 vcc_lo, v4, v3
	v_add_lshl_u32 v4, v5, v18, 2
	s_wait_dscnt 0x0
	s_wait_alu 0xfffd
	v_cndmask_b32_e32 v2, 0, v2, vcc_lo
	v_cmp_gt_u32_e32 vcc_lo, 24, v18
	s_delay_alu instid0(VALU_DEP_2) | instskip(SKIP_4) | instid1(VALU_DEP_1)
	v_add_nc_u32_e32 v1, v1, v2
	s_wait_alu 0xfffd
	v_cndmask_b32_e64 v5, 0, 8, vcc_lo
	ds_bpermute_b32 v2, v4, v1
	v_add_nc_u32_e32 v4, 4, v18
	v_cmp_lt_u32_e32 vcc_lo, v4, v3
	v_add_lshl_u32 v4, v5, v18, 2
	v_add_nc_u32_e32 v5, 8, v18
	s_wait_dscnt 0x0
	s_wait_alu 0xfffd
	v_cndmask_b32_e32 v2, 0, v2, vcc_lo
	s_delay_alu instid0(VALU_DEP_2) | instskip(NEXT) | instid1(VALU_DEP_2)
	v_cmp_lt_u32_e32 vcc_lo, v5, v3
	v_add_nc_u32_e32 v1, v1, v2
	v_lshlrev_b32_e32 v2, 2, v18
	ds_bpermute_b32 v4, v4, v1
	v_or_b32_e32 v5, 64, v2
	s_wait_dscnt 0x0
	s_wait_alu 0xfffd
	v_cndmask_b32_e32 v4, 0, v4, vcc_lo
	s_delay_alu instid0(VALU_DEP_1) | instskip(SKIP_2) | instid1(VALU_DEP_1)
	v_add_nc_u32_e32 v1, v1, v4
	ds_bpermute_b32 v4, v5, v1
	v_add_nc_u32_e32 v5, 16, v18
	v_cmp_lt_u32_e32 vcc_lo, v5, v3
	s_wait_dscnt 0x0
	s_wait_alu 0xfffd
	v_cndmask_b32_e32 v3, 0, v4, vcc_lo
	s_delay_alu instid0(VALU_DEP_1)
	v_add_nc_u32_e32 v1, v1, v3
	v_cmpx_eq_u32_e32 0, v18
; %bb.40:
	v_lshrrev_b32_e32 v3, 3, v0
	s_delay_alu instid0(VALU_DEP_1)
	v_and_b32_e32 v3, 28, v3
	ds_store_b32 v3, v1 offset:32
; %bb.41:
	s_or_b32 exec_lo, exec_lo, s3
	s_delay_alu instid0(SALU_CYCLE_1)
	s_mov_b32 s3, exec_lo
	s_wait_dscnt 0x0
	s_barrier_signal -1
	s_barrier_wait -1
	global_inv scope:SCOPE_SE
	v_cmpx_gt_u32_e32 8, v0
	s_cbranch_execz .LBB223_43
; %bb.42:
	ds_load_b32 v1, v2 offset:32
	v_and_b32_e32 v3, 7, v18
	s_add_co_i32 s2, s2, 31
	v_or_b32_e32 v2, 16, v2
	s_wait_alu 0xfffe
	s_lshr_b32 s2, s2, 5
	v_cmp_ne_u32_e32 vcc_lo, 7, v3
	v_add_nc_u32_e32 v5, 1, v3
	s_wait_alu 0xfffd
	v_add_co_ci_u32_e64 v4, null, 0, v18, vcc_lo
	v_cmp_gt_u32_e32 vcc_lo, 6, v3
	s_delay_alu instid0(VALU_DEP_2)
	v_lshlrev_b32_e32 v4, 2, v4
	s_wait_alu 0xfffd
	v_cndmask_b32_e64 v6, 0, 2, vcc_lo
	s_wait_alu 0xfffe
	v_cmp_gt_u32_e32 vcc_lo, s2, v5
	s_wait_dscnt 0x0
	ds_bpermute_b32 v4, v4, v1
	v_add_lshl_u32 v5, v6, v18, 2
	s_wait_dscnt 0x0
	s_wait_alu 0xfffd
	v_cndmask_b32_e32 v4, 0, v4, vcc_lo
	s_delay_alu instid0(VALU_DEP_1) | instskip(SKIP_3) | instid1(VALU_DEP_2)
	v_add_nc_u32_e32 v1, v4, v1
	ds_bpermute_b32 v4, v5, v1
	v_add_nc_u32_e32 v5, 2, v3
	v_add_nc_u32_e32 v3, 4, v3
	v_cmp_gt_u32_e32 vcc_lo, s2, v5
	s_wait_dscnt 0x0
	s_wait_alu 0xfffd
	v_cndmask_b32_e32 v4, 0, v4, vcc_lo
	v_cmp_gt_u32_e32 vcc_lo, s2, v3
	s_delay_alu instid0(VALU_DEP_2) | instskip(SKIP_4) | instid1(VALU_DEP_1)
	v_add_nc_u32_e32 v1, v1, v4
	ds_bpermute_b32 v2, v2, v1
	s_wait_dscnt 0x0
	s_wait_alu 0xfffd
	v_cndmask_b32_e32 v2, 0, v2, vcc_lo
	v_add_nc_u32_e32 v1, v1, v2
.LBB223_43:
	s_wait_alu 0xfffe
	s_or_b32 exec_lo, exec_lo, s3
.LBB223_44:
	s_load_b32 s0, s[0:1], 0x30
	s_mov_b32 s1, exec_lo
	v_cmpx_eq_u32_e32 0, v0
	s_cbranch_execz .LBB223_46
; %bb.45:
	s_mul_u64 s[2:3], s[22:23], s[20:21]
	s_wait_alu 0xfffe
	s_lshl_b64 s[2:3], s[2:3], 2
	s_cmp_eq_u64 s[16:17], 0
	s_wait_alu 0xfffe
	s_add_nc_u64 s[2:3], s[18:19], s[2:3]
	s_cselect_b32 s1, -1, 0
	s_wait_kmcnt 0x0
	v_cndmask_b32_e64 v0, v1, s0, s1
	v_mov_b32_e32 v1, 0
	s_lshl_b64 s[0:1], s[24:25], 2
	s_wait_alu 0xfffe
	s_add_nc_u64 s[0:1], s[2:3], s[0:1]
	global_store_b32 v1, v0, s[0:1]
.LBB223_46:
	s_endpgm
	.section	.rodata,"a",@progbits
	.p2align	6, 0x0
	.amdhsa_kernel _ZN7rocprim17ROCPRIM_400000_NS6detail17trampoline_kernelINS0_14default_configENS1_22reduce_config_selectorIiEEZNS1_11reduce_implILb1ES3_PiS7_iN6hipcub16HIPCUB_304000_NS6detail34convert_binary_result_type_wrapperINS9_3SumENS9_22TransformInputIteratorIbN2at6native12_GLOBAL__N_19NonZeroOpIlEEPKllEEiEEEE10hipError_tPvRmT1_T2_T3_mT4_P12ihipStream_tbEUlT_E0_NS1_11comp_targetILNS1_3genE10ELNS1_11target_archE1201ELNS1_3gpuE5ELNS1_3repE0EEENS1_30default_config_static_selectorELNS0_4arch9wavefront6targetE0EEEvSQ_
		.amdhsa_group_segment_fixed_size 64
		.amdhsa_private_segment_fixed_size 0
		.amdhsa_kernarg_size 56
		.amdhsa_user_sgpr_count 2
		.amdhsa_user_sgpr_dispatch_ptr 0
		.amdhsa_user_sgpr_queue_ptr 0
		.amdhsa_user_sgpr_kernarg_segment_ptr 1
		.amdhsa_user_sgpr_dispatch_id 0
		.amdhsa_user_sgpr_private_segment_size 0
		.amdhsa_wavefront_size32 1
		.amdhsa_uses_dynamic_stack 0
		.amdhsa_enable_private_segment 0
		.amdhsa_system_sgpr_workgroup_id_x 1
		.amdhsa_system_sgpr_workgroup_id_y 0
		.amdhsa_system_sgpr_workgroup_id_z 0
		.amdhsa_system_sgpr_workgroup_info 0
		.amdhsa_system_vgpr_workitem_id 0
		.amdhsa_next_free_vgpr 20
		.amdhsa_next_free_sgpr 30
		.amdhsa_reserve_vcc 1
		.amdhsa_float_round_mode_32 0
		.amdhsa_float_round_mode_16_64 0
		.amdhsa_float_denorm_mode_32 3
		.amdhsa_float_denorm_mode_16_64 3
		.amdhsa_fp16_overflow 0
		.amdhsa_workgroup_processor_mode 1
		.amdhsa_memory_ordered 1
		.amdhsa_forward_progress 1
		.amdhsa_inst_pref_size 20
		.amdhsa_round_robin_scheduling 0
		.amdhsa_exception_fp_ieee_invalid_op 0
		.amdhsa_exception_fp_denorm_src 0
		.amdhsa_exception_fp_ieee_div_zero 0
		.amdhsa_exception_fp_ieee_overflow 0
		.amdhsa_exception_fp_ieee_underflow 0
		.amdhsa_exception_fp_ieee_inexact 0
		.amdhsa_exception_int_div_zero 0
	.end_amdhsa_kernel
	.section	.text._ZN7rocprim17ROCPRIM_400000_NS6detail17trampoline_kernelINS0_14default_configENS1_22reduce_config_selectorIiEEZNS1_11reduce_implILb1ES3_PiS7_iN6hipcub16HIPCUB_304000_NS6detail34convert_binary_result_type_wrapperINS9_3SumENS9_22TransformInputIteratorIbN2at6native12_GLOBAL__N_19NonZeroOpIlEEPKllEEiEEEE10hipError_tPvRmT1_T2_T3_mT4_P12ihipStream_tbEUlT_E0_NS1_11comp_targetILNS1_3genE10ELNS1_11target_archE1201ELNS1_3gpuE5ELNS1_3repE0EEENS1_30default_config_static_selectorELNS0_4arch9wavefront6targetE0EEEvSQ_,"axG",@progbits,_ZN7rocprim17ROCPRIM_400000_NS6detail17trampoline_kernelINS0_14default_configENS1_22reduce_config_selectorIiEEZNS1_11reduce_implILb1ES3_PiS7_iN6hipcub16HIPCUB_304000_NS6detail34convert_binary_result_type_wrapperINS9_3SumENS9_22TransformInputIteratorIbN2at6native12_GLOBAL__N_19NonZeroOpIlEEPKllEEiEEEE10hipError_tPvRmT1_T2_T3_mT4_P12ihipStream_tbEUlT_E0_NS1_11comp_targetILNS1_3genE10ELNS1_11target_archE1201ELNS1_3gpuE5ELNS1_3repE0EEENS1_30default_config_static_selectorELNS0_4arch9wavefront6targetE0EEEvSQ_,comdat
.Lfunc_end223:
	.size	_ZN7rocprim17ROCPRIM_400000_NS6detail17trampoline_kernelINS0_14default_configENS1_22reduce_config_selectorIiEEZNS1_11reduce_implILb1ES3_PiS7_iN6hipcub16HIPCUB_304000_NS6detail34convert_binary_result_type_wrapperINS9_3SumENS9_22TransformInputIteratorIbN2at6native12_GLOBAL__N_19NonZeroOpIlEEPKllEEiEEEE10hipError_tPvRmT1_T2_T3_mT4_P12ihipStream_tbEUlT_E0_NS1_11comp_targetILNS1_3genE10ELNS1_11target_archE1201ELNS1_3gpuE5ELNS1_3repE0EEENS1_30default_config_static_selectorELNS0_4arch9wavefront6targetE0EEEvSQ_, .Lfunc_end223-_ZN7rocprim17ROCPRIM_400000_NS6detail17trampoline_kernelINS0_14default_configENS1_22reduce_config_selectorIiEEZNS1_11reduce_implILb1ES3_PiS7_iN6hipcub16HIPCUB_304000_NS6detail34convert_binary_result_type_wrapperINS9_3SumENS9_22TransformInputIteratorIbN2at6native12_GLOBAL__N_19NonZeroOpIlEEPKllEEiEEEE10hipError_tPvRmT1_T2_T3_mT4_P12ihipStream_tbEUlT_E0_NS1_11comp_targetILNS1_3genE10ELNS1_11target_archE1201ELNS1_3gpuE5ELNS1_3repE0EEENS1_30default_config_static_selectorELNS0_4arch9wavefront6targetE0EEEvSQ_
                                        ; -- End function
	.set _ZN7rocprim17ROCPRIM_400000_NS6detail17trampoline_kernelINS0_14default_configENS1_22reduce_config_selectorIiEEZNS1_11reduce_implILb1ES3_PiS7_iN6hipcub16HIPCUB_304000_NS6detail34convert_binary_result_type_wrapperINS9_3SumENS9_22TransformInputIteratorIbN2at6native12_GLOBAL__N_19NonZeroOpIlEEPKllEEiEEEE10hipError_tPvRmT1_T2_T3_mT4_P12ihipStream_tbEUlT_E0_NS1_11comp_targetILNS1_3genE10ELNS1_11target_archE1201ELNS1_3gpuE5ELNS1_3repE0EEENS1_30default_config_static_selectorELNS0_4arch9wavefront6targetE0EEEvSQ_.num_vgpr, 20
	.set _ZN7rocprim17ROCPRIM_400000_NS6detail17trampoline_kernelINS0_14default_configENS1_22reduce_config_selectorIiEEZNS1_11reduce_implILb1ES3_PiS7_iN6hipcub16HIPCUB_304000_NS6detail34convert_binary_result_type_wrapperINS9_3SumENS9_22TransformInputIteratorIbN2at6native12_GLOBAL__N_19NonZeroOpIlEEPKllEEiEEEE10hipError_tPvRmT1_T2_T3_mT4_P12ihipStream_tbEUlT_E0_NS1_11comp_targetILNS1_3genE10ELNS1_11target_archE1201ELNS1_3gpuE5ELNS1_3repE0EEENS1_30default_config_static_selectorELNS0_4arch9wavefront6targetE0EEEvSQ_.num_agpr, 0
	.set _ZN7rocprim17ROCPRIM_400000_NS6detail17trampoline_kernelINS0_14default_configENS1_22reduce_config_selectorIiEEZNS1_11reduce_implILb1ES3_PiS7_iN6hipcub16HIPCUB_304000_NS6detail34convert_binary_result_type_wrapperINS9_3SumENS9_22TransformInputIteratorIbN2at6native12_GLOBAL__N_19NonZeroOpIlEEPKllEEiEEEE10hipError_tPvRmT1_T2_T3_mT4_P12ihipStream_tbEUlT_E0_NS1_11comp_targetILNS1_3genE10ELNS1_11target_archE1201ELNS1_3gpuE5ELNS1_3repE0EEENS1_30default_config_static_selectorELNS0_4arch9wavefront6targetE0EEEvSQ_.numbered_sgpr, 30
	.set _ZN7rocprim17ROCPRIM_400000_NS6detail17trampoline_kernelINS0_14default_configENS1_22reduce_config_selectorIiEEZNS1_11reduce_implILb1ES3_PiS7_iN6hipcub16HIPCUB_304000_NS6detail34convert_binary_result_type_wrapperINS9_3SumENS9_22TransformInputIteratorIbN2at6native12_GLOBAL__N_19NonZeroOpIlEEPKllEEiEEEE10hipError_tPvRmT1_T2_T3_mT4_P12ihipStream_tbEUlT_E0_NS1_11comp_targetILNS1_3genE10ELNS1_11target_archE1201ELNS1_3gpuE5ELNS1_3repE0EEENS1_30default_config_static_selectorELNS0_4arch9wavefront6targetE0EEEvSQ_.num_named_barrier, 0
	.set _ZN7rocprim17ROCPRIM_400000_NS6detail17trampoline_kernelINS0_14default_configENS1_22reduce_config_selectorIiEEZNS1_11reduce_implILb1ES3_PiS7_iN6hipcub16HIPCUB_304000_NS6detail34convert_binary_result_type_wrapperINS9_3SumENS9_22TransformInputIteratorIbN2at6native12_GLOBAL__N_19NonZeroOpIlEEPKllEEiEEEE10hipError_tPvRmT1_T2_T3_mT4_P12ihipStream_tbEUlT_E0_NS1_11comp_targetILNS1_3genE10ELNS1_11target_archE1201ELNS1_3gpuE5ELNS1_3repE0EEENS1_30default_config_static_selectorELNS0_4arch9wavefront6targetE0EEEvSQ_.private_seg_size, 0
	.set _ZN7rocprim17ROCPRIM_400000_NS6detail17trampoline_kernelINS0_14default_configENS1_22reduce_config_selectorIiEEZNS1_11reduce_implILb1ES3_PiS7_iN6hipcub16HIPCUB_304000_NS6detail34convert_binary_result_type_wrapperINS9_3SumENS9_22TransformInputIteratorIbN2at6native12_GLOBAL__N_19NonZeroOpIlEEPKllEEiEEEE10hipError_tPvRmT1_T2_T3_mT4_P12ihipStream_tbEUlT_E0_NS1_11comp_targetILNS1_3genE10ELNS1_11target_archE1201ELNS1_3gpuE5ELNS1_3repE0EEENS1_30default_config_static_selectorELNS0_4arch9wavefront6targetE0EEEvSQ_.uses_vcc, 1
	.set _ZN7rocprim17ROCPRIM_400000_NS6detail17trampoline_kernelINS0_14default_configENS1_22reduce_config_selectorIiEEZNS1_11reduce_implILb1ES3_PiS7_iN6hipcub16HIPCUB_304000_NS6detail34convert_binary_result_type_wrapperINS9_3SumENS9_22TransformInputIteratorIbN2at6native12_GLOBAL__N_19NonZeroOpIlEEPKllEEiEEEE10hipError_tPvRmT1_T2_T3_mT4_P12ihipStream_tbEUlT_E0_NS1_11comp_targetILNS1_3genE10ELNS1_11target_archE1201ELNS1_3gpuE5ELNS1_3repE0EEENS1_30default_config_static_selectorELNS0_4arch9wavefront6targetE0EEEvSQ_.uses_flat_scratch, 0
	.set _ZN7rocprim17ROCPRIM_400000_NS6detail17trampoline_kernelINS0_14default_configENS1_22reduce_config_selectorIiEEZNS1_11reduce_implILb1ES3_PiS7_iN6hipcub16HIPCUB_304000_NS6detail34convert_binary_result_type_wrapperINS9_3SumENS9_22TransformInputIteratorIbN2at6native12_GLOBAL__N_19NonZeroOpIlEEPKllEEiEEEE10hipError_tPvRmT1_T2_T3_mT4_P12ihipStream_tbEUlT_E0_NS1_11comp_targetILNS1_3genE10ELNS1_11target_archE1201ELNS1_3gpuE5ELNS1_3repE0EEENS1_30default_config_static_selectorELNS0_4arch9wavefront6targetE0EEEvSQ_.has_dyn_sized_stack, 0
	.set _ZN7rocprim17ROCPRIM_400000_NS6detail17trampoline_kernelINS0_14default_configENS1_22reduce_config_selectorIiEEZNS1_11reduce_implILb1ES3_PiS7_iN6hipcub16HIPCUB_304000_NS6detail34convert_binary_result_type_wrapperINS9_3SumENS9_22TransformInputIteratorIbN2at6native12_GLOBAL__N_19NonZeroOpIlEEPKllEEiEEEE10hipError_tPvRmT1_T2_T3_mT4_P12ihipStream_tbEUlT_E0_NS1_11comp_targetILNS1_3genE10ELNS1_11target_archE1201ELNS1_3gpuE5ELNS1_3repE0EEENS1_30default_config_static_selectorELNS0_4arch9wavefront6targetE0EEEvSQ_.has_recursion, 0
	.set _ZN7rocprim17ROCPRIM_400000_NS6detail17trampoline_kernelINS0_14default_configENS1_22reduce_config_selectorIiEEZNS1_11reduce_implILb1ES3_PiS7_iN6hipcub16HIPCUB_304000_NS6detail34convert_binary_result_type_wrapperINS9_3SumENS9_22TransformInputIteratorIbN2at6native12_GLOBAL__N_19NonZeroOpIlEEPKllEEiEEEE10hipError_tPvRmT1_T2_T3_mT4_P12ihipStream_tbEUlT_E0_NS1_11comp_targetILNS1_3genE10ELNS1_11target_archE1201ELNS1_3gpuE5ELNS1_3repE0EEENS1_30default_config_static_selectorELNS0_4arch9wavefront6targetE0EEEvSQ_.has_indirect_call, 0
	.section	.AMDGPU.csdata,"",@progbits
; Kernel info:
; codeLenInByte = 2448
; TotalNumSgprs: 32
; NumVgprs: 20
; ScratchSize: 0
; MemoryBound: 0
; FloatMode: 240
; IeeeMode: 1
; LDSByteSize: 64 bytes/workgroup (compile time only)
; SGPRBlocks: 0
; VGPRBlocks: 2
; NumSGPRsForWavesPerEU: 32
; NumVGPRsForWavesPerEU: 20
; Occupancy: 16
; WaveLimiterHint : 1
; COMPUTE_PGM_RSRC2:SCRATCH_EN: 0
; COMPUTE_PGM_RSRC2:USER_SGPR: 2
; COMPUTE_PGM_RSRC2:TRAP_HANDLER: 0
; COMPUTE_PGM_RSRC2:TGID_X_EN: 1
; COMPUTE_PGM_RSRC2:TGID_Y_EN: 0
; COMPUTE_PGM_RSRC2:TGID_Z_EN: 0
; COMPUTE_PGM_RSRC2:TIDIG_COMP_CNT: 0
	.section	.text._ZN7rocprim17ROCPRIM_400000_NS6detail17trampoline_kernelINS0_14default_configENS1_22reduce_config_selectorIiEEZNS1_11reduce_implILb1ES3_PiS7_iN6hipcub16HIPCUB_304000_NS6detail34convert_binary_result_type_wrapperINS9_3SumENS9_22TransformInputIteratorIbN2at6native12_GLOBAL__N_19NonZeroOpIlEEPKllEEiEEEE10hipError_tPvRmT1_T2_T3_mT4_P12ihipStream_tbEUlT_E0_NS1_11comp_targetILNS1_3genE10ELNS1_11target_archE1200ELNS1_3gpuE4ELNS1_3repE0EEENS1_30default_config_static_selectorELNS0_4arch9wavefront6targetE0EEEvSQ_,"axG",@progbits,_ZN7rocprim17ROCPRIM_400000_NS6detail17trampoline_kernelINS0_14default_configENS1_22reduce_config_selectorIiEEZNS1_11reduce_implILb1ES3_PiS7_iN6hipcub16HIPCUB_304000_NS6detail34convert_binary_result_type_wrapperINS9_3SumENS9_22TransformInputIteratorIbN2at6native12_GLOBAL__N_19NonZeroOpIlEEPKllEEiEEEE10hipError_tPvRmT1_T2_T3_mT4_P12ihipStream_tbEUlT_E0_NS1_11comp_targetILNS1_3genE10ELNS1_11target_archE1200ELNS1_3gpuE4ELNS1_3repE0EEENS1_30default_config_static_selectorELNS0_4arch9wavefront6targetE0EEEvSQ_,comdat
	.globl	_ZN7rocprim17ROCPRIM_400000_NS6detail17trampoline_kernelINS0_14default_configENS1_22reduce_config_selectorIiEEZNS1_11reduce_implILb1ES3_PiS7_iN6hipcub16HIPCUB_304000_NS6detail34convert_binary_result_type_wrapperINS9_3SumENS9_22TransformInputIteratorIbN2at6native12_GLOBAL__N_19NonZeroOpIlEEPKllEEiEEEE10hipError_tPvRmT1_T2_T3_mT4_P12ihipStream_tbEUlT_E0_NS1_11comp_targetILNS1_3genE10ELNS1_11target_archE1200ELNS1_3gpuE4ELNS1_3repE0EEENS1_30default_config_static_selectorELNS0_4arch9wavefront6targetE0EEEvSQ_ ; -- Begin function _ZN7rocprim17ROCPRIM_400000_NS6detail17trampoline_kernelINS0_14default_configENS1_22reduce_config_selectorIiEEZNS1_11reduce_implILb1ES3_PiS7_iN6hipcub16HIPCUB_304000_NS6detail34convert_binary_result_type_wrapperINS9_3SumENS9_22TransformInputIteratorIbN2at6native12_GLOBAL__N_19NonZeroOpIlEEPKllEEiEEEE10hipError_tPvRmT1_T2_T3_mT4_P12ihipStream_tbEUlT_E0_NS1_11comp_targetILNS1_3genE10ELNS1_11target_archE1200ELNS1_3gpuE4ELNS1_3repE0EEENS1_30default_config_static_selectorELNS0_4arch9wavefront6targetE0EEEvSQ_
	.p2align	8
	.type	_ZN7rocprim17ROCPRIM_400000_NS6detail17trampoline_kernelINS0_14default_configENS1_22reduce_config_selectorIiEEZNS1_11reduce_implILb1ES3_PiS7_iN6hipcub16HIPCUB_304000_NS6detail34convert_binary_result_type_wrapperINS9_3SumENS9_22TransformInputIteratorIbN2at6native12_GLOBAL__N_19NonZeroOpIlEEPKllEEiEEEE10hipError_tPvRmT1_T2_T3_mT4_P12ihipStream_tbEUlT_E0_NS1_11comp_targetILNS1_3genE10ELNS1_11target_archE1200ELNS1_3gpuE4ELNS1_3repE0EEENS1_30default_config_static_selectorELNS0_4arch9wavefront6targetE0EEEvSQ_,@function
_ZN7rocprim17ROCPRIM_400000_NS6detail17trampoline_kernelINS0_14default_configENS1_22reduce_config_selectorIiEEZNS1_11reduce_implILb1ES3_PiS7_iN6hipcub16HIPCUB_304000_NS6detail34convert_binary_result_type_wrapperINS9_3SumENS9_22TransformInputIteratorIbN2at6native12_GLOBAL__N_19NonZeroOpIlEEPKllEEiEEEE10hipError_tPvRmT1_T2_T3_mT4_P12ihipStream_tbEUlT_E0_NS1_11comp_targetILNS1_3genE10ELNS1_11target_archE1200ELNS1_3gpuE4ELNS1_3repE0EEENS1_30default_config_static_selectorELNS0_4arch9wavefront6targetE0EEEvSQ_: ; @_ZN7rocprim17ROCPRIM_400000_NS6detail17trampoline_kernelINS0_14default_configENS1_22reduce_config_selectorIiEEZNS1_11reduce_implILb1ES3_PiS7_iN6hipcub16HIPCUB_304000_NS6detail34convert_binary_result_type_wrapperINS9_3SumENS9_22TransformInputIteratorIbN2at6native12_GLOBAL__N_19NonZeroOpIlEEPKllEEiEEEE10hipError_tPvRmT1_T2_T3_mT4_P12ihipStream_tbEUlT_E0_NS1_11comp_targetILNS1_3genE10ELNS1_11target_archE1200ELNS1_3gpuE4ELNS1_3repE0EEENS1_30default_config_static_selectorELNS0_4arch9wavefront6targetE0EEEvSQ_
; %bb.0:
	.section	.rodata,"a",@progbits
	.p2align	6, 0x0
	.amdhsa_kernel _ZN7rocprim17ROCPRIM_400000_NS6detail17trampoline_kernelINS0_14default_configENS1_22reduce_config_selectorIiEEZNS1_11reduce_implILb1ES3_PiS7_iN6hipcub16HIPCUB_304000_NS6detail34convert_binary_result_type_wrapperINS9_3SumENS9_22TransformInputIteratorIbN2at6native12_GLOBAL__N_19NonZeroOpIlEEPKllEEiEEEE10hipError_tPvRmT1_T2_T3_mT4_P12ihipStream_tbEUlT_E0_NS1_11comp_targetILNS1_3genE10ELNS1_11target_archE1200ELNS1_3gpuE4ELNS1_3repE0EEENS1_30default_config_static_selectorELNS0_4arch9wavefront6targetE0EEEvSQ_
		.amdhsa_group_segment_fixed_size 0
		.amdhsa_private_segment_fixed_size 0
		.amdhsa_kernarg_size 56
		.amdhsa_user_sgpr_count 2
		.amdhsa_user_sgpr_dispatch_ptr 0
		.amdhsa_user_sgpr_queue_ptr 0
		.amdhsa_user_sgpr_kernarg_segment_ptr 1
		.amdhsa_user_sgpr_dispatch_id 0
		.amdhsa_user_sgpr_private_segment_size 0
		.amdhsa_wavefront_size32 1
		.amdhsa_uses_dynamic_stack 0
		.amdhsa_enable_private_segment 0
		.amdhsa_system_sgpr_workgroup_id_x 1
		.amdhsa_system_sgpr_workgroup_id_y 0
		.amdhsa_system_sgpr_workgroup_id_z 0
		.amdhsa_system_sgpr_workgroup_info 0
		.amdhsa_system_vgpr_workitem_id 0
		.amdhsa_next_free_vgpr 1
		.amdhsa_next_free_sgpr 1
		.amdhsa_reserve_vcc 0
		.amdhsa_float_round_mode_32 0
		.amdhsa_float_round_mode_16_64 0
		.amdhsa_float_denorm_mode_32 3
		.amdhsa_float_denorm_mode_16_64 3
		.amdhsa_fp16_overflow 0
		.amdhsa_workgroup_processor_mode 1
		.amdhsa_memory_ordered 1
		.amdhsa_forward_progress 1
		.amdhsa_inst_pref_size 0
		.amdhsa_round_robin_scheduling 0
		.amdhsa_exception_fp_ieee_invalid_op 0
		.amdhsa_exception_fp_denorm_src 0
		.amdhsa_exception_fp_ieee_div_zero 0
		.amdhsa_exception_fp_ieee_overflow 0
		.amdhsa_exception_fp_ieee_underflow 0
		.amdhsa_exception_fp_ieee_inexact 0
		.amdhsa_exception_int_div_zero 0
	.end_amdhsa_kernel
	.section	.text._ZN7rocprim17ROCPRIM_400000_NS6detail17trampoline_kernelINS0_14default_configENS1_22reduce_config_selectorIiEEZNS1_11reduce_implILb1ES3_PiS7_iN6hipcub16HIPCUB_304000_NS6detail34convert_binary_result_type_wrapperINS9_3SumENS9_22TransformInputIteratorIbN2at6native12_GLOBAL__N_19NonZeroOpIlEEPKllEEiEEEE10hipError_tPvRmT1_T2_T3_mT4_P12ihipStream_tbEUlT_E0_NS1_11comp_targetILNS1_3genE10ELNS1_11target_archE1200ELNS1_3gpuE4ELNS1_3repE0EEENS1_30default_config_static_selectorELNS0_4arch9wavefront6targetE0EEEvSQ_,"axG",@progbits,_ZN7rocprim17ROCPRIM_400000_NS6detail17trampoline_kernelINS0_14default_configENS1_22reduce_config_selectorIiEEZNS1_11reduce_implILb1ES3_PiS7_iN6hipcub16HIPCUB_304000_NS6detail34convert_binary_result_type_wrapperINS9_3SumENS9_22TransformInputIteratorIbN2at6native12_GLOBAL__N_19NonZeroOpIlEEPKllEEiEEEE10hipError_tPvRmT1_T2_T3_mT4_P12ihipStream_tbEUlT_E0_NS1_11comp_targetILNS1_3genE10ELNS1_11target_archE1200ELNS1_3gpuE4ELNS1_3repE0EEENS1_30default_config_static_selectorELNS0_4arch9wavefront6targetE0EEEvSQ_,comdat
.Lfunc_end224:
	.size	_ZN7rocprim17ROCPRIM_400000_NS6detail17trampoline_kernelINS0_14default_configENS1_22reduce_config_selectorIiEEZNS1_11reduce_implILb1ES3_PiS7_iN6hipcub16HIPCUB_304000_NS6detail34convert_binary_result_type_wrapperINS9_3SumENS9_22TransformInputIteratorIbN2at6native12_GLOBAL__N_19NonZeroOpIlEEPKllEEiEEEE10hipError_tPvRmT1_T2_T3_mT4_P12ihipStream_tbEUlT_E0_NS1_11comp_targetILNS1_3genE10ELNS1_11target_archE1200ELNS1_3gpuE4ELNS1_3repE0EEENS1_30default_config_static_selectorELNS0_4arch9wavefront6targetE0EEEvSQ_, .Lfunc_end224-_ZN7rocprim17ROCPRIM_400000_NS6detail17trampoline_kernelINS0_14default_configENS1_22reduce_config_selectorIiEEZNS1_11reduce_implILb1ES3_PiS7_iN6hipcub16HIPCUB_304000_NS6detail34convert_binary_result_type_wrapperINS9_3SumENS9_22TransformInputIteratorIbN2at6native12_GLOBAL__N_19NonZeroOpIlEEPKllEEiEEEE10hipError_tPvRmT1_T2_T3_mT4_P12ihipStream_tbEUlT_E0_NS1_11comp_targetILNS1_3genE10ELNS1_11target_archE1200ELNS1_3gpuE4ELNS1_3repE0EEENS1_30default_config_static_selectorELNS0_4arch9wavefront6targetE0EEEvSQ_
                                        ; -- End function
	.set _ZN7rocprim17ROCPRIM_400000_NS6detail17trampoline_kernelINS0_14default_configENS1_22reduce_config_selectorIiEEZNS1_11reduce_implILb1ES3_PiS7_iN6hipcub16HIPCUB_304000_NS6detail34convert_binary_result_type_wrapperINS9_3SumENS9_22TransformInputIteratorIbN2at6native12_GLOBAL__N_19NonZeroOpIlEEPKllEEiEEEE10hipError_tPvRmT1_T2_T3_mT4_P12ihipStream_tbEUlT_E0_NS1_11comp_targetILNS1_3genE10ELNS1_11target_archE1200ELNS1_3gpuE4ELNS1_3repE0EEENS1_30default_config_static_selectorELNS0_4arch9wavefront6targetE0EEEvSQ_.num_vgpr, 0
	.set _ZN7rocprim17ROCPRIM_400000_NS6detail17trampoline_kernelINS0_14default_configENS1_22reduce_config_selectorIiEEZNS1_11reduce_implILb1ES3_PiS7_iN6hipcub16HIPCUB_304000_NS6detail34convert_binary_result_type_wrapperINS9_3SumENS9_22TransformInputIteratorIbN2at6native12_GLOBAL__N_19NonZeroOpIlEEPKllEEiEEEE10hipError_tPvRmT1_T2_T3_mT4_P12ihipStream_tbEUlT_E0_NS1_11comp_targetILNS1_3genE10ELNS1_11target_archE1200ELNS1_3gpuE4ELNS1_3repE0EEENS1_30default_config_static_selectorELNS0_4arch9wavefront6targetE0EEEvSQ_.num_agpr, 0
	.set _ZN7rocprim17ROCPRIM_400000_NS6detail17trampoline_kernelINS0_14default_configENS1_22reduce_config_selectorIiEEZNS1_11reduce_implILb1ES3_PiS7_iN6hipcub16HIPCUB_304000_NS6detail34convert_binary_result_type_wrapperINS9_3SumENS9_22TransformInputIteratorIbN2at6native12_GLOBAL__N_19NonZeroOpIlEEPKllEEiEEEE10hipError_tPvRmT1_T2_T3_mT4_P12ihipStream_tbEUlT_E0_NS1_11comp_targetILNS1_3genE10ELNS1_11target_archE1200ELNS1_3gpuE4ELNS1_3repE0EEENS1_30default_config_static_selectorELNS0_4arch9wavefront6targetE0EEEvSQ_.numbered_sgpr, 0
	.set _ZN7rocprim17ROCPRIM_400000_NS6detail17trampoline_kernelINS0_14default_configENS1_22reduce_config_selectorIiEEZNS1_11reduce_implILb1ES3_PiS7_iN6hipcub16HIPCUB_304000_NS6detail34convert_binary_result_type_wrapperINS9_3SumENS9_22TransformInputIteratorIbN2at6native12_GLOBAL__N_19NonZeroOpIlEEPKllEEiEEEE10hipError_tPvRmT1_T2_T3_mT4_P12ihipStream_tbEUlT_E0_NS1_11comp_targetILNS1_3genE10ELNS1_11target_archE1200ELNS1_3gpuE4ELNS1_3repE0EEENS1_30default_config_static_selectorELNS0_4arch9wavefront6targetE0EEEvSQ_.num_named_barrier, 0
	.set _ZN7rocprim17ROCPRIM_400000_NS6detail17trampoline_kernelINS0_14default_configENS1_22reduce_config_selectorIiEEZNS1_11reduce_implILb1ES3_PiS7_iN6hipcub16HIPCUB_304000_NS6detail34convert_binary_result_type_wrapperINS9_3SumENS9_22TransformInputIteratorIbN2at6native12_GLOBAL__N_19NonZeroOpIlEEPKllEEiEEEE10hipError_tPvRmT1_T2_T3_mT4_P12ihipStream_tbEUlT_E0_NS1_11comp_targetILNS1_3genE10ELNS1_11target_archE1200ELNS1_3gpuE4ELNS1_3repE0EEENS1_30default_config_static_selectorELNS0_4arch9wavefront6targetE0EEEvSQ_.private_seg_size, 0
	.set _ZN7rocprim17ROCPRIM_400000_NS6detail17trampoline_kernelINS0_14default_configENS1_22reduce_config_selectorIiEEZNS1_11reduce_implILb1ES3_PiS7_iN6hipcub16HIPCUB_304000_NS6detail34convert_binary_result_type_wrapperINS9_3SumENS9_22TransformInputIteratorIbN2at6native12_GLOBAL__N_19NonZeroOpIlEEPKllEEiEEEE10hipError_tPvRmT1_T2_T3_mT4_P12ihipStream_tbEUlT_E0_NS1_11comp_targetILNS1_3genE10ELNS1_11target_archE1200ELNS1_3gpuE4ELNS1_3repE0EEENS1_30default_config_static_selectorELNS0_4arch9wavefront6targetE0EEEvSQ_.uses_vcc, 0
	.set _ZN7rocprim17ROCPRIM_400000_NS6detail17trampoline_kernelINS0_14default_configENS1_22reduce_config_selectorIiEEZNS1_11reduce_implILb1ES3_PiS7_iN6hipcub16HIPCUB_304000_NS6detail34convert_binary_result_type_wrapperINS9_3SumENS9_22TransformInputIteratorIbN2at6native12_GLOBAL__N_19NonZeroOpIlEEPKllEEiEEEE10hipError_tPvRmT1_T2_T3_mT4_P12ihipStream_tbEUlT_E0_NS1_11comp_targetILNS1_3genE10ELNS1_11target_archE1200ELNS1_3gpuE4ELNS1_3repE0EEENS1_30default_config_static_selectorELNS0_4arch9wavefront6targetE0EEEvSQ_.uses_flat_scratch, 0
	.set _ZN7rocprim17ROCPRIM_400000_NS6detail17trampoline_kernelINS0_14default_configENS1_22reduce_config_selectorIiEEZNS1_11reduce_implILb1ES3_PiS7_iN6hipcub16HIPCUB_304000_NS6detail34convert_binary_result_type_wrapperINS9_3SumENS9_22TransformInputIteratorIbN2at6native12_GLOBAL__N_19NonZeroOpIlEEPKllEEiEEEE10hipError_tPvRmT1_T2_T3_mT4_P12ihipStream_tbEUlT_E0_NS1_11comp_targetILNS1_3genE10ELNS1_11target_archE1200ELNS1_3gpuE4ELNS1_3repE0EEENS1_30default_config_static_selectorELNS0_4arch9wavefront6targetE0EEEvSQ_.has_dyn_sized_stack, 0
	.set _ZN7rocprim17ROCPRIM_400000_NS6detail17trampoline_kernelINS0_14default_configENS1_22reduce_config_selectorIiEEZNS1_11reduce_implILb1ES3_PiS7_iN6hipcub16HIPCUB_304000_NS6detail34convert_binary_result_type_wrapperINS9_3SumENS9_22TransformInputIteratorIbN2at6native12_GLOBAL__N_19NonZeroOpIlEEPKllEEiEEEE10hipError_tPvRmT1_T2_T3_mT4_P12ihipStream_tbEUlT_E0_NS1_11comp_targetILNS1_3genE10ELNS1_11target_archE1200ELNS1_3gpuE4ELNS1_3repE0EEENS1_30default_config_static_selectorELNS0_4arch9wavefront6targetE0EEEvSQ_.has_recursion, 0
	.set _ZN7rocprim17ROCPRIM_400000_NS6detail17trampoline_kernelINS0_14default_configENS1_22reduce_config_selectorIiEEZNS1_11reduce_implILb1ES3_PiS7_iN6hipcub16HIPCUB_304000_NS6detail34convert_binary_result_type_wrapperINS9_3SumENS9_22TransformInputIteratorIbN2at6native12_GLOBAL__N_19NonZeroOpIlEEPKllEEiEEEE10hipError_tPvRmT1_T2_T3_mT4_P12ihipStream_tbEUlT_E0_NS1_11comp_targetILNS1_3genE10ELNS1_11target_archE1200ELNS1_3gpuE4ELNS1_3repE0EEENS1_30default_config_static_selectorELNS0_4arch9wavefront6targetE0EEEvSQ_.has_indirect_call, 0
	.section	.AMDGPU.csdata,"",@progbits
; Kernel info:
; codeLenInByte = 0
; TotalNumSgprs: 0
; NumVgprs: 0
; ScratchSize: 0
; MemoryBound: 0
; FloatMode: 240
; IeeeMode: 1
; LDSByteSize: 0 bytes/workgroup (compile time only)
; SGPRBlocks: 0
; VGPRBlocks: 0
; NumSGPRsForWavesPerEU: 1
; NumVGPRsForWavesPerEU: 1
; Occupancy: 16
; WaveLimiterHint : 0
; COMPUTE_PGM_RSRC2:SCRATCH_EN: 0
; COMPUTE_PGM_RSRC2:USER_SGPR: 2
; COMPUTE_PGM_RSRC2:TRAP_HANDLER: 0
; COMPUTE_PGM_RSRC2:TGID_X_EN: 1
; COMPUTE_PGM_RSRC2:TGID_Y_EN: 0
; COMPUTE_PGM_RSRC2:TGID_Z_EN: 0
; COMPUTE_PGM_RSRC2:TIDIG_COMP_CNT: 0
	.section	.text._ZN7rocprim17ROCPRIM_400000_NS6detail17trampoline_kernelINS0_14default_configENS1_22reduce_config_selectorIiEEZNS1_11reduce_implILb1ES3_PiS7_iN6hipcub16HIPCUB_304000_NS6detail34convert_binary_result_type_wrapperINS9_3SumENS9_22TransformInputIteratorIbN2at6native12_GLOBAL__N_19NonZeroOpIlEEPKllEEiEEEE10hipError_tPvRmT1_T2_T3_mT4_P12ihipStream_tbEUlT_E0_NS1_11comp_targetILNS1_3genE9ELNS1_11target_archE1100ELNS1_3gpuE3ELNS1_3repE0EEENS1_30default_config_static_selectorELNS0_4arch9wavefront6targetE0EEEvSQ_,"axG",@progbits,_ZN7rocprim17ROCPRIM_400000_NS6detail17trampoline_kernelINS0_14default_configENS1_22reduce_config_selectorIiEEZNS1_11reduce_implILb1ES3_PiS7_iN6hipcub16HIPCUB_304000_NS6detail34convert_binary_result_type_wrapperINS9_3SumENS9_22TransformInputIteratorIbN2at6native12_GLOBAL__N_19NonZeroOpIlEEPKllEEiEEEE10hipError_tPvRmT1_T2_T3_mT4_P12ihipStream_tbEUlT_E0_NS1_11comp_targetILNS1_3genE9ELNS1_11target_archE1100ELNS1_3gpuE3ELNS1_3repE0EEENS1_30default_config_static_selectorELNS0_4arch9wavefront6targetE0EEEvSQ_,comdat
	.globl	_ZN7rocprim17ROCPRIM_400000_NS6detail17trampoline_kernelINS0_14default_configENS1_22reduce_config_selectorIiEEZNS1_11reduce_implILb1ES3_PiS7_iN6hipcub16HIPCUB_304000_NS6detail34convert_binary_result_type_wrapperINS9_3SumENS9_22TransformInputIteratorIbN2at6native12_GLOBAL__N_19NonZeroOpIlEEPKllEEiEEEE10hipError_tPvRmT1_T2_T3_mT4_P12ihipStream_tbEUlT_E0_NS1_11comp_targetILNS1_3genE9ELNS1_11target_archE1100ELNS1_3gpuE3ELNS1_3repE0EEENS1_30default_config_static_selectorELNS0_4arch9wavefront6targetE0EEEvSQ_ ; -- Begin function _ZN7rocprim17ROCPRIM_400000_NS6detail17trampoline_kernelINS0_14default_configENS1_22reduce_config_selectorIiEEZNS1_11reduce_implILb1ES3_PiS7_iN6hipcub16HIPCUB_304000_NS6detail34convert_binary_result_type_wrapperINS9_3SumENS9_22TransformInputIteratorIbN2at6native12_GLOBAL__N_19NonZeroOpIlEEPKllEEiEEEE10hipError_tPvRmT1_T2_T3_mT4_P12ihipStream_tbEUlT_E0_NS1_11comp_targetILNS1_3genE9ELNS1_11target_archE1100ELNS1_3gpuE3ELNS1_3repE0EEENS1_30default_config_static_selectorELNS0_4arch9wavefront6targetE0EEEvSQ_
	.p2align	8
	.type	_ZN7rocprim17ROCPRIM_400000_NS6detail17trampoline_kernelINS0_14default_configENS1_22reduce_config_selectorIiEEZNS1_11reduce_implILb1ES3_PiS7_iN6hipcub16HIPCUB_304000_NS6detail34convert_binary_result_type_wrapperINS9_3SumENS9_22TransformInputIteratorIbN2at6native12_GLOBAL__N_19NonZeroOpIlEEPKllEEiEEEE10hipError_tPvRmT1_T2_T3_mT4_P12ihipStream_tbEUlT_E0_NS1_11comp_targetILNS1_3genE9ELNS1_11target_archE1100ELNS1_3gpuE3ELNS1_3repE0EEENS1_30default_config_static_selectorELNS0_4arch9wavefront6targetE0EEEvSQ_,@function
_ZN7rocprim17ROCPRIM_400000_NS6detail17trampoline_kernelINS0_14default_configENS1_22reduce_config_selectorIiEEZNS1_11reduce_implILb1ES3_PiS7_iN6hipcub16HIPCUB_304000_NS6detail34convert_binary_result_type_wrapperINS9_3SumENS9_22TransformInputIteratorIbN2at6native12_GLOBAL__N_19NonZeroOpIlEEPKllEEiEEEE10hipError_tPvRmT1_T2_T3_mT4_P12ihipStream_tbEUlT_E0_NS1_11comp_targetILNS1_3genE9ELNS1_11target_archE1100ELNS1_3gpuE3ELNS1_3repE0EEENS1_30default_config_static_selectorELNS0_4arch9wavefront6targetE0EEEvSQ_: ; @_ZN7rocprim17ROCPRIM_400000_NS6detail17trampoline_kernelINS0_14default_configENS1_22reduce_config_selectorIiEEZNS1_11reduce_implILb1ES3_PiS7_iN6hipcub16HIPCUB_304000_NS6detail34convert_binary_result_type_wrapperINS9_3SumENS9_22TransformInputIteratorIbN2at6native12_GLOBAL__N_19NonZeroOpIlEEPKllEEiEEEE10hipError_tPvRmT1_T2_T3_mT4_P12ihipStream_tbEUlT_E0_NS1_11comp_targetILNS1_3genE9ELNS1_11target_archE1100ELNS1_3gpuE3ELNS1_3repE0EEENS1_30default_config_static_selectorELNS0_4arch9wavefront6targetE0EEEvSQ_
; %bb.0:
	.section	.rodata,"a",@progbits
	.p2align	6, 0x0
	.amdhsa_kernel _ZN7rocprim17ROCPRIM_400000_NS6detail17trampoline_kernelINS0_14default_configENS1_22reduce_config_selectorIiEEZNS1_11reduce_implILb1ES3_PiS7_iN6hipcub16HIPCUB_304000_NS6detail34convert_binary_result_type_wrapperINS9_3SumENS9_22TransformInputIteratorIbN2at6native12_GLOBAL__N_19NonZeroOpIlEEPKllEEiEEEE10hipError_tPvRmT1_T2_T3_mT4_P12ihipStream_tbEUlT_E0_NS1_11comp_targetILNS1_3genE9ELNS1_11target_archE1100ELNS1_3gpuE3ELNS1_3repE0EEENS1_30default_config_static_selectorELNS0_4arch9wavefront6targetE0EEEvSQ_
		.amdhsa_group_segment_fixed_size 0
		.amdhsa_private_segment_fixed_size 0
		.amdhsa_kernarg_size 56
		.amdhsa_user_sgpr_count 2
		.amdhsa_user_sgpr_dispatch_ptr 0
		.amdhsa_user_sgpr_queue_ptr 0
		.amdhsa_user_sgpr_kernarg_segment_ptr 1
		.amdhsa_user_sgpr_dispatch_id 0
		.amdhsa_user_sgpr_private_segment_size 0
		.amdhsa_wavefront_size32 1
		.amdhsa_uses_dynamic_stack 0
		.amdhsa_enable_private_segment 0
		.amdhsa_system_sgpr_workgroup_id_x 1
		.amdhsa_system_sgpr_workgroup_id_y 0
		.amdhsa_system_sgpr_workgroup_id_z 0
		.amdhsa_system_sgpr_workgroup_info 0
		.amdhsa_system_vgpr_workitem_id 0
		.amdhsa_next_free_vgpr 1
		.amdhsa_next_free_sgpr 1
		.amdhsa_reserve_vcc 0
		.amdhsa_float_round_mode_32 0
		.amdhsa_float_round_mode_16_64 0
		.amdhsa_float_denorm_mode_32 3
		.amdhsa_float_denorm_mode_16_64 3
		.amdhsa_fp16_overflow 0
		.amdhsa_workgroup_processor_mode 1
		.amdhsa_memory_ordered 1
		.amdhsa_forward_progress 1
		.amdhsa_inst_pref_size 0
		.amdhsa_round_robin_scheduling 0
		.amdhsa_exception_fp_ieee_invalid_op 0
		.amdhsa_exception_fp_denorm_src 0
		.amdhsa_exception_fp_ieee_div_zero 0
		.amdhsa_exception_fp_ieee_overflow 0
		.amdhsa_exception_fp_ieee_underflow 0
		.amdhsa_exception_fp_ieee_inexact 0
		.amdhsa_exception_int_div_zero 0
	.end_amdhsa_kernel
	.section	.text._ZN7rocprim17ROCPRIM_400000_NS6detail17trampoline_kernelINS0_14default_configENS1_22reduce_config_selectorIiEEZNS1_11reduce_implILb1ES3_PiS7_iN6hipcub16HIPCUB_304000_NS6detail34convert_binary_result_type_wrapperINS9_3SumENS9_22TransformInputIteratorIbN2at6native12_GLOBAL__N_19NonZeroOpIlEEPKllEEiEEEE10hipError_tPvRmT1_T2_T3_mT4_P12ihipStream_tbEUlT_E0_NS1_11comp_targetILNS1_3genE9ELNS1_11target_archE1100ELNS1_3gpuE3ELNS1_3repE0EEENS1_30default_config_static_selectorELNS0_4arch9wavefront6targetE0EEEvSQ_,"axG",@progbits,_ZN7rocprim17ROCPRIM_400000_NS6detail17trampoline_kernelINS0_14default_configENS1_22reduce_config_selectorIiEEZNS1_11reduce_implILb1ES3_PiS7_iN6hipcub16HIPCUB_304000_NS6detail34convert_binary_result_type_wrapperINS9_3SumENS9_22TransformInputIteratorIbN2at6native12_GLOBAL__N_19NonZeroOpIlEEPKllEEiEEEE10hipError_tPvRmT1_T2_T3_mT4_P12ihipStream_tbEUlT_E0_NS1_11comp_targetILNS1_3genE9ELNS1_11target_archE1100ELNS1_3gpuE3ELNS1_3repE0EEENS1_30default_config_static_selectorELNS0_4arch9wavefront6targetE0EEEvSQ_,comdat
.Lfunc_end225:
	.size	_ZN7rocprim17ROCPRIM_400000_NS6detail17trampoline_kernelINS0_14default_configENS1_22reduce_config_selectorIiEEZNS1_11reduce_implILb1ES3_PiS7_iN6hipcub16HIPCUB_304000_NS6detail34convert_binary_result_type_wrapperINS9_3SumENS9_22TransformInputIteratorIbN2at6native12_GLOBAL__N_19NonZeroOpIlEEPKllEEiEEEE10hipError_tPvRmT1_T2_T3_mT4_P12ihipStream_tbEUlT_E0_NS1_11comp_targetILNS1_3genE9ELNS1_11target_archE1100ELNS1_3gpuE3ELNS1_3repE0EEENS1_30default_config_static_selectorELNS0_4arch9wavefront6targetE0EEEvSQ_, .Lfunc_end225-_ZN7rocprim17ROCPRIM_400000_NS6detail17trampoline_kernelINS0_14default_configENS1_22reduce_config_selectorIiEEZNS1_11reduce_implILb1ES3_PiS7_iN6hipcub16HIPCUB_304000_NS6detail34convert_binary_result_type_wrapperINS9_3SumENS9_22TransformInputIteratorIbN2at6native12_GLOBAL__N_19NonZeroOpIlEEPKllEEiEEEE10hipError_tPvRmT1_T2_T3_mT4_P12ihipStream_tbEUlT_E0_NS1_11comp_targetILNS1_3genE9ELNS1_11target_archE1100ELNS1_3gpuE3ELNS1_3repE0EEENS1_30default_config_static_selectorELNS0_4arch9wavefront6targetE0EEEvSQ_
                                        ; -- End function
	.set _ZN7rocprim17ROCPRIM_400000_NS6detail17trampoline_kernelINS0_14default_configENS1_22reduce_config_selectorIiEEZNS1_11reduce_implILb1ES3_PiS7_iN6hipcub16HIPCUB_304000_NS6detail34convert_binary_result_type_wrapperINS9_3SumENS9_22TransformInputIteratorIbN2at6native12_GLOBAL__N_19NonZeroOpIlEEPKllEEiEEEE10hipError_tPvRmT1_T2_T3_mT4_P12ihipStream_tbEUlT_E0_NS1_11comp_targetILNS1_3genE9ELNS1_11target_archE1100ELNS1_3gpuE3ELNS1_3repE0EEENS1_30default_config_static_selectorELNS0_4arch9wavefront6targetE0EEEvSQ_.num_vgpr, 0
	.set _ZN7rocprim17ROCPRIM_400000_NS6detail17trampoline_kernelINS0_14default_configENS1_22reduce_config_selectorIiEEZNS1_11reduce_implILb1ES3_PiS7_iN6hipcub16HIPCUB_304000_NS6detail34convert_binary_result_type_wrapperINS9_3SumENS9_22TransformInputIteratorIbN2at6native12_GLOBAL__N_19NonZeroOpIlEEPKllEEiEEEE10hipError_tPvRmT1_T2_T3_mT4_P12ihipStream_tbEUlT_E0_NS1_11comp_targetILNS1_3genE9ELNS1_11target_archE1100ELNS1_3gpuE3ELNS1_3repE0EEENS1_30default_config_static_selectorELNS0_4arch9wavefront6targetE0EEEvSQ_.num_agpr, 0
	.set _ZN7rocprim17ROCPRIM_400000_NS6detail17trampoline_kernelINS0_14default_configENS1_22reduce_config_selectorIiEEZNS1_11reduce_implILb1ES3_PiS7_iN6hipcub16HIPCUB_304000_NS6detail34convert_binary_result_type_wrapperINS9_3SumENS9_22TransformInputIteratorIbN2at6native12_GLOBAL__N_19NonZeroOpIlEEPKllEEiEEEE10hipError_tPvRmT1_T2_T3_mT4_P12ihipStream_tbEUlT_E0_NS1_11comp_targetILNS1_3genE9ELNS1_11target_archE1100ELNS1_3gpuE3ELNS1_3repE0EEENS1_30default_config_static_selectorELNS0_4arch9wavefront6targetE0EEEvSQ_.numbered_sgpr, 0
	.set _ZN7rocprim17ROCPRIM_400000_NS6detail17trampoline_kernelINS0_14default_configENS1_22reduce_config_selectorIiEEZNS1_11reduce_implILb1ES3_PiS7_iN6hipcub16HIPCUB_304000_NS6detail34convert_binary_result_type_wrapperINS9_3SumENS9_22TransformInputIteratorIbN2at6native12_GLOBAL__N_19NonZeroOpIlEEPKllEEiEEEE10hipError_tPvRmT1_T2_T3_mT4_P12ihipStream_tbEUlT_E0_NS1_11comp_targetILNS1_3genE9ELNS1_11target_archE1100ELNS1_3gpuE3ELNS1_3repE0EEENS1_30default_config_static_selectorELNS0_4arch9wavefront6targetE0EEEvSQ_.num_named_barrier, 0
	.set _ZN7rocprim17ROCPRIM_400000_NS6detail17trampoline_kernelINS0_14default_configENS1_22reduce_config_selectorIiEEZNS1_11reduce_implILb1ES3_PiS7_iN6hipcub16HIPCUB_304000_NS6detail34convert_binary_result_type_wrapperINS9_3SumENS9_22TransformInputIteratorIbN2at6native12_GLOBAL__N_19NonZeroOpIlEEPKllEEiEEEE10hipError_tPvRmT1_T2_T3_mT4_P12ihipStream_tbEUlT_E0_NS1_11comp_targetILNS1_3genE9ELNS1_11target_archE1100ELNS1_3gpuE3ELNS1_3repE0EEENS1_30default_config_static_selectorELNS0_4arch9wavefront6targetE0EEEvSQ_.private_seg_size, 0
	.set _ZN7rocprim17ROCPRIM_400000_NS6detail17trampoline_kernelINS0_14default_configENS1_22reduce_config_selectorIiEEZNS1_11reduce_implILb1ES3_PiS7_iN6hipcub16HIPCUB_304000_NS6detail34convert_binary_result_type_wrapperINS9_3SumENS9_22TransformInputIteratorIbN2at6native12_GLOBAL__N_19NonZeroOpIlEEPKllEEiEEEE10hipError_tPvRmT1_T2_T3_mT4_P12ihipStream_tbEUlT_E0_NS1_11comp_targetILNS1_3genE9ELNS1_11target_archE1100ELNS1_3gpuE3ELNS1_3repE0EEENS1_30default_config_static_selectorELNS0_4arch9wavefront6targetE0EEEvSQ_.uses_vcc, 0
	.set _ZN7rocprim17ROCPRIM_400000_NS6detail17trampoline_kernelINS0_14default_configENS1_22reduce_config_selectorIiEEZNS1_11reduce_implILb1ES3_PiS7_iN6hipcub16HIPCUB_304000_NS6detail34convert_binary_result_type_wrapperINS9_3SumENS9_22TransformInputIteratorIbN2at6native12_GLOBAL__N_19NonZeroOpIlEEPKllEEiEEEE10hipError_tPvRmT1_T2_T3_mT4_P12ihipStream_tbEUlT_E0_NS1_11comp_targetILNS1_3genE9ELNS1_11target_archE1100ELNS1_3gpuE3ELNS1_3repE0EEENS1_30default_config_static_selectorELNS0_4arch9wavefront6targetE0EEEvSQ_.uses_flat_scratch, 0
	.set _ZN7rocprim17ROCPRIM_400000_NS6detail17trampoline_kernelINS0_14default_configENS1_22reduce_config_selectorIiEEZNS1_11reduce_implILb1ES3_PiS7_iN6hipcub16HIPCUB_304000_NS6detail34convert_binary_result_type_wrapperINS9_3SumENS9_22TransformInputIteratorIbN2at6native12_GLOBAL__N_19NonZeroOpIlEEPKllEEiEEEE10hipError_tPvRmT1_T2_T3_mT4_P12ihipStream_tbEUlT_E0_NS1_11comp_targetILNS1_3genE9ELNS1_11target_archE1100ELNS1_3gpuE3ELNS1_3repE0EEENS1_30default_config_static_selectorELNS0_4arch9wavefront6targetE0EEEvSQ_.has_dyn_sized_stack, 0
	.set _ZN7rocprim17ROCPRIM_400000_NS6detail17trampoline_kernelINS0_14default_configENS1_22reduce_config_selectorIiEEZNS1_11reduce_implILb1ES3_PiS7_iN6hipcub16HIPCUB_304000_NS6detail34convert_binary_result_type_wrapperINS9_3SumENS9_22TransformInputIteratorIbN2at6native12_GLOBAL__N_19NonZeroOpIlEEPKllEEiEEEE10hipError_tPvRmT1_T2_T3_mT4_P12ihipStream_tbEUlT_E0_NS1_11comp_targetILNS1_3genE9ELNS1_11target_archE1100ELNS1_3gpuE3ELNS1_3repE0EEENS1_30default_config_static_selectorELNS0_4arch9wavefront6targetE0EEEvSQ_.has_recursion, 0
	.set _ZN7rocprim17ROCPRIM_400000_NS6detail17trampoline_kernelINS0_14default_configENS1_22reduce_config_selectorIiEEZNS1_11reduce_implILb1ES3_PiS7_iN6hipcub16HIPCUB_304000_NS6detail34convert_binary_result_type_wrapperINS9_3SumENS9_22TransformInputIteratorIbN2at6native12_GLOBAL__N_19NonZeroOpIlEEPKllEEiEEEE10hipError_tPvRmT1_T2_T3_mT4_P12ihipStream_tbEUlT_E0_NS1_11comp_targetILNS1_3genE9ELNS1_11target_archE1100ELNS1_3gpuE3ELNS1_3repE0EEENS1_30default_config_static_selectorELNS0_4arch9wavefront6targetE0EEEvSQ_.has_indirect_call, 0
	.section	.AMDGPU.csdata,"",@progbits
; Kernel info:
; codeLenInByte = 0
; TotalNumSgprs: 0
; NumVgprs: 0
; ScratchSize: 0
; MemoryBound: 0
; FloatMode: 240
; IeeeMode: 1
; LDSByteSize: 0 bytes/workgroup (compile time only)
; SGPRBlocks: 0
; VGPRBlocks: 0
; NumSGPRsForWavesPerEU: 1
; NumVGPRsForWavesPerEU: 1
; Occupancy: 16
; WaveLimiterHint : 0
; COMPUTE_PGM_RSRC2:SCRATCH_EN: 0
; COMPUTE_PGM_RSRC2:USER_SGPR: 2
; COMPUTE_PGM_RSRC2:TRAP_HANDLER: 0
; COMPUTE_PGM_RSRC2:TGID_X_EN: 1
; COMPUTE_PGM_RSRC2:TGID_Y_EN: 0
; COMPUTE_PGM_RSRC2:TGID_Z_EN: 0
; COMPUTE_PGM_RSRC2:TIDIG_COMP_CNT: 0
	.section	.text._ZN7rocprim17ROCPRIM_400000_NS6detail17trampoline_kernelINS0_14default_configENS1_22reduce_config_selectorIiEEZNS1_11reduce_implILb1ES3_PiS7_iN6hipcub16HIPCUB_304000_NS6detail34convert_binary_result_type_wrapperINS9_3SumENS9_22TransformInputIteratorIbN2at6native12_GLOBAL__N_19NonZeroOpIlEEPKllEEiEEEE10hipError_tPvRmT1_T2_T3_mT4_P12ihipStream_tbEUlT_E0_NS1_11comp_targetILNS1_3genE8ELNS1_11target_archE1030ELNS1_3gpuE2ELNS1_3repE0EEENS1_30default_config_static_selectorELNS0_4arch9wavefront6targetE0EEEvSQ_,"axG",@progbits,_ZN7rocprim17ROCPRIM_400000_NS6detail17trampoline_kernelINS0_14default_configENS1_22reduce_config_selectorIiEEZNS1_11reduce_implILb1ES3_PiS7_iN6hipcub16HIPCUB_304000_NS6detail34convert_binary_result_type_wrapperINS9_3SumENS9_22TransformInputIteratorIbN2at6native12_GLOBAL__N_19NonZeroOpIlEEPKllEEiEEEE10hipError_tPvRmT1_T2_T3_mT4_P12ihipStream_tbEUlT_E0_NS1_11comp_targetILNS1_3genE8ELNS1_11target_archE1030ELNS1_3gpuE2ELNS1_3repE0EEENS1_30default_config_static_selectorELNS0_4arch9wavefront6targetE0EEEvSQ_,comdat
	.globl	_ZN7rocprim17ROCPRIM_400000_NS6detail17trampoline_kernelINS0_14default_configENS1_22reduce_config_selectorIiEEZNS1_11reduce_implILb1ES3_PiS7_iN6hipcub16HIPCUB_304000_NS6detail34convert_binary_result_type_wrapperINS9_3SumENS9_22TransformInputIteratorIbN2at6native12_GLOBAL__N_19NonZeroOpIlEEPKllEEiEEEE10hipError_tPvRmT1_T2_T3_mT4_P12ihipStream_tbEUlT_E0_NS1_11comp_targetILNS1_3genE8ELNS1_11target_archE1030ELNS1_3gpuE2ELNS1_3repE0EEENS1_30default_config_static_selectorELNS0_4arch9wavefront6targetE0EEEvSQ_ ; -- Begin function _ZN7rocprim17ROCPRIM_400000_NS6detail17trampoline_kernelINS0_14default_configENS1_22reduce_config_selectorIiEEZNS1_11reduce_implILb1ES3_PiS7_iN6hipcub16HIPCUB_304000_NS6detail34convert_binary_result_type_wrapperINS9_3SumENS9_22TransformInputIteratorIbN2at6native12_GLOBAL__N_19NonZeroOpIlEEPKllEEiEEEE10hipError_tPvRmT1_T2_T3_mT4_P12ihipStream_tbEUlT_E0_NS1_11comp_targetILNS1_3genE8ELNS1_11target_archE1030ELNS1_3gpuE2ELNS1_3repE0EEENS1_30default_config_static_selectorELNS0_4arch9wavefront6targetE0EEEvSQ_
	.p2align	8
	.type	_ZN7rocprim17ROCPRIM_400000_NS6detail17trampoline_kernelINS0_14default_configENS1_22reduce_config_selectorIiEEZNS1_11reduce_implILb1ES3_PiS7_iN6hipcub16HIPCUB_304000_NS6detail34convert_binary_result_type_wrapperINS9_3SumENS9_22TransformInputIteratorIbN2at6native12_GLOBAL__N_19NonZeroOpIlEEPKllEEiEEEE10hipError_tPvRmT1_T2_T3_mT4_P12ihipStream_tbEUlT_E0_NS1_11comp_targetILNS1_3genE8ELNS1_11target_archE1030ELNS1_3gpuE2ELNS1_3repE0EEENS1_30default_config_static_selectorELNS0_4arch9wavefront6targetE0EEEvSQ_,@function
_ZN7rocprim17ROCPRIM_400000_NS6detail17trampoline_kernelINS0_14default_configENS1_22reduce_config_selectorIiEEZNS1_11reduce_implILb1ES3_PiS7_iN6hipcub16HIPCUB_304000_NS6detail34convert_binary_result_type_wrapperINS9_3SumENS9_22TransformInputIteratorIbN2at6native12_GLOBAL__N_19NonZeroOpIlEEPKllEEiEEEE10hipError_tPvRmT1_T2_T3_mT4_P12ihipStream_tbEUlT_E0_NS1_11comp_targetILNS1_3genE8ELNS1_11target_archE1030ELNS1_3gpuE2ELNS1_3repE0EEENS1_30default_config_static_selectorELNS0_4arch9wavefront6targetE0EEEvSQ_: ; @_ZN7rocprim17ROCPRIM_400000_NS6detail17trampoline_kernelINS0_14default_configENS1_22reduce_config_selectorIiEEZNS1_11reduce_implILb1ES3_PiS7_iN6hipcub16HIPCUB_304000_NS6detail34convert_binary_result_type_wrapperINS9_3SumENS9_22TransformInputIteratorIbN2at6native12_GLOBAL__N_19NonZeroOpIlEEPKllEEiEEEE10hipError_tPvRmT1_T2_T3_mT4_P12ihipStream_tbEUlT_E0_NS1_11comp_targetILNS1_3genE8ELNS1_11target_archE1030ELNS1_3gpuE2ELNS1_3repE0EEENS1_30default_config_static_selectorELNS0_4arch9wavefront6targetE0EEEvSQ_
; %bb.0:
	.section	.rodata,"a",@progbits
	.p2align	6, 0x0
	.amdhsa_kernel _ZN7rocprim17ROCPRIM_400000_NS6detail17trampoline_kernelINS0_14default_configENS1_22reduce_config_selectorIiEEZNS1_11reduce_implILb1ES3_PiS7_iN6hipcub16HIPCUB_304000_NS6detail34convert_binary_result_type_wrapperINS9_3SumENS9_22TransformInputIteratorIbN2at6native12_GLOBAL__N_19NonZeroOpIlEEPKllEEiEEEE10hipError_tPvRmT1_T2_T3_mT4_P12ihipStream_tbEUlT_E0_NS1_11comp_targetILNS1_3genE8ELNS1_11target_archE1030ELNS1_3gpuE2ELNS1_3repE0EEENS1_30default_config_static_selectorELNS0_4arch9wavefront6targetE0EEEvSQ_
		.amdhsa_group_segment_fixed_size 0
		.amdhsa_private_segment_fixed_size 0
		.amdhsa_kernarg_size 56
		.amdhsa_user_sgpr_count 2
		.amdhsa_user_sgpr_dispatch_ptr 0
		.amdhsa_user_sgpr_queue_ptr 0
		.amdhsa_user_sgpr_kernarg_segment_ptr 1
		.amdhsa_user_sgpr_dispatch_id 0
		.amdhsa_user_sgpr_private_segment_size 0
		.amdhsa_wavefront_size32 1
		.amdhsa_uses_dynamic_stack 0
		.amdhsa_enable_private_segment 0
		.amdhsa_system_sgpr_workgroup_id_x 1
		.amdhsa_system_sgpr_workgroup_id_y 0
		.amdhsa_system_sgpr_workgroup_id_z 0
		.amdhsa_system_sgpr_workgroup_info 0
		.amdhsa_system_vgpr_workitem_id 0
		.amdhsa_next_free_vgpr 1
		.amdhsa_next_free_sgpr 1
		.amdhsa_reserve_vcc 0
		.amdhsa_float_round_mode_32 0
		.amdhsa_float_round_mode_16_64 0
		.amdhsa_float_denorm_mode_32 3
		.amdhsa_float_denorm_mode_16_64 3
		.amdhsa_fp16_overflow 0
		.amdhsa_workgroup_processor_mode 1
		.amdhsa_memory_ordered 1
		.amdhsa_forward_progress 1
		.amdhsa_inst_pref_size 0
		.amdhsa_round_robin_scheduling 0
		.amdhsa_exception_fp_ieee_invalid_op 0
		.amdhsa_exception_fp_denorm_src 0
		.amdhsa_exception_fp_ieee_div_zero 0
		.amdhsa_exception_fp_ieee_overflow 0
		.amdhsa_exception_fp_ieee_underflow 0
		.amdhsa_exception_fp_ieee_inexact 0
		.amdhsa_exception_int_div_zero 0
	.end_amdhsa_kernel
	.section	.text._ZN7rocprim17ROCPRIM_400000_NS6detail17trampoline_kernelINS0_14default_configENS1_22reduce_config_selectorIiEEZNS1_11reduce_implILb1ES3_PiS7_iN6hipcub16HIPCUB_304000_NS6detail34convert_binary_result_type_wrapperINS9_3SumENS9_22TransformInputIteratorIbN2at6native12_GLOBAL__N_19NonZeroOpIlEEPKllEEiEEEE10hipError_tPvRmT1_T2_T3_mT4_P12ihipStream_tbEUlT_E0_NS1_11comp_targetILNS1_3genE8ELNS1_11target_archE1030ELNS1_3gpuE2ELNS1_3repE0EEENS1_30default_config_static_selectorELNS0_4arch9wavefront6targetE0EEEvSQ_,"axG",@progbits,_ZN7rocprim17ROCPRIM_400000_NS6detail17trampoline_kernelINS0_14default_configENS1_22reduce_config_selectorIiEEZNS1_11reduce_implILb1ES3_PiS7_iN6hipcub16HIPCUB_304000_NS6detail34convert_binary_result_type_wrapperINS9_3SumENS9_22TransformInputIteratorIbN2at6native12_GLOBAL__N_19NonZeroOpIlEEPKllEEiEEEE10hipError_tPvRmT1_T2_T3_mT4_P12ihipStream_tbEUlT_E0_NS1_11comp_targetILNS1_3genE8ELNS1_11target_archE1030ELNS1_3gpuE2ELNS1_3repE0EEENS1_30default_config_static_selectorELNS0_4arch9wavefront6targetE0EEEvSQ_,comdat
.Lfunc_end226:
	.size	_ZN7rocprim17ROCPRIM_400000_NS6detail17trampoline_kernelINS0_14default_configENS1_22reduce_config_selectorIiEEZNS1_11reduce_implILb1ES3_PiS7_iN6hipcub16HIPCUB_304000_NS6detail34convert_binary_result_type_wrapperINS9_3SumENS9_22TransformInputIteratorIbN2at6native12_GLOBAL__N_19NonZeroOpIlEEPKllEEiEEEE10hipError_tPvRmT1_T2_T3_mT4_P12ihipStream_tbEUlT_E0_NS1_11comp_targetILNS1_3genE8ELNS1_11target_archE1030ELNS1_3gpuE2ELNS1_3repE0EEENS1_30default_config_static_selectorELNS0_4arch9wavefront6targetE0EEEvSQ_, .Lfunc_end226-_ZN7rocprim17ROCPRIM_400000_NS6detail17trampoline_kernelINS0_14default_configENS1_22reduce_config_selectorIiEEZNS1_11reduce_implILb1ES3_PiS7_iN6hipcub16HIPCUB_304000_NS6detail34convert_binary_result_type_wrapperINS9_3SumENS9_22TransformInputIteratorIbN2at6native12_GLOBAL__N_19NonZeroOpIlEEPKllEEiEEEE10hipError_tPvRmT1_T2_T3_mT4_P12ihipStream_tbEUlT_E0_NS1_11comp_targetILNS1_3genE8ELNS1_11target_archE1030ELNS1_3gpuE2ELNS1_3repE0EEENS1_30default_config_static_selectorELNS0_4arch9wavefront6targetE0EEEvSQ_
                                        ; -- End function
	.set _ZN7rocprim17ROCPRIM_400000_NS6detail17trampoline_kernelINS0_14default_configENS1_22reduce_config_selectorIiEEZNS1_11reduce_implILb1ES3_PiS7_iN6hipcub16HIPCUB_304000_NS6detail34convert_binary_result_type_wrapperINS9_3SumENS9_22TransformInputIteratorIbN2at6native12_GLOBAL__N_19NonZeroOpIlEEPKllEEiEEEE10hipError_tPvRmT1_T2_T3_mT4_P12ihipStream_tbEUlT_E0_NS1_11comp_targetILNS1_3genE8ELNS1_11target_archE1030ELNS1_3gpuE2ELNS1_3repE0EEENS1_30default_config_static_selectorELNS0_4arch9wavefront6targetE0EEEvSQ_.num_vgpr, 0
	.set _ZN7rocprim17ROCPRIM_400000_NS6detail17trampoline_kernelINS0_14default_configENS1_22reduce_config_selectorIiEEZNS1_11reduce_implILb1ES3_PiS7_iN6hipcub16HIPCUB_304000_NS6detail34convert_binary_result_type_wrapperINS9_3SumENS9_22TransformInputIteratorIbN2at6native12_GLOBAL__N_19NonZeroOpIlEEPKllEEiEEEE10hipError_tPvRmT1_T2_T3_mT4_P12ihipStream_tbEUlT_E0_NS1_11comp_targetILNS1_3genE8ELNS1_11target_archE1030ELNS1_3gpuE2ELNS1_3repE0EEENS1_30default_config_static_selectorELNS0_4arch9wavefront6targetE0EEEvSQ_.num_agpr, 0
	.set _ZN7rocprim17ROCPRIM_400000_NS6detail17trampoline_kernelINS0_14default_configENS1_22reduce_config_selectorIiEEZNS1_11reduce_implILb1ES3_PiS7_iN6hipcub16HIPCUB_304000_NS6detail34convert_binary_result_type_wrapperINS9_3SumENS9_22TransformInputIteratorIbN2at6native12_GLOBAL__N_19NonZeroOpIlEEPKllEEiEEEE10hipError_tPvRmT1_T2_T3_mT4_P12ihipStream_tbEUlT_E0_NS1_11comp_targetILNS1_3genE8ELNS1_11target_archE1030ELNS1_3gpuE2ELNS1_3repE0EEENS1_30default_config_static_selectorELNS0_4arch9wavefront6targetE0EEEvSQ_.numbered_sgpr, 0
	.set _ZN7rocprim17ROCPRIM_400000_NS6detail17trampoline_kernelINS0_14default_configENS1_22reduce_config_selectorIiEEZNS1_11reduce_implILb1ES3_PiS7_iN6hipcub16HIPCUB_304000_NS6detail34convert_binary_result_type_wrapperINS9_3SumENS9_22TransformInputIteratorIbN2at6native12_GLOBAL__N_19NonZeroOpIlEEPKllEEiEEEE10hipError_tPvRmT1_T2_T3_mT4_P12ihipStream_tbEUlT_E0_NS1_11comp_targetILNS1_3genE8ELNS1_11target_archE1030ELNS1_3gpuE2ELNS1_3repE0EEENS1_30default_config_static_selectorELNS0_4arch9wavefront6targetE0EEEvSQ_.num_named_barrier, 0
	.set _ZN7rocprim17ROCPRIM_400000_NS6detail17trampoline_kernelINS0_14default_configENS1_22reduce_config_selectorIiEEZNS1_11reduce_implILb1ES3_PiS7_iN6hipcub16HIPCUB_304000_NS6detail34convert_binary_result_type_wrapperINS9_3SumENS9_22TransformInputIteratorIbN2at6native12_GLOBAL__N_19NonZeroOpIlEEPKllEEiEEEE10hipError_tPvRmT1_T2_T3_mT4_P12ihipStream_tbEUlT_E0_NS1_11comp_targetILNS1_3genE8ELNS1_11target_archE1030ELNS1_3gpuE2ELNS1_3repE0EEENS1_30default_config_static_selectorELNS0_4arch9wavefront6targetE0EEEvSQ_.private_seg_size, 0
	.set _ZN7rocprim17ROCPRIM_400000_NS6detail17trampoline_kernelINS0_14default_configENS1_22reduce_config_selectorIiEEZNS1_11reduce_implILb1ES3_PiS7_iN6hipcub16HIPCUB_304000_NS6detail34convert_binary_result_type_wrapperINS9_3SumENS9_22TransformInputIteratorIbN2at6native12_GLOBAL__N_19NonZeroOpIlEEPKllEEiEEEE10hipError_tPvRmT1_T2_T3_mT4_P12ihipStream_tbEUlT_E0_NS1_11comp_targetILNS1_3genE8ELNS1_11target_archE1030ELNS1_3gpuE2ELNS1_3repE0EEENS1_30default_config_static_selectorELNS0_4arch9wavefront6targetE0EEEvSQ_.uses_vcc, 0
	.set _ZN7rocprim17ROCPRIM_400000_NS6detail17trampoline_kernelINS0_14default_configENS1_22reduce_config_selectorIiEEZNS1_11reduce_implILb1ES3_PiS7_iN6hipcub16HIPCUB_304000_NS6detail34convert_binary_result_type_wrapperINS9_3SumENS9_22TransformInputIteratorIbN2at6native12_GLOBAL__N_19NonZeroOpIlEEPKllEEiEEEE10hipError_tPvRmT1_T2_T3_mT4_P12ihipStream_tbEUlT_E0_NS1_11comp_targetILNS1_3genE8ELNS1_11target_archE1030ELNS1_3gpuE2ELNS1_3repE0EEENS1_30default_config_static_selectorELNS0_4arch9wavefront6targetE0EEEvSQ_.uses_flat_scratch, 0
	.set _ZN7rocprim17ROCPRIM_400000_NS6detail17trampoline_kernelINS0_14default_configENS1_22reduce_config_selectorIiEEZNS1_11reduce_implILb1ES3_PiS7_iN6hipcub16HIPCUB_304000_NS6detail34convert_binary_result_type_wrapperINS9_3SumENS9_22TransformInputIteratorIbN2at6native12_GLOBAL__N_19NonZeroOpIlEEPKllEEiEEEE10hipError_tPvRmT1_T2_T3_mT4_P12ihipStream_tbEUlT_E0_NS1_11comp_targetILNS1_3genE8ELNS1_11target_archE1030ELNS1_3gpuE2ELNS1_3repE0EEENS1_30default_config_static_selectorELNS0_4arch9wavefront6targetE0EEEvSQ_.has_dyn_sized_stack, 0
	.set _ZN7rocprim17ROCPRIM_400000_NS6detail17trampoline_kernelINS0_14default_configENS1_22reduce_config_selectorIiEEZNS1_11reduce_implILb1ES3_PiS7_iN6hipcub16HIPCUB_304000_NS6detail34convert_binary_result_type_wrapperINS9_3SumENS9_22TransformInputIteratorIbN2at6native12_GLOBAL__N_19NonZeroOpIlEEPKllEEiEEEE10hipError_tPvRmT1_T2_T3_mT4_P12ihipStream_tbEUlT_E0_NS1_11comp_targetILNS1_3genE8ELNS1_11target_archE1030ELNS1_3gpuE2ELNS1_3repE0EEENS1_30default_config_static_selectorELNS0_4arch9wavefront6targetE0EEEvSQ_.has_recursion, 0
	.set _ZN7rocprim17ROCPRIM_400000_NS6detail17trampoline_kernelINS0_14default_configENS1_22reduce_config_selectorIiEEZNS1_11reduce_implILb1ES3_PiS7_iN6hipcub16HIPCUB_304000_NS6detail34convert_binary_result_type_wrapperINS9_3SumENS9_22TransformInputIteratorIbN2at6native12_GLOBAL__N_19NonZeroOpIlEEPKllEEiEEEE10hipError_tPvRmT1_T2_T3_mT4_P12ihipStream_tbEUlT_E0_NS1_11comp_targetILNS1_3genE8ELNS1_11target_archE1030ELNS1_3gpuE2ELNS1_3repE0EEENS1_30default_config_static_selectorELNS0_4arch9wavefront6targetE0EEEvSQ_.has_indirect_call, 0
	.section	.AMDGPU.csdata,"",@progbits
; Kernel info:
; codeLenInByte = 0
; TotalNumSgprs: 0
; NumVgprs: 0
; ScratchSize: 0
; MemoryBound: 0
; FloatMode: 240
; IeeeMode: 1
; LDSByteSize: 0 bytes/workgroup (compile time only)
; SGPRBlocks: 0
; VGPRBlocks: 0
; NumSGPRsForWavesPerEU: 1
; NumVGPRsForWavesPerEU: 1
; Occupancy: 16
; WaveLimiterHint : 0
; COMPUTE_PGM_RSRC2:SCRATCH_EN: 0
; COMPUTE_PGM_RSRC2:USER_SGPR: 2
; COMPUTE_PGM_RSRC2:TRAP_HANDLER: 0
; COMPUTE_PGM_RSRC2:TGID_X_EN: 1
; COMPUTE_PGM_RSRC2:TGID_Y_EN: 0
; COMPUTE_PGM_RSRC2:TGID_Z_EN: 0
; COMPUTE_PGM_RSRC2:TIDIG_COMP_CNT: 0
	.section	.text._ZN7rocprim17ROCPRIM_400000_NS6detail17trampoline_kernelINS0_14default_configENS1_22reduce_config_selectorIiEEZNS1_11reduce_implILb1ES3_PiS7_iN6hipcub16HIPCUB_304000_NS6detail34convert_binary_result_type_wrapperINS9_3SumENS9_22TransformInputIteratorIbN2at6native12_GLOBAL__N_19NonZeroOpIlEEPKllEEiEEEE10hipError_tPvRmT1_T2_T3_mT4_P12ihipStream_tbEUlT_E1_NS1_11comp_targetILNS1_3genE0ELNS1_11target_archE4294967295ELNS1_3gpuE0ELNS1_3repE0EEENS1_30default_config_static_selectorELNS0_4arch9wavefront6targetE0EEEvSQ_,"axG",@progbits,_ZN7rocprim17ROCPRIM_400000_NS6detail17trampoline_kernelINS0_14default_configENS1_22reduce_config_selectorIiEEZNS1_11reduce_implILb1ES3_PiS7_iN6hipcub16HIPCUB_304000_NS6detail34convert_binary_result_type_wrapperINS9_3SumENS9_22TransformInputIteratorIbN2at6native12_GLOBAL__N_19NonZeroOpIlEEPKllEEiEEEE10hipError_tPvRmT1_T2_T3_mT4_P12ihipStream_tbEUlT_E1_NS1_11comp_targetILNS1_3genE0ELNS1_11target_archE4294967295ELNS1_3gpuE0ELNS1_3repE0EEENS1_30default_config_static_selectorELNS0_4arch9wavefront6targetE0EEEvSQ_,comdat
	.globl	_ZN7rocprim17ROCPRIM_400000_NS6detail17trampoline_kernelINS0_14default_configENS1_22reduce_config_selectorIiEEZNS1_11reduce_implILb1ES3_PiS7_iN6hipcub16HIPCUB_304000_NS6detail34convert_binary_result_type_wrapperINS9_3SumENS9_22TransformInputIteratorIbN2at6native12_GLOBAL__N_19NonZeroOpIlEEPKllEEiEEEE10hipError_tPvRmT1_T2_T3_mT4_P12ihipStream_tbEUlT_E1_NS1_11comp_targetILNS1_3genE0ELNS1_11target_archE4294967295ELNS1_3gpuE0ELNS1_3repE0EEENS1_30default_config_static_selectorELNS0_4arch9wavefront6targetE0EEEvSQ_ ; -- Begin function _ZN7rocprim17ROCPRIM_400000_NS6detail17trampoline_kernelINS0_14default_configENS1_22reduce_config_selectorIiEEZNS1_11reduce_implILb1ES3_PiS7_iN6hipcub16HIPCUB_304000_NS6detail34convert_binary_result_type_wrapperINS9_3SumENS9_22TransformInputIteratorIbN2at6native12_GLOBAL__N_19NonZeroOpIlEEPKllEEiEEEE10hipError_tPvRmT1_T2_T3_mT4_P12ihipStream_tbEUlT_E1_NS1_11comp_targetILNS1_3genE0ELNS1_11target_archE4294967295ELNS1_3gpuE0ELNS1_3repE0EEENS1_30default_config_static_selectorELNS0_4arch9wavefront6targetE0EEEvSQ_
	.p2align	8
	.type	_ZN7rocprim17ROCPRIM_400000_NS6detail17trampoline_kernelINS0_14default_configENS1_22reduce_config_selectorIiEEZNS1_11reduce_implILb1ES3_PiS7_iN6hipcub16HIPCUB_304000_NS6detail34convert_binary_result_type_wrapperINS9_3SumENS9_22TransformInputIteratorIbN2at6native12_GLOBAL__N_19NonZeroOpIlEEPKllEEiEEEE10hipError_tPvRmT1_T2_T3_mT4_P12ihipStream_tbEUlT_E1_NS1_11comp_targetILNS1_3genE0ELNS1_11target_archE4294967295ELNS1_3gpuE0ELNS1_3repE0EEENS1_30default_config_static_selectorELNS0_4arch9wavefront6targetE0EEEvSQ_,@function
_ZN7rocprim17ROCPRIM_400000_NS6detail17trampoline_kernelINS0_14default_configENS1_22reduce_config_selectorIiEEZNS1_11reduce_implILb1ES3_PiS7_iN6hipcub16HIPCUB_304000_NS6detail34convert_binary_result_type_wrapperINS9_3SumENS9_22TransformInputIteratorIbN2at6native12_GLOBAL__N_19NonZeroOpIlEEPKllEEiEEEE10hipError_tPvRmT1_T2_T3_mT4_P12ihipStream_tbEUlT_E1_NS1_11comp_targetILNS1_3genE0ELNS1_11target_archE4294967295ELNS1_3gpuE0ELNS1_3repE0EEENS1_30default_config_static_selectorELNS0_4arch9wavefront6targetE0EEEvSQ_: ; @_ZN7rocprim17ROCPRIM_400000_NS6detail17trampoline_kernelINS0_14default_configENS1_22reduce_config_selectorIiEEZNS1_11reduce_implILb1ES3_PiS7_iN6hipcub16HIPCUB_304000_NS6detail34convert_binary_result_type_wrapperINS9_3SumENS9_22TransformInputIteratorIbN2at6native12_GLOBAL__N_19NonZeroOpIlEEPKllEEiEEEE10hipError_tPvRmT1_T2_T3_mT4_P12ihipStream_tbEUlT_E1_NS1_11comp_targetILNS1_3genE0ELNS1_11target_archE4294967295ELNS1_3gpuE0ELNS1_3repE0EEENS1_30default_config_static_selectorELNS0_4arch9wavefront6targetE0EEEvSQ_
; %bb.0:
	.section	.rodata,"a",@progbits
	.p2align	6, 0x0
	.amdhsa_kernel _ZN7rocprim17ROCPRIM_400000_NS6detail17trampoline_kernelINS0_14default_configENS1_22reduce_config_selectorIiEEZNS1_11reduce_implILb1ES3_PiS7_iN6hipcub16HIPCUB_304000_NS6detail34convert_binary_result_type_wrapperINS9_3SumENS9_22TransformInputIteratorIbN2at6native12_GLOBAL__N_19NonZeroOpIlEEPKllEEiEEEE10hipError_tPvRmT1_T2_T3_mT4_P12ihipStream_tbEUlT_E1_NS1_11comp_targetILNS1_3genE0ELNS1_11target_archE4294967295ELNS1_3gpuE0ELNS1_3repE0EEENS1_30default_config_static_selectorELNS0_4arch9wavefront6targetE0EEEvSQ_
		.amdhsa_group_segment_fixed_size 0
		.amdhsa_private_segment_fixed_size 0
		.amdhsa_kernarg_size 40
		.amdhsa_user_sgpr_count 2
		.amdhsa_user_sgpr_dispatch_ptr 0
		.amdhsa_user_sgpr_queue_ptr 0
		.amdhsa_user_sgpr_kernarg_segment_ptr 1
		.amdhsa_user_sgpr_dispatch_id 0
		.amdhsa_user_sgpr_private_segment_size 0
		.amdhsa_wavefront_size32 1
		.amdhsa_uses_dynamic_stack 0
		.amdhsa_enable_private_segment 0
		.amdhsa_system_sgpr_workgroup_id_x 1
		.amdhsa_system_sgpr_workgroup_id_y 0
		.amdhsa_system_sgpr_workgroup_id_z 0
		.amdhsa_system_sgpr_workgroup_info 0
		.amdhsa_system_vgpr_workitem_id 0
		.amdhsa_next_free_vgpr 1
		.amdhsa_next_free_sgpr 1
		.amdhsa_reserve_vcc 0
		.amdhsa_float_round_mode_32 0
		.amdhsa_float_round_mode_16_64 0
		.amdhsa_float_denorm_mode_32 3
		.amdhsa_float_denorm_mode_16_64 3
		.amdhsa_fp16_overflow 0
		.amdhsa_workgroup_processor_mode 1
		.amdhsa_memory_ordered 1
		.amdhsa_forward_progress 1
		.amdhsa_inst_pref_size 0
		.amdhsa_round_robin_scheduling 0
		.amdhsa_exception_fp_ieee_invalid_op 0
		.amdhsa_exception_fp_denorm_src 0
		.amdhsa_exception_fp_ieee_div_zero 0
		.amdhsa_exception_fp_ieee_overflow 0
		.amdhsa_exception_fp_ieee_underflow 0
		.amdhsa_exception_fp_ieee_inexact 0
		.amdhsa_exception_int_div_zero 0
	.end_amdhsa_kernel
	.section	.text._ZN7rocprim17ROCPRIM_400000_NS6detail17trampoline_kernelINS0_14default_configENS1_22reduce_config_selectorIiEEZNS1_11reduce_implILb1ES3_PiS7_iN6hipcub16HIPCUB_304000_NS6detail34convert_binary_result_type_wrapperINS9_3SumENS9_22TransformInputIteratorIbN2at6native12_GLOBAL__N_19NonZeroOpIlEEPKllEEiEEEE10hipError_tPvRmT1_T2_T3_mT4_P12ihipStream_tbEUlT_E1_NS1_11comp_targetILNS1_3genE0ELNS1_11target_archE4294967295ELNS1_3gpuE0ELNS1_3repE0EEENS1_30default_config_static_selectorELNS0_4arch9wavefront6targetE0EEEvSQ_,"axG",@progbits,_ZN7rocprim17ROCPRIM_400000_NS6detail17trampoline_kernelINS0_14default_configENS1_22reduce_config_selectorIiEEZNS1_11reduce_implILb1ES3_PiS7_iN6hipcub16HIPCUB_304000_NS6detail34convert_binary_result_type_wrapperINS9_3SumENS9_22TransformInputIteratorIbN2at6native12_GLOBAL__N_19NonZeroOpIlEEPKllEEiEEEE10hipError_tPvRmT1_T2_T3_mT4_P12ihipStream_tbEUlT_E1_NS1_11comp_targetILNS1_3genE0ELNS1_11target_archE4294967295ELNS1_3gpuE0ELNS1_3repE0EEENS1_30default_config_static_selectorELNS0_4arch9wavefront6targetE0EEEvSQ_,comdat
.Lfunc_end227:
	.size	_ZN7rocprim17ROCPRIM_400000_NS6detail17trampoline_kernelINS0_14default_configENS1_22reduce_config_selectorIiEEZNS1_11reduce_implILb1ES3_PiS7_iN6hipcub16HIPCUB_304000_NS6detail34convert_binary_result_type_wrapperINS9_3SumENS9_22TransformInputIteratorIbN2at6native12_GLOBAL__N_19NonZeroOpIlEEPKllEEiEEEE10hipError_tPvRmT1_T2_T3_mT4_P12ihipStream_tbEUlT_E1_NS1_11comp_targetILNS1_3genE0ELNS1_11target_archE4294967295ELNS1_3gpuE0ELNS1_3repE0EEENS1_30default_config_static_selectorELNS0_4arch9wavefront6targetE0EEEvSQ_, .Lfunc_end227-_ZN7rocprim17ROCPRIM_400000_NS6detail17trampoline_kernelINS0_14default_configENS1_22reduce_config_selectorIiEEZNS1_11reduce_implILb1ES3_PiS7_iN6hipcub16HIPCUB_304000_NS6detail34convert_binary_result_type_wrapperINS9_3SumENS9_22TransformInputIteratorIbN2at6native12_GLOBAL__N_19NonZeroOpIlEEPKllEEiEEEE10hipError_tPvRmT1_T2_T3_mT4_P12ihipStream_tbEUlT_E1_NS1_11comp_targetILNS1_3genE0ELNS1_11target_archE4294967295ELNS1_3gpuE0ELNS1_3repE0EEENS1_30default_config_static_selectorELNS0_4arch9wavefront6targetE0EEEvSQ_
                                        ; -- End function
	.set _ZN7rocprim17ROCPRIM_400000_NS6detail17trampoline_kernelINS0_14default_configENS1_22reduce_config_selectorIiEEZNS1_11reduce_implILb1ES3_PiS7_iN6hipcub16HIPCUB_304000_NS6detail34convert_binary_result_type_wrapperINS9_3SumENS9_22TransformInputIteratorIbN2at6native12_GLOBAL__N_19NonZeroOpIlEEPKllEEiEEEE10hipError_tPvRmT1_T2_T3_mT4_P12ihipStream_tbEUlT_E1_NS1_11comp_targetILNS1_3genE0ELNS1_11target_archE4294967295ELNS1_3gpuE0ELNS1_3repE0EEENS1_30default_config_static_selectorELNS0_4arch9wavefront6targetE0EEEvSQ_.num_vgpr, 0
	.set _ZN7rocprim17ROCPRIM_400000_NS6detail17trampoline_kernelINS0_14default_configENS1_22reduce_config_selectorIiEEZNS1_11reduce_implILb1ES3_PiS7_iN6hipcub16HIPCUB_304000_NS6detail34convert_binary_result_type_wrapperINS9_3SumENS9_22TransformInputIteratorIbN2at6native12_GLOBAL__N_19NonZeroOpIlEEPKllEEiEEEE10hipError_tPvRmT1_T2_T3_mT4_P12ihipStream_tbEUlT_E1_NS1_11comp_targetILNS1_3genE0ELNS1_11target_archE4294967295ELNS1_3gpuE0ELNS1_3repE0EEENS1_30default_config_static_selectorELNS0_4arch9wavefront6targetE0EEEvSQ_.num_agpr, 0
	.set _ZN7rocprim17ROCPRIM_400000_NS6detail17trampoline_kernelINS0_14default_configENS1_22reduce_config_selectorIiEEZNS1_11reduce_implILb1ES3_PiS7_iN6hipcub16HIPCUB_304000_NS6detail34convert_binary_result_type_wrapperINS9_3SumENS9_22TransformInputIteratorIbN2at6native12_GLOBAL__N_19NonZeroOpIlEEPKllEEiEEEE10hipError_tPvRmT1_T2_T3_mT4_P12ihipStream_tbEUlT_E1_NS1_11comp_targetILNS1_3genE0ELNS1_11target_archE4294967295ELNS1_3gpuE0ELNS1_3repE0EEENS1_30default_config_static_selectorELNS0_4arch9wavefront6targetE0EEEvSQ_.numbered_sgpr, 0
	.set _ZN7rocprim17ROCPRIM_400000_NS6detail17trampoline_kernelINS0_14default_configENS1_22reduce_config_selectorIiEEZNS1_11reduce_implILb1ES3_PiS7_iN6hipcub16HIPCUB_304000_NS6detail34convert_binary_result_type_wrapperINS9_3SumENS9_22TransformInputIteratorIbN2at6native12_GLOBAL__N_19NonZeroOpIlEEPKllEEiEEEE10hipError_tPvRmT1_T2_T3_mT4_P12ihipStream_tbEUlT_E1_NS1_11comp_targetILNS1_3genE0ELNS1_11target_archE4294967295ELNS1_3gpuE0ELNS1_3repE0EEENS1_30default_config_static_selectorELNS0_4arch9wavefront6targetE0EEEvSQ_.num_named_barrier, 0
	.set _ZN7rocprim17ROCPRIM_400000_NS6detail17trampoline_kernelINS0_14default_configENS1_22reduce_config_selectorIiEEZNS1_11reduce_implILb1ES3_PiS7_iN6hipcub16HIPCUB_304000_NS6detail34convert_binary_result_type_wrapperINS9_3SumENS9_22TransformInputIteratorIbN2at6native12_GLOBAL__N_19NonZeroOpIlEEPKllEEiEEEE10hipError_tPvRmT1_T2_T3_mT4_P12ihipStream_tbEUlT_E1_NS1_11comp_targetILNS1_3genE0ELNS1_11target_archE4294967295ELNS1_3gpuE0ELNS1_3repE0EEENS1_30default_config_static_selectorELNS0_4arch9wavefront6targetE0EEEvSQ_.private_seg_size, 0
	.set _ZN7rocprim17ROCPRIM_400000_NS6detail17trampoline_kernelINS0_14default_configENS1_22reduce_config_selectorIiEEZNS1_11reduce_implILb1ES3_PiS7_iN6hipcub16HIPCUB_304000_NS6detail34convert_binary_result_type_wrapperINS9_3SumENS9_22TransformInputIteratorIbN2at6native12_GLOBAL__N_19NonZeroOpIlEEPKllEEiEEEE10hipError_tPvRmT1_T2_T3_mT4_P12ihipStream_tbEUlT_E1_NS1_11comp_targetILNS1_3genE0ELNS1_11target_archE4294967295ELNS1_3gpuE0ELNS1_3repE0EEENS1_30default_config_static_selectorELNS0_4arch9wavefront6targetE0EEEvSQ_.uses_vcc, 0
	.set _ZN7rocprim17ROCPRIM_400000_NS6detail17trampoline_kernelINS0_14default_configENS1_22reduce_config_selectorIiEEZNS1_11reduce_implILb1ES3_PiS7_iN6hipcub16HIPCUB_304000_NS6detail34convert_binary_result_type_wrapperINS9_3SumENS9_22TransformInputIteratorIbN2at6native12_GLOBAL__N_19NonZeroOpIlEEPKllEEiEEEE10hipError_tPvRmT1_T2_T3_mT4_P12ihipStream_tbEUlT_E1_NS1_11comp_targetILNS1_3genE0ELNS1_11target_archE4294967295ELNS1_3gpuE0ELNS1_3repE0EEENS1_30default_config_static_selectorELNS0_4arch9wavefront6targetE0EEEvSQ_.uses_flat_scratch, 0
	.set _ZN7rocprim17ROCPRIM_400000_NS6detail17trampoline_kernelINS0_14default_configENS1_22reduce_config_selectorIiEEZNS1_11reduce_implILb1ES3_PiS7_iN6hipcub16HIPCUB_304000_NS6detail34convert_binary_result_type_wrapperINS9_3SumENS9_22TransformInputIteratorIbN2at6native12_GLOBAL__N_19NonZeroOpIlEEPKllEEiEEEE10hipError_tPvRmT1_T2_T3_mT4_P12ihipStream_tbEUlT_E1_NS1_11comp_targetILNS1_3genE0ELNS1_11target_archE4294967295ELNS1_3gpuE0ELNS1_3repE0EEENS1_30default_config_static_selectorELNS0_4arch9wavefront6targetE0EEEvSQ_.has_dyn_sized_stack, 0
	.set _ZN7rocprim17ROCPRIM_400000_NS6detail17trampoline_kernelINS0_14default_configENS1_22reduce_config_selectorIiEEZNS1_11reduce_implILb1ES3_PiS7_iN6hipcub16HIPCUB_304000_NS6detail34convert_binary_result_type_wrapperINS9_3SumENS9_22TransformInputIteratorIbN2at6native12_GLOBAL__N_19NonZeroOpIlEEPKllEEiEEEE10hipError_tPvRmT1_T2_T3_mT4_P12ihipStream_tbEUlT_E1_NS1_11comp_targetILNS1_3genE0ELNS1_11target_archE4294967295ELNS1_3gpuE0ELNS1_3repE0EEENS1_30default_config_static_selectorELNS0_4arch9wavefront6targetE0EEEvSQ_.has_recursion, 0
	.set _ZN7rocprim17ROCPRIM_400000_NS6detail17trampoline_kernelINS0_14default_configENS1_22reduce_config_selectorIiEEZNS1_11reduce_implILb1ES3_PiS7_iN6hipcub16HIPCUB_304000_NS6detail34convert_binary_result_type_wrapperINS9_3SumENS9_22TransformInputIteratorIbN2at6native12_GLOBAL__N_19NonZeroOpIlEEPKllEEiEEEE10hipError_tPvRmT1_T2_T3_mT4_P12ihipStream_tbEUlT_E1_NS1_11comp_targetILNS1_3genE0ELNS1_11target_archE4294967295ELNS1_3gpuE0ELNS1_3repE0EEENS1_30default_config_static_selectorELNS0_4arch9wavefront6targetE0EEEvSQ_.has_indirect_call, 0
	.section	.AMDGPU.csdata,"",@progbits
; Kernel info:
; codeLenInByte = 0
; TotalNumSgprs: 0
; NumVgprs: 0
; ScratchSize: 0
; MemoryBound: 0
; FloatMode: 240
; IeeeMode: 1
; LDSByteSize: 0 bytes/workgroup (compile time only)
; SGPRBlocks: 0
; VGPRBlocks: 0
; NumSGPRsForWavesPerEU: 1
; NumVGPRsForWavesPerEU: 1
; Occupancy: 16
; WaveLimiterHint : 0
; COMPUTE_PGM_RSRC2:SCRATCH_EN: 0
; COMPUTE_PGM_RSRC2:USER_SGPR: 2
; COMPUTE_PGM_RSRC2:TRAP_HANDLER: 0
; COMPUTE_PGM_RSRC2:TGID_X_EN: 1
; COMPUTE_PGM_RSRC2:TGID_Y_EN: 0
; COMPUTE_PGM_RSRC2:TGID_Z_EN: 0
; COMPUTE_PGM_RSRC2:TIDIG_COMP_CNT: 0
	.section	.text._ZN7rocprim17ROCPRIM_400000_NS6detail17trampoline_kernelINS0_14default_configENS1_22reduce_config_selectorIiEEZNS1_11reduce_implILb1ES3_PiS7_iN6hipcub16HIPCUB_304000_NS6detail34convert_binary_result_type_wrapperINS9_3SumENS9_22TransformInputIteratorIbN2at6native12_GLOBAL__N_19NonZeroOpIlEEPKllEEiEEEE10hipError_tPvRmT1_T2_T3_mT4_P12ihipStream_tbEUlT_E1_NS1_11comp_targetILNS1_3genE5ELNS1_11target_archE942ELNS1_3gpuE9ELNS1_3repE0EEENS1_30default_config_static_selectorELNS0_4arch9wavefront6targetE0EEEvSQ_,"axG",@progbits,_ZN7rocprim17ROCPRIM_400000_NS6detail17trampoline_kernelINS0_14default_configENS1_22reduce_config_selectorIiEEZNS1_11reduce_implILb1ES3_PiS7_iN6hipcub16HIPCUB_304000_NS6detail34convert_binary_result_type_wrapperINS9_3SumENS9_22TransformInputIteratorIbN2at6native12_GLOBAL__N_19NonZeroOpIlEEPKllEEiEEEE10hipError_tPvRmT1_T2_T3_mT4_P12ihipStream_tbEUlT_E1_NS1_11comp_targetILNS1_3genE5ELNS1_11target_archE942ELNS1_3gpuE9ELNS1_3repE0EEENS1_30default_config_static_selectorELNS0_4arch9wavefront6targetE0EEEvSQ_,comdat
	.globl	_ZN7rocprim17ROCPRIM_400000_NS6detail17trampoline_kernelINS0_14default_configENS1_22reduce_config_selectorIiEEZNS1_11reduce_implILb1ES3_PiS7_iN6hipcub16HIPCUB_304000_NS6detail34convert_binary_result_type_wrapperINS9_3SumENS9_22TransformInputIteratorIbN2at6native12_GLOBAL__N_19NonZeroOpIlEEPKllEEiEEEE10hipError_tPvRmT1_T2_T3_mT4_P12ihipStream_tbEUlT_E1_NS1_11comp_targetILNS1_3genE5ELNS1_11target_archE942ELNS1_3gpuE9ELNS1_3repE0EEENS1_30default_config_static_selectorELNS0_4arch9wavefront6targetE0EEEvSQ_ ; -- Begin function _ZN7rocprim17ROCPRIM_400000_NS6detail17trampoline_kernelINS0_14default_configENS1_22reduce_config_selectorIiEEZNS1_11reduce_implILb1ES3_PiS7_iN6hipcub16HIPCUB_304000_NS6detail34convert_binary_result_type_wrapperINS9_3SumENS9_22TransformInputIteratorIbN2at6native12_GLOBAL__N_19NonZeroOpIlEEPKllEEiEEEE10hipError_tPvRmT1_T2_T3_mT4_P12ihipStream_tbEUlT_E1_NS1_11comp_targetILNS1_3genE5ELNS1_11target_archE942ELNS1_3gpuE9ELNS1_3repE0EEENS1_30default_config_static_selectorELNS0_4arch9wavefront6targetE0EEEvSQ_
	.p2align	8
	.type	_ZN7rocprim17ROCPRIM_400000_NS6detail17trampoline_kernelINS0_14default_configENS1_22reduce_config_selectorIiEEZNS1_11reduce_implILb1ES3_PiS7_iN6hipcub16HIPCUB_304000_NS6detail34convert_binary_result_type_wrapperINS9_3SumENS9_22TransformInputIteratorIbN2at6native12_GLOBAL__N_19NonZeroOpIlEEPKllEEiEEEE10hipError_tPvRmT1_T2_T3_mT4_P12ihipStream_tbEUlT_E1_NS1_11comp_targetILNS1_3genE5ELNS1_11target_archE942ELNS1_3gpuE9ELNS1_3repE0EEENS1_30default_config_static_selectorELNS0_4arch9wavefront6targetE0EEEvSQ_,@function
_ZN7rocprim17ROCPRIM_400000_NS6detail17trampoline_kernelINS0_14default_configENS1_22reduce_config_selectorIiEEZNS1_11reduce_implILb1ES3_PiS7_iN6hipcub16HIPCUB_304000_NS6detail34convert_binary_result_type_wrapperINS9_3SumENS9_22TransformInputIteratorIbN2at6native12_GLOBAL__N_19NonZeroOpIlEEPKllEEiEEEE10hipError_tPvRmT1_T2_T3_mT4_P12ihipStream_tbEUlT_E1_NS1_11comp_targetILNS1_3genE5ELNS1_11target_archE942ELNS1_3gpuE9ELNS1_3repE0EEENS1_30default_config_static_selectorELNS0_4arch9wavefront6targetE0EEEvSQ_: ; @_ZN7rocprim17ROCPRIM_400000_NS6detail17trampoline_kernelINS0_14default_configENS1_22reduce_config_selectorIiEEZNS1_11reduce_implILb1ES3_PiS7_iN6hipcub16HIPCUB_304000_NS6detail34convert_binary_result_type_wrapperINS9_3SumENS9_22TransformInputIteratorIbN2at6native12_GLOBAL__N_19NonZeroOpIlEEPKllEEiEEEE10hipError_tPvRmT1_T2_T3_mT4_P12ihipStream_tbEUlT_E1_NS1_11comp_targetILNS1_3genE5ELNS1_11target_archE942ELNS1_3gpuE9ELNS1_3repE0EEENS1_30default_config_static_selectorELNS0_4arch9wavefront6targetE0EEEvSQ_
; %bb.0:
	.section	.rodata,"a",@progbits
	.p2align	6, 0x0
	.amdhsa_kernel _ZN7rocprim17ROCPRIM_400000_NS6detail17trampoline_kernelINS0_14default_configENS1_22reduce_config_selectorIiEEZNS1_11reduce_implILb1ES3_PiS7_iN6hipcub16HIPCUB_304000_NS6detail34convert_binary_result_type_wrapperINS9_3SumENS9_22TransformInputIteratorIbN2at6native12_GLOBAL__N_19NonZeroOpIlEEPKllEEiEEEE10hipError_tPvRmT1_T2_T3_mT4_P12ihipStream_tbEUlT_E1_NS1_11comp_targetILNS1_3genE5ELNS1_11target_archE942ELNS1_3gpuE9ELNS1_3repE0EEENS1_30default_config_static_selectorELNS0_4arch9wavefront6targetE0EEEvSQ_
		.amdhsa_group_segment_fixed_size 0
		.amdhsa_private_segment_fixed_size 0
		.amdhsa_kernarg_size 40
		.amdhsa_user_sgpr_count 2
		.amdhsa_user_sgpr_dispatch_ptr 0
		.amdhsa_user_sgpr_queue_ptr 0
		.amdhsa_user_sgpr_kernarg_segment_ptr 1
		.amdhsa_user_sgpr_dispatch_id 0
		.amdhsa_user_sgpr_private_segment_size 0
		.amdhsa_wavefront_size32 1
		.amdhsa_uses_dynamic_stack 0
		.amdhsa_enable_private_segment 0
		.amdhsa_system_sgpr_workgroup_id_x 1
		.amdhsa_system_sgpr_workgroup_id_y 0
		.amdhsa_system_sgpr_workgroup_id_z 0
		.amdhsa_system_sgpr_workgroup_info 0
		.amdhsa_system_vgpr_workitem_id 0
		.amdhsa_next_free_vgpr 1
		.amdhsa_next_free_sgpr 1
		.amdhsa_reserve_vcc 0
		.amdhsa_float_round_mode_32 0
		.amdhsa_float_round_mode_16_64 0
		.amdhsa_float_denorm_mode_32 3
		.amdhsa_float_denorm_mode_16_64 3
		.amdhsa_fp16_overflow 0
		.amdhsa_workgroup_processor_mode 1
		.amdhsa_memory_ordered 1
		.amdhsa_forward_progress 1
		.amdhsa_inst_pref_size 0
		.amdhsa_round_robin_scheduling 0
		.amdhsa_exception_fp_ieee_invalid_op 0
		.amdhsa_exception_fp_denorm_src 0
		.amdhsa_exception_fp_ieee_div_zero 0
		.amdhsa_exception_fp_ieee_overflow 0
		.amdhsa_exception_fp_ieee_underflow 0
		.amdhsa_exception_fp_ieee_inexact 0
		.amdhsa_exception_int_div_zero 0
	.end_amdhsa_kernel
	.section	.text._ZN7rocprim17ROCPRIM_400000_NS6detail17trampoline_kernelINS0_14default_configENS1_22reduce_config_selectorIiEEZNS1_11reduce_implILb1ES3_PiS7_iN6hipcub16HIPCUB_304000_NS6detail34convert_binary_result_type_wrapperINS9_3SumENS9_22TransformInputIteratorIbN2at6native12_GLOBAL__N_19NonZeroOpIlEEPKllEEiEEEE10hipError_tPvRmT1_T2_T3_mT4_P12ihipStream_tbEUlT_E1_NS1_11comp_targetILNS1_3genE5ELNS1_11target_archE942ELNS1_3gpuE9ELNS1_3repE0EEENS1_30default_config_static_selectorELNS0_4arch9wavefront6targetE0EEEvSQ_,"axG",@progbits,_ZN7rocprim17ROCPRIM_400000_NS6detail17trampoline_kernelINS0_14default_configENS1_22reduce_config_selectorIiEEZNS1_11reduce_implILb1ES3_PiS7_iN6hipcub16HIPCUB_304000_NS6detail34convert_binary_result_type_wrapperINS9_3SumENS9_22TransformInputIteratorIbN2at6native12_GLOBAL__N_19NonZeroOpIlEEPKllEEiEEEE10hipError_tPvRmT1_T2_T3_mT4_P12ihipStream_tbEUlT_E1_NS1_11comp_targetILNS1_3genE5ELNS1_11target_archE942ELNS1_3gpuE9ELNS1_3repE0EEENS1_30default_config_static_selectorELNS0_4arch9wavefront6targetE0EEEvSQ_,comdat
.Lfunc_end228:
	.size	_ZN7rocprim17ROCPRIM_400000_NS6detail17trampoline_kernelINS0_14default_configENS1_22reduce_config_selectorIiEEZNS1_11reduce_implILb1ES3_PiS7_iN6hipcub16HIPCUB_304000_NS6detail34convert_binary_result_type_wrapperINS9_3SumENS9_22TransformInputIteratorIbN2at6native12_GLOBAL__N_19NonZeroOpIlEEPKllEEiEEEE10hipError_tPvRmT1_T2_T3_mT4_P12ihipStream_tbEUlT_E1_NS1_11comp_targetILNS1_3genE5ELNS1_11target_archE942ELNS1_3gpuE9ELNS1_3repE0EEENS1_30default_config_static_selectorELNS0_4arch9wavefront6targetE0EEEvSQ_, .Lfunc_end228-_ZN7rocprim17ROCPRIM_400000_NS6detail17trampoline_kernelINS0_14default_configENS1_22reduce_config_selectorIiEEZNS1_11reduce_implILb1ES3_PiS7_iN6hipcub16HIPCUB_304000_NS6detail34convert_binary_result_type_wrapperINS9_3SumENS9_22TransformInputIteratorIbN2at6native12_GLOBAL__N_19NonZeroOpIlEEPKllEEiEEEE10hipError_tPvRmT1_T2_T3_mT4_P12ihipStream_tbEUlT_E1_NS1_11comp_targetILNS1_3genE5ELNS1_11target_archE942ELNS1_3gpuE9ELNS1_3repE0EEENS1_30default_config_static_selectorELNS0_4arch9wavefront6targetE0EEEvSQ_
                                        ; -- End function
	.set _ZN7rocprim17ROCPRIM_400000_NS6detail17trampoline_kernelINS0_14default_configENS1_22reduce_config_selectorIiEEZNS1_11reduce_implILb1ES3_PiS7_iN6hipcub16HIPCUB_304000_NS6detail34convert_binary_result_type_wrapperINS9_3SumENS9_22TransformInputIteratorIbN2at6native12_GLOBAL__N_19NonZeroOpIlEEPKllEEiEEEE10hipError_tPvRmT1_T2_T3_mT4_P12ihipStream_tbEUlT_E1_NS1_11comp_targetILNS1_3genE5ELNS1_11target_archE942ELNS1_3gpuE9ELNS1_3repE0EEENS1_30default_config_static_selectorELNS0_4arch9wavefront6targetE0EEEvSQ_.num_vgpr, 0
	.set _ZN7rocprim17ROCPRIM_400000_NS6detail17trampoline_kernelINS0_14default_configENS1_22reduce_config_selectorIiEEZNS1_11reduce_implILb1ES3_PiS7_iN6hipcub16HIPCUB_304000_NS6detail34convert_binary_result_type_wrapperINS9_3SumENS9_22TransformInputIteratorIbN2at6native12_GLOBAL__N_19NonZeroOpIlEEPKllEEiEEEE10hipError_tPvRmT1_T2_T3_mT4_P12ihipStream_tbEUlT_E1_NS1_11comp_targetILNS1_3genE5ELNS1_11target_archE942ELNS1_3gpuE9ELNS1_3repE0EEENS1_30default_config_static_selectorELNS0_4arch9wavefront6targetE0EEEvSQ_.num_agpr, 0
	.set _ZN7rocprim17ROCPRIM_400000_NS6detail17trampoline_kernelINS0_14default_configENS1_22reduce_config_selectorIiEEZNS1_11reduce_implILb1ES3_PiS7_iN6hipcub16HIPCUB_304000_NS6detail34convert_binary_result_type_wrapperINS9_3SumENS9_22TransformInputIteratorIbN2at6native12_GLOBAL__N_19NonZeroOpIlEEPKllEEiEEEE10hipError_tPvRmT1_T2_T3_mT4_P12ihipStream_tbEUlT_E1_NS1_11comp_targetILNS1_3genE5ELNS1_11target_archE942ELNS1_3gpuE9ELNS1_3repE0EEENS1_30default_config_static_selectorELNS0_4arch9wavefront6targetE0EEEvSQ_.numbered_sgpr, 0
	.set _ZN7rocprim17ROCPRIM_400000_NS6detail17trampoline_kernelINS0_14default_configENS1_22reduce_config_selectorIiEEZNS1_11reduce_implILb1ES3_PiS7_iN6hipcub16HIPCUB_304000_NS6detail34convert_binary_result_type_wrapperINS9_3SumENS9_22TransformInputIteratorIbN2at6native12_GLOBAL__N_19NonZeroOpIlEEPKllEEiEEEE10hipError_tPvRmT1_T2_T3_mT4_P12ihipStream_tbEUlT_E1_NS1_11comp_targetILNS1_3genE5ELNS1_11target_archE942ELNS1_3gpuE9ELNS1_3repE0EEENS1_30default_config_static_selectorELNS0_4arch9wavefront6targetE0EEEvSQ_.num_named_barrier, 0
	.set _ZN7rocprim17ROCPRIM_400000_NS6detail17trampoline_kernelINS0_14default_configENS1_22reduce_config_selectorIiEEZNS1_11reduce_implILb1ES3_PiS7_iN6hipcub16HIPCUB_304000_NS6detail34convert_binary_result_type_wrapperINS9_3SumENS9_22TransformInputIteratorIbN2at6native12_GLOBAL__N_19NonZeroOpIlEEPKllEEiEEEE10hipError_tPvRmT1_T2_T3_mT4_P12ihipStream_tbEUlT_E1_NS1_11comp_targetILNS1_3genE5ELNS1_11target_archE942ELNS1_3gpuE9ELNS1_3repE0EEENS1_30default_config_static_selectorELNS0_4arch9wavefront6targetE0EEEvSQ_.private_seg_size, 0
	.set _ZN7rocprim17ROCPRIM_400000_NS6detail17trampoline_kernelINS0_14default_configENS1_22reduce_config_selectorIiEEZNS1_11reduce_implILb1ES3_PiS7_iN6hipcub16HIPCUB_304000_NS6detail34convert_binary_result_type_wrapperINS9_3SumENS9_22TransformInputIteratorIbN2at6native12_GLOBAL__N_19NonZeroOpIlEEPKllEEiEEEE10hipError_tPvRmT1_T2_T3_mT4_P12ihipStream_tbEUlT_E1_NS1_11comp_targetILNS1_3genE5ELNS1_11target_archE942ELNS1_3gpuE9ELNS1_3repE0EEENS1_30default_config_static_selectorELNS0_4arch9wavefront6targetE0EEEvSQ_.uses_vcc, 0
	.set _ZN7rocprim17ROCPRIM_400000_NS6detail17trampoline_kernelINS0_14default_configENS1_22reduce_config_selectorIiEEZNS1_11reduce_implILb1ES3_PiS7_iN6hipcub16HIPCUB_304000_NS6detail34convert_binary_result_type_wrapperINS9_3SumENS9_22TransformInputIteratorIbN2at6native12_GLOBAL__N_19NonZeroOpIlEEPKllEEiEEEE10hipError_tPvRmT1_T2_T3_mT4_P12ihipStream_tbEUlT_E1_NS1_11comp_targetILNS1_3genE5ELNS1_11target_archE942ELNS1_3gpuE9ELNS1_3repE0EEENS1_30default_config_static_selectorELNS0_4arch9wavefront6targetE0EEEvSQ_.uses_flat_scratch, 0
	.set _ZN7rocprim17ROCPRIM_400000_NS6detail17trampoline_kernelINS0_14default_configENS1_22reduce_config_selectorIiEEZNS1_11reduce_implILb1ES3_PiS7_iN6hipcub16HIPCUB_304000_NS6detail34convert_binary_result_type_wrapperINS9_3SumENS9_22TransformInputIteratorIbN2at6native12_GLOBAL__N_19NonZeroOpIlEEPKllEEiEEEE10hipError_tPvRmT1_T2_T3_mT4_P12ihipStream_tbEUlT_E1_NS1_11comp_targetILNS1_3genE5ELNS1_11target_archE942ELNS1_3gpuE9ELNS1_3repE0EEENS1_30default_config_static_selectorELNS0_4arch9wavefront6targetE0EEEvSQ_.has_dyn_sized_stack, 0
	.set _ZN7rocprim17ROCPRIM_400000_NS6detail17trampoline_kernelINS0_14default_configENS1_22reduce_config_selectorIiEEZNS1_11reduce_implILb1ES3_PiS7_iN6hipcub16HIPCUB_304000_NS6detail34convert_binary_result_type_wrapperINS9_3SumENS9_22TransformInputIteratorIbN2at6native12_GLOBAL__N_19NonZeroOpIlEEPKllEEiEEEE10hipError_tPvRmT1_T2_T3_mT4_P12ihipStream_tbEUlT_E1_NS1_11comp_targetILNS1_3genE5ELNS1_11target_archE942ELNS1_3gpuE9ELNS1_3repE0EEENS1_30default_config_static_selectorELNS0_4arch9wavefront6targetE0EEEvSQ_.has_recursion, 0
	.set _ZN7rocprim17ROCPRIM_400000_NS6detail17trampoline_kernelINS0_14default_configENS1_22reduce_config_selectorIiEEZNS1_11reduce_implILb1ES3_PiS7_iN6hipcub16HIPCUB_304000_NS6detail34convert_binary_result_type_wrapperINS9_3SumENS9_22TransformInputIteratorIbN2at6native12_GLOBAL__N_19NonZeroOpIlEEPKllEEiEEEE10hipError_tPvRmT1_T2_T3_mT4_P12ihipStream_tbEUlT_E1_NS1_11comp_targetILNS1_3genE5ELNS1_11target_archE942ELNS1_3gpuE9ELNS1_3repE0EEENS1_30default_config_static_selectorELNS0_4arch9wavefront6targetE0EEEvSQ_.has_indirect_call, 0
	.section	.AMDGPU.csdata,"",@progbits
; Kernel info:
; codeLenInByte = 0
; TotalNumSgprs: 0
; NumVgprs: 0
; ScratchSize: 0
; MemoryBound: 0
; FloatMode: 240
; IeeeMode: 1
; LDSByteSize: 0 bytes/workgroup (compile time only)
; SGPRBlocks: 0
; VGPRBlocks: 0
; NumSGPRsForWavesPerEU: 1
; NumVGPRsForWavesPerEU: 1
; Occupancy: 16
; WaveLimiterHint : 0
; COMPUTE_PGM_RSRC2:SCRATCH_EN: 0
; COMPUTE_PGM_RSRC2:USER_SGPR: 2
; COMPUTE_PGM_RSRC2:TRAP_HANDLER: 0
; COMPUTE_PGM_RSRC2:TGID_X_EN: 1
; COMPUTE_PGM_RSRC2:TGID_Y_EN: 0
; COMPUTE_PGM_RSRC2:TGID_Z_EN: 0
; COMPUTE_PGM_RSRC2:TIDIG_COMP_CNT: 0
	.section	.text._ZN7rocprim17ROCPRIM_400000_NS6detail17trampoline_kernelINS0_14default_configENS1_22reduce_config_selectorIiEEZNS1_11reduce_implILb1ES3_PiS7_iN6hipcub16HIPCUB_304000_NS6detail34convert_binary_result_type_wrapperINS9_3SumENS9_22TransformInputIteratorIbN2at6native12_GLOBAL__N_19NonZeroOpIlEEPKllEEiEEEE10hipError_tPvRmT1_T2_T3_mT4_P12ihipStream_tbEUlT_E1_NS1_11comp_targetILNS1_3genE4ELNS1_11target_archE910ELNS1_3gpuE8ELNS1_3repE0EEENS1_30default_config_static_selectorELNS0_4arch9wavefront6targetE0EEEvSQ_,"axG",@progbits,_ZN7rocprim17ROCPRIM_400000_NS6detail17trampoline_kernelINS0_14default_configENS1_22reduce_config_selectorIiEEZNS1_11reduce_implILb1ES3_PiS7_iN6hipcub16HIPCUB_304000_NS6detail34convert_binary_result_type_wrapperINS9_3SumENS9_22TransformInputIteratorIbN2at6native12_GLOBAL__N_19NonZeroOpIlEEPKllEEiEEEE10hipError_tPvRmT1_T2_T3_mT4_P12ihipStream_tbEUlT_E1_NS1_11comp_targetILNS1_3genE4ELNS1_11target_archE910ELNS1_3gpuE8ELNS1_3repE0EEENS1_30default_config_static_selectorELNS0_4arch9wavefront6targetE0EEEvSQ_,comdat
	.globl	_ZN7rocprim17ROCPRIM_400000_NS6detail17trampoline_kernelINS0_14default_configENS1_22reduce_config_selectorIiEEZNS1_11reduce_implILb1ES3_PiS7_iN6hipcub16HIPCUB_304000_NS6detail34convert_binary_result_type_wrapperINS9_3SumENS9_22TransformInputIteratorIbN2at6native12_GLOBAL__N_19NonZeroOpIlEEPKllEEiEEEE10hipError_tPvRmT1_T2_T3_mT4_P12ihipStream_tbEUlT_E1_NS1_11comp_targetILNS1_3genE4ELNS1_11target_archE910ELNS1_3gpuE8ELNS1_3repE0EEENS1_30default_config_static_selectorELNS0_4arch9wavefront6targetE0EEEvSQ_ ; -- Begin function _ZN7rocprim17ROCPRIM_400000_NS6detail17trampoline_kernelINS0_14default_configENS1_22reduce_config_selectorIiEEZNS1_11reduce_implILb1ES3_PiS7_iN6hipcub16HIPCUB_304000_NS6detail34convert_binary_result_type_wrapperINS9_3SumENS9_22TransformInputIteratorIbN2at6native12_GLOBAL__N_19NonZeroOpIlEEPKllEEiEEEE10hipError_tPvRmT1_T2_T3_mT4_P12ihipStream_tbEUlT_E1_NS1_11comp_targetILNS1_3genE4ELNS1_11target_archE910ELNS1_3gpuE8ELNS1_3repE0EEENS1_30default_config_static_selectorELNS0_4arch9wavefront6targetE0EEEvSQ_
	.p2align	8
	.type	_ZN7rocprim17ROCPRIM_400000_NS6detail17trampoline_kernelINS0_14default_configENS1_22reduce_config_selectorIiEEZNS1_11reduce_implILb1ES3_PiS7_iN6hipcub16HIPCUB_304000_NS6detail34convert_binary_result_type_wrapperINS9_3SumENS9_22TransformInputIteratorIbN2at6native12_GLOBAL__N_19NonZeroOpIlEEPKllEEiEEEE10hipError_tPvRmT1_T2_T3_mT4_P12ihipStream_tbEUlT_E1_NS1_11comp_targetILNS1_3genE4ELNS1_11target_archE910ELNS1_3gpuE8ELNS1_3repE0EEENS1_30default_config_static_selectorELNS0_4arch9wavefront6targetE0EEEvSQ_,@function
_ZN7rocprim17ROCPRIM_400000_NS6detail17trampoline_kernelINS0_14default_configENS1_22reduce_config_selectorIiEEZNS1_11reduce_implILb1ES3_PiS7_iN6hipcub16HIPCUB_304000_NS6detail34convert_binary_result_type_wrapperINS9_3SumENS9_22TransformInputIteratorIbN2at6native12_GLOBAL__N_19NonZeroOpIlEEPKllEEiEEEE10hipError_tPvRmT1_T2_T3_mT4_P12ihipStream_tbEUlT_E1_NS1_11comp_targetILNS1_3genE4ELNS1_11target_archE910ELNS1_3gpuE8ELNS1_3repE0EEENS1_30default_config_static_selectorELNS0_4arch9wavefront6targetE0EEEvSQ_: ; @_ZN7rocprim17ROCPRIM_400000_NS6detail17trampoline_kernelINS0_14default_configENS1_22reduce_config_selectorIiEEZNS1_11reduce_implILb1ES3_PiS7_iN6hipcub16HIPCUB_304000_NS6detail34convert_binary_result_type_wrapperINS9_3SumENS9_22TransformInputIteratorIbN2at6native12_GLOBAL__N_19NonZeroOpIlEEPKllEEiEEEE10hipError_tPvRmT1_T2_T3_mT4_P12ihipStream_tbEUlT_E1_NS1_11comp_targetILNS1_3genE4ELNS1_11target_archE910ELNS1_3gpuE8ELNS1_3repE0EEENS1_30default_config_static_selectorELNS0_4arch9wavefront6targetE0EEEvSQ_
; %bb.0:
	.section	.rodata,"a",@progbits
	.p2align	6, 0x0
	.amdhsa_kernel _ZN7rocprim17ROCPRIM_400000_NS6detail17trampoline_kernelINS0_14default_configENS1_22reduce_config_selectorIiEEZNS1_11reduce_implILb1ES3_PiS7_iN6hipcub16HIPCUB_304000_NS6detail34convert_binary_result_type_wrapperINS9_3SumENS9_22TransformInputIteratorIbN2at6native12_GLOBAL__N_19NonZeroOpIlEEPKllEEiEEEE10hipError_tPvRmT1_T2_T3_mT4_P12ihipStream_tbEUlT_E1_NS1_11comp_targetILNS1_3genE4ELNS1_11target_archE910ELNS1_3gpuE8ELNS1_3repE0EEENS1_30default_config_static_selectorELNS0_4arch9wavefront6targetE0EEEvSQ_
		.amdhsa_group_segment_fixed_size 0
		.amdhsa_private_segment_fixed_size 0
		.amdhsa_kernarg_size 40
		.amdhsa_user_sgpr_count 2
		.amdhsa_user_sgpr_dispatch_ptr 0
		.amdhsa_user_sgpr_queue_ptr 0
		.amdhsa_user_sgpr_kernarg_segment_ptr 1
		.amdhsa_user_sgpr_dispatch_id 0
		.amdhsa_user_sgpr_private_segment_size 0
		.amdhsa_wavefront_size32 1
		.amdhsa_uses_dynamic_stack 0
		.amdhsa_enable_private_segment 0
		.amdhsa_system_sgpr_workgroup_id_x 1
		.amdhsa_system_sgpr_workgroup_id_y 0
		.amdhsa_system_sgpr_workgroup_id_z 0
		.amdhsa_system_sgpr_workgroup_info 0
		.amdhsa_system_vgpr_workitem_id 0
		.amdhsa_next_free_vgpr 1
		.amdhsa_next_free_sgpr 1
		.amdhsa_reserve_vcc 0
		.amdhsa_float_round_mode_32 0
		.amdhsa_float_round_mode_16_64 0
		.amdhsa_float_denorm_mode_32 3
		.amdhsa_float_denorm_mode_16_64 3
		.amdhsa_fp16_overflow 0
		.amdhsa_workgroup_processor_mode 1
		.amdhsa_memory_ordered 1
		.amdhsa_forward_progress 1
		.amdhsa_inst_pref_size 0
		.amdhsa_round_robin_scheduling 0
		.amdhsa_exception_fp_ieee_invalid_op 0
		.amdhsa_exception_fp_denorm_src 0
		.amdhsa_exception_fp_ieee_div_zero 0
		.amdhsa_exception_fp_ieee_overflow 0
		.amdhsa_exception_fp_ieee_underflow 0
		.amdhsa_exception_fp_ieee_inexact 0
		.amdhsa_exception_int_div_zero 0
	.end_amdhsa_kernel
	.section	.text._ZN7rocprim17ROCPRIM_400000_NS6detail17trampoline_kernelINS0_14default_configENS1_22reduce_config_selectorIiEEZNS1_11reduce_implILb1ES3_PiS7_iN6hipcub16HIPCUB_304000_NS6detail34convert_binary_result_type_wrapperINS9_3SumENS9_22TransformInputIteratorIbN2at6native12_GLOBAL__N_19NonZeroOpIlEEPKllEEiEEEE10hipError_tPvRmT1_T2_T3_mT4_P12ihipStream_tbEUlT_E1_NS1_11comp_targetILNS1_3genE4ELNS1_11target_archE910ELNS1_3gpuE8ELNS1_3repE0EEENS1_30default_config_static_selectorELNS0_4arch9wavefront6targetE0EEEvSQ_,"axG",@progbits,_ZN7rocprim17ROCPRIM_400000_NS6detail17trampoline_kernelINS0_14default_configENS1_22reduce_config_selectorIiEEZNS1_11reduce_implILb1ES3_PiS7_iN6hipcub16HIPCUB_304000_NS6detail34convert_binary_result_type_wrapperINS9_3SumENS9_22TransformInputIteratorIbN2at6native12_GLOBAL__N_19NonZeroOpIlEEPKllEEiEEEE10hipError_tPvRmT1_T2_T3_mT4_P12ihipStream_tbEUlT_E1_NS1_11comp_targetILNS1_3genE4ELNS1_11target_archE910ELNS1_3gpuE8ELNS1_3repE0EEENS1_30default_config_static_selectorELNS0_4arch9wavefront6targetE0EEEvSQ_,comdat
.Lfunc_end229:
	.size	_ZN7rocprim17ROCPRIM_400000_NS6detail17trampoline_kernelINS0_14default_configENS1_22reduce_config_selectorIiEEZNS1_11reduce_implILb1ES3_PiS7_iN6hipcub16HIPCUB_304000_NS6detail34convert_binary_result_type_wrapperINS9_3SumENS9_22TransformInputIteratorIbN2at6native12_GLOBAL__N_19NonZeroOpIlEEPKllEEiEEEE10hipError_tPvRmT1_T2_T3_mT4_P12ihipStream_tbEUlT_E1_NS1_11comp_targetILNS1_3genE4ELNS1_11target_archE910ELNS1_3gpuE8ELNS1_3repE0EEENS1_30default_config_static_selectorELNS0_4arch9wavefront6targetE0EEEvSQ_, .Lfunc_end229-_ZN7rocprim17ROCPRIM_400000_NS6detail17trampoline_kernelINS0_14default_configENS1_22reduce_config_selectorIiEEZNS1_11reduce_implILb1ES3_PiS7_iN6hipcub16HIPCUB_304000_NS6detail34convert_binary_result_type_wrapperINS9_3SumENS9_22TransformInputIteratorIbN2at6native12_GLOBAL__N_19NonZeroOpIlEEPKllEEiEEEE10hipError_tPvRmT1_T2_T3_mT4_P12ihipStream_tbEUlT_E1_NS1_11comp_targetILNS1_3genE4ELNS1_11target_archE910ELNS1_3gpuE8ELNS1_3repE0EEENS1_30default_config_static_selectorELNS0_4arch9wavefront6targetE0EEEvSQ_
                                        ; -- End function
	.set _ZN7rocprim17ROCPRIM_400000_NS6detail17trampoline_kernelINS0_14default_configENS1_22reduce_config_selectorIiEEZNS1_11reduce_implILb1ES3_PiS7_iN6hipcub16HIPCUB_304000_NS6detail34convert_binary_result_type_wrapperINS9_3SumENS9_22TransformInputIteratorIbN2at6native12_GLOBAL__N_19NonZeroOpIlEEPKllEEiEEEE10hipError_tPvRmT1_T2_T3_mT4_P12ihipStream_tbEUlT_E1_NS1_11comp_targetILNS1_3genE4ELNS1_11target_archE910ELNS1_3gpuE8ELNS1_3repE0EEENS1_30default_config_static_selectorELNS0_4arch9wavefront6targetE0EEEvSQ_.num_vgpr, 0
	.set _ZN7rocprim17ROCPRIM_400000_NS6detail17trampoline_kernelINS0_14default_configENS1_22reduce_config_selectorIiEEZNS1_11reduce_implILb1ES3_PiS7_iN6hipcub16HIPCUB_304000_NS6detail34convert_binary_result_type_wrapperINS9_3SumENS9_22TransformInputIteratorIbN2at6native12_GLOBAL__N_19NonZeroOpIlEEPKllEEiEEEE10hipError_tPvRmT1_T2_T3_mT4_P12ihipStream_tbEUlT_E1_NS1_11comp_targetILNS1_3genE4ELNS1_11target_archE910ELNS1_3gpuE8ELNS1_3repE0EEENS1_30default_config_static_selectorELNS0_4arch9wavefront6targetE0EEEvSQ_.num_agpr, 0
	.set _ZN7rocprim17ROCPRIM_400000_NS6detail17trampoline_kernelINS0_14default_configENS1_22reduce_config_selectorIiEEZNS1_11reduce_implILb1ES3_PiS7_iN6hipcub16HIPCUB_304000_NS6detail34convert_binary_result_type_wrapperINS9_3SumENS9_22TransformInputIteratorIbN2at6native12_GLOBAL__N_19NonZeroOpIlEEPKllEEiEEEE10hipError_tPvRmT1_T2_T3_mT4_P12ihipStream_tbEUlT_E1_NS1_11comp_targetILNS1_3genE4ELNS1_11target_archE910ELNS1_3gpuE8ELNS1_3repE0EEENS1_30default_config_static_selectorELNS0_4arch9wavefront6targetE0EEEvSQ_.numbered_sgpr, 0
	.set _ZN7rocprim17ROCPRIM_400000_NS6detail17trampoline_kernelINS0_14default_configENS1_22reduce_config_selectorIiEEZNS1_11reduce_implILb1ES3_PiS7_iN6hipcub16HIPCUB_304000_NS6detail34convert_binary_result_type_wrapperINS9_3SumENS9_22TransformInputIteratorIbN2at6native12_GLOBAL__N_19NonZeroOpIlEEPKllEEiEEEE10hipError_tPvRmT1_T2_T3_mT4_P12ihipStream_tbEUlT_E1_NS1_11comp_targetILNS1_3genE4ELNS1_11target_archE910ELNS1_3gpuE8ELNS1_3repE0EEENS1_30default_config_static_selectorELNS0_4arch9wavefront6targetE0EEEvSQ_.num_named_barrier, 0
	.set _ZN7rocprim17ROCPRIM_400000_NS6detail17trampoline_kernelINS0_14default_configENS1_22reduce_config_selectorIiEEZNS1_11reduce_implILb1ES3_PiS7_iN6hipcub16HIPCUB_304000_NS6detail34convert_binary_result_type_wrapperINS9_3SumENS9_22TransformInputIteratorIbN2at6native12_GLOBAL__N_19NonZeroOpIlEEPKllEEiEEEE10hipError_tPvRmT1_T2_T3_mT4_P12ihipStream_tbEUlT_E1_NS1_11comp_targetILNS1_3genE4ELNS1_11target_archE910ELNS1_3gpuE8ELNS1_3repE0EEENS1_30default_config_static_selectorELNS0_4arch9wavefront6targetE0EEEvSQ_.private_seg_size, 0
	.set _ZN7rocprim17ROCPRIM_400000_NS6detail17trampoline_kernelINS0_14default_configENS1_22reduce_config_selectorIiEEZNS1_11reduce_implILb1ES3_PiS7_iN6hipcub16HIPCUB_304000_NS6detail34convert_binary_result_type_wrapperINS9_3SumENS9_22TransformInputIteratorIbN2at6native12_GLOBAL__N_19NonZeroOpIlEEPKllEEiEEEE10hipError_tPvRmT1_T2_T3_mT4_P12ihipStream_tbEUlT_E1_NS1_11comp_targetILNS1_3genE4ELNS1_11target_archE910ELNS1_3gpuE8ELNS1_3repE0EEENS1_30default_config_static_selectorELNS0_4arch9wavefront6targetE0EEEvSQ_.uses_vcc, 0
	.set _ZN7rocprim17ROCPRIM_400000_NS6detail17trampoline_kernelINS0_14default_configENS1_22reduce_config_selectorIiEEZNS1_11reduce_implILb1ES3_PiS7_iN6hipcub16HIPCUB_304000_NS6detail34convert_binary_result_type_wrapperINS9_3SumENS9_22TransformInputIteratorIbN2at6native12_GLOBAL__N_19NonZeroOpIlEEPKllEEiEEEE10hipError_tPvRmT1_T2_T3_mT4_P12ihipStream_tbEUlT_E1_NS1_11comp_targetILNS1_3genE4ELNS1_11target_archE910ELNS1_3gpuE8ELNS1_3repE0EEENS1_30default_config_static_selectorELNS0_4arch9wavefront6targetE0EEEvSQ_.uses_flat_scratch, 0
	.set _ZN7rocprim17ROCPRIM_400000_NS6detail17trampoline_kernelINS0_14default_configENS1_22reduce_config_selectorIiEEZNS1_11reduce_implILb1ES3_PiS7_iN6hipcub16HIPCUB_304000_NS6detail34convert_binary_result_type_wrapperINS9_3SumENS9_22TransformInputIteratorIbN2at6native12_GLOBAL__N_19NonZeroOpIlEEPKllEEiEEEE10hipError_tPvRmT1_T2_T3_mT4_P12ihipStream_tbEUlT_E1_NS1_11comp_targetILNS1_3genE4ELNS1_11target_archE910ELNS1_3gpuE8ELNS1_3repE0EEENS1_30default_config_static_selectorELNS0_4arch9wavefront6targetE0EEEvSQ_.has_dyn_sized_stack, 0
	.set _ZN7rocprim17ROCPRIM_400000_NS6detail17trampoline_kernelINS0_14default_configENS1_22reduce_config_selectorIiEEZNS1_11reduce_implILb1ES3_PiS7_iN6hipcub16HIPCUB_304000_NS6detail34convert_binary_result_type_wrapperINS9_3SumENS9_22TransformInputIteratorIbN2at6native12_GLOBAL__N_19NonZeroOpIlEEPKllEEiEEEE10hipError_tPvRmT1_T2_T3_mT4_P12ihipStream_tbEUlT_E1_NS1_11comp_targetILNS1_3genE4ELNS1_11target_archE910ELNS1_3gpuE8ELNS1_3repE0EEENS1_30default_config_static_selectorELNS0_4arch9wavefront6targetE0EEEvSQ_.has_recursion, 0
	.set _ZN7rocprim17ROCPRIM_400000_NS6detail17trampoline_kernelINS0_14default_configENS1_22reduce_config_selectorIiEEZNS1_11reduce_implILb1ES3_PiS7_iN6hipcub16HIPCUB_304000_NS6detail34convert_binary_result_type_wrapperINS9_3SumENS9_22TransformInputIteratorIbN2at6native12_GLOBAL__N_19NonZeroOpIlEEPKllEEiEEEE10hipError_tPvRmT1_T2_T3_mT4_P12ihipStream_tbEUlT_E1_NS1_11comp_targetILNS1_3genE4ELNS1_11target_archE910ELNS1_3gpuE8ELNS1_3repE0EEENS1_30default_config_static_selectorELNS0_4arch9wavefront6targetE0EEEvSQ_.has_indirect_call, 0
	.section	.AMDGPU.csdata,"",@progbits
; Kernel info:
; codeLenInByte = 0
; TotalNumSgprs: 0
; NumVgprs: 0
; ScratchSize: 0
; MemoryBound: 0
; FloatMode: 240
; IeeeMode: 1
; LDSByteSize: 0 bytes/workgroup (compile time only)
; SGPRBlocks: 0
; VGPRBlocks: 0
; NumSGPRsForWavesPerEU: 1
; NumVGPRsForWavesPerEU: 1
; Occupancy: 16
; WaveLimiterHint : 0
; COMPUTE_PGM_RSRC2:SCRATCH_EN: 0
; COMPUTE_PGM_RSRC2:USER_SGPR: 2
; COMPUTE_PGM_RSRC2:TRAP_HANDLER: 0
; COMPUTE_PGM_RSRC2:TGID_X_EN: 1
; COMPUTE_PGM_RSRC2:TGID_Y_EN: 0
; COMPUTE_PGM_RSRC2:TGID_Z_EN: 0
; COMPUTE_PGM_RSRC2:TIDIG_COMP_CNT: 0
	.section	.text._ZN7rocprim17ROCPRIM_400000_NS6detail17trampoline_kernelINS0_14default_configENS1_22reduce_config_selectorIiEEZNS1_11reduce_implILb1ES3_PiS7_iN6hipcub16HIPCUB_304000_NS6detail34convert_binary_result_type_wrapperINS9_3SumENS9_22TransformInputIteratorIbN2at6native12_GLOBAL__N_19NonZeroOpIlEEPKllEEiEEEE10hipError_tPvRmT1_T2_T3_mT4_P12ihipStream_tbEUlT_E1_NS1_11comp_targetILNS1_3genE3ELNS1_11target_archE908ELNS1_3gpuE7ELNS1_3repE0EEENS1_30default_config_static_selectorELNS0_4arch9wavefront6targetE0EEEvSQ_,"axG",@progbits,_ZN7rocprim17ROCPRIM_400000_NS6detail17trampoline_kernelINS0_14default_configENS1_22reduce_config_selectorIiEEZNS1_11reduce_implILb1ES3_PiS7_iN6hipcub16HIPCUB_304000_NS6detail34convert_binary_result_type_wrapperINS9_3SumENS9_22TransformInputIteratorIbN2at6native12_GLOBAL__N_19NonZeroOpIlEEPKllEEiEEEE10hipError_tPvRmT1_T2_T3_mT4_P12ihipStream_tbEUlT_E1_NS1_11comp_targetILNS1_3genE3ELNS1_11target_archE908ELNS1_3gpuE7ELNS1_3repE0EEENS1_30default_config_static_selectorELNS0_4arch9wavefront6targetE0EEEvSQ_,comdat
	.globl	_ZN7rocprim17ROCPRIM_400000_NS6detail17trampoline_kernelINS0_14default_configENS1_22reduce_config_selectorIiEEZNS1_11reduce_implILb1ES3_PiS7_iN6hipcub16HIPCUB_304000_NS6detail34convert_binary_result_type_wrapperINS9_3SumENS9_22TransformInputIteratorIbN2at6native12_GLOBAL__N_19NonZeroOpIlEEPKllEEiEEEE10hipError_tPvRmT1_T2_T3_mT4_P12ihipStream_tbEUlT_E1_NS1_11comp_targetILNS1_3genE3ELNS1_11target_archE908ELNS1_3gpuE7ELNS1_3repE0EEENS1_30default_config_static_selectorELNS0_4arch9wavefront6targetE0EEEvSQ_ ; -- Begin function _ZN7rocprim17ROCPRIM_400000_NS6detail17trampoline_kernelINS0_14default_configENS1_22reduce_config_selectorIiEEZNS1_11reduce_implILb1ES3_PiS7_iN6hipcub16HIPCUB_304000_NS6detail34convert_binary_result_type_wrapperINS9_3SumENS9_22TransformInputIteratorIbN2at6native12_GLOBAL__N_19NonZeroOpIlEEPKllEEiEEEE10hipError_tPvRmT1_T2_T3_mT4_P12ihipStream_tbEUlT_E1_NS1_11comp_targetILNS1_3genE3ELNS1_11target_archE908ELNS1_3gpuE7ELNS1_3repE0EEENS1_30default_config_static_selectorELNS0_4arch9wavefront6targetE0EEEvSQ_
	.p2align	8
	.type	_ZN7rocprim17ROCPRIM_400000_NS6detail17trampoline_kernelINS0_14default_configENS1_22reduce_config_selectorIiEEZNS1_11reduce_implILb1ES3_PiS7_iN6hipcub16HIPCUB_304000_NS6detail34convert_binary_result_type_wrapperINS9_3SumENS9_22TransformInputIteratorIbN2at6native12_GLOBAL__N_19NonZeroOpIlEEPKllEEiEEEE10hipError_tPvRmT1_T2_T3_mT4_P12ihipStream_tbEUlT_E1_NS1_11comp_targetILNS1_3genE3ELNS1_11target_archE908ELNS1_3gpuE7ELNS1_3repE0EEENS1_30default_config_static_selectorELNS0_4arch9wavefront6targetE0EEEvSQ_,@function
_ZN7rocprim17ROCPRIM_400000_NS6detail17trampoline_kernelINS0_14default_configENS1_22reduce_config_selectorIiEEZNS1_11reduce_implILb1ES3_PiS7_iN6hipcub16HIPCUB_304000_NS6detail34convert_binary_result_type_wrapperINS9_3SumENS9_22TransformInputIteratorIbN2at6native12_GLOBAL__N_19NonZeroOpIlEEPKllEEiEEEE10hipError_tPvRmT1_T2_T3_mT4_P12ihipStream_tbEUlT_E1_NS1_11comp_targetILNS1_3genE3ELNS1_11target_archE908ELNS1_3gpuE7ELNS1_3repE0EEENS1_30default_config_static_selectorELNS0_4arch9wavefront6targetE0EEEvSQ_: ; @_ZN7rocprim17ROCPRIM_400000_NS6detail17trampoline_kernelINS0_14default_configENS1_22reduce_config_selectorIiEEZNS1_11reduce_implILb1ES3_PiS7_iN6hipcub16HIPCUB_304000_NS6detail34convert_binary_result_type_wrapperINS9_3SumENS9_22TransformInputIteratorIbN2at6native12_GLOBAL__N_19NonZeroOpIlEEPKllEEiEEEE10hipError_tPvRmT1_T2_T3_mT4_P12ihipStream_tbEUlT_E1_NS1_11comp_targetILNS1_3genE3ELNS1_11target_archE908ELNS1_3gpuE7ELNS1_3repE0EEENS1_30default_config_static_selectorELNS0_4arch9wavefront6targetE0EEEvSQ_
; %bb.0:
	.section	.rodata,"a",@progbits
	.p2align	6, 0x0
	.amdhsa_kernel _ZN7rocprim17ROCPRIM_400000_NS6detail17trampoline_kernelINS0_14default_configENS1_22reduce_config_selectorIiEEZNS1_11reduce_implILb1ES3_PiS7_iN6hipcub16HIPCUB_304000_NS6detail34convert_binary_result_type_wrapperINS9_3SumENS9_22TransformInputIteratorIbN2at6native12_GLOBAL__N_19NonZeroOpIlEEPKllEEiEEEE10hipError_tPvRmT1_T2_T3_mT4_P12ihipStream_tbEUlT_E1_NS1_11comp_targetILNS1_3genE3ELNS1_11target_archE908ELNS1_3gpuE7ELNS1_3repE0EEENS1_30default_config_static_selectorELNS0_4arch9wavefront6targetE0EEEvSQ_
		.amdhsa_group_segment_fixed_size 0
		.amdhsa_private_segment_fixed_size 0
		.amdhsa_kernarg_size 40
		.amdhsa_user_sgpr_count 2
		.amdhsa_user_sgpr_dispatch_ptr 0
		.amdhsa_user_sgpr_queue_ptr 0
		.amdhsa_user_sgpr_kernarg_segment_ptr 1
		.amdhsa_user_sgpr_dispatch_id 0
		.amdhsa_user_sgpr_private_segment_size 0
		.amdhsa_wavefront_size32 1
		.amdhsa_uses_dynamic_stack 0
		.amdhsa_enable_private_segment 0
		.amdhsa_system_sgpr_workgroup_id_x 1
		.amdhsa_system_sgpr_workgroup_id_y 0
		.amdhsa_system_sgpr_workgroup_id_z 0
		.amdhsa_system_sgpr_workgroup_info 0
		.amdhsa_system_vgpr_workitem_id 0
		.amdhsa_next_free_vgpr 1
		.amdhsa_next_free_sgpr 1
		.amdhsa_reserve_vcc 0
		.amdhsa_float_round_mode_32 0
		.amdhsa_float_round_mode_16_64 0
		.amdhsa_float_denorm_mode_32 3
		.amdhsa_float_denorm_mode_16_64 3
		.amdhsa_fp16_overflow 0
		.amdhsa_workgroup_processor_mode 1
		.amdhsa_memory_ordered 1
		.amdhsa_forward_progress 1
		.amdhsa_inst_pref_size 0
		.amdhsa_round_robin_scheduling 0
		.amdhsa_exception_fp_ieee_invalid_op 0
		.amdhsa_exception_fp_denorm_src 0
		.amdhsa_exception_fp_ieee_div_zero 0
		.amdhsa_exception_fp_ieee_overflow 0
		.amdhsa_exception_fp_ieee_underflow 0
		.amdhsa_exception_fp_ieee_inexact 0
		.amdhsa_exception_int_div_zero 0
	.end_amdhsa_kernel
	.section	.text._ZN7rocprim17ROCPRIM_400000_NS6detail17trampoline_kernelINS0_14default_configENS1_22reduce_config_selectorIiEEZNS1_11reduce_implILb1ES3_PiS7_iN6hipcub16HIPCUB_304000_NS6detail34convert_binary_result_type_wrapperINS9_3SumENS9_22TransformInputIteratorIbN2at6native12_GLOBAL__N_19NonZeroOpIlEEPKllEEiEEEE10hipError_tPvRmT1_T2_T3_mT4_P12ihipStream_tbEUlT_E1_NS1_11comp_targetILNS1_3genE3ELNS1_11target_archE908ELNS1_3gpuE7ELNS1_3repE0EEENS1_30default_config_static_selectorELNS0_4arch9wavefront6targetE0EEEvSQ_,"axG",@progbits,_ZN7rocprim17ROCPRIM_400000_NS6detail17trampoline_kernelINS0_14default_configENS1_22reduce_config_selectorIiEEZNS1_11reduce_implILb1ES3_PiS7_iN6hipcub16HIPCUB_304000_NS6detail34convert_binary_result_type_wrapperINS9_3SumENS9_22TransformInputIteratorIbN2at6native12_GLOBAL__N_19NonZeroOpIlEEPKllEEiEEEE10hipError_tPvRmT1_T2_T3_mT4_P12ihipStream_tbEUlT_E1_NS1_11comp_targetILNS1_3genE3ELNS1_11target_archE908ELNS1_3gpuE7ELNS1_3repE0EEENS1_30default_config_static_selectorELNS0_4arch9wavefront6targetE0EEEvSQ_,comdat
.Lfunc_end230:
	.size	_ZN7rocprim17ROCPRIM_400000_NS6detail17trampoline_kernelINS0_14default_configENS1_22reduce_config_selectorIiEEZNS1_11reduce_implILb1ES3_PiS7_iN6hipcub16HIPCUB_304000_NS6detail34convert_binary_result_type_wrapperINS9_3SumENS9_22TransformInputIteratorIbN2at6native12_GLOBAL__N_19NonZeroOpIlEEPKllEEiEEEE10hipError_tPvRmT1_T2_T3_mT4_P12ihipStream_tbEUlT_E1_NS1_11comp_targetILNS1_3genE3ELNS1_11target_archE908ELNS1_3gpuE7ELNS1_3repE0EEENS1_30default_config_static_selectorELNS0_4arch9wavefront6targetE0EEEvSQ_, .Lfunc_end230-_ZN7rocprim17ROCPRIM_400000_NS6detail17trampoline_kernelINS0_14default_configENS1_22reduce_config_selectorIiEEZNS1_11reduce_implILb1ES3_PiS7_iN6hipcub16HIPCUB_304000_NS6detail34convert_binary_result_type_wrapperINS9_3SumENS9_22TransformInputIteratorIbN2at6native12_GLOBAL__N_19NonZeroOpIlEEPKllEEiEEEE10hipError_tPvRmT1_T2_T3_mT4_P12ihipStream_tbEUlT_E1_NS1_11comp_targetILNS1_3genE3ELNS1_11target_archE908ELNS1_3gpuE7ELNS1_3repE0EEENS1_30default_config_static_selectorELNS0_4arch9wavefront6targetE0EEEvSQ_
                                        ; -- End function
	.set _ZN7rocprim17ROCPRIM_400000_NS6detail17trampoline_kernelINS0_14default_configENS1_22reduce_config_selectorIiEEZNS1_11reduce_implILb1ES3_PiS7_iN6hipcub16HIPCUB_304000_NS6detail34convert_binary_result_type_wrapperINS9_3SumENS9_22TransformInputIteratorIbN2at6native12_GLOBAL__N_19NonZeroOpIlEEPKllEEiEEEE10hipError_tPvRmT1_T2_T3_mT4_P12ihipStream_tbEUlT_E1_NS1_11comp_targetILNS1_3genE3ELNS1_11target_archE908ELNS1_3gpuE7ELNS1_3repE0EEENS1_30default_config_static_selectorELNS0_4arch9wavefront6targetE0EEEvSQ_.num_vgpr, 0
	.set _ZN7rocprim17ROCPRIM_400000_NS6detail17trampoline_kernelINS0_14default_configENS1_22reduce_config_selectorIiEEZNS1_11reduce_implILb1ES3_PiS7_iN6hipcub16HIPCUB_304000_NS6detail34convert_binary_result_type_wrapperINS9_3SumENS9_22TransformInputIteratorIbN2at6native12_GLOBAL__N_19NonZeroOpIlEEPKllEEiEEEE10hipError_tPvRmT1_T2_T3_mT4_P12ihipStream_tbEUlT_E1_NS1_11comp_targetILNS1_3genE3ELNS1_11target_archE908ELNS1_3gpuE7ELNS1_3repE0EEENS1_30default_config_static_selectorELNS0_4arch9wavefront6targetE0EEEvSQ_.num_agpr, 0
	.set _ZN7rocprim17ROCPRIM_400000_NS6detail17trampoline_kernelINS0_14default_configENS1_22reduce_config_selectorIiEEZNS1_11reduce_implILb1ES3_PiS7_iN6hipcub16HIPCUB_304000_NS6detail34convert_binary_result_type_wrapperINS9_3SumENS9_22TransformInputIteratorIbN2at6native12_GLOBAL__N_19NonZeroOpIlEEPKllEEiEEEE10hipError_tPvRmT1_T2_T3_mT4_P12ihipStream_tbEUlT_E1_NS1_11comp_targetILNS1_3genE3ELNS1_11target_archE908ELNS1_3gpuE7ELNS1_3repE0EEENS1_30default_config_static_selectorELNS0_4arch9wavefront6targetE0EEEvSQ_.numbered_sgpr, 0
	.set _ZN7rocprim17ROCPRIM_400000_NS6detail17trampoline_kernelINS0_14default_configENS1_22reduce_config_selectorIiEEZNS1_11reduce_implILb1ES3_PiS7_iN6hipcub16HIPCUB_304000_NS6detail34convert_binary_result_type_wrapperINS9_3SumENS9_22TransformInputIteratorIbN2at6native12_GLOBAL__N_19NonZeroOpIlEEPKllEEiEEEE10hipError_tPvRmT1_T2_T3_mT4_P12ihipStream_tbEUlT_E1_NS1_11comp_targetILNS1_3genE3ELNS1_11target_archE908ELNS1_3gpuE7ELNS1_3repE0EEENS1_30default_config_static_selectorELNS0_4arch9wavefront6targetE0EEEvSQ_.num_named_barrier, 0
	.set _ZN7rocprim17ROCPRIM_400000_NS6detail17trampoline_kernelINS0_14default_configENS1_22reduce_config_selectorIiEEZNS1_11reduce_implILb1ES3_PiS7_iN6hipcub16HIPCUB_304000_NS6detail34convert_binary_result_type_wrapperINS9_3SumENS9_22TransformInputIteratorIbN2at6native12_GLOBAL__N_19NonZeroOpIlEEPKllEEiEEEE10hipError_tPvRmT1_T2_T3_mT4_P12ihipStream_tbEUlT_E1_NS1_11comp_targetILNS1_3genE3ELNS1_11target_archE908ELNS1_3gpuE7ELNS1_3repE0EEENS1_30default_config_static_selectorELNS0_4arch9wavefront6targetE0EEEvSQ_.private_seg_size, 0
	.set _ZN7rocprim17ROCPRIM_400000_NS6detail17trampoline_kernelINS0_14default_configENS1_22reduce_config_selectorIiEEZNS1_11reduce_implILb1ES3_PiS7_iN6hipcub16HIPCUB_304000_NS6detail34convert_binary_result_type_wrapperINS9_3SumENS9_22TransformInputIteratorIbN2at6native12_GLOBAL__N_19NonZeroOpIlEEPKllEEiEEEE10hipError_tPvRmT1_T2_T3_mT4_P12ihipStream_tbEUlT_E1_NS1_11comp_targetILNS1_3genE3ELNS1_11target_archE908ELNS1_3gpuE7ELNS1_3repE0EEENS1_30default_config_static_selectorELNS0_4arch9wavefront6targetE0EEEvSQ_.uses_vcc, 0
	.set _ZN7rocprim17ROCPRIM_400000_NS6detail17trampoline_kernelINS0_14default_configENS1_22reduce_config_selectorIiEEZNS1_11reduce_implILb1ES3_PiS7_iN6hipcub16HIPCUB_304000_NS6detail34convert_binary_result_type_wrapperINS9_3SumENS9_22TransformInputIteratorIbN2at6native12_GLOBAL__N_19NonZeroOpIlEEPKllEEiEEEE10hipError_tPvRmT1_T2_T3_mT4_P12ihipStream_tbEUlT_E1_NS1_11comp_targetILNS1_3genE3ELNS1_11target_archE908ELNS1_3gpuE7ELNS1_3repE0EEENS1_30default_config_static_selectorELNS0_4arch9wavefront6targetE0EEEvSQ_.uses_flat_scratch, 0
	.set _ZN7rocprim17ROCPRIM_400000_NS6detail17trampoline_kernelINS0_14default_configENS1_22reduce_config_selectorIiEEZNS1_11reduce_implILb1ES3_PiS7_iN6hipcub16HIPCUB_304000_NS6detail34convert_binary_result_type_wrapperINS9_3SumENS9_22TransformInputIteratorIbN2at6native12_GLOBAL__N_19NonZeroOpIlEEPKllEEiEEEE10hipError_tPvRmT1_T2_T3_mT4_P12ihipStream_tbEUlT_E1_NS1_11comp_targetILNS1_3genE3ELNS1_11target_archE908ELNS1_3gpuE7ELNS1_3repE0EEENS1_30default_config_static_selectorELNS0_4arch9wavefront6targetE0EEEvSQ_.has_dyn_sized_stack, 0
	.set _ZN7rocprim17ROCPRIM_400000_NS6detail17trampoline_kernelINS0_14default_configENS1_22reduce_config_selectorIiEEZNS1_11reduce_implILb1ES3_PiS7_iN6hipcub16HIPCUB_304000_NS6detail34convert_binary_result_type_wrapperINS9_3SumENS9_22TransformInputIteratorIbN2at6native12_GLOBAL__N_19NonZeroOpIlEEPKllEEiEEEE10hipError_tPvRmT1_T2_T3_mT4_P12ihipStream_tbEUlT_E1_NS1_11comp_targetILNS1_3genE3ELNS1_11target_archE908ELNS1_3gpuE7ELNS1_3repE0EEENS1_30default_config_static_selectorELNS0_4arch9wavefront6targetE0EEEvSQ_.has_recursion, 0
	.set _ZN7rocprim17ROCPRIM_400000_NS6detail17trampoline_kernelINS0_14default_configENS1_22reduce_config_selectorIiEEZNS1_11reduce_implILb1ES3_PiS7_iN6hipcub16HIPCUB_304000_NS6detail34convert_binary_result_type_wrapperINS9_3SumENS9_22TransformInputIteratorIbN2at6native12_GLOBAL__N_19NonZeroOpIlEEPKllEEiEEEE10hipError_tPvRmT1_T2_T3_mT4_P12ihipStream_tbEUlT_E1_NS1_11comp_targetILNS1_3genE3ELNS1_11target_archE908ELNS1_3gpuE7ELNS1_3repE0EEENS1_30default_config_static_selectorELNS0_4arch9wavefront6targetE0EEEvSQ_.has_indirect_call, 0
	.section	.AMDGPU.csdata,"",@progbits
; Kernel info:
; codeLenInByte = 0
; TotalNumSgprs: 0
; NumVgprs: 0
; ScratchSize: 0
; MemoryBound: 0
; FloatMode: 240
; IeeeMode: 1
; LDSByteSize: 0 bytes/workgroup (compile time only)
; SGPRBlocks: 0
; VGPRBlocks: 0
; NumSGPRsForWavesPerEU: 1
; NumVGPRsForWavesPerEU: 1
; Occupancy: 16
; WaveLimiterHint : 0
; COMPUTE_PGM_RSRC2:SCRATCH_EN: 0
; COMPUTE_PGM_RSRC2:USER_SGPR: 2
; COMPUTE_PGM_RSRC2:TRAP_HANDLER: 0
; COMPUTE_PGM_RSRC2:TGID_X_EN: 1
; COMPUTE_PGM_RSRC2:TGID_Y_EN: 0
; COMPUTE_PGM_RSRC2:TGID_Z_EN: 0
; COMPUTE_PGM_RSRC2:TIDIG_COMP_CNT: 0
	.section	.text._ZN7rocprim17ROCPRIM_400000_NS6detail17trampoline_kernelINS0_14default_configENS1_22reduce_config_selectorIiEEZNS1_11reduce_implILb1ES3_PiS7_iN6hipcub16HIPCUB_304000_NS6detail34convert_binary_result_type_wrapperINS9_3SumENS9_22TransformInputIteratorIbN2at6native12_GLOBAL__N_19NonZeroOpIlEEPKllEEiEEEE10hipError_tPvRmT1_T2_T3_mT4_P12ihipStream_tbEUlT_E1_NS1_11comp_targetILNS1_3genE2ELNS1_11target_archE906ELNS1_3gpuE6ELNS1_3repE0EEENS1_30default_config_static_selectorELNS0_4arch9wavefront6targetE0EEEvSQ_,"axG",@progbits,_ZN7rocprim17ROCPRIM_400000_NS6detail17trampoline_kernelINS0_14default_configENS1_22reduce_config_selectorIiEEZNS1_11reduce_implILb1ES3_PiS7_iN6hipcub16HIPCUB_304000_NS6detail34convert_binary_result_type_wrapperINS9_3SumENS9_22TransformInputIteratorIbN2at6native12_GLOBAL__N_19NonZeroOpIlEEPKllEEiEEEE10hipError_tPvRmT1_T2_T3_mT4_P12ihipStream_tbEUlT_E1_NS1_11comp_targetILNS1_3genE2ELNS1_11target_archE906ELNS1_3gpuE6ELNS1_3repE0EEENS1_30default_config_static_selectorELNS0_4arch9wavefront6targetE0EEEvSQ_,comdat
	.globl	_ZN7rocprim17ROCPRIM_400000_NS6detail17trampoline_kernelINS0_14default_configENS1_22reduce_config_selectorIiEEZNS1_11reduce_implILb1ES3_PiS7_iN6hipcub16HIPCUB_304000_NS6detail34convert_binary_result_type_wrapperINS9_3SumENS9_22TransformInputIteratorIbN2at6native12_GLOBAL__N_19NonZeroOpIlEEPKllEEiEEEE10hipError_tPvRmT1_T2_T3_mT4_P12ihipStream_tbEUlT_E1_NS1_11comp_targetILNS1_3genE2ELNS1_11target_archE906ELNS1_3gpuE6ELNS1_3repE0EEENS1_30default_config_static_selectorELNS0_4arch9wavefront6targetE0EEEvSQ_ ; -- Begin function _ZN7rocprim17ROCPRIM_400000_NS6detail17trampoline_kernelINS0_14default_configENS1_22reduce_config_selectorIiEEZNS1_11reduce_implILb1ES3_PiS7_iN6hipcub16HIPCUB_304000_NS6detail34convert_binary_result_type_wrapperINS9_3SumENS9_22TransformInputIteratorIbN2at6native12_GLOBAL__N_19NonZeroOpIlEEPKllEEiEEEE10hipError_tPvRmT1_T2_T3_mT4_P12ihipStream_tbEUlT_E1_NS1_11comp_targetILNS1_3genE2ELNS1_11target_archE906ELNS1_3gpuE6ELNS1_3repE0EEENS1_30default_config_static_selectorELNS0_4arch9wavefront6targetE0EEEvSQ_
	.p2align	8
	.type	_ZN7rocprim17ROCPRIM_400000_NS6detail17trampoline_kernelINS0_14default_configENS1_22reduce_config_selectorIiEEZNS1_11reduce_implILb1ES3_PiS7_iN6hipcub16HIPCUB_304000_NS6detail34convert_binary_result_type_wrapperINS9_3SumENS9_22TransformInputIteratorIbN2at6native12_GLOBAL__N_19NonZeroOpIlEEPKllEEiEEEE10hipError_tPvRmT1_T2_T3_mT4_P12ihipStream_tbEUlT_E1_NS1_11comp_targetILNS1_3genE2ELNS1_11target_archE906ELNS1_3gpuE6ELNS1_3repE0EEENS1_30default_config_static_selectorELNS0_4arch9wavefront6targetE0EEEvSQ_,@function
_ZN7rocprim17ROCPRIM_400000_NS6detail17trampoline_kernelINS0_14default_configENS1_22reduce_config_selectorIiEEZNS1_11reduce_implILb1ES3_PiS7_iN6hipcub16HIPCUB_304000_NS6detail34convert_binary_result_type_wrapperINS9_3SumENS9_22TransformInputIteratorIbN2at6native12_GLOBAL__N_19NonZeroOpIlEEPKllEEiEEEE10hipError_tPvRmT1_T2_T3_mT4_P12ihipStream_tbEUlT_E1_NS1_11comp_targetILNS1_3genE2ELNS1_11target_archE906ELNS1_3gpuE6ELNS1_3repE0EEENS1_30default_config_static_selectorELNS0_4arch9wavefront6targetE0EEEvSQ_: ; @_ZN7rocprim17ROCPRIM_400000_NS6detail17trampoline_kernelINS0_14default_configENS1_22reduce_config_selectorIiEEZNS1_11reduce_implILb1ES3_PiS7_iN6hipcub16HIPCUB_304000_NS6detail34convert_binary_result_type_wrapperINS9_3SumENS9_22TransformInputIteratorIbN2at6native12_GLOBAL__N_19NonZeroOpIlEEPKllEEiEEEE10hipError_tPvRmT1_T2_T3_mT4_P12ihipStream_tbEUlT_E1_NS1_11comp_targetILNS1_3genE2ELNS1_11target_archE906ELNS1_3gpuE6ELNS1_3repE0EEENS1_30default_config_static_selectorELNS0_4arch9wavefront6targetE0EEEvSQ_
; %bb.0:
	.section	.rodata,"a",@progbits
	.p2align	6, 0x0
	.amdhsa_kernel _ZN7rocprim17ROCPRIM_400000_NS6detail17trampoline_kernelINS0_14default_configENS1_22reduce_config_selectorIiEEZNS1_11reduce_implILb1ES3_PiS7_iN6hipcub16HIPCUB_304000_NS6detail34convert_binary_result_type_wrapperINS9_3SumENS9_22TransformInputIteratorIbN2at6native12_GLOBAL__N_19NonZeroOpIlEEPKllEEiEEEE10hipError_tPvRmT1_T2_T3_mT4_P12ihipStream_tbEUlT_E1_NS1_11comp_targetILNS1_3genE2ELNS1_11target_archE906ELNS1_3gpuE6ELNS1_3repE0EEENS1_30default_config_static_selectorELNS0_4arch9wavefront6targetE0EEEvSQ_
		.amdhsa_group_segment_fixed_size 0
		.amdhsa_private_segment_fixed_size 0
		.amdhsa_kernarg_size 40
		.amdhsa_user_sgpr_count 2
		.amdhsa_user_sgpr_dispatch_ptr 0
		.amdhsa_user_sgpr_queue_ptr 0
		.amdhsa_user_sgpr_kernarg_segment_ptr 1
		.amdhsa_user_sgpr_dispatch_id 0
		.amdhsa_user_sgpr_private_segment_size 0
		.amdhsa_wavefront_size32 1
		.amdhsa_uses_dynamic_stack 0
		.amdhsa_enable_private_segment 0
		.amdhsa_system_sgpr_workgroup_id_x 1
		.amdhsa_system_sgpr_workgroup_id_y 0
		.amdhsa_system_sgpr_workgroup_id_z 0
		.amdhsa_system_sgpr_workgroup_info 0
		.amdhsa_system_vgpr_workitem_id 0
		.amdhsa_next_free_vgpr 1
		.amdhsa_next_free_sgpr 1
		.amdhsa_reserve_vcc 0
		.amdhsa_float_round_mode_32 0
		.amdhsa_float_round_mode_16_64 0
		.amdhsa_float_denorm_mode_32 3
		.amdhsa_float_denorm_mode_16_64 3
		.amdhsa_fp16_overflow 0
		.amdhsa_workgroup_processor_mode 1
		.amdhsa_memory_ordered 1
		.amdhsa_forward_progress 1
		.amdhsa_inst_pref_size 0
		.amdhsa_round_robin_scheduling 0
		.amdhsa_exception_fp_ieee_invalid_op 0
		.amdhsa_exception_fp_denorm_src 0
		.amdhsa_exception_fp_ieee_div_zero 0
		.amdhsa_exception_fp_ieee_overflow 0
		.amdhsa_exception_fp_ieee_underflow 0
		.amdhsa_exception_fp_ieee_inexact 0
		.amdhsa_exception_int_div_zero 0
	.end_amdhsa_kernel
	.section	.text._ZN7rocprim17ROCPRIM_400000_NS6detail17trampoline_kernelINS0_14default_configENS1_22reduce_config_selectorIiEEZNS1_11reduce_implILb1ES3_PiS7_iN6hipcub16HIPCUB_304000_NS6detail34convert_binary_result_type_wrapperINS9_3SumENS9_22TransformInputIteratorIbN2at6native12_GLOBAL__N_19NonZeroOpIlEEPKllEEiEEEE10hipError_tPvRmT1_T2_T3_mT4_P12ihipStream_tbEUlT_E1_NS1_11comp_targetILNS1_3genE2ELNS1_11target_archE906ELNS1_3gpuE6ELNS1_3repE0EEENS1_30default_config_static_selectorELNS0_4arch9wavefront6targetE0EEEvSQ_,"axG",@progbits,_ZN7rocprim17ROCPRIM_400000_NS6detail17trampoline_kernelINS0_14default_configENS1_22reduce_config_selectorIiEEZNS1_11reduce_implILb1ES3_PiS7_iN6hipcub16HIPCUB_304000_NS6detail34convert_binary_result_type_wrapperINS9_3SumENS9_22TransformInputIteratorIbN2at6native12_GLOBAL__N_19NonZeroOpIlEEPKllEEiEEEE10hipError_tPvRmT1_T2_T3_mT4_P12ihipStream_tbEUlT_E1_NS1_11comp_targetILNS1_3genE2ELNS1_11target_archE906ELNS1_3gpuE6ELNS1_3repE0EEENS1_30default_config_static_selectorELNS0_4arch9wavefront6targetE0EEEvSQ_,comdat
.Lfunc_end231:
	.size	_ZN7rocprim17ROCPRIM_400000_NS6detail17trampoline_kernelINS0_14default_configENS1_22reduce_config_selectorIiEEZNS1_11reduce_implILb1ES3_PiS7_iN6hipcub16HIPCUB_304000_NS6detail34convert_binary_result_type_wrapperINS9_3SumENS9_22TransformInputIteratorIbN2at6native12_GLOBAL__N_19NonZeroOpIlEEPKllEEiEEEE10hipError_tPvRmT1_T2_T3_mT4_P12ihipStream_tbEUlT_E1_NS1_11comp_targetILNS1_3genE2ELNS1_11target_archE906ELNS1_3gpuE6ELNS1_3repE0EEENS1_30default_config_static_selectorELNS0_4arch9wavefront6targetE0EEEvSQ_, .Lfunc_end231-_ZN7rocprim17ROCPRIM_400000_NS6detail17trampoline_kernelINS0_14default_configENS1_22reduce_config_selectorIiEEZNS1_11reduce_implILb1ES3_PiS7_iN6hipcub16HIPCUB_304000_NS6detail34convert_binary_result_type_wrapperINS9_3SumENS9_22TransformInputIteratorIbN2at6native12_GLOBAL__N_19NonZeroOpIlEEPKllEEiEEEE10hipError_tPvRmT1_T2_T3_mT4_P12ihipStream_tbEUlT_E1_NS1_11comp_targetILNS1_3genE2ELNS1_11target_archE906ELNS1_3gpuE6ELNS1_3repE0EEENS1_30default_config_static_selectorELNS0_4arch9wavefront6targetE0EEEvSQ_
                                        ; -- End function
	.set _ZN7rocprim17ROCPRIM_400000_NS6detail17trampoline_kernelINS0_14default_configENS1_22reduce_config_selectorIiEEZNS1_11reduce_implILb1ES3_PiS7_iN6hipcub16HIPCUB_304000_NS6detail34convert_binary_result_type_wrapperINS9_3SumENS9_22TransformInputIteratorIbN2at6native12_GLOBAL__N_19NonZeroOpIlEEPKllEEiEEEE10hipError_tPvRmT1_T2_T3_mT4_P12ihipStream_tbEUlT_E1_NS1_11comp_targetILNS1_3genE2ELNS1_11target_archE906ELNS1_3gpuE6ELNS1_3repE0EEENS1_30default_config_static_selectorELNS0_4arch9wavefront6targetE0EEEvSQ_.num_vgpr, 0
	.set _ZN7rocprim17ROCPRIM_400000_NS6detail17trampoline_kernelINS0_14default_configENS1_22reduce_config_selectorIiEEZNS1_11reduce_implILb1ES3_PiS7_iN6hipcub16HIPCUB_304000_NS6detail34convert_binary_result_type_wrapperINS9_3SumENS9_22TransformInputIteratorIbN2at6native12_GLOBAL__N_19NonZeroOpIlEEPKllEEiEEEE10hipError_tPvRmT1_T2_T3_mT4_P12ihipStream_tbEUlT_E1_NS1_11comp_targetILNS1_3genE2ELNS1_11target_archE906ELNS1_3gpuE6ELNS1_3repE0EEENS1_30default_config_static_selectorELNS0_4arch9wavefront6targetE0EEEvSQ_.num_agpr, 0
	.set _ZN7rocprim17ROCPRIM_400000_NS6detail17trampoline_kernelINS0_14default_configENS1_22reduce_config_selectorIiEEZNS1_11reduce_implILb1ES3_PiS7_iN6hipcub16HIPCUB_304000_NS6detail34convert_binary_result_type_wrapperINS9_3SumENS9_22TransformInputIteratorIbN2at6native12_GLOBAL__N_19NonZeroOpIlEEPKllEEiEEEE10hipError_tPvRmT1_T2_T3_mT4_P12ihipStream_tbEUlT_E1_NS1_11comp_targetILNS1_3genE2ELNS1_11target_archE906ELNS1_3gpuE6ELNS1_3repE0EEENS1_30default_config_static_selectorELNS0_4arch9wavefront6targetE0EEEvSQ_.numbered_sgpr, 0
	.set _ZN7rocprim17ROCPRIM_400000_NS6detail17trampoline_kernelINS0_14default_configENS1_22reduce_config_selectorIiEEZNS1_11reduce_implILb1ES3_PiS7_iN6hipcub16HIPCUB_304000_NS6detail34convert_binary_result_type_wrapperINS9_3SumENS9_22TransformInputIteratorIbN2at6native12_GLOBAL__N_19NonZeroOpIlEEPKllEEiEEEE10hipError_tPvRmT1_T2_T3_mT4_P12ihipStream_tbEUlT_E1_NS1_11comp_targetILNS1_3genE2ELNS1_11target_archE906ELNS1_3gpuE6ELNS1_3repE0EEENS1_30default_config_static_selectorELNS0_4arch9wavefront6targetE0EEEvSQ_.num_named_barrier, 0
	.set _ZN7rocprim17ROCPRIM_400000_NS6detail17trampoline_kernelINS0_14default_configENS1_22reduce_config_selectorIiEEZNS1_11reduce_implILb1ES3_PiS7_iN6hipcub16HIPCUB_304000_NS6detail34convert_binary_result_type_wrapperINS9_3SumENS9_22TransformInputIteratorIbN2at6native12_GLOBAL__N_19NonZeroOpIlEEPKllEEiEEEE10hipError_tPvRmT1_T2_T3_mT4_P12ihipStream_tbEUlT_E1_NS1_11comp_targetILNS1_3genE2ELNS1_11target_archE906ELNS1_3gpuE6ELNS1_3repE0EEENS1_30default_config_static_selectorELNS0_4arch9wavefront6targetE0EEEvSQ_.private_seg_size, 0
	.set _ZN7rocprim17ROCPRIM_400000_NS6detail17trampoline_kernelINS0_14default_configENS1_22reduce_config_selectorIiEEZNS1_11reduce_implILb1ES3_PiS7_iN6hipcub16HIPCUB_304000_NS6detail34convert_binary_result_type_wrapperINS9_3SumENS9_22TransformInputIteratorIbN2at6native12_GLOBAL__N_19NonZeroOpIlEEPKllEEiEEEE10hipError_tPvRmT1_T2_T3_mT4_P12ihipStream_tbEUlT_E1_NS1_11comp_targetILNS1_3genE2ELNS1_11target_archE906ELNS1_3gpuE6ELNS1_3repE0EEENS1_30default_config_static_selectorELNS0_4arch9wavefront6targetE0EEEvSQ_.uses_vcc, 0
	.set _ZN7rocprim17ROCPRIM_400000_NS6detail17trampoline_kernelINS0_14default_configENS1_22reduce_config_selectorIiEEZNS1_11reduce_implILb1ES3_PiS7_iN6hipcub16HIPCUB_304000_NS6detail34convert_binary_result_type_wrapperINS9_3SumENS9_22TransformInputIteratorIbN2at6native12_GLOBAL__N_19NonZeroOpIlEEPKllEEiEEEE10hipError_tPvRmT1_T2_T3_mT4_P12ihipStream_tbEUlT_E1_NS1_11comp_targetILNS1_3genE2ELNS1_11target_archE906ELNS1_3gpuE6ELNS1_3repE0EEENS1_30default_config_static_selectorELNS0_4arch9wavefront6targetE0EEEvSQ_.uses_flat_scratch, 0
	.set _ZN7rocprim17ROCPRIM_400000_NS6detail17trampoline_kernelINS0_14default_configENS1_22reduce_config_selectorIiEEZNS1_11reduce_implILb1ES3_PiS7_iN6hipcub16HIPCUB_304000_NS6detail34convert_binary_result_type_wrapperINS9_3SumENS9_22TransformInputIteratorIbN2at6native12_GLOBAL__N_19NonZeroOpIlEEPKllEEiEEEE10hipError_tPvRmT1_T2_T3_mT4_P12ihipStream_tbEUlT_E1_NS1_11comp_targetILNS1_3genE2ELNS1_11target_archE906ELNS1_3gpuE6ELNS1_3repE0EEENS1_30default_config_static_selectorELNS0_4arch9wavefront6targetE0EEEvSQ_.has_dyn_sized_stack, 0
	.set _ZN7rocprim17ROCPRIM_400000_NS6detail17trampoline_kernelINS0_14default_configENS1_22reduce_config_selectorIiEEZNS1_11reduce_implILb1ES3_PiS7_iN6hipcub16HIPCUB_304000_NS6detail34convert_binary_result_type_wrapperINS9_3SumENS9_22TransformInputIteratorIbN2at6native12_GLOBAL__N_19NonZeroOpIlEEPKllEEiEEEE10hipError_tPvRmT1_T2_T3_mT4_P12ihipStream_tbEUlT_E1_NS1_11comp_targetILNS1_3genE2ELNS1_11target_archE906ELNS1_3gpuE6ELNS1_3repE0EEENS1_30default_config_static_selectorELNS0_4arch9wavefront6targetE0EEEvSQ_.has_recursion, 0
	.set _ZN7rocprim17ROCPRIM_400000_NS6detail17trampoline_kernelINS0_14default_configENS1_22reduce_config_selectorIiEEZNS1_11reduce_implILb1ES3_PiS7_iN6hipcub16HIPCUB_304000_NS6detail34convert_binary_result_type_wrapperINS9_3SumENS9_22TransformInputIteratorIbN2at6native12_GLOBAL__N_19NonZeroOpIlEEPKllEEiEEEE10hipError_tPvRmT1_T2_T3_mT4_P12ihipStream_tbEUlT_E1_NS1_11comp_targetILNS1_3genE2ELNS1_11target_archE906ELNS1_3gpuE6ELNS1_3repE0EEENS1_30default_config_static_selectorELNS0_4arch9wavefront6targetE0EEEvSQ_.has_indirect_call, 0
	.section	.AMDGPU.csdata,"",@progbits
; Kernel info:
; codeLenInByte = 0
; TotalNumSgprs: 0
; NumVgprs: 0
; ScratchSize: 0
; MemoryBound: 0
; FloatMode: 240
; IeeeMode: 1
; LDSByteSize: 0 bytes/workgroup (compile time only)
; SGPRBlocks: 0
; VGPRBlocks: 0
; NumSGPRsForWavesPerEU: 1
; NumVGPRsForWavesPerEU: 1
; Occupancy: 16
; WaveLimiterHint : 0
; COMPUTE_PGM_RSRC2:SCRATCH_EN: 0
; COMPUTE_PGM_RSRC2:USER_SGPR: 2
; COMPUTE_PGM_RSRC2:TRAP_HANDLER: 0
; COMPUTE_PGM_RSRC2:TGID_X_EN: 1
; COMPUTE_PGM_RSRC2:TGID_Y_EN: 0
; COMPUTE_PGM_RSRC2:TGID_Z_EN: 0
; COMPUTE_PGM_RSRC2:TIDIG_COMP_CNT: 0
	.section	.text._ZN7rocprim17ROCPRIM_400000_NS6detail17trampoline_kernelINS0_14default_configENS1_22reduce_config_selectorIiEEZNS1_11reduce_implILb1ES3_PiS7_iN6hipcub16HIPCUB_304000_NS6detail34convert_binary_result_type_wrapperINS9_3SumENS9_22TransformInputIteratorIbN2at6native12_GLOBAL__N_19NonZeroOpIlEEPKllEEiEEEE10hipError_tPvRmT1_T2_T3_mT4_P12ihipStream_tbEUlT_E1_NS1_11comp_targetILNS1_3genE10ELNS1_11target_archE1201ELNS1_3gpuE5ELNS1_3repE0EEENS1_30default_config_static_selectorELNS0_4arch9wavefront6targetE0EEEvSQ_,"axG",@progbits,_ZN7rocprim17ROCPRIM_400000_NS6detail17trampoline_kernelINS0_14default_configENS1_22reduce_config_selectorIiEEZNS1_11reduce_implILb1ES3_PiS7_iN6hipcub16HIPCUB_304000_NS6detail34convert_binary_result_type_wrapperINS9_3SumENS9_22TransformInputIteratorIbN2at6native12_GLOBAL__N_19NonZeroOpIlEEPKllEEiEEEE10hipError_tPvRmT1_T2_T3_mT4_P12ihipStream_tbEUlT_E1_NS1_11comp_targetILNS1_3genE10ELNS1_11target_archE1201ELNS1_3gpuE5ELNS1_3repE0EEENS1_30default_config_static_selectorELNS0_4arch9wavefront6targetE0EEEvSQ_,comdat
	.globl	_ZN7rocprim17ROCPRIM_400000_NS6detail17trampoline_kernelINS0_14default_configENS1_22reduce_config_selectorIiEEZNS1_11reduce_implILb1ES3_PiS7_iN6hipcub16HIPCUB_304000_NS6detail34convert_binary_result_type_wrapperINS9_3SumENS9_22TransformInputIteratorIbN2at6native12_GLOBAL__N_19NonZeroOpIlEEPKllEEiEEEE10hipError_tPvRmT1_T2_T3_mT4_P12ihipStream_tbEUlT_E1_NS1_11comp_targetILNS1_3genE10ELNS1_11target_archE1201ELNS1_3gpuE5ELNS1_3repE0EEENS1_30default_config_static_selectorELNS0_4arch9wavefront6targetE0EEEvSQ_ ; -- Begin function _ZN7rocprim17ROCPRIM_400000_NS6detail17trampoline_kernelINS0_14default_configENS1_22reduce_config_selectorIiEEZNS1_11reduce_implILb1ES3_PiS7_iN6hipcub16HIPCUB_304000_NS6detail34convert_binary_result_type_wrapperINS9_3SumENS9_22TransformInputIteratorIbN2at6native12_GLOBAL__N_19NonZeroOpIlEEPKllEEiEEEE10hipError_tPvRmT1_T2_T3_mT4_P12ihipStream_tbEUlT_E1_NS1_11comp_targetILNS1_3genE10ELNS1_11target_archE1201ELNS1_3gpuE5ELNS1_3repE0EEENS1_30default_config_static_selectorELNS0_4arch9wavefront6targetE0EEEvSQ_
	.p2align	8
	.type	_ZN7rocprim17ROCPRIM_400000_NS6detail17trampoline_kernelINS0_14default_configENS1_22reduce_config_selectorIiEEZNS1_11reduce_implILb1ES3_PiS7_iN6hipcub16HIPCUB_304000_NS6detail34convert_binary_result_type_wrapperINS9_3SumENS9_22TransformInputIteratorIbN2at6native12_GLOBAL__N_19NonZeroOpIlEEPKllEEiEEEE10hipError_tPvRmT1_T2_T3_mT4_P12ihipStream_tbEUlT_E1_NS1_11comp_targetILNS1_3genE10ELNS1_11target_archE1201ELNS1_3gpuE5ELNS1_3repE0EEENS1_30default_config_static_selectorELNS0_4arch9wavefront6targetE0EEEvSQ_,@function
_ZN7rocprim17ROCPRIM_400000_NS6detail17trampoline_kernelINS0_14default_configENS1_22reduce_config_selectorIiEEZNS1_11reduce_implILb1ES3_PiS7_iN6hipcub16HIPCUB_304000_NS6detail34convert_binary_result_type_wrapperINS9_3SumENS9_22TransformInputIteratorIbN2at6native12_GLOBAL__N_19NonZeroOpIlEEPKllEEiEEEE10hipError_tPvRmT1_T2_T3_mT4_P12ihipStream_tbEUlT_E1_NS1_11comp_targetILNS1_3genE10ELNS1_11target_archE1201ELNS1_3gpuE5ELNS1_3repE0EEENS1_30default_config_static_selectorELNS0_4arch9wavefront6targetE0EEEvSQ_: ; @_ZN7rocprim17ROCPRIM_400000_NS6detail17trampoline_kernelINS0_14default_configENS1_22reduce_config_selectorIiEEZNS1_11reduce_implILb1ES3_PiS7_iN6hipcub16HIPCUB_304000_NS6detail34convert_binary_result_type_wrapperINS9_3SumENS9_22TransformInputIteratorIbN2at6native12_GLOBAL__N_19NonZeroOpIlEEPKllEEiEEEE10hipError_tPvRmT1_T2_T3_mT4_P12ihipStream_tbEUlT_E1_NS1_11comp_targetILNS1_3genE10ELNS1_11target_archE1201ELNS1_3gpuE5ELNS1_3repE0EEENS1_30default_config_static_selectorELNS0_4arch9wavefront6targetE0EEEvSQ_
; %bb.0:
	s_clause 0x1
	s_load_b32 s33, s[0:1], 0x4
	s_load_b128 s[36:39], s[0:1], 0x8
	s_mov_b32 s34, ttmp9
	s_wait_kmcnt 0x0
	s_cmp_lt_i32 s33, 8
	s_cbranch_scc1 .LBB232_11
; %bb.1:
	s_cmp_gt_i32 s33, 15
	s_cbranch_scc0 .LBB232_12
; %bb.2:
	s_cmp_gt_i32 s33, 31
	s_cbranch_scc0 .LBB232_13
; %bb.3:
	s_cmp_eq_u32 s33, 32
	s_mov_b32 s42, 0
	s_cbranch_scc0 .LBB232_14
; %bb.4:
	s_mov_b32 s35, 0
	s_lshl_b32 s2, s34, 13
	s_mov_b32 s3, s35
	s_lshr_b64 s[4:5], s[38:39], 13
	s_lshl_b64 s[6:7], s[2:3], 2
	s_cmp_lg_u64 s[4:5], s[34:35]
	s_add_nc_u64 s[40:41], s[36:37], s[6:7]
	s_cbranch_scc0 .LBB232_23
; %bb.5:
	v_lshlrev_b32_e32 v1, 2, v0
	s_mov_b32 s3, exec_lo
	s_clause 0x1f
	global_load_b32 v2, v1, s[40:41]
	global_load_b32 v3, v1, s[40:41] offset:1024
	global_load_b32 v4, v1, s[40:41] offset:2048
	global_load_b32 v5, v1, s[40:41] offset:3072
	global_load_b32 v6, v1, s[40:41] offset:4096
	global_load_b32 v7, v1, s[40:41] offset:5120
	global_load_b32 v8, v1, s[40:41] offset:6144
	global_load_b32 v9, v1, s[40:41] offset:7168
	global_load_b32 v10, v1, s[40:41] offset:8192
	global_load_b32 v11, v1, s[40:41] offset:9216
	global_load_b32 v12, v1, s[40:41] offset:10240
	global_load_b32 v13, v1, s[40:41] offset:11264
	global_load_b32 v14, v1, s[40:41] offset:12288
	global_load_b32 v15, v1, s[40:41] offset:13312
	global_load_b32 v16, v1, s[40:41] offset:14336
	global_load_b32 v17, v1, s[40:41] offset:15360
	global_load_b32 v18, v1, s[40:41] offset:16384
	global_load_b32 v19, v1, s[40:41] offset:17408
	global_load_b32 v20, v1, s[40:41] offset:18432
	global_load_b32 v21, v1, s[40:41] offset:19456
	global_load_b32 v22, v1, s[40:41] offset:20480
	global_load_b32 v23, v1, s[40:41] offset:21504
	global_load_b32 v24, v1, s[40:41] offset:22528
	global_load_b32 v25, v1, s[40:41] offset:23552
	global_load_b32 v26, v1, s[40:41] offset:24576
	global_load_b32 v27, v1, s[40:41] offset:25600
	global_load_b32 v28, v1, s[40:41] offset:26624
	global_load_b32 v29, v1, s[40:41] offset:27648
	global_load_b32 v30, v1, s[40:41] offset:28672
	global_load_b32 v31, v1, s[40:41] offset:29696
	global_load_b32 v32, v1, s[40:41] offset:30720
	global_load_b32 v1, v1, s[40:41] offset:31744
	s_wait_loadcnt 0x1e
	v_add_nc_u32_e32 v2, v3, v2
	s_wait_loadcnt 0x1c
	s_delay_alu instid0(VALU_DEP_1) | instskip(SKIP_1) | instid1(VALU_DEP_1)
	v_add3_u32 v2, v2, v4, v5
	s_wait_loadcnt 0x1a
	v_add3_u32 v2, v2, v6, v7
	s_wait_loadcnt 0x18
	s_delay_alu instid0(VALU_DEP_1) | instskip(SKIP_1) | instid1(VALU_DEP_1)
	v_add3_u32 v2, v2, v8, v9
	s_wait_loadcnt 0x16
	v_add3_u32 v2, v2, v10, v11
	;; [unrolled: 5-line block ×7, first 2 shown]
	s_wait_loadcnt 0x0
	s_delay_alu instid0(VALU_DEP_1) | instskip(NEXT) | instid1(VALU_DEP_1)
	v_add3_u32 v1, v2, v32, v1
	v_mov_b32_dpp v2, v1 quad_perm:[1,0,3,2] row_mask:0xf bank_mask:0xf
	s_delay_alu instid0(VALU_DEP_1) | instskip(NEXT) | instid1(VALU_DEP_1)
	v_add_nc_u32_e32 v1, v2, v1
	v_mov_b32_dpp v2, v1 quad_perm:[2,3,0,1] row_mask:0xf bank_mask:0xf
	s_delay_alu instid0(VALU_DEP_1) | instskip(NEXT) | instid1(VALU_DEP_1)
	v_add_nc_u32_e32 v1, v1, v2
	v_mov_b32_dpp v2, v1 row_ror:4 row_mask:0xf bank_mask:0xf
	s_delay_alu instid0(VALU_DEP_1) | instskip(NEXT) | instid1(VALU_DEP_1)
	v_add_nc_u32_e32 v1, v1, v2
	v_mov_b32_dpp v2, v1 row_ror:8 row_mask:0xf bank_mask:0xf
	s_delay_alu instid0(VALU_DEP_1)
	v_add_nc_u32_e32 v1, v1, v2
	ds_swizzle_b32 v2, v1 offset:swizzle(BROADCAST,32,15)
	s_wait_dscnt 0x0
	v_dual_mov_b32 v2, 0 :: v_dual_add_nc_u32 v1, v1, v2
	ds_bpermute_b32 v1, v2, v1 offset:124
	v_mbcnt_lo_u32_b32 v2, -1, 0
	s_delay_alu instid0(VALU_DEP_1)
	v_cmpx_eq_u32_e32 0, v2
	s_cbranch_execz .LBB232_7
; %bb.6:
	v_lshrrev_b32_e32 v3, 3, v0
	s_delay_alu instid0(VALU_DEP_1)
	v_and_b32_e32 v3, 28, v3
	s_wait_dscnt 0x0
	ds_store_b32 v3, v1 offset:96
.LBB232_7:
	s_or_b32 exec_lo, exec_lo, s3
	s_delay_alu instid0(SALU_CYCLE_1)
	s_mov_b32 s3, exec_lo
	s_wait_dscnt 0x0
	s_barrier_signal -1
	s_barrier_wait -1
	global_inv scope:SCOPE_SE
	v_cmpx_gt_u32_e32 32, v0
	s_cbranch_execz .LBB232_9
; %bb.8:
	v_lshl_or_b32 v1, v2, 2, 0x60
	v_and_b32_e32 v3, 7, v2
	ds_load_b32 v1, v1
	v_cmp_ne_u32_e32 vcc_lo, 7, v3
	v_add_co_ci_u32_e64 v4, null, 0, v2, vcc_lo
	v_cmp_gt_u32_e32 vcc_lo, 6, v3
	s_delay_alu instid0(VALU_DEP_2) | instskip(SKIP_2) | instid1(VALU_DEP_1)
	v_lshlrev_b32_e32 v4, 2, v4
	s_wait_alu 0xfffd
	v_cndmask_b32_e64 v3, 0, 2, vcc_lo
	v_add_lshl_u32 v3, v3, v2, 2
	v_lshlrev_b32_e32 v2, 2, v2
	s_wait_dscnt 0x0
	ds_bpermute_b32 v4, v4, v1
	v_or_b32_e32 v2, 16, v2
	s_wait_dscnt 0x0
	v_add_nc_u32_e32 v1, v4, v1
	ds_bpermute_b32 v3, v3, v1
	s_wait_dscnt 0x0
	v_add_nc_u32_e32 v1, v3, v1
	ds_bpermute_b32 v2, v2, v1
	s_wait_dscnt 0x0
	v_add_nc_u32_e32 v1, v2, v1
.LBB232_9:
	s_or_b32 exec_lo, exec_lo, s3
.LBB232_10:
	v_cmp_eq_u32_e64 s2, 0, v0
	s_and_b32 vcc_lo, exec_lo, s42
	s_wait_alu 0xfffe
	s_cbranch_vccnz .LBB232_15
	s_branch .LBB232_93
.LBB232_11:
	s_mov_b32 s2, 0
                                        ; implicit-def: $vgpr1
	s_cbranch_execnz .LBB232_166
	s_branch .LBB232_224
.LBB232_12:
	s_mov_b32 s2, 0
                                        ; implicit-def: $vgpr1
	s_cbranch_execnz .LBB232_134
	s_branch .LBB232_142
.LBB232_13:
	s_mov_b32 s42, -1
.LBB232_14:
	s_mov_b32 s2, 0
                                        ; implicit-def: $vgpr1
	s_and_b32 vcc_lo, exec_lo, s42
	s_cbranch_vccz .LBB232_93
.LBB232_15:
	s_cmp_eq_u32 s33, 16
	s_cbranch_scc0 .LBB232_22
; %bb.16:
	s_mov_b32 s35, 0
	s_lshl_b32 s2, s34, 12
	s_mov_b32 s3, s35
	s_lshr_b64 s[4:5], s[38:39], 12
	s_wait_alu 0xfffe
	s_lshl_b64 s[6:7], s[2:3], 2
	s_cmp_lg_u64 s[4:5], s[34:35]
	s_wait_alu 0xfffe
	s_add_nc_u64 s[16:17], s[36:37], s[6:7]
	s_cbranch_scc0 .LBB232_94
; %bb.17:
	v_lshlrev_b32_e32 v1, 2, v0
	s_mov_b32 s3, exec_lo
	s_clause 0xf
	global_load_b32 v2, v1, s[16:17]
	global_load_b32 v3, v1, s[16:17] offset:1024
	global_load_b32 v4, v1, s[16:17] offset:2048
	;; [unrolled: 1-line block ×15, first 2 shown]
	s_wait_loadcnt 0xe
	v_add_nc_u32_e32 v2, v3, v2
	s_wait_loadcnt 0xc
	s_delay_alu instid0(VALU_DEP_1) | instskip(SKIP_1) | instid1(VALU_DEP_1)
	v_add3_u32 v2, v2, v4, v5
	s_wait_loadcnt 0xa
	v_add3_u32 v2, v2, v6, v7
	s_wait_loadcnt 0x8
	s_delay_alu instid0(VALU_DEP_1) | instskip(SKIP_1) | instid1(VALU_DEP_1)
	v_add3_u32 v2, v2, v8, v9
	s_wait_loadcnt 0x6
	v_add3_u32 v2, v2, v10, v11
	s_wait_loadcnt 0x4
	s_delay_alu instid0(VALU_DEP_1) | instskip(SKIP_1) | instid1(VALU_DEP_1)
	v_add3_u32 v2, v2, v12, v13
	s_wait_loadcnt 0x2
	v_add3_u32 v2, v2, v14, v15
	s_wait_loadcnt 0x0
	s_delay_alu instid0(VALU_DEP_1) | instskip(NEXT) | instid1(VALU_DEP_1)
	v_add3_u32 v1, v2, v16, v1
	v_mov_b32_dpp v2, v1 quad_perm:[1,0,3,2] row_mask:0xf bank_mask:0xf
	s_delay_alu instid0(VALU_DEP_1) | instskip(NEXT) | instid1(VALU_DEP_1)
	v_add_nc_u32_e32 v1, v2, v1
	v_mov_b32_dpp v2, v1 quad_perm:[2,3,0,1] row_mask:0xf bank_mask:0xf
	s_delay_alu instid0(VALU_DEP_1) | instskip(NEXT) | instid1(VALU_DEP_1)
	v_add_nc_u32_e32 v1, v1, v2
	v_mov_b32_dpp v2, v1 row_ror:4 row_mask:0xf bank_mask:0xf
	s_delay_alu instid0(VALU_DEP_1) | instskip(NEXT) | instid1(VALU_DEP_1)
	v_add_nc_u32_e32 v1, v1, v2
	v_mov_b32_dpp v2, v1 row_ror:8 row_mask:0xf bank_mask:0xf
	s_delay_alu instid0(VALU_DEP_1)
	v_add_nc_u32_e32 v1, v1, v2
	ds_swizzle_b32 v2, v1 offset:swizzle(BROADCAST,32,15)
	s_wait_dscnt 0x0
	v_dual_mov_b32 v2, 0 :: v_dual_add_nc_u32 v1, v1, v2
	ds_bpermute_b32 v1, v2, v1 offset:124
	v_mbcnt_lo_u32_b32 v2, -1, 0
	s_delay_alu instid0(VALU_DEP_1)
	v_cmpx_eq_u32_e32 0, v2
	s_cbranch_execz .LBB232_19
; %bb.18:
	v_lshrrev_b32_e32 v3, 3, v0
	s_delay_alu instid0(VALU_DEP_1)
	v_and_b32_e32 v3, 28, v3
	s_wait_dscnt 0x0
	ds_store_b32 v3, v1
.LBB232_19:
	s_wait_alu 0xfffe
	s_or_b32 exec_lo, exec_lo, s3
	s_delay_alu instid0(SALU_CYCLE_1)
	s_mov_b32 s3, exec_lo
	s_wait_dscnt 0x0
	s_barrier_signal -1
	s_barrier_wait -1
	global_inv scope:SCOPE_SE
	v_cmpx_gt_u32_e32 32, v0
	s_cbranch_execz .LBB232_21
; %bb.20:
	v_and_b32_e32 v1, 7, v2
	s_delay_alu instid0(VALU_DEP_1)
	v_lshlrev_b32_e32 v3, 2, v1
	v_cmp_ne_u32_e32 vcc_lo, 7, v1
	ds_load_b32 v3, v3
	s_wait_alu 0xfffd
	v_add_co_ci_u32_e64 v4, null, 0, v2, vcc_lo
	v_cmp_gt_u32_e32 vcc_lo, 6, v1
	s_delay_alu instid0(VALU_DEP_2) | instskip(SKIP_2) | instid1(VALU_DEP_1)
	v_lshlrev_b32_e32 v4, 2, v4
	s_wait_alu 0xfffd
	v_cndmask_b32_e64 v1, 0, 2, vcc_lo
	v_add_lshl_u32 v1, v1, v2, 2
	v_lshlrev_b32_e32 v2, 2, v2
	s_delay_alu instid0(VALU_DEP_1)
	v_or_b32_e32 v2, 16, v2
	s_wait_dscnt 0x0
	ds_bpermute_b32 v4, v4, v3
	s_wait_dscnt 0x0
	v_add_nc_u32_e32 v3, v4, v3
	ds_bpermute_b32 v1, v1, v3
	s_wait_dscnt 0x0
	v_add_nc_u32_e32 v1, v1, v3
	ds_bpermute_b32 v2, v2, v1
	s_wait_dscnt 0x0
	v_add_nc_u32_e32 v1, v2, v1
.LBB232_21:
	s_wait_alu 0xfffe
	s_or_b32 exec_lo, exec_lo, s3
	s_mov_b32 s3, 0
	s_branch .LBB232_95
.LBB232_22:
                                        ; implicit-def: $vgpr1
	s_branch .LBB232_142
.LBB232_23:
                                        ; implicit-def: $vgpr1
	s_cbranch_execz .LBB232_10
; %bb.24:
	v_mov_b32_e32 v1, 0
	s_sub_co_i32 s43, s38, s2
	s_delay_alu instid0(SALU_CYCLE_1) | instskip(NEXT) | instid1(VALU_DEP_2)
	v_cmp_gt_u32_e32 vcc_lo, s43, v0
	v_dual_mov_b32 v2, v1 :: v_dual_mov_b32 v3, v1
	v_dual_mov_b32 v4, v1 :: v_dual_mov_b32 v5, v1
	;; [unrolled: 1-line block ×15, first 2 shown]
	v_mov_b32_e32 v32, v1
	s_and_saveexec_b32 s2, vcc_lo
	s_cbranch_execz .LBB232_26
; %bb.25:
	v_dual_mov_b32 v3, v1 :: v_dual_lshlrev_b32 v2, 2, v0
	v_dual_mov_b32 v32, v1 :: v_dual_mov_b32 v33, v1
	v_dual_mov_b32 v4, v1 :: v_dual_mov_b32 v5, v1
	global_load_b32 v2, v2, s[40:41]
	v_dual_mov_b32 v6, v1 :: v_dual_mov_b32 v7, v1
	v_dual_mov_b32 v8, v1 :: v_dual_mov_b32 v9, v1
	;; [unrolled: 1-line block ×13, first 2 shown]
	s_wait_loadcnt 0x0
	v_mov_b32_e32 v1, v2
	v_mov_b32_e32 v2, v3
	v_mov_b32_e32 v3, v4
	v_mov_b32_e32 v4, v5
	v_mov_b32_e32 v5, v6
	v_mov_b32_e32 v6, v7
	v_mov_b32_e32 v7, v8
	v_mov_b32_e32 v8, v9
	v_mov_b32_e32 v9, v10
	v_mov_b32_e32 v10, v11
	v_mov_b32_e32 v11, v12
	v_mov_b32_e32 v12, v13
	v_mov_b32_e32 v13, v14
	v_mov_b32_e32 v14, v15
	v_mov_b32_e32 v15, v16
	v_mov_b32_e32 v16, v17
	v_mov_b32_e32 v17, v18
	v_mov_b32_e32 v18, v19
	v_mov_b32_e32 v19, v20
	v_mov_b32_e32 v20, v21
	v_mov_b32_e32 v21, v22
	v_mov_b32_e32 v22, v23
	v_mov_b32_e32 v23, v24
	v_mov_b32_e32 v24, v25
	v_mov_b32_e32 v25, v26
	v_mov_b32_e32 v26, v27
	v_mov_b32_e32 v27, v28
	v_mov_b32_e32 v28, v29
	v_mov_b32_e32 v29, v30
	v_mov_b32_e32 v30, v31
	v_mov_b32_e32 v31, v32
	v_mov_b32_e32 v32, v33
.LBB232_26:
	s_or_b32 exec_lo, exec_lo, s2
	v_or_b32_e32 v33, 0x100, v0
	s_delay_alu instid0(VALU_DEP_1)
	v_cmp_gt_u32_e32 vcc_lo, s43, v33
	s_and_saveexec_b32 s2, vcc_lo
	s_cbranch_execz .LBB232_28
; %bb.27:
	v_lshlrev_b32_e32 v2, 2, v0
	global_load_b32 v2, v2, s[40:41] offset:1024
.LBB232_28:
	s_or_b32 exec_lo, exec_lo, s2
	v_or_b32_e32 v33, 0x200, v0
	s_delay_alu instid0(VALU_DEP_1)
	v_cmp_gt_u32_e64 s2, s43, v33
	s_and_saveexec_b32 s3, s2
	s_cbranch_execz .LBB232_30
; %bb.29:
	v_lshlrev_b32_e32 v3, 2, v0
	global_load_b32 v3, v3, s[40:41] offset:2048
.LBB232_30:
	s_or_b32 exec_lo, exec_lo, s3
	v_or_b32_e32 v33, 0x300, v0
	s_delay_alu instid0(VALU_DEP_1)
	v_cmp_gt_u32_e64 s3, s43, v33
	s_and_saveexec_b32 s4, s3
	;; [unrolled: 10-line block ×30, first 2 shown]
	s_cbranch_execz .LBB232_88
; %bb.87:
	v_lshlrev_b32_e32 v32, 2, v0
	global_load_b32 v32, v32, s[40:41] offset:31744
.LBB232_88:
	s_or_b32 exec_lo, exec_lo, s44
	s_wait_loadcnt 0x0
	v_cndmask_b32_e32 v2, 0, v2, vcc_lo
	v_cndmask_b32_e64 v3, 0, v3, s2
	v_cndmask_b32_e64 v4, 0, v4, s3
	s_min_u32 s2, s43, 0x100
	s_mov_b32 s3, exec_lo
	v_add_nc_u32_e32 v1, v2, v1
	v_cndmask_b32_e64 v2, 0, v5, s4
	v_cndmask_b32_e64 v5, 0, v6, s5
	;; [unrolled: 1-line block ×3, first 2 shown]
	s_delay_alu instid0(VALU_DEP_4) | instskip(SKIP_3) | instid1(VALU_DEP_4)
	v_add3_u32 v1, v1, v3, v4
	v_cndmask_b32_e64 v3, 0, v7, s6
	v_cndmask_b32_e64 v4, 0, v8, s7
	;; [unrolled: 1-line block ×3, first 2 shown]
	v_add3_u32 v1, v1, v2, v5
	v_cndmask_b32_e64 v2, 0, v9, s8
	v_cndmask_b32_e64 v5, 0, v10, s9
	s_delay_alu instid0(VALU_DEP_3) | instskip(SKIP_2) | instid1(VALU_DEP_3)
	v_add3_u32 v1, v1, v3, v4
	v_cndmask_b32_e64 v3, 0, v11, s10
	v_cndmask_b32_e64 v4, 0, v12, s11
	v_add3_u32 v1, v1, v2, v5
	v_cndmask_b32_e64 v2, 0, v13, s12
	v_cndmask_b32_e64 v5, 0, v14, s13
	s_delay_alu instid0(VALU_DEP_3) | instskip(SKIP_2) | instid1(VALU_DEP_3)
	v_add3_u32 v1, v1, v3, v4
	v_cndmask_b32_e64 v3, 0, v15, s14
	v_cndmask_b32_e64 v4, 0, v16, s15
	v_add3_u32 v1, v1, v2, v5
	v_cndmask_b32_e64 v2, 0, v17, s16
	v_cndmask_b32_e64 v5, 0, v18, s17
	s_delay_alu instid0(VALU_DEP_3) | instskip(SKIP_2) | instid1(VALU_DEP_3)
	v_add3_u32 v1, v1, v3, v4
	v_cndmask_b32_e64 v3, 0, v19, s18
	v_cndmask_b32_e64 v4, 0, v20, s19
	v_add3_u32 v1, v1, v2, v5
	v_cndmask_b32_e64 v2, 0, v21, s20
	v_cndmask_b32_e64 v5, 0, v22, s21
	s_delay_alu instid0(VALU_DEP_3) | instskip(SKIP_2) | instid1(VALU_DEP_3)
	v_add3_u32 v1, v1, v3, v4
	v_cndmask_b32_e64 v3, 0, v23, s22
	v_cndmask_b32_e64 v4, 0, v24, s23
	v_add3_u32 v1, v1, v2, v5
	v_cndmask_b32_e64 v2, 0, v25, s24
	v_cndmask_b32_e64 v5, 0, v26, s25
	s_delay_alu instid0(VALU_DEP_3) | instskip(SKIP_2) | instid1(VALU_DEP_3)
	v_add3_u32 v1, v1, v3, v4
	v_cndmask_b32_e64 v3, 0, v27, s26
	v_cndmask_b32_e64 v4, 0, v28, s27
	v_add3_u32 v1, v1, v2, v5
	v_mbcnt_lo_u32_b32 v2, -1, 0
	v_cndmask_b32_e64 v5, 0, v29, s28
	s_delay_alu instid0(VALU_DEP_3) | instskip(NEXT) | instid1(VALU_DEP_3)
	v_add3_u32 v1, v1, v3, v4
	v_cmp_ne_u32_e32 vcc_lo, 31, v2
	v_cndmask_b32_e64 v3, 0, v32, s31
	s_delay_alu instid0(VALU_DEP_3)
	v_add3_u32 v1, v1, v5, v6
	s_wait_alu 0xfffd
	v_add_co_ci_u32_e64 v4, null, 0, v2, vcc_lo
	v_add_nc_u32_e32 v5, 1, v2
	v_cmp_gt_u32_e32 vcc_lo, 30, v2
	v_add3_u32 v1, v1, v7, v3
	s_delay_alu instid0(VALU_DEP_4)
	v_lshlrev_b32_e32 v4, 2, v4
	s_wait_alu 0xfffd
	v_cndmask_b32_e64 v6, 0, 2, vcc_lo
	ds_bpermute_b32 v3, v4, v1
	v_and_b32_e32 v4, 0xe0, v0
	s_wait_alu 0xfffe
	s_delay_alu instid0(VALU_DEP_1) | instskip(NEXT) | instid1(VALU_DEP_1)
	v_sub_nc_u32_e64 v4, s2, v4 clamp
	v_cmp_lt_u32_e32 vcc_lo, v5, v4
	v_add_lshl_u32 v5, v6, v2, 2
	s_wait_dscnt 0x0
	s_wait_alu 0xfffd
	v_cndmask_b32_e32 v3, 0, v3, vcc_lo
	v_cmp_gt_u32_e32 vcc_lo, 28, v2
	s_delay_alu instid0(VALU_DEP_2) | instskip(SKIP_4) | instid1(VALU_DEP_1)
	v_add_nc_u32_e32 v1, v1, v3
	s_wait_alu 0xfffd
	v_cndmask_b32_e64 v6, 0, 4, vcc_lo
	ds_bpermute_b32 v3, v5, v1
	v_add_nc_u32_e32 v5, 2, v2
	v_cmp_lt_u32_e32 vcc_lo, v5, v4
	v_add_lshl_u32 v5, v6, v2, 2
	s_wait_dscnt 0x0
	s_wait_alu 0xfffd
	v_cndmask_b32_e32 v3, 0, v3, vcc_lo
	v_cmp_gt_u32_e32 vcc_lo, 24, v2
	s_delay_alu instid0(VALU_DEP_2) | instskip(SKIP_4) | instid1(VALU_DEP_1)
	v_add_nc_u32_e32 v1, v1, v3
	s_wait_alu 0xfffd
	v_cndmask_b32_e64 v6, 0, 8, vcc_lo
	ds_bpermute_b32 v3, v5, v1
	v_add_nc_u32_e32 v5, 4, v2
	v_cmp_lt_u32_e32 vcc_lo, v5, v4
	v_add_lshl_u32 v5, v6, v2, 2
	s_wait_dscnt 0x0
	s_wait_alu 0xfffd
	v_cndmask_b32_e32 v3, 0, v3, vcc_lo
	s_delay_alu instid0(VALU_DEP_1) | instskip(SKIP_3) | instid1(VALU_DEP_1)
	v_add_nc_u32_e32 v1, v1, v3
	v_lshlrev_b32_e32 v3, 2, v2
	ds_bpermute_b32 v5, v5, v1
	v_add_nc_u32_e32 v6, 8, v2
	v_cmp_lt_u32_e32 vcc_lo, v6, v4
	v_or_b32_e32 v6, 64, v3
	s_wait_dscnt 0x0
	s_wait_alu 0xfffd
	v_cndmask_b32_e32 v5, 0, v5, vcc_lo
	s_delay_alu instid0(VALU_DEP_1) | instskip(SKIP_2) | instid1(VALU_DEP_1)
	v_add_nc_u32_e32 v1, v1, v5
	ds_bpermute_b32 v5, v6, v1
	v_add_nc_u32_e32 v6, 16, v2
	v_cmp_lt_u32_e32 vcc_lo, v6, v4
	s_wait_dscnt 0x0
	s_wait_alu 0xfffd
	v_cndmask_b32_e32 v4, 0, v5, vcc_lo
	s_delay_alu instid0(VALU_DEP_1)
	v_add_nc_u32_e32 v1, v1, v4
	v_cmpx_eq_u32_e32 0, v2
; %bb.89:
	v_lshrrev_b32_e32 v4, 3, v0
	s_delay_alu instid0(VALU_DEP_1)
	v_and_b32_e32 v4, 28, v4
	ds_store_b32 v4, v1 offset:192
; %bb.90:
	s_or_b32 exec_lo, exec_lo, s3
	s_delay_alu instid0(SALU_CYCLE_1)
	s_mov_b32 s3, exec_lo
	s_wait_dscnt 0x0
	s_barrier_signal -1
	s_barrier_wait -1
	global_inv scope:SCOPE_SE
	v_cmpx_gt_u32_e32 8, v0
	s_cbranch_execz .LBB232_92
; %bb.91:
	ds_load_b32 v1, v3 offset:192
	v_and_b32_e32 v4, 7, v2
	s_add_co_i32 s2, s2, 31
	s_wait_alu 0xfffe
	s_lshr_b32 s2, s2, 5
	s_delay_alu instid0(VALU_DEP_1) | instskip(SKIP_4) | instid1(VALU_DEP_2)
	v_cmp_ne_u32_e32 vcc_lo, 7, v4
	v_add_nc_u32_e32 v6, 1, v4
	s_wait_alu 0xfffd
	v_add_co_ci_u32_e64 v5, null, 0, v2, vcc_lo
	v_cmp_gt_u32_e32 vcc_lo, 6, v4
	v_lshlrev_b32_e32 v5, 2, v5
	s_wait_alu 0xfffd
	v_cndmask_b32_e64 v7, 0, 2, vcc_lo
	s_wait_alu 0xfffe
	v_cmp_gt_u32_e32 vcc_lo, s2, v6
	s_wait_dscnt 0x0
	ds_bpermute_b32 v5, v5, v1
	v_add_lshl_u32 v2, v7, v2, 2
	s_wait_dscnt 0x0
	s_wait_alu 0xfffd
	v_cndmask_b32_e32 v5, 0, v5, vcc_lo
	s_delay_alu instid0(VALU_DEP_1)
	v_add_nc_u32_e32 v1, v5, v1
	v_add_nc_u32_e32 v5, 2, v4
	ds_bpermute_b32 v2, v2, v1
	v_cmp_gt_u32_e32 vcc_lo, s2, v5
	s_wait_dscnt 0x0
	s_wait_alu 0xfffd
	v_cndmask_b32_e32 v2, 0, v2, vcc_lo
	s_delay_alu instid0(VALU_DEP_1)
	v_add_nc_u32_e32 v1, v1, v2
	v_or_b32_e32 v2, 16, v3
	v_add_nc_u32_e32 v3, 4, v4
	ds_bpermute_b32 v2, v2, v1
	v_cmp_gt_u32_e32 vcc_lo, s2, v3
	s_wait_dscnt 0x0
	s_wait_alu 0xfffd
	v_cndmask_b32_e32 v2, 0, v2, vcc_lo
	s_delay_alu instid0(VALU_DEP_1)
	v_add_nc_u32_e32 v1, v1, v2
.LBB232_92:
	s_wait_alu 0xfffe
	s_or_b32 exec_lo, exec_lo, s3
	v_cmp_eq_u32_e64 s2, 0, v0
	s_and_b32 vcc_lo, exec_lo, s42
	s_wait_alu 0xfffe
	s_cbranch_vccnz .LBB232_15
.LBB232_93:
	s_branch .LBB232_142
.LBB232_94:
	s_mov_b32 s3, -1
                                        ; implicit-def: $vgpr1
.LBB232_95:
	s_wait_alu 0xfffe
	s_and_b32 vcc_lo, exec_lo, s3
	s_wait_alu 0xfffe
	s_cbranch_vccz .LBB232_133
; %bb.96:
	v_mov_b32_e32 v1, 0
	s_sub_co_i32 s18, s38, s2
	s_mov_b32 s2, exec_lo
	s_delay_alu instid0(VALU_DEP_1)
	v_dual_mov_b32 v2, v1 :: v_dual_mov_b32 v3, v1
	v_dual_mov_b32 v4, v1 :: v_dual_mov_b32 v5, v1
	;; [unrolled: 1-line block ×7, first 2 shown]
	v_mov_b32_e32 v16, v1
	s_wait_alu 0xfffe
	v_cmpx_gt_u32_e64 s18, v0
	s_cbranch_execz .LBB232_98
; %bb.97:
	v_dual_mov_b32 v3, v1 :: v_dual_lshlrev_b32 v2, 2, v0
	v_dual_mov_b32 v16, v1 :: v_dual_mov_b32 v17, v1
	v_dual_mov_b32 v4, v1 :: v_dual_mov_b32 v5, v1
	global_load_b32 v2, v2, s[16:17]
	v_dual_mov_b32 v6, v1 :: v_dual_mov_b32 v7, v1
	v_dual_mov_b32 v8, v1 :: v_dual_mov_b32 v9, v1
	;; [unrolled: 1-line block ×5, first 2 shown]
	s_wait_loadcnt 0x0
	v_mov_b32_e32 v1, v2
	v_mov_b32_e32 v2, v3
	;; [unrolled: 1-line block ×16, first 2 shown]
.LBB232_98:
	s_or_b32 exec_lo, exec_lo, s2
	v_or_b32_e32 v17, 0x100, v0
	s_delay_alu instid0(VALU_DEP_1)
	v_cmp_gt_u32_e32 vcc_lo, s18, v17
	s_and_saveexec_b32 s2, vcc_lo
	s_cbranch_execz .LBB232_100
; %bb.99:
	v_lshlrev_b32_e32 v2, 2, v0
	global_load_b32 v2, v2, s[16:17] offset:1024
.LBB232_100:
	s_wait_alu 0xfffe
	s_or_b32 exec_lo, exec_lo, s2
	v_or_b32_e32 v17, 0x200, v0
	s_delay_alu instid0(VALU_DEP_1)
	v_cmp_gt_u32_e64 s2, s18, v17
	s_and_saveexec_b32 s3, s2
	s_cbranch_execz .LBB232_102
; %bb.101:
	v_lshlrev_b32_e32 v3, 2, v0
	global_load_b32 v3, v3, s[16:17] offset:2048
.LBB232_102:
	s_wait_alu 0xfffe
	s_or_b32 exec_lo, exec_lo, s3
	v_or_b32_e32 v17, 0x300, v0
	s_delay_alu instid0(VALU_DEP_1)
	v_cmp_gt_u32_e64 s3, s18, v17
	s_and_saveexec_b32 s4, s3
	s_cbranch_execz .LBB232_104
; %bb.103:
	v_lshlrev_b32_e32 v4, 2, v0
	global_load_b32 v4, v4, s[16:17] offset:3072
.LBB232_104:
	s_wait_alu 0xfffe
	s_or_b32 exec_lo, exec_lo, s4
	v_or_b32_e32 v17, 0x400, v0
	s_delay_alu instid0(VALU_DEP_1)
	v_cmp_gt_u32_e64 s4, s18, v17
	s_and_saveexec_b32 s5, s4
	s_cbranch_execz .LBB232_106
; %bb.105:
	v_lshlrev_b32_e32 v5, 2, v0
	global_load_b32 v5, v5, s[16:17] offset:4096
.LBB232_106:
	s_wait_alu 0xfffe
	s_or_b32 exec_lo, exec_lo, s5
	v_or_b32_e32 v17, 0x500, v0
	s_delay_alu instid0(VALU_DEP_1)
	v_cmp_gt_u32_e64 s5, s18, v17
	s_and_saveexec_b32 s6, s5
	s_cbranch_execz .LBB232_108
; %bb.107:
	v_lshlrev_b32_e32 v6, 2, v0
	global_load_b32 v6, v6, s[16:17] offset:5120
.LBB232_108:
	s_wait_alu 0xfffe
	s_or_b32 exec_lo, exec_lo, s6
	v_or_b32_e32 v17, 0x600, v0
	s_delay_alu instid0(VALU_DEP_1)
	v_cmp_gt_u32_e64 s6, s18, v17
	s_and_saveexec_b32 s7, s6
	s_cbranch_execz .LBB232_110
; %bb.109:
	v_lshlrev_b32_e32 v7, 2, v0
	global_load_b32 v7, v7, s[16:17] offset:6144
.LBB232_110:
	s_wait_alu 0xfffe
	s_or_b32 exec_lo, exec_lo, s7
	v_or_b32_e32 v17, 0x700, v0
	s_delay_alu instid0(VALU_DEP_1)
	v_cmp_gt_u32_e64 s7, s18, v17
	s_and_saveexec_b32 s8, s7
	s_cbranch_execz .LBB232_112
; %bb.111:
	v_lshlrev_b32_e32 v8, 2, v0
	global_load_b32 v8, v8, s[16:17] offset:7168
.LBB232_112:
	s_wait_alu 0xfffe
	s_or_b32 exec_lo, exec_lo, s8
	v_or_b32_e32 v17, 0x800, v0
	s_delay_alu instid0(VALU_DEP_1)
	v_cmp_gt_u32_e64 s8, s18, v17
	s_and_saveexec_b32 s9, s8
	s_cbranch_execz .LBB232_114
; %bb.113:
	v_lshlrev_b32_e32 v9, 2, v0
	global_load_b32 v9, v9, s[16:17] offset:8192
.LBB232_114:
	s_wait_alu 0xfffe
	s_or_b32 exec_lo, exec_lo, s9
	v_or_b32_e32 v17, 0x900, v0
	s_delay_alu instid0(VALU_DEP_1)
	v_cmp_gt_u32_e64 s9, s18, v17
	s_and_saveexec_b32 s10, s9
	s_cbranch_execz .LBB232_116
; %bb.115:
	v_lshlrev_b32_e32 v10, 2, v0
	global_load_b32 v10, v10, s[16:17] offset:9216
.LBB232_116:
	s_wait_alu 0xfffe
	s_or_b32 exec_lo, exec_lo, s10
	v_or_b32_e32 v17, 0xa00, v0
	s_delay_alu instid0(VALU_DEP_1)
	v_cmp_gt_u32_e64 s10, s18, v17
	s_and_saveexec_b32 s11, s10
	s_cbranch_execz .LBB232_118
; %bb.117:
	v_lshlrev_b32_e32 v11, 2, v0
	global_load_b32 v11, v11, s[16:17] offset:10240
.LBB232_118:
	s_wait_alu 0xfffe
	s_or_b32 exec_lo, exec_lo, s11
	v_or_b32_e32 v17, 0xb00, v0
	s_delay_alu instid0(VALU_DEP_1)
	v_cmp_gt_u32_e64 s11, s18, v17
	s_and_saveexec_b32 s12, s11
	s_cbranch_execz .LBB232_120
; %bb.119:
	v_lshlrev_b32_e32 v12, 2, v0
	global_load_b32 v12, v12, s[16:17] offset:11264
.LBB232_120:
	s_wait_alu 0xfffe
	s_or_b32 exec_lo, exec_lo, s12
	v_or_b32_e32 v17, 0xc00, v0
	s_delay_alu instid0(VALU_DEP_1)
	v_cmp_gt_u32_e64 s12, s18, v17
	s_and_saveexec_b32 s13, s12
	s_cbranch_execz .LBB232_122
; %bb.121:
	v_lshlrev_b32_e32 v13, 2, v0
	global_load_b32 v13, v13, s[16:17] offset:12288
.LBB232_122:
	s_wait_alu 0xfffe
	s_or_b32 exec_lo, exec_lo, s13
	v_or_b32_e32 v17, 0xd00, v0
	s_delay_alu instid0(VALU_DEP_1)
	v_cmp_gt_u32_e64 s13, s18, v17
	s_and_saveexec_b32 s14, s13
	s_cbranch_execz .LBB232_124
; %bb.123:
	v_lshlrev_b32_e32 v14, 2, v0
	global_load_b32 v14, v14, s[16:17] offset:13312
.LBB232_124:
	s_wait_alu 0xfffe
	s_or_b32 exec_lo, exec_lo, s14
	v_or_b32_e32 v17, 0xe00, v0
	s_delay_alu instid0(VALU_DEP_1)
	v_cmp_gt_u32_e64 s14, s18, v17
	s_and_saveexec_b32 s15, s14
	s_cbranch_execz .LBB232_126
; %bb.125:
	v_lshlrev_b32_e32 v15, 2, v0
	global_load_b32 v15, v15, s[16:17] offset:14336
.LBB232_126:
	s_wait_alu 0xfffe
	s_or_b32 exec_lo, exec_lo, s15
	v_or_b32_e32 v17, 0xf00, v0
	s_delay_alu instid0(VALU_DEP_1)
	v_cmp_gt_u32_e64 s15, s18, v17
	s_and_saveexec_b32 s19, s15
	s_cbranch_execz .LBB232_128
; %bb.127:
	v_lshlrev_b32_e32 v16, 2, v0
	global_load_b32 v16, v16, s[16:17] offset:15360
.LBB232_128:
	s_wait_alu 0xfffe
	s_or_b32 exec_lo, exec_lo, s19
	s_wait_loadcnt 0x0
	v_cndmask_b32_e32 v2, 0, v2, vcc_lo
	v_cndmask_b32_e64 v3, 0, v3, s2
	v_cndmask_b32_e64 v4, 0, v4, s3
	s_min_u32 s2, s18, 0x100
	s_mov_b32 s3, exec_lo
	v_add_nc_u32_e32 v1, v2, v1
	v_cndmask_b32_e64 v2, 0, v5, s4
	v_cndmask_b32_e64 v5, 0, v6, s5
	;; [unrolled: 1-line block ×3, first 2 shown]
	s_delay_alu instid0(VALU_DEP_4) | instskip(SKIP_3) | instid1(VALU_DEP_4)
	v_add3_u32 v1, v1, v3, v4
	v_cndmask_b32_e64 v3, 0, v7, s6
	v_cndmask_b32_e64 v4, 0, v8, s7
	v_cndmask_b32_e64 v7, 0, v15, s14
	v_add3_u32 v1, v1, v2, v5
	v_cndmask_b32_e64 v2, 0, v9, s8
	v_cndmask_b32_e64 v5, 0, v10, s9
	s_delay_alu instid0(VALU_DEP_3) | instskip(SKIP_2) | instid1(VALU_DEP_3)
	v_add3_u32 v1, v1, v3, v4
	v_cndmask_b32_e64 v3, 0, v11, s10
	v_cndmask_b32_e64 v4, 0, v12, s11
	v_add3_u32 v1, v1, v2, v5
	v_mbcnt_lo_u32_b32 v2, -1, 0
	v_cndmask_b32_e64 v5, 0, v13, s12
	s_delay_alu instid0(VALU_DEP_3) | instskip(NEXT) | instid1(VALU_DEP_3)
	v_add3_u32 v1, v1, v3, v4
	v_cmp_ne_u32_e32 vcc_lo, 31, v2
	v_cndmask_b32_e64 v3, 0, v16, s15
	s_delay_alu instid0(VALU_DEP_3)
	v_add3_u32 v1, v1, v5, v6
	s_wait_alu 0xfffd
	v_add_co_ci_u32_e64 v4, null, 0, v2, vcc_lo
	v_add_nc_u32_e32 v5, 1, v2
	v_cmp_gt_u32_e32 vcc_lo, 30, v2
	v_add3_u32 v1, v1, v7, v3
	s_delay_alu instid0(VALU_DEP_4)
	v_lshlrev_b32_e32 v4, 2, v4
	s_wait_alu 0xfffd
	v_cndmask_b32_e64 v6, 0, 2, vcc_lo
	ds_bpermute_b32 v3, v4, v1
	v_and_b32_e32 v4, 0xe0, v0
	s_wait_alu 0xfffe
	s_delay_alu instid0(VALU_DEP_1) | instskip(NEXT) | instid1(VALU_DEP_1)
	v_sub_nc_u32_e64 v4, s2, v4 clamp
	v_cmp_lt_u32_e32 vcc_lo, v5, v4
	v_add_lshl_u32 v5, v6, v2, 2
	s_wait_dscnt 0x0
	s_wait_alu 0xfffd
	v_cndmask_b32_e32 v3, 0, v3, vcc_lo
	v_cmp_gt_u32_e32 vcc_lo, 28, v2
	s_delay_alu instid0(VALU_DEP_2) | instskip(SKIP_4) | instid1(VALU_DEP_1)
	v_add_nc_u32_e32 v1, v1, v3
	s_wait_alu 0xfffd
	v_cndmask_b32_e64 v6, 0, 4, vcc_lo
	ds_bpermute_b32 v3, v5, v1
	v_add_nc_u32_e32 v5, 2, v2
	v_cmp_lt_u32_e32 vcc_lo, v5, v4
	v_add_lshl_u32 v5, v6, v2, 2
	s_wait_dscnt 0x0
	s_wait_alu 0xfffd
	v_cndmask_b32_e32 v3, 0, v3, vcc_lo
	v_cmp_gt_u32_e32 vcc_lo, 24, v2
	s_delay_alu instid0(VALU_DEP_2) | instskip(SKIP_4) | instid1(VALU_DEP_1)
	v_add_nc_u32_e32 v1, v1, v3
	s_wait_alu 0xfffd
	v_cndmask_b32_e64 v6, 0, 8, vcc_lo
	ds_bpermute_b32 v3, v5, v1
	v_add_nc_u32_e32 v5, 4, v2
	v_cmp_lt_u32_e32 vcc_lo, v5, v4
	v_add_lshl_u32 v5, v6, v2, 2
	s_wait_dscnt 0x0
	s_wait_alu 0xfffd
	v_cndmask_b32_e32 v3, 0, v3, vcc_lo
	s_delay_alu instid0(VALU_DEP_1) | instskip(SKIP_3) | instid1(VALU_DEP_1)
	v_add_nc_u32_e32 v1, v1, v3
	v_lshlrev_b32_e32 v3, 2, v2
	ds_bpermute_b32 v5, v5, v1
	v_add_nc_u32_e32 v6, 8, v2
	v_cmp_lt_u32_e32 vcc_lo, v6, v4
	v_or_b32_e32 v6, 64, v3
	s_wait_dscnt 0x0
	s_wait_alu 0xfffd
	v_cndmask_b32_e32 v5, 0, v5, vcc_lo
	s_delay_alu instid0(VALU_DEP_1) | instskip(SKIP_2) | instid1(VALU_DEP_1)
	v_add_nc_u32_e32 v1, v1, v5
	ds_bpermute_b32 v5, v6, v1
	v_add_nc_u32_e32 v6, 16, v2
	v_cmp_lt_u32_e32 vcc_lo, v6, v4
	s_wait_dscnt 0x0
	s_wait_alu 0xfffd
	v_cndmask_b32_e32 v4, 0, v5, vcc_lo
	s_delay_alu instid0(VALU_DEP_1)
	v_add_nc_u32_e32 v1, v1, v4
	v_cmpx_eq_u32_e32 0, v2
; %bb.129:
	v_lshrrev_b32_e32 v4, 3, v0
	s_delay_alu instid0(VALU_DEP_1)
	v_and_b32_e32 v4, 28, v4
	ds_store_b32 v4, v1 offset:192
; %bb.130:
	s_or_b32 exec_lo, exec_lo, s3
	s_delay_alu instid0(SALU_CYCLE_1)
	s_mov_b32 s3, exec_lo
	s_wait_dscnt 0x0
	s_barrier_signal -1
	s_barrier_wait -1
	global_inv scope:SCOPE_SE
	v_cmpx_gt_u32_e32 8, v0
	s_cbranch_execz .LBB232_132
; %bb.131:
	ds_load_b32 v1, v3 offset:192
	v_and_b32_e32 v4, 7, v2
	s_add_co_i32 s2, s2, 31
	s_wait_alu 0xfffe
	s_lshr_b32 s2, s2, 5
	s_delay_alu instid0(VALU_DEP_1) | instskip(SKIP_4) | instid1(VALU_DEP_2)
	v_cmp_ne_u32_e32 vcc_lo, 7, v4
	v_add_nc_u32_e32 v6, 1, v4
	s_wait_alu 0xfffd
	v_add_co_ci_u32_e64 v5, null, 0, v2, vcc_lo
	v_cmp_gt_u32_e32 vcc_lo, 6, v4
	v_lshlrev_b32_e32 v5, 2, v5
	s_wait_alu 0xfffd
	v_cndmask_b32_e64 v7, 0, 2, vcc_lo
	s_wait_alu 0xfffe
	v_cmp_gt_u32_e32 vcc_lo, s2, v6
	s_wait_dscnt 0x0
	ds_bpermute_b32 v5, v5, v1
	v_add_lshl_u32 v2, v7, v2, 2
	s_wait_dscnt 0x0
	s_wait_alu 0xfffd
	v_cndmask_b32_e32 v5, 0, v5, vcc_lo
	s_delay_alu instid0(VALU_DEP_1)
	v_add_nc_u32_e32 v1, v5, v1
	v_add_nc_u32_e32 v5, 2, v4
	ds_bpermute_b32 v2, v2, v1
	v_cmp_gt_u32_e32 vcc_lo, s2, v5
	s_wait_dscnt 0x0
	s_wait_alu 0xfffd
	v_cndmask_b32_e32 v2, 0, v2, vcc_lo
	s_delay_alu instid0(VALU_DEP_1)
	v_add_nc_u32_e32 v1, v1, v2
	v_or_b32_e32 v2, 16, v3
	v_add_nc_u32_e32 v3, 4, v4
	ds_bpermute_b32 v2, v2, v1
	v_cmp_gt_u32_e32 vcc_lo, s2, v3
	s_wait_dscnt 0x0
	s_wait_alu 0xfffd
	v_cndmask_b32_e32 v2, 0, v2, vcc_lo
	s_delay_alu instid0(VALU_DEP_1)
	v_add_nc_u32_e32 v1, v1, v2
.LBB232_132:
	s_wait_alu 0xfffe
	s_or_b32 exec_lo, exec_lo, s3
.LBB232_133:
	v_cmp_eq_u32_e64 s2, 0, v0
	s_branch .LBB232_142
.LBB232_134:
	s_cmp_eq_u32 s33, 8
	s_cbranch_scc0 .LBB232_141
; %bb.135:
	s_mov_b32 s35, 0
	s_lshl_b32 s2, s34, 11
	s_mov_b32 s3, s35
	s_lshr_b64 s[4:5], s[38:39], 11
	s_lshl_b64 s[6:7], s[2:3], 2
	s_cmp_lg_u64 s[4:5], s[34:35]
	s_add_nc_u64 s[8:9], s[36:37], s[6:7]
	s_cbranch_scc0 .LBB232_143
; %bb.136:
	v_lshlrev_b32_e32 v1, 2, v0
	s_mov_b32 s3, exec_lo
	s_clause 0x7
	global_load_b32 v2, v1, s[8:9]
	global_load_b32 v3, v1, s[8:9] offset:1024
	global_load_b32 v4, v1, s[8:9] offset:2048
	;; [unrolled: 1-line block ×7, first 2 shown]
	s_wait_loadcnt 0x6
	v_add_nc_u32_e32 v2, v3, v2
	s_wait_loadcnt 0x4
	s_delay_alu instid0(VALU_DEP_1) | instskip(SKIP_1) | instid1(VALU_DEP_1)
	v_add3_u32 v2, v2, v4, v5
	s_wait_loadcnt 0x2
	v_add3_u32 v2, v2, v6, v7
	s_wait_loadcnt 0x0
	s_delay_alu instid0(VALU_DEP_1) | instskip(NEXT) | instid1(VALU_DEP_1)
	v_add3_u32 v1, v2, v8, v1
	v_mov_b32_dpp v2, v1 quad_perm:[1,0,3,2] row_mask:0xf bank_mask:0xf
	s_delay_alu instid0(VALU_DEP_1) | instskip(NEXT) | instid1(VALU_DEP_1)
	v_add_nc_u32_e32 v1, v2, v1
	v_mov_b32_dpp v2, v1 quad_perm:[2,3,0,1] row_mask:0xf bank_mask:0xf
	s_delay_alu instid0(VALU_DEP_1) | instskip(NEXT) | instid1(VALU_DEP_1)
	v_add_nc_u32_e32 v1, v1, v2
	v_mov_b32_dpp v2, v1 row_ror:4 row_mask:0xf bank_mask:0xf
	s_delay_alu instid0(VALU_DEP_1) | instskip(NEXT) | instid1(VALU_DEP_1)
	v_add_nc_u32_e32 v1, v1, v2
	v_mov_b32_dpp v2, v1 row_ror:8 row_mask:0xf bank_mask:0xf
	s_delay_alu instid0(VALU_DEP_1)
	v_add_nc_u32_e32 v1, v1, v2
	ds_swizzle_b32 v2, v1 offset:swizzle(BROADCAST,32,15)
	s_wait_dscnt 0x0
	v_dual_mov_b32 v2, 0 :: v_dual_add_nc_u32 v1, v1, v2
	ds_bpermute_b32 v1, v2, v1 offset:124
	v_mbcnt_lo_u32_b32 v2, -1, 0
	s_delay_alu instid0(VALU_DEP_1)
	v_cmpx_eq_u32_e32 0, v2
	s_cbranch_execz .LBB232_138
; %bb.137:
	v_lshrrev_b32_e32 v3, 3, v0
	s_delay_alu instid0(VALU_DEP_1)
	v_and_b32_e32 v3, 28, v3
	s_wait_dscnt 0x0
	ds_store_b32 v3, v1 offset:160
.LBB232_138:
	s_or_b32 exec_lo, exec_lo, s3
	s_delay_alu instid0(SALU_CYCLE_1)
	s_mov_b32 s3, exec_lo
	s_wait_dscnt 0x0
	s_barrier_signal -1
	s_barrier_wait -1
	global_inv scope:SCOPE_SE
	v_cmpx_gt_u32_e32 32, v0
	s_cbranch_execz .LBB232_140
; %bb.139:
	v_and_b32_e32 v1, 7, v2
	s_delay_alu instid0(VALU_DEP_1) | instskip(SKIP_4) | instid1(VALU_DEP_2)
	v_lshlrev_b32_e32 v3, 2, v1
	v_cmp_ne_u32_e32 vcc_lo, 7, v1
	ds_load_b32 v3, v3 offset:160
	v_add_co_ci_u32_e64 v4, null, 0, v2, vcc_lo
	v_cmp_gt_u32_e32 vcc_lo, 6, v1
	v_lshlrev_b32_e32 v4, 2, v4
	s_wait_alu 0xfffd
	v_cndmask_b32_e64 v1, 0, 2, vcc_lo
	s_delay_alu instid0(VALU_DEP_1) | instskip(SKIP_1) | instid1(VALU_DEP_1)
	v_add_lshl_u32 v1, v1, v2, 2
	v_lshlrev_b32_e32 v2, 2, v2
	v_or_b32_e32 v2, 16, v2
	s_wait_dscnt 0x0
	ds_bpermute_b32 v4, v4, v3
	s_wait_dscnt 0x0
	v_add_nc_u32_e32 v3, v4, v3
	ds_bpermute_b32 v1, v1, v3
	s_wait_dscnt 0x0
	v_add_nc_u32_e32 v1, v1, v3
	;; [unrolled: 3-line block ×3, first 2 shown]
.LBB232_140:
	s_or_b32 exec_lo, exec_lo, s3
	s_branch .LBB232_165
.LBB232_141:
                                        ; implicit-def: $vgpr1
.LBB232_142:
	s_branch .LBB232_224
.LBB232_143:
                                        ; implicit-def: $vgpr1
	s_cbranch_execz .LBB232_165
; %bb.144:
	v_mov_b32_e32 v1, 0
	s_sub_co_i32 s10, s38, s2
	s_mov_b32 s2, exec_lo
	s_delay_alu instid0(VALU_DEP_1)
	v_dual_mov_b32 v2, v1 :: v_dual_mov_b32 v3, v1
	v_dual_mov_b32 v4, v1 :: v_dual_mov_b32 v5, v1
	;; [unrolled: 1-line block ×3, first 2 shown]
	v_mov_b32_e32 v8, v1
	v_cmpx_gt_u32_e64 s10, v0
	s_cbranch_execz .LBB232_146
; %bb.145:
	v_dual_mov_b32 v3, v1 :: v_dual_lshlrev_b32 v2, 2, v0
	v_dual_mov_b32 v8, v1 :: v_dual_mov_b32 v9, v1
	v_dual_mov_b32 v4, v1 :: v_dual_mov_b32 v5, v1
	global_load_b32 v2, v2, s[8:9]
	v_dual_mov_b32 v6, v1 :: v_dual_mov_b32 v7, v1
	s_wait_loadcnt 0x0
	v_mov_b32_e32 v1, v2
	v_mov_b32_e32 v2, v3
	;; [unrolled: 1-line block ×8, first 2 shown]
.LBB232_146:
	s_or_b32 exec_lo, exec_lo, s2
	v_or_b32_e32 v9, 0x100, v0
	s_delay_alu instid0(VALU_DEP_1)
	v_cmp_gt_u32_e32 vcc_lo, s10, v9
	s_and_saveexec_b32 s2, vcc_lo
	s_cbranch_execz .LBB232_148
; %bb.147:
	v_lshlrev_b32_e32 v2, 2, v0
	global_load_b32 v2, v2, s[8:9] offset:1024
.LBB232_148:
	s_or_b32 exec_lo, exec_lo, s2
	v_or_b32_e32 v9, 0x200, v0
	s_delay_alu instid0(VALU_DEP_1)
	v_cmp_gt_u32_e64 s2, s10, v9
	s_and_saveexec_b32 s3, s2
	s_cbranch_execz .LBB232_150
; %bb.149:
	v_lshlrev_b32_e32 v3, 2, v0
	global_load_b32 v3, v3, s[8:9] offset:2048
.LBB232_150:
	s_or_b32 exec_lo, exec_lo, s3
	v_or_b32_e32 v9, 0x300, v0
	s_delay_alu instid0(VALU_DEP_1)
	v_cmp_gt_u32_e64 s3, s10, v9
	s_and_saveexec_b32 s4, s3
	;; [unrolled: 10-line block ×6, first 2 shown]
	s_cbranch_execz .LBB232_160
; %bb.159:
	v_lshlrev_b32_e32 v8, 2, v0
	global_load_b32 v8, v8, s[8:9] offset:7168
.LBB232_160:
	s_wait_alu 0xfffe
	s_or_b32 exec_lo, exec_lo, s11
	s_wait_loadcnt 0x0
	v_cndmask_b32_e32 v2, 0, v2, vcc_lo
	v_cndmask_b32_e64 v3, 0, v3, s2
	v_cndmask_b32_e64 v4, 0, v4, s3
	;; [unrolled: 1-line block ×4, first 2 shown]
	v_add_nc_u32_e32 v1, v2, v1
	v_mbcnt_lo_u32_b32 v2, -1, 0
	v_cndmask_b32_e64 v7, 0, v7, s6
	s_min_u32 s2, s10, 0x100
	s_mov_b32 s3, exec_lo
	v_add3_u32 v1, v1, v3, v4
	v_cmp_ne_u32_e32 vcc_lo, 31, v2
	v_cndmask_b32_e64 v3, 0, v8, s7
	s_delay_alu instid0(VALU_DEP_3)
	v_add3_u32 v1, v1, v5, v6
	s_wait_alu 0xfffd
	v_add_co_ci_u32_e64 v4, null, 0, v2, vcc_lo
	v_add_nc_u32_e32 v5, 1, v2
	v_cmp_gt_u32_e32 vcc_lo, 30, v2
	v_add3_u32 v1, v1, v7, v3
	s_delay_alu instid0(VALU_DEP_4)
	v_lshlrev_b32_e32 v4, 2, v4
	s_wait_alu 0xfffd
	v_cndmask_b32_e64 v6, 0, 2, vcc_lo
	ds_bpermute_b32 v3, v4, v1
	v_and_b32_e32 v4, 0xe0, v0
	s_wait_alu 0xfffe
	s_delay_alu instid0(VALU_DEP_1) | instskip(NEXT) | instid1(VALU_DEP_1)
	v_sub_nc_u32_e64 v4, s2, v4 clamp
	v_cmp_lt_u32_e32 vcc_lo, v5, v4
	v_add_lshl_u32 v5, v6, v2, 2
	s_wait_dscnt 0x0
	s_wait_alu 0xfffd
	v_cndmask_b32_e32 v3, 0, v3, vcc_lo
	v_cmp_gt_u32_e32 vcc_lo, 28, v2
	s_delay_alu instid0(VALU_DEP_2) | instskip(SKIP_4) | instid1(VALU_DEP_1)
	v_add_nc_u32_e32 v1, v1, v3
	s_wait_alu 0xfffd
	v_cndmask_b32_e64 v6, 0, 4, vcc_lo
	ds_bpermute_b32 v3, v5, v1
	v_add_nc_u32_e32 v5, 2, v2
	v_cmp_lt_u32_e32 vcc_lo, v5, v4
	v_add_lshl_u32 v5, v6, v2, 2
	s_wait_dscnt 0x0
	s_wait_alu 0xfffd
	v_cndmask_b32_e32 v3, 0, v3, vcc_lo
	v_cmp_gt_u32_e32 vcc_lo, 24, v2
	s_delay_alu instid0(VALU_DEP_2) | instskip(SKIP_4) | instid1(VALU_DEP_1)
	v_add_nc_u32_e32 v1, v1, v3
	s_wait_alu 0xfffd
	v_cndmask_b32_e64 v6, 0, 8, vcc_lo
	ds_bpermute_b32 v3, v5, v1
	v_add_nc_u32_e32 v5, 4, v2
	v_cmp_lt_u32_e32 vcc_lo, v5, v4
	v_add_lshl_u32 v5, v6, v2, 2
	s_wait_dscnt 0x0
	s_wait_alu 0xfffd
	v_cndmask_b32_e32 v3, 0, v3, vcc_lo
	s_delay_alu instid0(VALU_DEP_1) | instskip(SKIP_3) | instid1(VALU_DEP_1)
	v_add_nc_u32_e32 v1, v1, v3
	v_lshlrev_b32_e32 v3, 2, v2
	ds_bpermute_b32 v5, v5, v1
	v_add_nc_u32_e32 v6, 8, v2
	v_cmp_lt_u32_e32 vcc_lo, v6, v4
	v_or_b32_e32 v6, 64, v3
	s_wait_dscnt 0x0
	s_wait_alu 0xfffd
	v_cndmask_b32_e32 v5, 0, v5, vcc_lo
	s_delay_alu instid0(VALU_DEP_1) | instskip(SKIP_2) | instid1(VALU_DEP_1)
	v_add_nc_u32_e32 v1, v1, v5
	ds_bpermute_b32 v5, v6, v1
	v_add_nc_u32_e32 v6, 16, v2
	v_cmp_lt_u32_e32 vcc_lo, v6, v4
	s_wait_dscnt 0x0
	s_wait_alu 0xfffd
	v_cndmask_b32_e32 v4, 0, v5, vcc_lo
	s_delay_alu instid0(VALU_DEP_1)
	v_add_nc_u32_e32 v1, v1, v4
	v_cmpx_eq_u32_e32 0, v2
; %bb.161:
	v_lshrrev_b32_e32 v4, 3, v0
	s_delay_alu instid0(VALU_DEP_1)
	v_and_b32_e32 v4, 28, v4
	ds_store_b32 v4, v1 offset:192
; %bb.162:
	s_or_b32 exec_lo, exec_lo, s3
	s_delay_alu instid0(SALU_CYCLE_1)
	s_mov_b32 s3, exec_lo
	s_wait_dscnt 0x0
	s_barrier_signal -1
	s_barrier_wait -1
	global_inv scope:SCOPE_SE
	v_cmpx_gt_u32_e32 8, v0
	s_cbranch_execz .LBB232_164
; %bb.163:
	ds_load_b32 v1, v3 offset:192
	v_and_b32_e32 v4, 7, v2
	s_add_co_i32 s2, s2, 31
	s_wait_alu 0xfffe
	s_lshr_b32 s2, s2, 5
	s_delay_alu instid0(VALU_DEP_1) | instskip(SKIP_4) | instid1(VALU_DEP_2)
	v_cmp_ne_u32_e32 vcc_lo, 7, v4
	v_add_nc_u32_e32 v6, 1, v4
	s_wait_alu 0xfffd
	v_add_co_ci_u32_e64 v5, null, 0, v2, vcc_lo
	v_cmp_gt_u32_e32 vcc_lo, 6, v4
	v_lshlrev_b32_e32 v5, 2, v5
	s_wait_alu 0xfffd
	v_cndmask_b32_e64 v7, 0, 2, vcc_lo
	s_wait_alu 0xfffe
	v_cmp_gt_u32_e32 vcc_lo, s2, v6
	s_wait_dscnt 0x0
	ds_bpermute_b32 v5, v5, v1
	v_add_lshl_u32 v2, v7, v2, 2
	s_wait_dscnt 0x0
	s_wait_alu 0xfffd
	v_cndmask_b32_e32 v5, 0, v5, vcc_lo
	s_delay_alu instid0(VALU_DEP_1)
	v_add_nc_u32_e32 v1, v5, v1
	v_add_nc_u32_e32 v5, 2, v4
	ds_bpermute_b32 v2, v2, v1
	v_cmp_gt_u32_e32 vcc_lo, s2, v5
	s_wait_dscnt 0x0
	s_wait_alu 0xfffd
	v_cndmask_b32_e32 v2, 0, v2, vcc_lo
	s_delay_alu instid0(VALU_DEP_1)
	v_add_nc_u32_e32 v1, v1, v2
	v_or_b32_e32 v2, 16, v3
	v_add_nc_u32_e32 v3, 4, v4
	ds_bpermute_b32 v2, v2, v1
	v_cmp_gt_u32_e32 vcc_lo, s2, v3
	s_wait_dscnt 0x0
	s_wait_alu 0xfffd
	v_cndmask_b32_e32 v2, 0, v2, vcc_lo
	s_delay_alu instid0(VALU_DEP_1)
	v_add_nc_u32_e32 v1, v1, v2
.LBB232_164:
	s_wait_alu 0xfffe
	s_or_b32 exec_lo, exec_lo, s3
.LBB232_165:
	v_cmp_eq_u32_e64 s2, 0, v0
	s_branch .LBB232_224
.LBB232_166:
	s_cmp_gt_i32 s33, 1
	s_cbranch_scc0 .LBB232_175
; %bb.167:
	s_cmp_gt_i32 s33, 3
	s_cbranch_scc0 .LBB232_176
; %bb.168:
	s_cmp_eq_u32 s33, 4
	s_cbranch_scc0 .LBB232_177
; %bb.169:
	s_mov_b32 s35, 0
	s_lshl_b32 s2, s34, 10
	s_mov_b32 s3, s35
	s_lshr_b64 s[4:5], s[38:39], 10
	s_lshl_b64 s[6:7], s[2:3], 2
	s_cmp_lg_u64 s[4:5], s[34:35]
	s_add_nc_u64 s[4:5], s[36:37], s[6:7]
	s_cbranch_scc0 .LBB232_179
; %bb.170:
	v_lshlrev_b32_e32 v1, 2, v0
	s_mov_b32 s3, exec_lo
	s_clause 0x3
	global_load_b32 v2, v1, s[4:5]
	global_load_b32 v3, v1, s[4:5] offset:1024
	global_load_b32 v4, v1, s[4:5] offset:2048
	;; [unrolled: 1-line block ×3, first 2 shown]
	s_wait_loadcnt 0x2
	v_add_nc_u32_e32 v2, v3, v2
	s_wait_loadcnt 0x0
	s_delay_alu instid0(VALU_DEP_1) | instskip(NEXT) | instid1(VALU_DEP_1)
	v_add3_u32 v1, v2, v4, v1
	v_mov_b32_dpp v2, v1 quad_perm:[1,0,3,2] row_mask:0xf bank_mask:0xf
	s_delay_alu instid0(VALU_DEP_1) | instskip(NEXT) | instid1(VALU_DEP_1)
	v_add_nc_u32_e32 v1, v2, v1
	v_mov_b32_dpp v2, v1 quad_perm:[2,3,0,1] row_mask:0xf bank_mask:0xf
	s_delay_alu instid0(VALU_DEP_1) | instskip(NEXT) | instid1(VALU_DEP_1)
	v_add_nc_u32_e32 v1, v1, v2
	v_mov_b32_dpp v2, v1 row_ror:4 row_mask:0xf bank_mask:0xf
	s_delay_alu instid0(VALU_DEP_1) | instskip(NEXT) | instid1(VALU_DEP_1)
	v_add_nc_u32_e32 v1, v1, v2
	v_mov_b32_dpp v2, v1 row_ror:8 row_mask:0xf bank_mask:0xf
	s_delay_alu instid0(VALU_DEP_1)
	v_add_nc_u32_e32 v1, v1, v2
	ds_swizzle_b32 v2, v1 offset:swizzle(BROADCAST,32,15)
	s_wait_dscnt 0x0
	v_dual_mov_b32 v2, 0 :: v_dual_add_nc_u32 v1, v1, v2
	ds_bpermute_b32 v1, v2, v1 offset:124
	v_mbcnt_lo_u32_b32 v2, -1, 0
	s_delay_alu instid0(VALU_DEP_1)
	v_cmpx_eq_u32_e32 0, v2
	s_cbranch_execz .LBB232_172
; %bb.171:
	v_lshrrev_b32_e32 v3, 3, v0
	s_delay_alu instid0(VALU_DEP_1)
	v_and_b32_e32 v3, 28, v3
	s_wait_dscnt 0x0
	ds_store_b32 v3, v1 offset:128
.LBB232_172:
	s_or_b32 exec_lo, exec_lo, s3
	s_delay_alu instid0(SALU_CYCLE_1)
	s_mov_b32 s3, exec_lo
	s_wait_dscnt 0x0
	s_barrier_signal -1
	s_barrier_wait -1
	global_inv scope:SCOPE_SE
	v_cmpx_gt_u32_e32 32, v0
	s_cbranch_execz .LBB232_174
; %bb.173:
	v_and_b32_e32 v1, 7, v2
	s_delay_alu instid0(VALU_DEP_1) | instskip(SKIP_4) | instid1(VALU_DEP_2)
	v_lshlrev_b32_e32 v3, 2, v1
	v_cmp_ne_u32_e32 vcc_lo, 7, v1
	ds_load_b32 v3, v3 offset:128
	v_add_co_ci_u32_e64 v4, null, 0, v2, vcc_lo
	v_cmp_gt_u32_e32 vcc_lo, 6, v1
	v_lshlrev_b32_e32 v4, 2, v4
	s_wait_alu 0xfffd
	v_cndmask_b32_e64 v1, 0, 2, vcc_lo
	s_delay_alu instid0(VALU_DEP_1) | instskip(SKIP_1) | instid1(VALU_DEP_1)
	v_add_lshl_u32 v1, v1, v2, 2
	v_lshlrev_b32_e32 v2, 2, v2
	v_or_b32_e32 v2, 16, v2
	s_wait_dscnt 0x0
	ds_bpermute_b32 v4, v4, v3
	s_wait_dscnt 0x0
	v_add_nc_u32_e32 v3, v4, v3
	ds_bpermute_b32 v1, v1, v3
	s_wait_dscnt 0x0
	v_add_nc_u32_e32 v1, v1, v3
	;; [unrolled: 3-line block ×3, first 2 shown]
.LBB232_174:
	s_or_b32 exec_lo, exec_lo, s3
	s_mov_b32 s3, 0
	s_branch .LBB232_180
.LBB232_175:
                                        ; implicit-def: $vgpr1
	s_cbranch_execnz .LBB232_215
	s_branch .LBB232_224
.LBB232_176:
                                        ; implicit-def: $vgpr1
	s_cbranch_execz .LBB232_178
	s_branch .LBB232_195
.LBB232_177:
                                        ; implicit-def: $vgpr1
.LBB232_178:
	s_branch .LBB232_224
.LBB232_179:
	s_mov_b32 s3, -1
                                        ; implicit-def: $vgpr1
.LBB232_180:
	s_delay_alu instid0(SALU_CYCLE_1)
	s_and_b32 vcc_lo, exec_lo, s3
	s_wait_alu 0xfffe
	s_cbranch_vccz .LBB232_194
; %bb.181:
	v_mov_b32_e32 v1, 0
	s_sub_co_i32 s6, s38, s2
	s_mov_b32 s2, exec_lo
	s_delay_alu instid0(VALU_DEP_1)
	v_dual_mov_b32 v2, v1 :: v_dual_mov_b32 v3, v1
	v_mov_b32_e32 v4, v1
	v_cmpx_gt_u32_e64 s6, v0
	s_cbranch_execz .LBB232_183
; %bb.182:
	v_dual_mov_b32 v3, v1 :: v_dual_lshlrev_b32 v2, 2, v0
	v_dual_mov_b32 v4, v1 :: v_dual_mov_b32 v5, v1
	global_load_b32 v2, v2, s[4:5]
	s_wait_loadcnt 0x0
	v_mov_b32_e32 v1, v2
	v_mov_b32_e32 v2, v3
	;; [unrolled: 1-line block ×4, first 2 shown]
.LBB232_183:
	s_or_b32 exec_lo, exec_lo, s2
	v_or_b32_e32 v5, 0x100, v0
	s_delay_alu instid0(VALU_DEP_1)
	v_cmp_gt_u32_e32 vcc_lo, s6, v5
	s_and_saveexec_b32 s2, vcc_lo
	s_cbranch_execz .LBB232_185
; %bb.184:
	v_lshlrev_b32_e32 v2, 2, v0
	global_load_b32 v2, v2, s[4:5] offset:1024
.LBB232_185:
	s_or_b32 exec_lo, exec_lo, s2
	v_or_b32_e32 v5, 0x200, v0
	s_delay_alu instid0(VALU_DEP_1)
	v_cmp_gt_u32_e64 s2, s6, v5
	s_and_saveexec_b32 s3, s2
	s_cbranch_execz .LBB232_187
; %bb.186:
	v_lshlrev_b32_e32 v3, 2, v0
	global_load_b32 v3, v3, s[4:5] offset:2048
.LBB232_187:
	s_or_b32 exec_lo, exec_lo, s3
	v_or_b32_e32 v5, 0x300, v0
	s_delay_alu instid0(VALU_DEP_1)
	v_cmp_gt_u32_e64 s3, s6, v5
	s_and_saveexec_b32 s7, s3
	s_cbranch_execz .LBB232_189
; %bb.188:
	v_lshlrev_b32_e32 v4, 2, v0
	global_load_b32 v4, v4, s[4:5] offset:3072
.LBB232_189:
	s_wait_alu 0xfffe
	s_or_b32 exec_lo, exec_lo, s7
	s_wait_loadcnt 0x0
	v_cndmask_b32_e32 v5, 0, v2, vcc_lo
	v_mbcnt_lo_u32_b32 v2, -1, 0
	v_cndmask_b32_e64 v3, 0, v3, s2
	v_cndmask_b32_e64 v4, 0, v4, s3
	s_min_u32 s2, s6, 0x100
	v_add_nc_u32_e32 v1, v5, v1
	v_cmp_ne_u32_e32 vcc_lo, 31, v2
	s_mov_b32 s3, exec_lo
	s_delay_alu instid0(VALU_DEP_2) | instskip(SKIP_4) | instid1(VALU_DEP_3)
	v_add3_u32 v1, v1, v3, v4
	s_wait_alu 0xfffd
	v_add_co_ci_u32_e64 v5, null, 0, v2, vcc_lo
	v_and_b32_e32 v4, 0xe0, v0
	v_cmp_gt_u32_e32 vcc_lo, 30, v2
	v_lshlrev_b32_e32 v3, 2, v5
	v_add_nc_u32_e32 v5, 1, v2
	s_wait_alu 0xfffe
	v_sub_nc_u32_e64 v4, s2, v4 clamp
	s_wait_alu 0xfffd
	v_cndmask_b32_e64 v6, 0, 2, vcc_lo
	ds_bpermute_b32 v3, v3, v1
	v_cmp_lt_u32_e32 vcc_lo, v5, v4
	v_add_lshl_u32 v5, v6, v2, 2
	s_wait_dscnt 0x0
	s_wait_alu 0xfffd
	v_cndmask_b32_e32 v3, 0, v3, vcc_lo
	v_cmp_gt_u32_e32 vcc_lo, 28, v2
	s_delay_alu instid0(VALU_DEP_2) | instskip(SKIP_4) | instid1(VALU_DEP_1)
	v_add_nc_u32_e32 v1, v3, v1
	s_wait_alu 0xfffd
	v_cndmask_b32_e64 v6, 0, 4, vcc_lo
	ds_bpermute_b32 v3, v5, v1
	v_add_nc_u32_e32 v5, 2, v2
	v_cmp_lt_u32_e32 vcc_lo, v5, v4
	v_add_lshl_u32 v5, v6, v2, 2
	s_wait_dscnt 0x0
	s_wait_alu 0xfffd
	v_cndmask_b32_e32 v3, 0, v3, vcc_lo
	v_cmp_gt_u32_e32 vcc_lo, 24, v2
	s_delay_alu instid0(VALU_DEP_2) | instskip(SKIP_4) | instid1(VALU_DEP_1)
	v_add_nc_u32_e32 v1, v1, v3
	s_wait_alu 0xfffd
	v_cndmask_b32_e64 v6, 0, 8, vcc_lo
	ds_bpermute_b32 v3, v5, v1
	v_add_nc_u32_e32 v5, 4, v2
	v_cmp_lt_u32_e32 vcc_lo, v5, v4
	v_add_lshl_u32 v5, v6, v2, 2
	s_wait_dscnt 0x0
	s_wait_alu 0xfffd
	v_dual_cndmask_b32 v3, 0, v3 :: v_dual_add_nc_u32 v6, 8, v2
	s_delay_alu instid0(VALU_DEP_1) | instskip(NEXT) | instid1(VALU_DEP_2)
	v_cmp_lt_u32_e32 vcc_lo, v6, v4
	v_add_nc_u32_e32 v1, v1, v3
	v_lshlrev_b32_e32 v3, 2, v2
	ds_bpermute_b32 v5, v5, v1
	v_or_b32_e32 v6, 64, v3
	s_wait_dscnt 0x0
	s_wait_alu 0xfffd
	v_cndmask_b32_e32 v5, 0, v5, vcc_lo
	s_delay_alu instid0(VALU_DEP_1) | instskip(SKIP_2) | instid1(VALU_DEP_1)
	v_add_nc_u32_e32 v1, v1, v5
	ds_bpermute_b32 v5, v6, v1
	v_add_nc_u32_e32 v6, 16, v2
	v_cmp_lt_u32_e32 vcc_lo, v6, v4
	s_wait_dscnt 0x0
	s_wait_alu 0xfffd
	v_cndmask_b32_e32 v4, 0, v5, vcc_lo
	s_delay_alu instid0(VALU_DEP_1)
	v_add_nc_u32_e32 v1, v1, v4
	v_cmpx_eq_u32_e32 0, v2
; %bb.190:
	v_lshrrev_b32_e32 v4, 3, v0
	s_delay_alu instid0(VALU_DEP_1)
	v_and_b32_e32 v4, 28, v4
	ds_store_b32 v4, v1 offset:192
; %bb.191:
	s_or_b32 exec_lo, exec_lo, s3
	s_delay_alu instid0(SALU_CYCLE_1)
	s_mov_b32 s3, exec_lo
	s_wait_dscnt 0x0
	s_barrier_signal -1
	s_barrier_wait -1
	global_inv scope:SCOPE_SE
	v_cmpx_gt_u32_e32 8, v0
	s_cbranch_execz .LBB232_193
; %bb.192:
	ds_load_b32 v1, v3 offset:192
	v_and_b32_e32 v4, 7, v2
	s_add_co_i32 s2, s2, 31
	s_wait_alu 0xfffe
	s_lshr_b32 s2, s2, 5
	s_delay_alu instid0(VALU_DEP_1) | instskip(SKIP_4) | instid1(VALU_DEP_2)
	v_cmp_ne_u32_e32 vcc_lo, 7, v4
	v_add_nc_u32_e32 v6, 1, v4
	s_wait_alu 0xfffd
	v_add_co_ci_u32_e64 v5, null, 0, v2, vcc_lo
	v_cmp_gt_u32_e32 vcc_lo, 6, v4
	v_lshlrev_b32_e32 v5, 2, v5
	s_wait_alu 0xfffd
	v_cndmask_b32_e64 v7, 0, 2, vcc_lo
	s_wait_alu 0xfffe
	v_cmp_gt_u32_e32 vcc_lo, s2, v6
	s_wait_dscnt 0x0
	ds_bpermute_b32 v5, v5, v1
	v_add_lshl_u32 v2, v7, v2, 2
	s_wait_dscnt 0x0
	s_wait_alu 0xfffd
	v_cndmask_b32_e32 v5, 0, v5, vcc_lo
	s_delay_alu instid0(VALU_DEP_1)
	v_add_nc_u32_e32 v1, v5, v1
	v_add_nc_u32_e32 v5, 2, v4
	ds_bpermute_b32 v2, v2, v1
	v_cmp_gt_u32_e32 vcc_lo, s2, v5
	s_wait_dscnt 0x0
	s_wait_alu 0xfffd
	v_cndmask_b32_e32 v2, 0, v2, vcc_lo
	s_delay_alu instid0(VALU_DEP_1)
	v_add_nc_u32_e32 v1, v1, v2
	v_or_b32_e32 v2, 16, v3
	v_add_nc_u32_e32 v3, 4, v4
	ds_bpermute_b32 v2, v2, v1
	v_cmp_gt_u32_e32 vcc_lo, s2, v3
	s_wait_dscnt 0x0
	s_wait_alu 0xfffd
	v_cndmask_b32_e32 v2, 0, v2, vcc_lo
	s_delay_alu instid0(VALU_DEP_1)
	v_add_nc_u32_e32 v1, v1, v2
.LBB232_193:
	s_wait_alu 0xfffe
	s_or_b32 exec_lo, exec_lo, s3
.LBB232_194:
	v_cmp_eq_u32_e64 s2, 0, v0
	s_branch .LBB232_178
.LBB232_195:
	s_cmp_eq_u32 s33, 2
	s_cbranch_scc0 .LBB232_202
; %bb.196:
	s_mov_b32 s35, 0
	s_lshl_b32 s4, s34, 9
	s_mov_b32 s5, s35
	s_lshr_b64 s[2:3], s[38:39], 9
	s_lshl_b64 s[6:7], s[4:5], 2
	s_cmp_lg_u64 s[2:3], s[34:35]
	s_add_nc_u64 s[2:3], s[36:37], s[6:7]
	s_cbranch_scc0 .LBB232_203
; %bb.197:
	v_lshlrev_b32_e32 v1, 2, v0
	s_mov_b32 s5, exec_lo
	s_clause 0x1
	global_load_b32 v2, v1, s[2:3]
	global_load_b32 v1, v1, s[2:3] offset:1024
	s_wait_loadcnt 0x0
	v_add_nc_u32_e32 v1, v1, v2
	s_delay_alu instid0(VALU_DEP_1) | instskip(NEXT) | instid1(VALU_DEP_1)
	v_mov_b32_dpp v2, v1 quad_perm:[1,0,3,2] row_mask:0xf bank_mask:0xf
	v_add_nc_u32_e32 v1, v2, v1
	s_delay_alu instid0(VALU_DEP_1) | instskip(NEXT) | instid1(VALU_DEP_1)
	v_mov_b32_dpp v2, v1 quad_perm:[2,3,0,1] row_mask:0xf bank_mask:0xf
	v_add_nc_u32_e32 v1, v1, v2
	s_delay_alu instid0(VALU_DEP_1) | instskip(NEXT) | instid1(VALU_DEP_1)
	v_mov_b32_dpp v2, v1 row_ror:4 row_mask:0xf bank_mask:0xf
	v_add_nc_u32_e32 v1, v1, v2
	s_delay_alu instid0(VALU_DEP_1) | instskip(NEXT) | instid1(VALU_DEP_1)
	v_mov_b32_dpp v2, v1 row_ror:8 row_mask:0xf bank_mask:0xf
	v_add_nc_u32_e32 v1, v1, v2
	ds_swizzle_b32 v2, v1 offset:swizzle(BROADCAST,32,15)
	s_wait_dscnt 0x0
	v_dual_mov_b32 v2, 0 :: v_dual_add_nc_u32 v1, v1, v2
	ds_bpermute_b32 v1, v2, v1 offset:124
	v_mbcnt_lo_u32_b32 v2, -1, 0
	s_delay_alu instid0(VALU_DEP_1)
	v_cmpx_eq_u32_e32 0, v2
	s_cbranch_execz .LBB232_199
; %bb.198:
	v_lshrrev_b32_e32 v3, 3, v0
	s_delay_alu instid0(VALU_DEP_1)
	v_and_b32_e32 v3, 28, v3
	s_wait_dscnt 0x0
	ds_store_b32 v3, v1 offset:64
.LBB232_199:
	s_or_b32 exec_lo, exec_lo, s5
	s_delay_alu instid0(SALU_CYCLE_1)
	s_mov_b32 s5, exec_lo
	s_wait_dscnt 0x0
	s_barrier_signal -1
	s_barrier_wait -1
	global_inv scope:SCOPE_SE
	v_cmpx_gt_u32_e32 32, v0
	s_cbranch_execz .LBB232_201
; %bb.200:
	v_and_b32_e32 v1, 7, v2
	s_delay_alu instid0(VALU_DEP_1) | instskip(SKIP_4) | instid1(VALU_DEP_2)
	v_lshlrev_b32_e32 v3, 2, v1
	v_cmp_ne_u32_e32 vcc_lo, 7, v1
	ds_load_b32 v3, v3 offset:64
	v_add_co_ci_u32_e64 v4, null, 0, v2, vcc_lo
	v_cmp_gt_u32_e32 vcc_lo, 6, v1
	v_lshlrev_b32_e32 v4, 2, v4
	s_wait_alu 0xfffd
	v_cndmask_b32_e64 v1, 0, 2, vcc_lo
	s_delay_alu instid0(VALU_DEP_1) | instskip(SKIP_1) | instid1(VALU_DEP_1)
	v_add_lshl_u32 v1, v1, v2, 2
	v_lshlrev_b32_e32 v2, 2, v2
	v_or_b32_e32 v2, 16, v2
	s_wait_dscnt 0x0
	ds_bpermute_b32 v4, v4, v3
	s_wait_dscnt 0x0
	v_add_nc_u32_e32 v3, v4, v3
	ds_bpermute_b32 v1, v1, v3
	s_wait_dscnt 0x0
	v_add_nc_u32_e32 v1, v1, v3
	;; [unrolled: 3-line block ×3, first 2 shown]
.LBB232_201:
	s_or_b32 exec_lo, exec_lo, s5
	s_mov_b32 s5, 0
	s_branch .LBB232_204
.LBB232_202:
                                        ; implicit-def: $vgpr1
	s_branch .LBB232_224
.LBB232_203:
	s_mov_b32 s5, -1
                                        ; implicit-def: $vgpr1
.LBB232_204:
	s_delay_alu instid0(SALU_CYCLE_1)
	s_and_b32 vcc_lo, exec_lo, s5
	s_wait_alu 0xfffe
	s_cbranch_vccz .LBB232_214
; %bb.205:
	v_mov_b32_e32 v1, 0
	s_sub_co_i32 s4, s38, s4
	s_mov_b32 s5, exec_lo
	s_delay_alu instid0(VALU_DEP_1)
	v_mov_b32_e32 v2, v1
	v_cmpx_gt_u32_e64 s4, v0
	s_cbranch_execz .LBB232_207
; %bb.206:
	v_dual_mov_b32 v3, v1 :: v_dual_lshlrev_b32 v2, 2, v0
	global_load_b32 v2, v2, s[2:3]
	s_wait_loadcnt 0x0
	v_mov_b32_e32 v1, v2
	v_mov_b32_e32 v2, v3
.LBB232_207:
	s_or_b32 exec_lo, exec_lo, s5
	v_or_b32_e32 v3, 0x100, v0
	s_delay_alu instid0(VALU_DEP_1)
	v_cmp_gt_u32_e32 vcc_lo, s4, v3
	s_and_saveexec_b32 s5, vcc_lo
	s_cbranch_execz .LBB232_209
; %bb.208:
	v_lshlrev_b32_e32 v2, 2, v0
	global_load_b32 v2, v2, s[2:3] offset:1024
.LBB232_209:
	s_wait_alu 0xfffe
	s_or_b32 exec_lo, exec_lo, s5
	v_mbcnt_lo_u32_b32 v3, -1, 0
	s_wait_loadcnt 0x0
	v_cndmask_b32_e32 v2, 0, v2, vcc_lo
	s_min_u32 s2, s4, 0x100
	s_mov_b32 s3, exec_lo
	v_cmp_ne_u32_e32 vcc_lo, 31, v3
	v_add_nc_u32_e32 v5, 1, v3
	v_add_nc_u32_e32 v1, v2, v1
	s_wait_alu 0xfffd
	v_add_co_ci_u32_e64 v4, null, 0, v3, vcc_lo
	v_cmp_gt_u32_e32 vcc_lo, 30, v3
	s_delay_alu instid0(VALU_DEP_2)
	v_lshlrev_b32_e32 v2, 2, v4
	v_and_b32_e32 v4, 0xe0, v0
	s_wait_alu 0xfffd
	v_cndmask_b32_e64 v6, 0, 2, vcc_lo
	ds_bpermute_b32 v2, v2, v1
	v_sub_nc_u32_e64 v4, s2, v4 clamp
	s_delay_alu instid0(VALU_DEP_1)
	v_cmp_lt_u32_e32 vcc_lo, v5, v4
	v_add_lshl_u32 v5, v6, v3, 2
	s_wait_dscnt 0x0
	s_wait_alu 0xfffd
	v_cndmask_b32_e32 v2, 0, v2, vcc_lo
	v_cmp_gt_u32_e32 vcc_lo, 28, v3
	s_delay_alu instid0(VALU_DEP_2) | instskip(SKIP_4) | instid1(VALU_DEP_1)
	v_add_nc_u32_e32 v1, v2, v1
	s_wait_alu 0xfffd
	v_cndmask_b32_e64 v6, 0, 4, vcc_lo
	ds_bpermute_b32 v2, v5, v1
	v_add_nc_u32_e32 v5, 2, v3
	v_cmp_lt_u32_e32 vcc_lo, v5, v4
	v_add_lshl_u32 v5, v6, v3, 2
	s_wait_dscnt 0x0
	s_wait_alu 0xfffd
	v_cndmask_b32_e32 v2, 0, v2, vcc_lo
	v_cmp_gt_u32_e32 vcc_lo, 24, v3
	s_delay_alu instid0(VALU_DEP_2) | instskip(SKIP_4) | instid1(VALU_DEP_1)
	v_add_nc_u32_e32 v1, v1, v2
	s_wait_alu 0xfffd
	v_cndmask_b32_e64 v6, 0, 8, vcc_lo
	ds_bpermute_b32 v2, v5, v1
	v_add_nc_u32_e32 v5, 4, v3
	v_cmp_lt_u32_e32 vcc_lo, v5, v4
	v_add_lshl_u32 v5, v6, v3, 2
	v_add_nc_u32_e32 v6, 8, v3
	s_wait_dscnt 0x0
	s_wait_alu 0xfffd
	v_cndmask_b32_e32 v2, 0, v2, vcc_lo
	s_delay_alu instid0(VALU_DEP_2) | instskip(NEXT) | instid1(VALU_DEP_2)
	v_cmp_lt_u32_e32 vcc_lo, v6, v4
	v_add_nc_u32_e32 v1, v1, v2
	v_lshlrev_b32_e32 v2, 2, v3
	ds_bpermute_b32 v5, v5, v1
	v_or_b32_e32 v6, 64, v2
	s_wait_dscnt 0x0
	s_wait_alu 0xfffd
	v_cndmask_b32_e32 v5, 0, v5, vcc_lo
	s_delay_alu instid0(VALU_DEP_1) | instskip(SKIP_2) | instid1(VALU_DEP_1)
	v_add_nc_u32_e32 v1, v1, v5
	ds_bpermute_b32 v5, v6, v1
	v_add_nc_u32_e32 v6, 16, v3
	v_cmp_lt_u32_e32 vcc_lo, v6, v4
	s_wait_dscnt 0x0
	s_wait_alu 0xfffd
	v_cndmask_b32_e32 v4, 0, v5, vcc_lo
	s_delay_alu instid0(VALU_DEP_1)
	v_add_nc_u32_e32 v1, v1, v4
	v_cmpx_eq_u32_e32 0, v3
; %bb.210:
	v_lshrrev_b32_e32 v4, 3, v0
	s_delay_alu instid0(VALU_DEP_1)
	v_and_b32_e32 v4, 28, v4
	ds_store_b32 v4, v1 offset:192
; %bb.211:
	s_or_b32 exec_lo, exec_lo, s3
	s_delay_alu instid0(SALU_CYCLE_1)
	s_mov_b32 s3, exec_lo
	s_wait_dscnt 0x0
	s_barrier_signal -1
	s_barrier_wait -1
	global_inv scope:SCOPE_SE
	v_cmpx_gt_u32_e32 8, v0
	s_cbranch_execz .LBB232_213
; %bb.212:
	ds_load_b32 v1, v2 offset:192
	v_and_b32_e32 v4, 7, v3
	s_add_co_i32 s2, s2, 31
	v_or_b32_e32 v2, 16, v2
	s_wait_alu 0xfffe
	s_lshr_b32 s2, s2, 5
	v_cmp_ne_u32_e32 vcc_lo, 7, v4
	v_add_nc_u32_e32 v6, 1, v4
	s_wait_alu 0xfffd
	v_add_co_ci_u32_e64 v5, null, 0, v3, vcc_lo
	v_cmp_gt_u32_e32 vcc_lo, 6, v4
	s_delay_alu instid0(VALU_DEP_2)
	v_lshlrev_b32_e32 v5, 2, v5
	s_wait_alu 0xfffd
	v_cndmask_b32_e64 v7, 0, 2, vcc_lo
	s_wait_alu 0xfffe
	v_cmp_gt_u32_e32 vcc_lo, s2, v6
	s_wait_dscnt 0x0
	ds_bpermute_b32 v5, v5, v1
	v_add_lshl_u32 v3, v7, v3, 2
	s_wait_dscnt 0x0
	s_wait_alu 0xfffd
	v_cndmask_b32_e32 v5, 0, v5, vcc_lo
	s_delay_alu instid0(VALU_DEP_1)
	v_add_nc_u32_e32 v1, v5, v1
	v_add_nc_u32_e32 v5, 2, v4
	ds_bpermute_b32 v3, v3, v1
	v_cmp_gt_u32_e32 vcc_lo, s2, v5
	s_wait_dscnt 0x0
	s_wait_alu 0xfffd
	v_cndmask_b32_e32 v3, 0, v3, vcc_lo
	s_delay_alu instid0(VALU_DEP_1)
	v_add_nc_u32_e32 v1, v1, v3
	v_add_nc_u32_e32 v3, 4, v4
	ds_bpermute_b32 v2, v2, v1
	v_cmp_gt_u32_e32 vcc_lo, s2, v3
	s_wait_dscnt 0x0
	s_wait_alu 0xfffd
	v_cndmask_b32_e32 v2, 0, v2, vcc_lo
	s_delay_alu instid0(VALU_DEP_1)
	v_add_nc_u32_e32 v1, v1, v2
.LBB232_213:
	s_wait_alu 0xfffe
	s_or_b32 exec_lo, exec_lo, s3
.LBB232_214:
	v_cmp_eq_u32_e64 s2, 0, v0
	s_branch .LBB232_224
.LBB232_215:
	s_cmp_eq_u32 s33, 1
	s_cbranch_scc0 .LBB232_223
; %bb.216:
	s_mov_b32 s3, 0
	v_mbcnt_lo_u32_b32 v2, -1, 0
	s_lshr_b64 s[4:5], s[38:39], 8
	s_mov_b32 s35, s3
	s_lshl_b32 s2, s34, 8
	s_cmp_lg_u64 s[4:5], s[34:35]
	s_cbranch_scc0 .LBB232_227
; %bb.217:
	v_lshlrev_b32_e32 v1, 2, v0
	s_lshl_b64 s[4:5], s[2:3], 2
	s_delay_alu instid0(SALU_CYCLE_1) | instskip(SKIP_4) | instid1(VALU_DEP_1)
	s_add_nc_u64 s[4:5], s[36:37], s[4:5]
	global_load_b32 v1, v1, s[4:5]
	s_mov_b32 s4, exec_lo
	s_wait_loadcnt 0x0
	v_mov_b32_dpp v3, v1 quad_perm:[1,0,3,2] row_mask:0xf bank_mask:0xf
	v_add_nc_u32_e32 v1, v3, v1
	s_delay_alu instid0(VALU_DEP_1) | instskip(NEXT) | instid1(VALU_DEP_1)
	v_mov_b32_dpp v3, v1 quad_perm:[2,3,0,1] row_mask:0xf bank_mask:0xf
	v_add_nc_u32_e32 v1, v1, v3
	s_delay_alu instid0(VALU_DEP_1) | instskip(NEXT) | instid1(VALU_DEP_1)
	v_mov_b32_dpp v3, v1 row_ror:4 row_mask:0xf bank_mask:0xf
	v_add_nc_u32_e32 v1, v1, v3
	s_delay_alu instid0(VALU_DEP_1) | instskip(NEXT) | instid1(VALU_DEP_1)
	v_mov_b32_dpp v3, v1 row_ror:8 row_mask:0xf bank_mask:0xf
	v_add_nc_u32_e32 v1, v1, v3
	ds_swizzle_b32 v3, v1 offset:swizzle(BROADCAST,32,15)
	s_wait_dscnt 0x0
	v_add_nc_u32_e32 v1, v1, v3
	v_mov_b32_e32 v3, 0
	ds_bpermute_b32 v1, v3, v1 offset:124
	v_cmpx_eq_u32_e32 0, v2
	s_cbranch_execz .LBB232_219
; %bb.218:
	v_lshrrev_b32_e32 v3, 3, v0
	s_delay_alu instid0(VALU_DEP_1)
	v_and_b32_e32 v3, 28, v3
	s_wait_dscnt 0x0
	ds_store_b32 v3, v1 offset:32
.LBB232_219:
	s_or_b32 exec_lo, exec_lo, s4
	s_delay_alu instid0(SALU_CYCLE_1)
	s_mov_b32 s4, exec_lo
	s_wait_dscnt 0x0
	s_barrier_signal -1
	s_barrier_wait -1
	global_inv scope:SCOPE_SE
	v_cmpx_gt_u32_e32 32, v0
	s_cbranch_execz .LBB232_221
; %bb.220:
	v_and_b32_e32 v1, 7, v2
	s_delay_alu instid0(VALU_DEP_1) | instskip(SKIP_4) | instid1(VALU_DEP_2)
	v_lshlrev_b32_e32 v3, 2, v1
	v_cmp_ne_u32_e32 vcc_lo, 7, v1
	ds_load_b32 v3, v3 offset:32
	v_add_co_ci_u32_e64 v4, null, 0, v2, vcc_lo
	v_cmp_gt_u32_e32 vcc_lo, 6, v1
	v_lshlrev_b32_e32 v4, 2, v4
	s_wait_alu 0xfffd
	v_cndmask_b32_e64 v1, 0, 2, vcc_lo
	s_delay_alu instid0(VALU_DEP_1)
	v_add_lshl_u32 v1, v1, v2, 2
	s_wait_dscnt 0x0
	ds_bpermute_b32 v4, v4, v3
	s_wait_dscnt 0x0
	v_add_nc_u32_e32 v3, v4, v3
	v_lshlrev_b32_e32 v4, 2, v2
	ds_bpermute_b32 v1, v1, v3
	s_wait_dscnt 0x0
	v_add_nc_u32_e32 v1, v1, v3
	v_or_b32_e32 v3, 16, v4
	ds_bpermute_b32 v3, v3, v1
	s_wait_dscnt 0x0
	v_add_nc_u32_e32 v1, v3, v1
.LBB232_221:
	s_or_b32 exec_lo, exec_lo, s4
.LBB232_222:
	v_cmp_eq_u32_e64 s2, 0, v0
	s_and_saveexec_b32 s3, s2
	s_cbranch_execnz .LBB232_225
	s_branch .LBB232_226
.LBB232_223:
                                        ; implicit-def: $vgpr1
                                        ; implicit-def: $sgpr34_sgpr35
.LBB232_224:
	s_delay_alu instid0(VALU_DEP_1)
	s_and_saveexec_b32 s3, s2
	s_cbranch_execz .LBB232_226
.LBB232_225:
	s_load_b96 s[0:2], s[0:1], 0x18
	s_lshl_b64 s[4:5], s[34:35], 2
	s_cmp_lg_u64 s[38:39], 0
	s_cselect_b32 vcc_lo, -1, 0
	s_wait_alu 0xfffe
	v_dual_cndmask_b32 v0, 0, v1 :: v_dual_mov_b32 v1, 0
	s_wait_kmcnt 0x0
	s_delay_alu instid0(VALU_DEP_1)
	v_add_nc_u32_e32 v0, s2, v0
	s_add_nc_u64 s[0:1], s[0:1], s[4:5]
	global_store_b32 v1, v0, s[0:1]
.LBB232_226:
	s_endpgm
.LBB232_227:
                                        ; implicit-def: $vgpr1
	s_cbranch_execz .LBB232_222
; %bb.228:
	s_sub_co_i32 s4, s38, s2
	s_mov_b32 s5, exec_lo
                                        ; implicit-def: $vgpr1
	v_cmpx_gt_u32_e64 s4, v0
	s_cbranch_execz .LBB232_230
; %bb.229:
	v_lshlrev_b32_e32 v1, 2, v0
	s_lshl_b64 s[2:3], s[2:3], 2
	s_delay_alu instid0(SALU_CYCLE_1)
	s_add_nc_u64 s[2:3], s[36:37], s[2:3]
	global_load_b32 v1, v1, s[2:3]
.LBB232_230:
	s_or_b32 exec_lo, exec_lo, s5
	v_cmp_ne_u32_e32 vcc_lo, 31, v2
	s_min_u32 s2, s4, 0x100
	v_add_nc_u32_e32 v5, 1, v2
	s_mov_b32 s3, exec_lo
	v_add_co_ci_u32_e64 v3, null, 0, v2, vcc_lo
	v_cmp_gt_u32_e32 vcc_lo, 30, v2
	s_delay_alu instid0(VALU_DEP_2)
	v_lshlrev_b32_e32 v3, 2, v3
	s_wait_alu 0xfffd
	v_cndmask_b32_e64 v6, 0, 2, vcc_lo
	s_wait_loadcnt 0x0
	ds_bpermute_b32 v3, v3, v1
	v_and_b32_e32 v4, 0xe0, v0
	s_delay_alu instid0(VALU_DEP_1) | instskip(NEXT) | instid1(VALU_DEP_1)
	v_sub_nc_u32_e64 v4, s2, v4 clamp
	v_cmp_lt_u32_e32 vcc_lo, v5, v4
	v_add_lshl_u32 v5, v6, v2, 2
	s_wait_dscnt 0x0
	s_wait_alu 0xfffd
	v_cndmask_b32_e32 v3, 0, v3, vcc_lo
	v_cmp_gt_u32_e32 vcc_lo, 28, v2
	s_delay_alu instid0(VALU_DEP_2) | instskip(SKIP_4) | instid1(VALU_DEP_1)
	v_add_nc_u32_e32 v1, v3, v1
	s_wait_alu 0xfffd
	v_cndmask_b32_e64 v6, 0, 4, vcc_lo
	ds_bpermute_b32 v3, v5, v1
	v_add_nc_u32_e32 v5, 2, v2
	v_cmp_lt_u32_e32 vcc_lo, v5, v4
	v_add_lshl_u32 v5, v6, v2, 2
	s_wait_dscnt 0x0
	s_wait_alu 0xfffd
	v_cndmask_b32_e32 v3, 0, v3, vcc_lo
	v_cmp_gt_u32_e32 vcc_lo, 24, v2
	s_delay_alu instid0(VALU_DEP_2) | instskip(SKIP_4) | instid1(VALU_DEP_1)
	v_add_nc_u32_e32 v1, v1, v3
	s_wait_alu 0xfffd
	v_cndmask_b32_e64 v6, 0, 8, vcc_lo
	ds_bpermute_b32 v3, v5, v1
	v_add_nc_u32_e32 v5, 4, v2
	v_cmp_lt_u32_e32 vcc_lo, v5, v4
	v_add_lshl_u32 v5, v6, v2, 2
	s_wait_dscnt 0x0
	s_wait_alu 0xfffd
	v_dual_cndmask_b32 v3, 0, v3 :: v_dual_add_nc_u32 v6, 8, v2
	s_delay_alu instid0(VALU_DEP_1) | instskip(NEXT) | instid1(VALU_DEP_2)
	v_cmp_lt_u32_e32 vcc_lo, v6, v4
	v_add_nc_u32_e32 v1, v1, v3
	v_lshlrev_b32_e32 v3, 2, v2
	ds_bpermute_b32 v5, v5, v1
	v_or_b32_e32 v6, 64, v3
	s_wait_dscnt 0x0
	s_wait_alu 0xfffd
	v_cndmask_b32_e32 v5, 0, v5, vcc_lo
	s_delay_alu instid0(VALU_DEP_1) | instskip(SKIP_2) | instid1(VALU_DEP_1)
	v_add_nc_u32_e32 v1, v1, v5
	ds_bpermute_b32 v5, v6, v1
	v_add_nc_u32_e32 v6, 16, v2
	v_cmp_lt_u32_e32 vcc_lo, v6, v4
	s_wait_dscnt 0x0
	s_wait_alu 0xfffd
	v_cndmask_b32_e32 v4, 0, v5, vcc_lo
	s_delay_alu instid0(VALU_DEP_1)
	v_add_nc_u32_e32 v1, v1, v4
	v_cmpx_eq_u32_e32 0, v2
; %bb.231:
	v_lshrrev_b32_e32 v4, 3, v0
	s_delay_alu instid0(VALU_DEP_1)
	v_and_b32_e32 v4, 28, v4
	ds_store_b32 v4, v1 offset:192
; %bb.232:
	s_or_b32 exec_lo, exec_lo, s3
	s_delay_alu instid0(SALU_CYCLE_1)
	s_mov_b32 s3, exec_lo
	s_wait_dscnt 0x0
	s_barrier_signal -1
	s_barrier_wait -1
	global_inv scope:SCOPE_SE
	v_cmpx_gt_u32_e32 8, v0
	s_cbranch_execz .LBB232_234
; %bb.233:
	ds_load_b32 v1, v3 offset:192
	v_and_b32_e32 v4, 7, v2
	s_add_co_i32 s2, s2, 31
	s_wait_alu 0xfffe
	s_lshr_b32 s2, s2, 5
	s_delay_alu instid0(VALU_DEP_1) | instskip(SKIP_4) | instid1(VALU_DEP_2)
	v_cmp_ne_u32_e32 vcc_lo, 7, v4
	v_add_nc_u32_e32 v6, 1, v4
	s_wait_alu 0xfffd
	v_add_co_ci_u32_e64 v5, null, 0, v2, vcc_lo
	v_cmp_gt_u32_e32 vcc_lo, 6, v4
	v_lshlrev_b32_e32 v5, 2, v5
	s_wait_alu 0xfffd
	v_cndmask_b32_e64 v7, 0, 2, vcc_lo
	s_wait_alu 0xfffe
	v_cmp_gt_u32_e32 vcc_lo, s2, v6
	s_wait_dscnt 0x0
	ds_bpermute_b32 v5, v5, v1
	v_add_lshl_u32 v2, v7, v2, 2
	s_wait_dscnt 0x0
	s_wait_alu 0xfffd
	v_cndmask_b32_e32 v5, 0, v5, vcc_lo
	s_delay_alu instid0(VALU_DEP_1)
	v_add_nc_u32_e32 v1, v5, v1
	v_add_nc_u32_e32 v5, 2, v4
	ds_bpermute_b32 v2, v2, v1
	v_cmp_gt_u32_e32 vcc_lo, s2, v5
	s_wait_dscnt 0x0
	s_wait_alu 0xfffd
	v_cndmask_b32_e32 v2, 0, v2, vcc_lo
	s_delay_alu instid0(VALU_DEP_1)
	v_add_nc_u32_e32 v1, v1, v2
	v_or_b32_e32 v2, 16, v3
	v_add_nc_u32_e32 v3, 4, v4
	ds_bpermute_b32 v2, v2, v1
	v_cmp_gt_u32_e32 vcc_lo, s2, v3
	s_wait_dscnt 0x0
	s_wait_alu 0xfffd
	v_cndmask_b32_e32 v2, 0, v2, vcc_lo
	s_delay_alu instid0(VALU_DEP_1)
	v_add_nc_u32_e32 v1, v1, v2
.LBB232_234:
	s_wait_alu 0xfffe
	s_or_b32 exec_lo, exec_lo, s3
	v_cmp_eq_u32_e64 s2, 0, v0
	s_and_saveexec_b32 s3, s2
	s_cbranch_execnz .LBB232_225
	s_branch .LBB232_226
	.section	.rodata,"a",@progbits
	.p2align	6, 0x0
	.amdhsa_kernel _ZN7rocprim17ROCPRIM_400000_NS6detail17trampoline_kernelINS0_14default_configENS1_22reduce_config_selectorIiEEZNS1_11reduce_implILb1ES3_PiS7_iN6hipcub16HIPCUB_304000_NS6detail34convert_binary_result_type_wrapperINS9_3SumENS9_22TransformInputIteratorIbN2at6native12_GLOBAL__N_19NonZeroOpIlEEPKllEEiEEEE10hipError_tPvRmT1_T2_T3_mT4_P12ihipStream_tbEUlT_E1_NS1_11comp_targetILNS1_3genE10ELNS1_11target_archE1201ELNS1_3gpuE5ELNS1_3repE0EEENS1_30default_config_static_selectorELNS0_4arch9wavefront6targetE0EEEvSQ_
		.amdhsa_group_segment_fixed_size 224
		.amdhsa_private_segment_fixed_size 0
		.amdhsa_kernarg_size 40
		.amdhsa_user_sgpr_count 2
		.amdhsa_user_sgpr_dispatch_ptr 0
		.amdhsa_user_sgpr_queue_ptr 0
		.amdhsa_user_sgpr_kernarg_segment_ptr 1
		.amdhsa_user_sgpr_dispatch_id 0
		.amdhsa_user_sgpr_private_segment_size 0
		.amdhsa_wavefront_size32 1
		.amdhsa_uses_dynamic_stack 0
		.amdhsa_enable_private_segment 0
		.amdhsa_system_sgpr_workgroup_id_x 1
		.amdhsa_system_sgpr_workgroup_id_y 0
		.amdhsa_system_sgpr_workgroup_id_z 0
		.amdhsa_system_sgpr_workgroup_info 0
		.amdhsa_system_vgpr_workitem_id 0
		.amdhsa_next_free_vgpr 34
		.amdhsa_next_free_sgpr 45
		.amdhsa_reserve_vcc 1
		.amdhsa_float_round_mode_32 0
		.amdhsa_float_round_mode_16_64 0
		.amdhsa_float_denorm_mode_32 3
		.amdhsa_float_denorm_mode_16_64 3
		.amdhsa_fp16_overflow 0
		.amdhsa_workgroup_processor_mode 1
		.amdhsa_memory_ordered 1
		.amdhsa_forward_progress 1
		.amdhsa_inst_pref_size 93
		.amdhsa_round_robin_scheduling 0
		.amdhsa_exception_fp_ieee_invalid_op 0
		.amdhsa_exception_fp_denorm_src 0
		.amdhsa_exception_fp_ieee_div_zero 0
		.amdhsa_exception_fp_ieee_overflow 0
		.amdhsa_exception_fp_ieee_underflow 0
		.amdhsa_exception_fp_ieee_inexact 0
		.amdhsa_exception_int_div_zero 0
	.end_amdhsa_kernel
	.section	.text._ZN7rocprim17ROCPRIM_400000_NS6detail17trampoline_kernelINS0_14default_configENS1_22reduce_config_selectorIiEEZNS1_11reduce_implILb1ES3_PiS7_iN6hipcub16HIPCUB_304000_NS6detail34convert_binary_result_type_wrapperINS9_3SumENS9_22TransformInputIteratorIbN2at6native12_GLOBAL__N_19NonZeroOpIlEEPKllEEiEEEE10hipError_tPvRmT1_T2_T3_mT4_P12ihipStream_tbEUlT_E1_NS1_11comp_targetILNS1_3genE10ELNS1_11target_archE1201ELNS1_3gpuE5ELNS1_3repE0EEENS1_30default_config_static_selectorELNS0_4arch9wavefront6targetE0EEEvSQ_,"axG",@progbits,_ZN7rocprim17ROCPRIM_400000_NS6detail17trampoline_kernelINS0_14default_configENS1_22reduce_config_selectorIiEEZNS1_11reduce_implILb1ES3_PiS7_iN6hipcub16HIPCUB_304000_NS6detail34convert_binary_result_type_wrapperINS9_3SumENS9_22TransformInputIteratorIbN2at6native12_GLOBAL__N_19NonZeroOpIlEEPKllEEiEEEE10hipError_tPvRmT1_T2_T3_mT4_P12ihipStream_tbEUlT_E1_NS1_11comp_targetILNS1_3genE10ELNS1_11target_archE1201ELNS1_3gpuE5ELNS1_3repE0EEENS1_30default_config_static_selectorELNS0_4arch9wavefront6targetE0EEEvSQ_,comdat
.Lfunc_end232:
	.size	_ZN7rocprim17ROCPRIM_400000_NS6detail17trampoline_kernelINS0_14default_configENS1_22reduce_config_selectorIiEEZNS1_11reduce_implILb1ES3_PiS7_iN6hipcub16HIPCUB_304000_NS6detail34convert_binary_result_type_wrapperINS9_3SumENS9_22TransformInputIteratorIbN2at6native12_GLOBAL__N_19NonZeroOpIlEEPKllEEiEEEE10hipError_tPvRmT1_T2_T3_mT4_P12ihipStream_tbEUlT_E1_NS1_11comp_targetILNS1_3genE10ELNS1_11target_archE1201ELNS1_3gpuE5ELNS1_3repE0EEENS1_30default_config_static_selectorELNS0_4arch9wavefront6targetE0EEEvSQ_, .Lfunc_end232-_ZN7rocprim17ROCPRIM_400000_NS6detail17trampoline_kernelINS0_14default_configENS1_22reduce_config_selectorIiEEZNS1_11reduce_implILb1ES3_PiS7_iN6hipcub16HIPCUB_304000_NS6detail34convert_binary_result_type_wrapperINS9_3SumENS9_22TransformInputIteratorIbN2at6native12_GLOBAL__N_19NonZeroOpIlEEPKllEEiEEEE10hipError_tPvRmT1_T2_T3_mT4_P12ihipStream_tbEUlT_E1_NS1_11comp_targetILNS1_3genE10ELNS1_11target_archE1201ELNS1_3gpuE5ELNS1_3repE0EEENS1_30default_config_static_selectorELNS0_4arch9wavefront6targetE0EEEvSQ_
                                        ; -- End function
	.set _ZN7rocprim17ROCPRIM_400000_NS6detail17trampoline_kernelINS0_14default_configENS1_22reduce_config_selectorIiEEZNS1_11reduce_implILb1ES3_PiS7_iN6hipcub16HIPCUB_304000_NS6detail34convert_binary_result_type_wrapperINS9_3SumENS9_22TransformInputIteratorIbN2at6native12_GLOBAL__N_19NonZeroOpIlEEPKllEEiEEEE10hipError_tPvRmT1_T2_T3_mT4_P12ihipStream_tbEUlT_E1_NS1_11comp_targetILNS1_3genE10ELNS1_11target_archE1201ELNS1_3gpuE5ELNS1_3repE0EEENS1_30default_config_static_selectorELNS0_4arch9wavefront6targetE0EEEvSQ_.num_vgpr, 34
	.set _ZN7rocprim17ROCPRIM_400000_NS6detail17trampoline_kernelINS0_14default_configENS1_22reduce_config_selectorIiEEZNS1_11reduce_implILb1ES3_PiS7_iN6hipcub16HIPCUB_304000_NS6detail34convert_binary_result_type_wrapperINS9_3SumENS9_22TransformInputIteratorIbN2at6native12_GLOBAL__N_19NonZeroOpIlEEPKllEEiEEEE10hipError_tPvRmT1_T2_T3_mT4_P12ihipStream_tbEUlT_E1_NS1_11comp_targetILNS1_3genE10ELNS1_11target_archE1201ELNS1_3gpuE5ELNS1_3repE0EEENS1_30default_config_static_selectorELNS0_4arch9wavefront6targetE0EEEvSQ_.num_agpr, 0
	.set _ZN7rocprim17ROCPRIM_400000_NS6detail17trampoline_kernelINS0_14default_configENS1_22reduce_config_selectorIiEEZNS1_11reduce_implILb1ES3_PiS7_iN6hipcub16HIPCUB_304000_NS6detail34convert_binary_result_type_wrapperINS9_3SumENS9_22TransformInputIteratorIbN2at6native12_GLOBAL__N_19NonZeroOpIlEEPKllEEiEEEE10hipError_tPvRmT1_T2_T3_mT4_P12ihipStream_tbEUlT_E1_NS1_11comp_targetILNS1_3genE10ELNS1_11target_archE1201ELNS1_3gpuE5ELNS1_3repE0EEENS1_30default_config_static_selectorELNS0_4arch9wavefront6targetE0EEEvSQ_.numbered_sgpr, 45
	.set _ZN7rocprim17ROCPRIM_400000_NS6detail17trampoline_kernelINS0_14default_configENS1_22reduce_config_selectorIiEEZNS1_11reduce_implILb1ES3_PiS7_iN6hipcub16HIPCUB_304000_NS6detail34convert_binary_result_type_wrapperINS9_3SumENS9_22TransformInputIteratorIbN2at6native12_GLOBAL__N_19NonZeroOpIlEEPKllEEiEEEE10hipError_tPvRmT1_T2_T3_mT4_P12ihipStream_tbEUlT_E1_NS1_11comp_targetILNS1_3genE10ELNS1_11target_archE1201ELNS1_3gpuE5ELNS1_3repE0EEENS1_30default_config_static_selectorELNS0_4arch9wavefront6targetE0EEEvSQ_.num_named_barrier, 0
	.set _ZN7rocprim17ROCPRIM_400000_NS6detail17trampoline_kernelINS0_14default_configENS1_22reduce_config_selectorIiEEZNS1_11reduce_implILb1ES3_PiS7_iN6hipcub16HIPCUB_304000_NS6detail34convert_binary_result_type_wrapperINS9_3SumENS9_22TransformInputIteratorIbN2at6native12_GLOBAL__N_19NonZeroOpIlEEPKllEEiEEEE10hipError_tPvRmT1_T2_T3_mT4_P12ihipStream_tbEUlT_E1_NS1_11comp_targetILNS1_3genE10ELNS1_11target_archE1201ELNS1_3gpuE5ELNS1_3repE0EEENS1_30default_config_static_selectorELNS0_4arch9wavefront6targetE0EEEvSQ_.private_seg_size, 0
	.set _ZN7rocprim17ROCPRIM_400000_NS6detail17trampoline_kernelINS0_14default_configENS1_22reduce_config_selectorIiEEZNS1_11reduce_implILb1ES3_PiS7_iN6hipcub16HIPCUB_304000_NS6detail34convert_binary_result_type_wrapperINS9_3SumENS9_22TransformInputIteratorIbN2at6native12_GLOBAL__N_19NonZeroOpIlEEPKllEEiEEEE10hipError_tPvRmT1_T2_T3_mT4_P12ihipStream_tbEUlT_E1_NS1_11comp_targetILNS1_3genE10ELNS1_11target_archE1201ELNS1_3gpuE5ELNS1_3repE0EEENS1_30default_config_static_selectorELNS0_4arch9wavefront6targetE0EEEvSQ_.uses_vcc, 1
	.set _ZN7rocprim17ROCPRIM_400000_NS6detail17trampoline_kernelINS0_14default_configENS1_22reduce_config_selectorIiEEZNS1_11reduce_implILb1ES3_PiS7_iN6hipcub16HIPCUB_304000_NS6detail34convert_binary_result_type_wrapperINS9_3SumENS9_22TransformInputIteratorIbN2at6native12_GLOBAL__N_19NonZeroOpIlEEPKllEEiEEEE10hipError_tPvRmT1_T2_T3_mT4_P12ihipStream_tbEUlT_E1_NS1_11comp_targetILNS1_3genE10ELNS1_11target_archE1201ELNS1_3gpuE5ELNS1_3repE0EEENS1_30default_config_static_selectorELNS0_4arch9wavefront6targetE0EEEvSQ_.uses_flat_scratch, 0
	.set _ZN7rocprim17ROCPRIM_400000_NS6detail17trampoline_kernelINS0_14default_configENS1_22reduce_config_selectorIiEEZNS1_11reduce_implILb1ES3_PiS7_iN6hipcub16HIPCUB_304000_NS6detail34convert_binary_result_type_wrapperINS9_3SumENS9_22TransformInputIteratorIbN2at6native12_GLOBAL__N_19NonZeroOpIlEEPKllEEiEEEE10hipError_tPvRmT1_T2_T3_mT4_P12ihipStream_tbEUlT_E1_NS1_11comp_targetILNS1_3genE10ELNS1_11target_archE1201ELNS1_3gpuE5ELNS1_3repE0EEENS1_30default_config_static_selectorELNS0_4arch9wavefront6targetE0EEEvSQ_.has_dyn_sized_stack, 0
	.set _ZN7rocprim17ROCPRIM_400000_NS6detail17trampoline_kernelINS0_14default_configENS1_22reduce_config_selectorIiEEZNS1_11reduce_implILb1ES3_PiS7_iN6hipcub16HIPCUB_304000_NS6detail34convert_binary_result_type_wrapperINS9_3SumENS9_22TransformInputIteratorIbN2at6native12_GLOBAL__N_19NonZeroOpIlEEPKllEEiEEEE10hipError_tPvRmT1_T2_T3_mT4_P12ihipStream_tbEUlT_E1_NS1_11comp_targetILNS1_3genE10ELNS1_11target_archE1201ELNS1_3gpuE5ELNS1_3repE0EEENS1_30default_config_static_selectorELNS0_4arch9wavefront6targetE0EEEvSQ_.has_recursion, 0
	.set _ZN7rocprim17ROCPRIM_400000_NS6detail17trampoline_kernelINS0_14default_configENS1_22reduce_config_selectorIiEEZNS1_11reduce_implILb1ES3_PiS7_iN6hipcub16HIPCUB_304000_NS6detail34convert_binary_result_type_wrapperINS9_3SumENS9_22TransformInputIteratorIbN2at6native12_GLOBAL__N_19NonZeroOpIlEEPKllEEiEEEE10hipError_tPvRmT1_T2_T3_mT4_P12ihipStream_tbEUlT_E1_NS1_11comp_targetILNS1_3genE10ELNS1_11target_archE1201ELNS1_3gpuE5ELNS1_3repE0EEENS1_30default_config_static_selectorELNS0_4arch9wavefront6targetE0EEEvSQ_.has_indirect_call, 0
	.section	.AMDGPU.csdata,"",@progbits
; Kernel info:
; codeLenInByte = 11904
; TotalNumSgprs: 47
; NumVgprs: 34
; ScratchSize: 0
; MemoryBound: 0
; FloatMode: 240
; IeeeMode: 1
; LDSByteSize: 224 bytes/workgroup (compile time only)
; SGPRBlocks: 0
; VGPRBlocks: 4
; NumSGPRsForWavesPerEU: 47
; NumVGPRsForWavesPerEU: 34
; Occupancy: 16
; WaveLimiterHint : 1
; COMPUTE_PGM_RSRC2:SCRATCH_EN: 0
; COMPUTE_PGM_RSRC2:USER_SGPR: 2
; COMPUTE_PGM_RSRC2:TRAP_HANDLER: 0
; COMPUTE_PGM_RSRC2:TGID_X_EN: 1
; COMPUTE_PGM_RSRC2:TGID_Y_EN: 0
; COMPUTE_PGM_RSRC2:TGID_Z_EN: 0
; COMPUTE_PGM_RSRC2:TIDIG_COMP_CNT: 0
	.section	.text._ZN7rocprim17ROCPRIM_400000_NS6detail17trampoline_kernelINS0_14default_configENS1_22reduce_config_selectorIiEEZNS1_11reduce_implILb1ES3_PiS7_iN6hipcub16HIPCUB_304000_NS6detail34convert_binary_result_type_wrapperINS9_3SumENS9_22TransformInputIteratorIbN2at6native12_GLOBAL__N_19NonZeroOpIlEEPKllEEiEEEE10hipError_tPvRmT1_T2_T3_mT4_P12ihipStream_tbEUlT_E1_NS1_11comp_targetILNS1_3genE10ELNS1_11target_archE1200ELNS1_3gpuE4ELNS1_3repE0EEENS1_30default_config_static_selectorELNS0_4arch9wavefront6targetE0EEEvSQ_,"axG",@progbits,_ZN7rocprim17ROCPRIM_400000_NS6detail17trampoline_kernelINS0_14default_configENS1_22reduce_config_selectorIiEEZNS1_11reduce_implILb1ES3_PiS7_iN6hipcub16HIPCUB_304000_NS6detail34convert_binary_result_type_wrapperINS9_3SumENS9_22TransformInputIteratorIbN2at6native12_GLOBAL__N_19NonZeroOpIlEEPKllEEiEEEE10hipError_tPvRmT1_T2_T3_mT4_P12ihipStream_tbEUlT_E1_NS1_11comp_targetILNS1_3genE10ELNS1_11target_archE1200ELNS1_3gpuE4ELNS1_3repE0EEENS1_30default_config_static_selectorELNS0_4arch9wavefront6targetE0EEEvSQ_,comdat
	.globl	_ZN7rocprim17ROCPRIM_400000_NS6detail17trampoline_kernelINS0_14default_configENS1_22reduce_config_selectorIiEEZNS1_11reduce_implILb1ES3_PiS7_iN6hipcub16HIPCUB_304000_NS6detail34convert_binary_result_type_wrapperINS9_3SumENS9_22TransformInputIteratorIbN2at6native12_GLOBAL__N_19NonZeroOpIlEEPKllEEiEEEE10hipError_tPvRmT1_T2_T3_mT4_P12ihipStream_tbEUlT_E1_NS1_11comp_targetILNS1_3genE10ELNS1_11target_archE1200ELNS1_3gpuE4ELNS1_3repE0EEENS1_30default_config_static_selectorELNS0_4arch9wavefront6targetE0EEEvSQ_ ; -- Begin function _ZN7rocprim17ROCPRIM_400000_NS6detail17trampoline_kernelINS0_14default_configENS1_22reduce_config_selectorIiEEZNS1_11reduce_implILb1ES3_PiS7_iN6hipcub16HIPCUB_304000_NS6detail34convert_binary_result_type_wrapperINS9_3SumENS9_22TransformInputIteratorIbN2at6native12_GLOBAL__N_19NonZeroOpIlEEPKllEEiEEEE10hipError_tPvRmT1_T2_T3_mT4_P12ihipStream_tbEUlT_E1_NS1_11comp_targetILNS1_3genE10ELNS1_11target_archE1200ELNS1_3gpuE4ELNS1_3repE0EEENS1_30default_config_static_selectorELNS0_4arch9wavefront6targetE0EEEvSQ_
	.p2align	8
	.type	_ZN7rocprim17ROCPRIM_400000_NS6detail17trampoline_kernelINS0_14default_configENS1_22reduce_config_selectorIiEEZNS1_11reduce_implILb1ES3_PiS7_iN6hipcub16HIPCUB_304000_NS6detail34convert_binary_result_type_wrapperINS9_3SumENS9_22TransformInputIteratorIbN2at6native12_GLOBAL__N_19NonZeroOpIlEEPKllEEiEEEE10hipError_tPvRmT1_T2_T3_mT4_P12ihipStream_tbEUlT_E1_NS1_11comp_targetILNS1_3genE10ELNS1_11target_archE1200ELNS1_3gpuE4ELNS1_3repE0EEENS1_30default_config_static_selectorELNS0_4arch9wavefront6targetE0EEEvSQ_,@function
_ZN7rocprim17ROCPRIM_400000_NS6detail17trampoline_kernelINS0_14default_configENS1_22reduce_config_selectorIiEEZNS1_11reduce_implILb1ES3_PiS7_iN6hipcub16HIPCUB_304000_NS6detail34convert_binary_result_type_wrapperINS9_3SumENS9_22TransformInputIteratorIbN2at6native12_GLOBAL__N_19NonZeroOpIlEEPKllEEiEEEE10hipError_tPvRmT1_T2_T3_mT4_P12ihipStream_tbEUlT_E1_NS1_11comp_targetILNS1_3genE10ELNS1_11target_archE1200ELNS1_3gpuE4ELNS1_3repE0EEENS1_30default_config_static_selectorELNS0_4arch9wavefront6targetE0EEEvSQ_: ; @_ZN7rocprim17ROCPRIM_400000_NS6detail17trampoline_kernelINS0_14default_configENS1_22reduce_config_selectorIiEEZNS1_11reduce_implILb1ES3_PiS7_iN6hipcub16HIPCUB_304000_NS6detail34convert_binary_result_type_wrapperINS9_3SumENS9_22TransformInputIteratorIbN2at6native12_GLOBAL__N_19NonZeroOpIlEEPKllEEiEEEE10hipError_tPvRmT1_T2_T3_mT4_P12ihipStream_tbEUlT_E1_NS1_11comp_targetILNS1_3genE10ELNS1_11target_archE1200ELNS1_3gpuE4ELNS1_3repE0EEENS1_30default_config_static_selectorELNS0_4arch9wavefront6targetE0EEEvSQ_
; %bb.0:
	.section	.rodata,"a",@progbits
	.p2align	6, 0x0
	.amdhsa_kernel _ZN7rocprim17ROCPRIM_400000_NS6detail17trampoline_kernelINS0_14default_configENS1_22reduce_config_selectorIiEEZNS1_11reduce_implILb1ES3_PiS7_iN6hipcub16HIPCUB_304000_NS6detail34convert_binary_result_type_wrapperINS9_3SumENS9_22TransformInputIteratorIbN2at6native12_GLOBAL__N_19NonZeroOpIlEEPKllEEiEEEE10hipError_tPvRmT1_T2_T3_mT4_P12ihipStream_tbEUlT_E1_NS1_11comp_targetILNS1_3genE10ELNS1_11target_archE1200ELNS1_3gpuE4ELNS1_3repE0EEENS1_30default_config_static_selectorELNS0_4arch9wavefront6targetE0EEEvSQ_
		.amdhsa_group_segment_fixed_size 0
		.amdhsa_private_segment_fixed_size 0
		.amdhsa_kernarg_size 40
		.amdhsa_user_sgpr_count 2
		.amdhsa_user_sgpr_dispatch_ptr 0
		.amdhsa_user_sgpr_queue_ptr 0
		.amdhsa_user_sgpr_kernarg_segment_ptr 1
		.amdhsa_user_sgpr_dispatch_id 0
		.amdhsa_user_sgpr_private_segment_size 0
		.amdhsa_wavefront_size32 1
		.amdhsa_uses_dynamic_stack 0
		.amdhsa_enable_private_segment 0
		.amdhsa_system_sgpr_workgroup_id_x 1
		.amdhsa_system_sgpr_workgroup_id_y 0
		.amdhsa_system_sgpr_workgroup_id_z 0
		.amdhsa_system_sgpr_workgroup_info 0
		.amdhsa_system_vgpr_workitem_id 0
		.amdhsa_next_free_vgpr 1
		.amdhsa_next_free_sgpr 1
		.amdhsa_reserve_vcc 0
		.amdhsa_float_round_mode_32 0
		.amdhsa_float_round_mode_16_64 0
		.amdhsa_float_denorm_mode_32 3
		.amdhsa_float_denorm_mode_16_64 3
		.amdhsa_fp16_overflow 0
		.amdhsa_workgroup_processor_mode 1
		.amdhsa_memory_ordered 1
		.amdhsa_forward_progress 1
		.amdhsa_inst_pref_size 0
		.amdhsa_round_robin_scheduling 0
		.amdhsa_exception_fp_ieee_invalid_op 0
		.amdhsa_exception_fp_denorm_src 0
		.amdhsa_exception_fp_ieee_div_zero 0
		.amdhsa_exception_fp_ieee_overflow 0
		.amdhsa_exception_fp_ieee_underflow 0
		.amdhsa_exception_fp_ieee_inexact 0
		.amdhsa_exception_int_div_zero 0
	.end_amdhsa_kernel
	.section	.text._ZN7rocprim17ROCPRIM_400000_NS6detail17trampoline_kernelINS0_14default_configENS1_22reduce_config_selectorIiEEZNS1_11reduce_implILb1ES3_PiS7_iN6hipcub16HIPCUB_304000_NS6detail34convert_binary_result_type_wrapperINS9_3SumENS9_22TransformInputIteratorIbN2at6native12_GLOBAL__N_19NonZeroOpIlEEPKllEEiEEEE10hipError_tPvRmT1_T2_T3_mT4_P12ihipStream_tbEUlT_E1_NS1_11comp_targetILNS1_3genE10ELNS1_11target_archE1200ELNS1_3gpuE4ELNS1_3repE0EEENS1_30default_config_static_selectorELNS0_4arch9wavefront6targetE0EEEvSQ_,"axG",@progbits,_ZN7rocprim17ROCPRIM_400000_NS6detail17trampoline_kernelINS0_14default_configENS1_22reduce_config_selectorIiEEZNS1_11reduce_implILb1ES3_PiS7_iN6hipcub16HIPCUB_304000_NS6detail34convert_binary_result_type_wrapperINS9_3SumENS9_22TransformInputIteratorIbN2at6native12_GLOBAL__N_19NonZeroOpIlEEPKllEEiEEEE10hipError_tPvRmT1_T2_T3_mT4_P12ihipStream_tbEUlT_E1_NS1_11comp_targetILNS1_3genE10ELNS1_11target_archE1200ELNS1_3gpuE4ELNS1_3repE0EEENS1_30default_config_static_selectorELNS0_4arch9wavefront6targetE0EEEvSQ_,comdat
.Lfunc_end233:
	.size	_ZN7rocprim17ROCPRIM_400000_NS6detail17trampoline_kernelINS0_14default_configENS1_22reduce_config_selectorIiEEZNS1_11reduce_implILb1ES3_PiS7_iN6hipcub16HIPCUB_304000_NS6detail34convert_binary_result_type_wrapperINS9_3SumENS9_22TransformInputIteratorIbN2at6native12_GLOBAL__N_19NonZeroOpIlEEPKllEEiEEEE10hipError_tPvRmT1_T2_T3_mT4_P12ihipStream_tbEUlT_E1_NS1_11comp_targetILNS1_3genE10ELNS1_11target_archE1200ELNS1_3gpuE4ELNS1_3repE0EEENS1_30default_config_static_selectorELNS0_4arch9wavefront6targetE0EEEvSQ_, .Lfunc_end233-_ZN7rocprim17ROCPRIM_400000_NS6detail17trampoline_kernelINS0_14default_configENS1_22reduce_config_selectorIiEEZNS1_11reduce_implILb1ES3_PiS7_iN6hipcub16HIPCUB_304000_NS6detail34convert_binary_result_type_wrapperINS9_3SumENS9_22TransformInputIteratorIbN2at6native12_GLOBAL__N_19NonZeroOpIlEEPKllEEiEEEE10hipError_tPvRmT1_T2_T3_mT4_P12ihipStream_tbEUlT_E1_NS1_11comp_targetILNS1_3genE10ELNS1_11target_archE1200ELNS1_3gpuE4ELNS1_3repE0EEENS1_30default_config_static_selectorELNS0_4arch9wavefront6targetE0EEEvSQ_
                                        ; -- End function
	.set _ZN7rocprim17ROCPRIM_400000_NS6detail17trampoline_kernelINS0_14default_configENS1_22reduce_config_selectorIiEEZNS1_11reduce_implILb1ES3_PiS7_iN6hipcub16HIPCUB_304000_NS6detail34convert_binary_result_type_wrapperINS9_3SumENS9_22TransformInputIteratorIbN2at6native12_GLOBAL__N_19NonZeroOpIlEEPKllEEiEEEE10hipError_tPvRmT1_T2_T3_mT4_P12ihipStream_tbEUlT_E1_NS1_11comp_targetILNS1_3genE10ELNS1_11target_archE1200ELNS1_3gpuE4ELNS1_3repE0EEENS1_30default_config_static_selectorELNS0_4arch9wavefront6targetE0EEEvSQ_.num_vgpr, 0
	.set _ZN7rocprim17ROCPRIM_400000_NS6detail17trampoline_kernelINS0_14default_configENS1_22reduce_config_selectorIiEEZNS1_11reduce_implILb1ES3_PiS7_iN6hipcub16HIPCUB_304000_NS6detail34convert_binary_result_type_wrapperINS9_3SumENS9_22TransformInputIteratorIbN2at6native12_GLOBAL__N_19NonZeroOpIlEEPKllEEiEEEE10hipError_tPvRmT1_T2_T3_mT4_P12ihipStream_tbEUlT_E1_NS1_11comp_targetILNS1_3genE10ELNS1_11target_archE1200ELNS1_3gpuE4ELNS1_3repE0EEENS1_30default_config_static_selectorELNS0_4arch9wavefront6targetE0EEEvSQ_.num_agpr, 0
	.set _ZN7rocprim17ROCPRIM_400000_NS6detail17trampoline_kernelINS0_14default_configENS1_22reduce_config_selectorIiEEZNS1_11reduce_implILb1ES3_PiS7_iN6hipcub16HIPCUB_304000_NS6detail34convert_binary_result_type_wrapperINS9_3SumENS9_22TransformInputIteratorIbN2at6native12_GLOBAL__N_19NonZeroOpIlEEPKllEEiEEEE10hipError_tPvRmT1_T2_T3_mT4_P12ihipStream_tbEUlT_E1_NS1_11comp_targetILNS1_3genE10ELNS1_11target_archE1200ELNS1_3gpuE4ELNS1_3repE0EEENS1_30default_config_static_selectorELNS0_4arch9wavefront6targetE0EEEvSQ_.numbered_sgpr, 0
	.set _ZN7rocprim17ROCPRIM_400000_NS6detail17trampoline_kernelINS0_14default_configENS1_22reduce_config_selectorIiEEZNS1_11reduce_implILb1ES3_PiS7_iN6hipcub16HIPCUB_304000_NS6detail34convert_binary_result_type_wrapperINS9_3SumENS9_22TransformInputIteratorIbN2at6native12_GLOBAL__N_19NonZeroOpIlEEPKllEEiEEEE10hipError_tPvRmT1_T2_T3_mT4_P12ihipStream_tbEUlT_E1_NS1_11comp_targetILNS1_3genE10ELNS1_11target_archE1200ELNS1_3gpuE4ELNS1_3repE0EEENS1_30default_config_static_selectorELNS0_4arch9wavefront6targetE0EEEvSQ_.num_named_barrier, 0
	.set _ZN7rocprim17ROCPRIM_400000_NS6detail17trampoline_kernelINS0_14default_configENS1_22reduce_config_selectorIiEEZNS1_11reduce_implILb1ES3_PiS7_iN6hipcub16HIPCUB_304000_NS6detail34convert_binary_result_type_wrapperINS9_3SumENS9_22TransformInputIteratorIbN2at6native12_GLOBAL__N_19NonZeroOpIlEEPKllEEiEEEE10hipError_tPvRmT1_T2_T3_mT4_P12ihipStream_tbEUlT_E1_NS1_11comp_targetILNS1_3genE10ELNS1_11target_archE1200ELNS1_3gpuE4ELNS1_3repE0EEENS1_30default_config_static_selectorELNS0_4arch9wavefront6targetE0EEEvSQ_.private_seg_size, 0
	.set _ZN7rocprim17ROCPRIM_400000_NS6detail17trampoline_kernelINS0_14default_configENS1_22reduce_config_selectorIiEEZNS1_11reduce_implILb1ES3_PiS7_iN6hipcub16HIPCUB_304000_NS6detail34convert_binary_result_type_wrapperINS9_3SumENS9_22TransformInputIteratorIbN2at6native12_GLOBAL__N_19NonZeroOpIlEEPKllEEiEEEE10hipError_tPvRmT1_T2_T3_mT4_P12ihipStream_tbEUlT_E1_NS1_11comp_targetILNS1_3genE10ELNS1_11target_archE1200ELNS1_3gpuE4ELNS1_3repE0EEENS1_30default_config_static_selectorELNS0_4arch9wavefront6targetE0EEEvSQ_.uses_vcc, 0
	.set _ZN7rocprim17ROCPRIM_400000_NS6detail17trampoline_kernelINS0_14default_configENS1_22reduce_config_selectorIiEEZNS1_11reduce_implILb1ES3_PiS7_iN6hipcub16HIPCUB_304000_NS6detail34convert_binary_result_type_wrapperINS9_3SumENS9_22TransformInputIteratorIbN2at6native12_GLOBAL__N_19NonZeroOpIlEEPKllEEiEEEE10hipError_tPvRmT1_T2_T3_mT4_P12ihipStream_tbEUlT_E1_NS1_11comp_targetILNS1_3genE10ELNS1_11target_archE1200ELNS1_3gpuE4ELNS1_3repE0EEENS1_30default_config_static_selectorELNS0_4arch9wavefront6targetE0EEEvSQ_.uses_flat_scratch, 0
	.set _ZN7rocprim17ROCPRIM_400000_NS6detail17trampoline_kernelINS0_14default_configENS1_22reduce_config_selectorIiEEZNS1_11reduce_implILb1ES3_PiS7_iN6hipcub16HIPCUB_304000_NS6detail34convert_binary_result_type_wrapperINS9_3SumENS9_22TransformInputIteratorIbN2at6native12_GLOBAL__N_19NonZeroOpIlEEPKllEEiEEEE10hipError_tPvRmT1_T2_T3_mT4_P12ihipStream_tbEUlT_E1_NS1_11comp_targetILNS1_3genE10ELNS1_11target_archE1200ELNS1_3gpuE4ELNS1_3repE0EEENS1_30default_config_static_selectorELNS0_4arch9wavefront6targetE0EEEvSQ_.has_dyn_sized_stack, 0
	.set _ZN7rocprim17ROCPRIM_400000_NS6detail17trampoline_kernelINS0_14default_configENS1_22reduce_config_selectorIiEEZNS1_11reduce_implILb1ES3_PiS7_iN6hipcub16HIPCUB_304000_NS6detail34convert_binary_result_type_wrapperINS9_3SumENS9_22TransformInputIteratorIbN2at6native12_GLOBAL__N_19NonZeroOpIlEEPKllEEiEEEE10hipError_tPvRmT1_T2_T3_mT4_P12ihipStream_tbEUlT_E1_NS1_11comp_targetILNS1_3genE10ELNS1_11target_archE1200ELNS1_3gpuE4ELNS1_3repE0EEENS1_30default_config_static_selectorELNS0_4arch9wavefront6targetE0EEEvSQ_.has_recursion, 0
	.set _ZN7rocprim17ROCPRIM_400000_NS6detail17trampoline_kernelINS0_14default_configENS1_22reduce_config_selectorIiEEZNS1_11reduce_implILb1ES3_PiS7_iN6hipcub16HIPCUB_304000_NS6detail34convert_binary_result_type_wrapperINS9_3SumENS9_22TransformInputIteratorIbN2at6native12_GLOBAL__N_19NonZeroOpIlEEPKllEEiEEEE10hipError_tPvRmT1_T2_T3_mT4_P12ihipStream_tbEUlT_E1_NS1_11comp_targetILNS1_3genE10ELNS1_11target_archE1200ELNS1_3gpuE4ELNS1_3repE0EEENS1_30default_config_static_selectorELNS0_4arch9wavefront6targetE0EEEvSQ_.has_indirect_call, 0
	.section	.AMDGPU.csdata,"",@progbits
; Kernel info:
; codeLenInByte = 0
; TotalNumSgprs: 0
; NumVgprs: 0
; ScratchSize: 0
; MemoryBound: 0
; FloatMode: 240
; IeeeMode: 1
; LDSByteSize: 0 bytes/workgroup (compile time only)
; SGPRBlocks: 0
; VGPRBlocks: 0
; NumSGPRsForWavesPerEU: 1
; NumVGPRsForWavesPerEU: 1
; Occupancy: 16
; WaveLimiterHint : 0
; COMPUTE_PGM_RSRC2:SCRATCH_EN: 0
; COMPUTE_PGM_RSRC2:USER_SGPR: 2
; COMPUTE_PGM_RSRC2:TRAP_HANDLER: 0
; COMPUTE_PGM_RSRC2:TGID_X_EN: 1
; COMPUTE_PGM_RSRC2:TGID_Y_EN: 0
; COMPUTE_PGM_RSRC2:TGID_Z_EN: 0
; COMPUTE_PGM_RSRC2:TIDIG_COMP_CNT: 0
	.section	.text._ZN7rocprim17ROCPRIM_400000_NS6detail17trampoline_kernelINS0_14default_configENS1_22reduce_config_selectorIiEEZNS1_11reduce_implILb1ES3_PiS7_iN6hipcub16HIPCUB_304000_NS6detail34convert_binary_result_type_wrapperINS9_3SumENS9_22TransformInputIteratorIbN2at6native12_GLOBAL__N_19NonZeroOpIlEEPKllEEiEEEE10hipError_tPvRmT1_T2_T3_mT4_P12ihipStream_tbEUlT_E1_NS1_11comp_targetILNS1_3genE9ELNS1_11target_archE1100ELNS1_3gpuE3ELNS1_3repE0EEENS1_30default_config_static_selectorELNS0_4arch9wavefront6targetE0EEEvSQ_,"axG",@progbits,_ZN7rocprim17ROCPRIM_400000_NS6detail17trampoline_kernelINS0_14default_configENS1_22reduce_config_selectorIiEEZNS1_11reduce_implILb1ES3_PiS7_iN6hipcub16HIPCUB_304000_NS6detail34convert_binary_result_type_wrapperINS9_3SumENS9_22TransformInputIteratorIbN2at6native12_GLOBAL__N_19NonZeroOpIlEEPKllEEiEEEE10hipError_tPvRmT1_T2_T3_mT4_P12ihipStream_tbEUlT_E1_NS1_11comp_targetILNS1_3genE9ELNS1_11target_archE1100ELNS1_3gpuE3ELNS1_3repE0EEENS1_30default_config_static_selectorELNS0_4arch9wavefront6targetE0EEEvSQ_,comdat
	.globl	_ZN7rocprim17ROCPRIM_400000_NS6detail17trampoline_kernelINS0_14default_configENS1_22reduce_config_selectorIiEEZNS1_11reduce_implILb1ES3_PiS7_iN6hipcub16HIPCUB_304000_NS6detail34convert_binary_result_type_wrapperINS9_3SumENS9_22TransformInputIteratorIbN2at6native12_GLOBAL__N_19NonZeroOpIlEEPKllEEiEEEE10hipError_tPvRmT1_T2_T3_mT4_P12ihipStream_tbEUlT_E1_NS1_11comp_targetILNS1_3genE9ELNS1_11target_archE1100ELNS1_3gpuE3ELNS1_3repE0EEENS1_30default_config_static_selectorELNS0_4arch9wavefront6targetE0EEEvSQ_ ; -- Begin function _ZN7rocprim17ROCPRIM_400000_NS6detail17trampoline_kernelINS0_14default_configENS1_22reduce_config_selectorIiEEZNS1_11reduce_implILb1ES3_PiS7_iN6hipcub16HIPCUB_304000_NS6detail34convert_binary_result_type_wrapperINS9_3SumENS9_22TransformInputIteratorIbN2at6native12_GLOBAL__N_19NonZeroOpIlEEPKllEEiEEEE10hipError_tPvRmT1_T2_T3_mT4_P12ihipStream_tbEUlT_E1_NS1_11comp_targetILNS1_3genE9ELNS1_11target_archE1100ELNS1_3gpuE3ELNS1_3repE0EEENS1_30default_config_static_selectorELNS0_4arch9wavefront6targetE0EEEvSQ_
	.p2align	8
	.type	_ZN7rocprim17ROCPRIM_400000_NS6detail17trampoline_kernelINS0_14default_configENS1_22reduce_config_selectorIiEEZNS1_11reduce_implILb1ES3_PiS7_iN6hipcub16HIPCUB_304000_NS6detail34convert_binary_result_type_wrapperINS9_3SumENS9_22TransformInputIteratorIbN2at6native12_GLOBAL__N_19NonZeroOpIlEEPKllEEiEEEE10hipError_tPvRmT1_T2_T3_mT4_P12ihipStream_tbEUlT_E1_NS1_11comp_targetILNS1_3genE9ELNS1_11target_archE1100ELNS1_3gpuE3ELNS1_3repE0EEENS1_30default_config_static_selectorELNS0_4arch9wavefront6targetE0EEEvSQ_,@function
_ZN7rocprim17ROCPRIM_400000_NS6detail17trampoline_kernelINS0_14default_configENS1_22reduce_config_selectorIiEEZNS1_11reduce_implILb1ES3_PiS7_iN6hipcub16HIPCUB_304000_NS6detail34convert_binary_result_type_wrapperINS9_3SumENS9_22TransformInputIteratorIbN2at6native12_GLOBAL__N_19NonZeroOpIlEEPKllEEiEEEE10hipError_tPvRmT1_T2_T3_mT4_P12ihipStream_tbEUlT_E1_NS1_11comp_targetILNS1_3genE9ELNS1_11target_archE1100ELNS1_3gpuE3ELNS1_3repE0EEENS1_30default_config_static_selectorELNS0_4arch9wavefront6targetE0EEEvSQ_: ; @_ZN7rocprim17ROCPRIM_400000_NS6detail17trampoline_kernelINS0_14default_configENS1_22reduce_config_selectorIiEEZNS1_11reduce_implILb1ES3_PiS7_iN6hipcub16HIPCUB_304000_NS6detail34convert_binary_result_type_wrapperINS9_3SumENS9_22TransformInputIteratorIbN2at6native12_GLOBAL__N_19NonZeroOpIlEEPKllEEiEEEE10hipError_tPvRmT1_T2_T3_mT4_P12ihipStream_tbEUlT_E1_NS1_11comp_targetILNS1_3genE9ELNS1_11target_archE1100ELNS1_3gpuE3ELNS1_3repE0EEENS1_30default_config_static_selectorELNS0_4arch9wavefront6targetE0EEEvSQ_
; %bb.0:
	.section	.rodata,"a",@progbits
	.p2align	6, 0x0
	.amdhsa_kernel _ZN7rocprim17ROCPRIM_400000_NS6detail17trampoline_kernelINS0_14default_configENS1_22reduce_config_selectorIiEEZNS1_11reduce_implILb1ES3_PiS7_iN6hipcub16HIPCUB_304000_NS6detail34convert_binary_result_type_wrapperINS9_3SumENS9_22TransformInputIteratorIbN2at6native12_GLOBAL__N_19NonZeroOpIlEEPKllEEiEEEE10hipError_tPvRmT1_T2_T3_mT4_P12ihipStream_tbEUlT_E1_NS1_11comp_targetILNS1_3genE9ELNS1_11target_archE1100ELNS1_3gpuE3ELNS1_3repE0EEENS1_30default_config_static_selectorELNS0_4arch9wavefront6targetE0EEEvSQ_
		.amdhsa_group_segment_fixed_size 0
		.amdhsa_private_segment_fixed_size 0
		.amdhsa_kernarg_size 40
		.amdhsa_user_sgpr_count 2
		.amdhsa_user_sgpr_dispatch_ptr 0
		.amdhsa_user_sgpr_queue_ptr 0
		.amdhsa_user_sgpr_kernarg_segment_ptr 1
		.amdhsa_user_sgpr_dispatch_id 0
		.amdhsa_user_sgpr_private_segment_size 0
		.amdhsa_wavefront_size32 1
		.amdhsa_uses_dynamic_stack 0
		.amdhsa_enable_private_segment 0
		.amdhsa_system_sgpr_workgroup_id_x 1
		.amdhsa_system_sgpr_workgroup_id_y 0
		.amdhsa_system_sgpr_workgroup_id_z 0
		.amdhsa_system_sgpr_workgroup_info 0
		.amdhsa_system_vgpr_workitem_id 0
		.amdhsa_next_free_vgpr 1
		.amdhsa_next_free_sgpr 1
		.amdhsa_reserve_vcc 0
		.amdhsa_float_round_mode_32 0
		.amdhsa_float_round_mode_16_64 0
		.amdhsa_float_denorm_mode_32 3
		.amdhsa_float_denorm_mode_16_64 3
		.amdhsa_fp16_overflow 0
		.amdhsa_workgroup_processor_mode 1
		.amdhsa_memory_ordered 1
		.amdhsa_forward_progress 1
		.amdhsa_inst_pref_size 0
		.amdhsa_round_robin_scheduling 0
		.amdhsa_exception_fp_ieee_invalid_op 0
		.amdhsa_exception_fp_denorm_src 0
		.amdhsa_exception_fp_ieee_div_zero 0
		.amdhsa_exception_fp_ieee_overflow 0
		.amdhsa_exception_fp_ieee_underflow 0
		.amdhsa_exception_fp_ieee_inexact 0
		.amdhsa_exception_int_div_zero 0
	.end_amdhsa_kernel
	.section	.text._ZN7rocprim17ROCPRIM_400000_NS6detail17trampoline_kernelINS0_14default_configENS1_22reduce_config_selectorIiEEZNS1_11reduce_implILb1ES3_PiS7_iN6hipcub16HIPCUB_304000_NS6detail34convert_binary_result_type_wrapperINS9_3SumENS9_22TransformInputIteratorIbN2at6native12_GLOBAL__N_19NonZeroOpIlEEPKllEEiEEEE10hipError_tPvRmT1_T2_T3_mT4_P12ihipStream_tbEUlT_E1_NS1_11comp_targetILNS1_3genE9ELNS1_11target_archE1100ELNS1_3gpuE3ELNS1_3repE0EEENS1_30default_config_static_selectorELNS0_4arch9wavefront6targetE0EEEvSQ_,"axG",@progbits,_ZN7rocprim17ROCPRIM_400000_NS6detail17trampoline_kernelINS0_14default_configENS1_22reduce_config_selectorIiEEZNS1_11reduce_implILb1ES3_PiS7_iN6hipcub16HIPCUB_304000_NS6detail34convert_binary_result_type_wrapperINS9_3SumENS9_22TransformInputIteratorIbN2at6native12_GLOBAL__N_19NonZeroOpIlEEPKllEEiEEEE10hipError_tPvRmT1_T2_T3_mT4_P12ihipStream_tbEUlT_E1_NS1_11comp_targetILNS1_3genE9ELNS1_11target_archE1100ELNS1_3gpuE3ELNS1_3repE0EEENS1_30default_config_static_selectorELNS0_4arch9wavefront6targetE0EEEvSQ_,comdat
.Lfunc_end234:
	.size	_ZN7rocprim17ROCPRIM_400000_NS6detail17trampoline_kernelINS0_14default_configENS1_22reduce_config_selectorIiEEZNS1_11reduce_implILb1ES3_PiS7_iN6hipcub16HIPCUB_304000_NS6detail34convert_binary_result_type_wrapperINS9_3SumENS9_22TransformInputIteratorIbN2at6native12_GLOBAL__N_19NonZeroOpIlEEPKllEEiEEEE10hipError_tPvRmT1_T2_T3_mT4_P12ihipStream_tbEUlT_E1_NS1_11comp_targetILNS1_3genE9ELNS1_11target_archE1100ELNS1_3gpuE3ELNS1_3repE0EEENS1_30default_config_static_selectorELNS0_4arch9wavefront6targetE0EEEvSQ_, .Lfunc_end234-_ZN7rocprim17ROCPRIM_400000_NS6detail17trampoline_kernelINS0_14default_configENS1_22reduce_config_selectorIiEEZNS1_11reduce_implILb1ES3_PiS7_iN6hipcub16HIPCUB_304000_NS6detail34convert_binary_result_type_wrapperINS9_3SumENS9_22TransformInputIteratorIbN2at6native12_GLOBAL__N_19NonZeroOpIlEEPKllEEiEEEE10hipError_tPvRmT1_T2_T3_mT4_P12ihipStream_tbEUlT_E1_NS1_11comp_targetILNS1_3genE9ELNS1_11target_archE1100ELNS1_3gpuE3ELNS1_3repE0EEENS1_30default_config_static_selectorELNS0_4arch9wavefront6targetE0EEEvSQ_
                                        ; -- End function
	.set _ZN7rocprim17ROCPRIM_400000_NS6detail17trampoline_kernelINS0_14default_configENS1_22reduce_config_selectorIiEEZNS1_11reduce_implILb1ES3_PiS7_iN6hipcub16HIPCUB_304000_NS6detail34convert_binary_result_type_wrapperINS9_3SumENS9_22TransformInputIteratorIbN2at6native12_GLOBAL__N_19NonZeroOpIlEEPKllEEiEEEE10hipError_tPvRmT1_T2_T3_mT4_P12ihipStream_tbEUlT_E1_NS1_11comp_targetILNS1_3genE9ELNS1_11target_archE1100ELNS1_3gpuE3ELNS1_3repE0EEENS1_30default_config_static_selectorELNS0_4arch9wavefront6targetE0EEEvSQ_.num_vgpr, 0
	.set _ZN7rocprim17ROCPRIM_400000_NS6detail17trampoline_kernelINS0_14default_configENS1_22reduce_config_selectorIiEEZNS1_11reduce_implILb1ES3_PiS7_iN6hipcub16HIPCUB_304000_NS6detail34convert_binary_result_type_wrapperINS9_3SumENS9_22TransformInputIteratorIbN2at6native12_GLOBAL__N_19NonZeroOpIlEEPKllEEiEEEE10hipError_tPvRmT1_T2_T3_mT4_P12ihipStream_tbEUlT_E1_NS1_11comp_targetILNS1_3genE9ELNS1_11target_archE1100ELNS1_3gpuE3ELNS1_3repE0EEENS1_30default_config_static_selectorELNS0_4arch9wavefront6targetE0EEEvSQ_.num_agpr, 0
	.set _ZN7rocprim17ROCPRIM_400000_NS6detail17trampoline_kernelINS0_14default_configENS1_22reduce_config_selectorIiEEZNS1_11reduce_implILb1ES3_PiS7_iN6hipcub16HIPCUB_304000_NS6detail34convert_binary_result_type_wrapperINS9_3SumENS9_22TransformInputIteratorIbN2at6native12_GLOBAL__N_19NonZeroOpIlEEPKllEEiEEEE10hipError_tPvRmT1_T2_T3_mT4_P12ihipStream_tbEUlT_E1_NS1_11comp_targetILNS1_3genE9ELNS1_11target_archE1100ELNS1_3gpuE3ELNS1_3repE0EEENS1_30default_config_static_selectorELNS0_4arch9wavefront6targetE0EEEvSQ_.numbered_sgpr, 0
	.set _ZN7rocprim17ROCPRIM_400000_NS6detail17trampoline_kernelINS0_14default_configENS1_22reduce_config_selectorIiEEZNS1_11reduce_implILb1ES3_PiS7_iN6hipcub16HIPCUB_304000_NS6detail34convert_binary_result_type_wrapperINS9_3SumENS9_22TransformInputIteratorIbN2at6native12_GLOBAL__N_19NonZeroOpIlEEPKllEEiEEEE10hipError_tPvRmT1_T2_T3_mT4_P12ihipStream_tbEUlT_E1_NS1_11comp_targetILNS1_3genE9ELNS1_11target_archE1100ELNS1_3gpuE3ELNS1_3repE0EEENS1_30default_config_static_selectorELNS0_4arch9wavefront6targetE0EEEvSQ_.num_named_barrier, 0
	.set _ZN7rocprim17ROCPRIM_400000_NS6detail17trampoline_kernelINS0_14default_configENS1_22reduce_config_selectorIiEEZNS1_11reduce_implILb1ES3_PiS7_iN6hipcub16HIPCUB_304000_NS6detail34convert_binary_result_type_wrapperINS9_3SumENS9_22TransformInputIteratorIbN2at6native12_GLOBAL__N_19NonZeroOpIlEEPKllEEiEEEE10hipError_tPvRmT1_T2_T3_mT4_P12ihipStream_tbEUlT_E1_NS1_11comp_targetILNS1_3genE9ELNS1_11target_archE1100ELNS1_3gpuE3ELNS1_3repE0EEENS1_30default_config_static_selectorELNS0_4arch9wavefront6targetE0EEEvSQ_.private_seg_size, 0
	.set _ZN7rocprim17ROCPRIM_400000_NS6detail17trampoline_kernelINS0_14default_configENS1_22reduce_config_selectorIiEEZNS1_11reduce_implILb1ES3_PiS7_iN6hipcub16HIPCUB_304000_NS6detail34convert_binary_result_type_wrapperINS9_3SumENS9_22TransformInputIteratorIbN2at6native12_GLOBAL__N_19NonZeroOpIlEEPKllEEiEEEE10hipError_tPvRmT1_T2_T3_mT4_P12ihipStream_tbEUlT_E1_NS1_11comp_targetILNS1_3genE9ELNS1_11target_archE1100ELNS1_3gpuE3ELNS1_3repE0EEENS1_30default_config_static_selectorELNS0_4arch9wavefront6targetE0EEEvSQ_.uses_vcc, 0
	.set _ZN7rocprim17ROCPRIM_400000_NS6detail17trampoline_kernelINS0_14default_configENS1_22reduce_config_selectorIiEEZNS1_11reduce_implILb1ES3_PiS7_iN6hipcub16HIPCUB_304000_NS6detail34convert_binary_result_type_wrapperINS9_3SumENS9_22TransformInputIteratorIbN2at6native12_GLOBAL__N_19NonZeroOpIlEEPKllEEiEEEE10hipError_tPvRmT1_T2_T3_mT4_P12ihipStream_tbEUlT_E1_NS1_11comp_targetILNS1_3genE9ELNS1_11target_archE1100ELNS1_3gpuE3ELNS1_3repE0EEENS1_30default_config_static_selectorELNS0_4arch9wavefront6targetE0EEEvSQ_.uses_flat_scratch, 0
	.set _ZN7rocprim17ROCPRIM_400000_NS6detail17trampoline_kernelINS0_14default_configENS1_22reduce_config_selectorIiEEZNS1_11reduce_implILb1ES3_PiS7_iN6hipcub16HIPCUB_304000_NS6detail34convert_binary_result_type_wrapperINS9_3SumENS9_22TransformInputIteratorIbN2at6native12_GLOBAL__N_19NonZeroOpIlEEPKllEEiEEEE10hipError_tPvRmT1_T2_T3_mT4_P12ihipStream_tbEUlT_E1_NS1_11comp_targetILNS1_3genE9ELNS1_11target_archE1100ELNS1_3gpuE3ELNS1_3repE0EEENS1_30default_config_static_selectorELNS0_4arch9wavefront6targetE0EEEvSQ_.has_dyn_sized_stack, 0
	.set _ZN7rocprim17ROCPRIM_400000_NS6detail17trampoline_kernelINS0_14default_configENS1_22reduce_config_selectorIiEEZNS1_11reduce_implILb1ES3_PiS7_iN6hipcub16HIPCUB_304000_NS6detail34convert_binary_result_type_wrapperINS9_3SumENS9_22TransformInputIteratorIbN2at6native12_GLOBAL__N_19NonZeroOpIlEEPKllEEiEEEE10hipError_tPvRmT1_T2_T3_mT4_P12ihipStream_tbEUlT_E1_NS1_11comp_targetILNS1_3genE9ELNS1_11target_archE1100ELNS1_3gpuE3ELNS1_3repE0EEENS1_30default_config_static_selectorELNS0_4arch9wavefront6targetE0EEEvSQ_.has_recursion, 0
	.set _ZN7rocprim17ROCPRIM_400000_NS6detail17trampoline_kernelINS0_14default_configENS1_22reduce_config_selectorIiEEZNS1_11reduce_implILb1ES3_PiS7_iN6hipcub16HIPCUB_304000_NS6detail34convert_binary_result_type_wrapperINS9_3SumENS9_22TransformInputIteratorIbN2at6native12_GLOBAL__N_19NonZeroOpIlEEPKllEEiEEEE10hipError_tPvRmT1_T2_T3_mT4_P12ihipStream_tbEUlT_E1_NS1_11comp_targetILNS1_3genE9ELNS1_11target_archE1100ELNS1_3gpuE3ELNS1_3repE0EEENS1_30default_config_static_selectorELNS0_4arch9wavefront6targetE0EEEvSQ_.has_indirect_call, 0
	.section	.AMDGPU.csdata,"",@progbits
; Kernel info:
; codeLenInByte = 0
; TotalNumSgprs: 0
; NumVgprs: 0
; ScratchSize: 0
; MemoryBound: 0
; FloatMode: 240
; IeeeMode: 1
; LDSByteSize: 0 bytes/workgroup (compile time only)
; SGPRBlocks: 0
; VGPRBlocks: 0
; NumSGPRsForWavesPerEU: 1
; NumVGPRsForWavesPerEU: 1
; Occupancy: 16
; WaveLimiterHint : 0
; COMPUTE_PGM_RSRC2:SCRATCH_EN: 0
; COMPUTE_PGM_RSRC2:USER_SGPR: 2
; COMPUTE_PGM_RSRC2:TRAP_HANDLER: 0
; COMPUTE_PGM_RSRC2:TGID_X_EN: 1
; COMPUTE_PGM_RSRC2:TGID_Y_EN: 0
; COMPUTE_PGM_RSRC2:TGID_Z_EN: 0
; COMPUTE_PGM_RSRC2:TIDIG_COMP_CNT: 0
	.section	.text._ZN7rocprim17ROCPRIM_400000_NS6detail17trampoline_kernelINS0_14default_configENS1_22reduce_config_selectorIiEEZNS1_11reduce_implILb1ES3_PiS7_iN6hipcub16HIPCUB_304000_NS6detail34convert_binary_result_type_wrapperINS9_3SumENS9_22TransformInputIteratorIbN2at6native12_GLOBAL__N_19NonZeroOpIlEEPKllEEiEEEE10hipError_tPvRmT1_T2_T3_mT4_P12ihipStream_tbEUlT_E1_NS1_11comp_targetILNS1_3genE8ELNS1_11target_archE1030ELNS1_3gpuE2ELNS1_3repE0EEENS1_30default_config_static_selectorELNS0_4arch9wavefront6targetE0EEEvSQ_,"axG",@progbits,_ZN7rocprim17ROCPRIM_400000_NS6detail17trampoline_kernelINS0_14default_configENS1_22reduce_config_selectorIiEEZNS1_11reduce_implILb1ES3_PiS7_iN6hipcub16HIPCUB_304000_NS6detail34convert_binary_result_type_wrapperINS9_3SumENS9_22TransformInputIteratorIbN2at6native12_GLOBAL__N_19NonZeroOpIlEEPKllEEiEEEE10hipError_tPvRmT1_T2_T3_mT4_P12ihipStream_tbEUlT_E1_NS1_11comp_targetILNS1_3genE8ELNS1_11target_archE1030ELNS1_3gpuE2ELNS1_3repE0EEENS1_30default_config_static_selectorELNS0_4arch9wavefront6targetE0EEEvSQ_,comdat
	.globl	_ZN7rocprim17ROCPRIM_400000_NS6detail17trampoline_kernelINS0_14default_configENS1_22reduce_config_selectorIiEEZNS1_11reduce_implILb1ES3_PiS7_iN6hipcub16HIPCUB_304000_NS6detail34convert_binary_result_type_wrapperINS9_3SumENS9_22TransformInputIteratorIbN2at6native12_GLOBAL__N_19NonZeroOpIlEEPKllEEiEEEE10hipError_tPvRmT1_T2_T3_mT4_P12ihipStream_tbEUlT_E1_NS1_11comp_targetILNS1_3genE8ELNS1_11target_archE1030ELNS1_3gpuE2ELNS1_3repE0EEENS1_30default_config_static_selectorELNS0_4arch9wavefront6targetE0EEEvSQ_ ; -- Begin function _ZN7rocprim17ROCPRIM_400000_NS6detail17trampoline_kernelINS0_14default_configENS1_22reduce_config_selectorIiEEZNS1_11reduce_implILb1ES3_PiS7_iN6hipcub16HIPCUB_304000_NS6detail34convert_binary_result_type_wrapperINS9_3SumENS9_22TransformInputIteratorIbN2at6native12_GLOBAL__N_19NonZeroOpIlEEPKllEEiEEEE10hipError_tPvRmT1_T2_T3_mT4_P12ihipStream_tbEUlT_E1_NS1_11comp_targetILNS1_3genE8ELNS1_11target_archE1030ELNS1_3gpuE2ELNS1_3repE0EEENS1_30default_config_static_selectorELNS0_4arch9wavefront6targetE0EEEvSQ_
	.p2align	8
	.type	_ZN7rocprim17ROCPRIM_400000_NS6detail17trampoline_kernelINS0_14default_configENS1_22reduce_config_selectorIiEEZNS1_11reduce_implILb1ES3_PiS7_iN6hipcub16HIPCUB_304000_NS6detail34convert_binary_result_type_wrapperINS9_3SumENS9_22TransformInputIteratorIbN2at6native12_GLOBAL__N_19NonZeroOpIlEEPKllEEiEEEE10hipError_tPvRmT1_T2_T3_mT4_P12ihipStream_tbEUlT_E1_NS1_11comp_targetILNS1_3genE8ELNS1_11target_archE1030ELNS1_3gpuE2ELNS1_3repE0EEENS1_30default_config_static_selectorELNS0_4arch9wavefront6targetE0EEEvSQ_,@function
_ZN7rocprim17ROCPRIM_400000_NS6detail17trampoline_kernelINS0_14default_configENS1_22reduce_config_selectorIiEEZNS1_11reduce_implILb1ES3_PiS7_iN6hipcub16HIPCUB_304000_NS6detail34convert_binary_result_type_wrapperINS9_3SumENS9_22TransformInputIteratorIbN2at6native12_GLOBAL__N_19NonZeroOpIlEEPKllEEiEEEE10hipError_tPvRmT1_T2_T3_mT4_P12ihipStream_tbEUlT_E1_NS1_11comp_targetILNS1_3genE8ELNS1_11target_archE1030ELNS1_3gpuE2ELNS1_3repE0EEENS1_30default_config_static_selectorELNS0_4arch9wavefront6targetE0EEEvSQ_: ; @_ZN7rocprim17ROCPRIM_400000_NS6detail17trampoline_kernelINS0_14default_configENS1_22reduce_config_selectorIiEEZNS1_11reduce_implILb1ES3_PiS7_iN6hipcub16HIPCUB_304000_NS6detail34convert_binary_result_type_wrapperINS9_3SumENS9_22TransformInputIteratorIbN2at6native12_GLOBAL__N_19NonZeroOpIlEEPKllEEiEEEE10hipError_tPvRmT1_T2_T3_mT4_P12ihipStream_tbEUlT_E1_NS1_11comp_targetILNS1_3genE8ELNS1_11target_archE1030ELNS1_3gpuE2ELNS1_3repE0EEENS1_30default_config_static_selectorELNS0_4arch9wavefront6targetE0EEEvSQ_
; %bb.0:
	.section	.rodata,"a",@progbits
	.p2align	6, 0x0
	.amdhsa_kernel _ZN7rocprim17ROCPRIM_400000_NS6detail17trampoline_kernelINS0_14default_configENS1_22reduce_config_selectorIiEEZNS1_11reduce_implILb1ES3_PiS7_iN6hipcub16HIPCUB_304000_NS6detail34convert_binary_result_type_wrapperINS9_3SumENS9_22TransformInputIteratorIbN2at6native12_GLOBAL__N_19NonZeroOpIlEEPKllEEiEEEE10hipError_tPvRmT1_T2_T3_mT4_P12ihipStream_tbEUlT_E1_NS1_11comp_targetILNS1_3genE8ELNS1_11target_archE1030ELNS1_3gpuE2ELNS1_3repE0EEENS1_30default_config_static_selectorELNS0_4arch9wavefront6targetE0EEEvSQ_
		.amdhsa_group_segment_fixed_size 0
		.amdhsa_private_segment_fixed_size 0
		.amdhsa_kernarg_size 40
		.amdhsa_user_sgpr_count 2
		.amdhsa_user_sgpr_dispatch_ptr 0
		.amdhsa_user_sgpr_queue_ptr 0
		.amdhsa_user_sgpr_kernarg_segment_ptr 1
		.amdhsa_user_sgpr_dispatch_id 0
		.amdhsa_user_sgpr_private_segment_size 0
		.amdhsa_wavefront_size32 1
		.amdhsa_uses_dynamic_stack 0
		.amdhsa_enable_private_segment 0
		.amdhsa_system_sgpr_workgroup_id_x 1
		.amdhsa_system_sgpr_workgroup_id_y 0
		.amdhsa_system_sgpr_workgroup_id_z 0
		.amdhsa_system_sgpr_workgroup_info 0
		.amdhsa_system_vgpr_workitem_id 0
		.amdhsa_next_free_vgpr 1
		.amdhsa_next_free_sgpr 1
		.amdhsa_reserve_vcc 0
		.amdhsa_float_round_mode_32 0
		.amdhsa_float_round_mode_16_64 0
		.amdhsa_float_denorm_mode_32 3
		.amdhsa_float_denorm_mode_16_64 3
		.amdhsa_fp16_overflow 0
		.amdhsa_workgroup_processor_mode 1
		.amdhsa_memory_ordered 1
		.amdhsa_forward_progress 1
		.amdhsa_inst_pref_size 0
		.amdhsa_round_robin_scheduling 0
		.amdhsa_exception_fp_ieee_invalid_op 0
		.amdhsa_exception_fp_denorm_src 0
		.amdhsa_exception_fp_ieee_div_zero 0
		.amdhsa_exception_fp_ieee_overflow 0
		.amdhsa_exception_fp_ieee_underflow 0
		.amdhsa_exception_fp_ieee_inexact 0
		.amdhsa_exception_int_div_zero 0
	.end_amdhsa_kernel
	.section	.text._ZN7rocprim17ROCPRIM_400000_NS6detail17trampoline_kernelINS0_14default_configENS1_22reduce_config_selectorIiEEZNS1_11reduce_implILb1ES3_PiS7_iN6hipcub16HIPCUB_304000_NS6detail34convert_binary_result_type_wrapperINS9_3SumENS9_22TransformInputIteratorIbN2at6native12_GLOBAL__N_19NonZeroOpIlEEPKllEEiEEEE10hipError_tPvRmT1_T2_T3_mT4_P12ihipStream_tbEUlT_E1_NS1_11comp_targetILNS1_3genE8ELNS1_11target_archE1030ELNS1_3gpuE2ELNS1_3repE0EEENS1_30default_config_static_selectorELNS0_4arch9wavefront6targetE0EEEvSQ_,"axG",@progbits,_ZN7rocprim17ROCPRIM_400000_NS6detail17trampoline_kernelINS0_14default_configENS1_22reduce_config_selectorIiEEZNS1_11reduce_implILb1ES3_PiS7_iN6hipcub16HIPCUB_304000_NS6detail34convert_binary_result_type_wrapperINS9_3SumENS9_22TransformInputIteratorIbN2at6native12_GLOBAL__N_19NonZeroOpIlEEPKllEEiEEEE10hipError_tPvRmT1_T2_T3_mT4_P12ihipStream_tbEUlT_E1_NS1_11comp_targetILNS1_3genE8ELNS1_11target_archE1030ELNS1_3gpuE2ELNS1_3repE0EEENS1_30default_config_static_selectorELNS0_4arch9wavefront6targetE0EEEvSQ_,comdat
.Lfunc_end235:
	.size	_ZN7rocprim17ROCPRIM_400000_NS6detail17trampoline_kernelINS0_14default_configENS1_22reduce_config_selectorIiEEZNS1_11reduce_implILb1ES3_PiS7_iN6hipcub16HIPCUB_304000_NS6detail34convert_binary_result_type_wrapperINS9_3SumENS9_22TransformInputIteratorIbN2at6native12_GLOBAL__N_19NonZeroOpIlEEPKllEEiEEEE10hipError_tPvRmT1_T2_T3_mT4_P12ihipStream_tbEUlT_E1_NS1_11comp_targetILNS1_3genE8ELNS1_11target_archE1030ELNS1_3gpuE2ELNS1_3repE0EEENS1_30default_config_static_selectorELNS0_4arch9wavefront6targetE0EEEvSQ_, .Lfunc_end235-_ZN7rocprim17ROCPRIM_400000_NS6detail17trampoline_kernelINS0_14default_configENS1_22reduce_config_selectorIiEEZNS1_11reduce_implILb1ES3_PiS7_iN6hipcub16HIPCUB_304000_NS6detail34convert_binary_result_type_wrapperINS9_3SumENS9_22TransformInputIteratorIbN2at6native12_GLOBAL__N_19NonZeroOpIlEEPKllEEiEEEE10hipError_tPvRmT1_T2_T3_mT4_P12ihipStream_tbEUlT_E1_NS1_11comp_targetILNS1_3genE8ELNS1_11target_archE1030ELNS1_3gpuE2ELNS1_3repE0EEENS1_30default_config_static_selectorELNS0_4arch9wavefront6targetE0EEEvSQ_
                                        ; -- End function
	.set _ZN7rocprim17ROCPRIM_400000_NS6detail17trampoline_kernelINS0_14default_configENS1_22reduce_config_selectorIiEEZNS1_11reduce_implILb1ES3_PiS7_iN6hipcub16HIPCUB_304000_NS6detail34convert_binary_result_type_wrapperINS9_3SumENS9_22TransformInputIteratorIbN2at6native12_GLOBAL__N_19NonZeroOpIlEEPKllEEiEEEE10hipError_tPvRmT1_T2_T3_mT4_P12ihipStream_tbEUlT_E1_NS1_11comp_targetILNS1_3genE8ELNS1_11target_archE1030ELNS1_3gpuE2ELNS1_3repE0EEENS1_30default_config_static_selectorELNS0_4arch9wavefront6targetE0EEEvSQ_.num_vgpr, 0
	.set _ZN7rocprim17ROCPRIM_400000_NS6detail17trampoline_kernelINS0_14default_configENS1_22reduce_config_selectorIiEEZNS1_11reduce_implILb1ES3_PiS7_iN6hipcub16HIPCUB_304000_NS6detail34convert_binary_result_type_wrapperINS9_3SumENS9_22TransformInputIteratorIbN2at6native12_GLOBAL__N_19NonZeroOpIlEEPKllEEiEEEE10hipError_tPvRmT1_T2_T3_mT4_P12ihipStream_tbEUlT_E1_NS1_11comp_targetILNS1_3genE8ELNS1_11target_archE1030ELNS1_3gpuE2ELNS1_3repE0EEENS1_30default_config_static_selectorELNS0_4arch9wavefront6targetE0EEEvSQ_.num_agpr, 0
	.set _ZN7rocprim17ROCPRIM_400000_NS6detail17trampoline_kernelINS0_14default_configENS1_22reduce_config_selectorIiEEZNS1_11reduce_implILb1ES3_PiS7_iN6hipcub16HIPCUB_304000_NS6detail34convert_binary_result_type_wrapperINS9_3SumENS9_22TransformInputIteratorIbN2at6native12_GLOBAL__N_19NonZeroOpIlEEPKllEEiEEEE10hipError_tPvRmT1_T2_T3_mT4_P12ihipStream_tbEUlT_E1_NS1_11comp_targetILNS1_3genE8ELNS1_11target_archE1030ELNS1_3gpuE2ELNS1_3repE0EEENS1_30default_config_static_selectorELNS0_4arch9wavefront6targetE0EEEvSQ_.numbered_sgpr, 0
	.set _ZN7rocprim17ROCPRIM_400000_NS6detail17trampoline_kernelINS0_14default_configENS1_22reduce_config_selectorIiEEZNS1_11reduce_implILb1ES3_PiS7_iN6hipcub16HIPCUB_304000_NS6detail34convert_binary_result_type_wrapperINS9_3SumENS9_22TransformInputIteratorIbN2at6native12_GLOBAL__N_19NonZeroOpIlEEPKllEEiEEEE10hipError_tPvRmT1_T2_T3_mT4_P12ihipStream_tbEUlT_E1_NS1_11comp_targetILNS1_3genE8ELNS1_11target_archE1030ELNS1_3gpuE2ELNS1_3repE0EEENS1_30default_config_static_selectorELNS0_4arch9wavefront6targetE0EEEvSQ_.num_named_barrier, 0
	.set _ZN7rocprim17ROCPRIM_400000_NS6detail17trampoline_kernelINS0_14default_configENS1_22reduce_config_selectorIiEEZNS1_11reduce_implILb1ES3_PiS7_iN6hipcub16HIPCUB_304000_NS6detail34convert_binary_result_type_wrapperINS9_3SumENS9_22TransformInputIteratorIbN2at6native12_GLOBAL__N_19NonZeroOpIlEEPKllEEiEEEE10hipError_tPvRmT1_T2_T3_mT4_P12ihipStream_tbEUlT_E1_NS1_11comp_targetILNS1_3genE8ELNS1_11target_archE1030ELNS1_3gpuE2ELNS1_3repE0EEENS1_30default_config_static_selectorELNS0_4arch9wavefront6targetE0EEEvSQ_.private_seg_size, 0
	.set _ZN7rocprim17ROCPRIM_400000_NS6detail17trampoline_kernelINS0_14default_configENS1_22reduce_config_selectorIiEEZNS1_11reduce_implILb1ES3_PiS7_iN6hipcub16HIPCUB_304000_NS6detail34convert_binary_result_type_wrapperINS9_3SumENS9_22TransformInputIteratorIbN2at6native12_GLOBAL__N_19NonZeroOpIlEEPKllEEiEEEE10hipError_tPvRmT1_T2_T3_mT4_P12ihipStream_tbEUlT_E1_NS1_11comp_targetILNS1_3genE8ELNS1_11target_archE1030ELNS1_3gpuE2ELNS1_3repE0EEENS1_30default_config_static_selectorELNS0_4arch9wavefront6targetE0EEEvSQ_.uses_vcc, 0
	.set _ZN7rocprim17ROCPRIM_400000_NS6detail17trampoline_kernelINS0_14default_configENS1_22reduce_config_selectorIiEEZNS1_11reduce_implILb1ES3_PiS7_iN6hipcub16HIPCUB_304000_NS6detail34convert_binary_result_type_wrapperINS9_3SumENS9_22TransformInputIteratorIbN2at6native12_GLOBAL__N_19NonZeroOpIlEEPKllEEiEEEE10hipError_tPvRmT1_T2_T3_mT4_P12ihipStream_tbEUlT_E1_NS1_11comp_targetILNS1_3genE8ELNS1_11target_archE1030ELNS1_3gpuE2ELNS1_3repE0EEENS1_30default_config_static_selectorELNS0_4arch9wavefront6targetE0EEEvSQ_.uses_flat_scratch, 0
	.set _ZN7rocprim17ROCPRIM_400000_NS6detail17trampoline_kernelINS0_14default_configENS1_22reduce_config_selectorIiEEZNS1_11reduce_implILb1ES3_PiS7_iN6hipcub16HIPCUB_304000_NS6detail34convert_binary_result_type_wrapperINS9_3SumENS9_22TransformInputIteratorIbN2at6native12_GLOBAL__N_19NonZeroOpIlEEPKllEEiEEEE10hipError_tPvRmT1_T2_T3_mT4_P12ihipStream_tbEUlT_E1_NS1_11comp_targetILNS1_3genE8ELNS1_11target_archE1030ELNS1_3gpuE2ELNS1_3repE0EEENS1_30default_config_static_selectorELNS0_4arch9wavefront6targetE0EEEvSQ_.has_dyn_sized_stack, 0
	.set _ZN7rocprim17ROCPRIM_400000_NS6detail17trampoline_kernelINS0_14default_configENS1_22reduce_config_selectorIiEEZNS1_11reduce_implILb1ES3_PiS7_iN6hipcub16HIPCUB_304000_NS6detail34convert_binary_result_type_wrapperINS9_3SumENS9_22TransformInputIteratorIbN2at6native12_GLOBAL__N_19NonZeroOpIlEEPKllEEiEEEE10hipError_tPvRmT1_T2_T3_mT4_P12ihipStream_tbEUlT_E1_NS1_11comp_targetILNS1_3genE8ELNS1_11target_archE1030ELNS1_3gpuE2ELNS1_3repE0EEENS1_30default_config_static_selectorELNS0_4arch9wavefront6targetE0EEEvSQ_.has_recursion, 0
	.set _ZN7rocprim17ROCPRIM_400000_NS6detail17trampoline_kernelINS0_14default_configENS1_22reduce_config_selectorIiEEZNS1_11reduce_implILb1ES3_PiS7_iN6hipcub16HIPCUB_304000_NS6detail34convert_binary_result_type_wrapperINS9_3SumENS9_22TransformInputIteratorIbN2at6native12_GLOBAL__N_19NonZeroOpIlEEPKllEEiEEEE10hipError_tPvRmT1_T2_T3_mT4_P12ihipStream_tbEUlT_E1_NS1_11comp_targetILNS1_3genE8ELNS1_11target_archE1030ELNS1_3gpuE2ELNS1_3repE0EEENS1_30default_config_static_selectorELNS0_4arch9wavefront6targetE0EEEvSQ_.has_indirect_call, 0
	.section	.AMDGPU.csdata,"",@progbits
; Kernel info:
; codeLenInByte = 0
; TotalNumSgprs: 0
; NumVgprs: 0
; ScratchSize: 0
; MemoryBound: 0
; FloatMode: 240
; IeeeMode: 1
; LDSByteSize: 0 bytes/workgroup (compile time only)
; SGPRBlocks: 0
; VGPRBlocks: 0
; NumSGPRsForWavesPerEU: 1
; NumVGPRsForWavesPerEU: 1
; Occupancy: 16
; WaveLimiterHint : 0
; COMPUTE_PGM_RSRC2:SCRATCH_EN: 0
; COMPUTE_PGM_RSRC2:USER_SGPR: 2
; COMPUTE_PGM_RSRC2:TRAP_HANDLER: 0
; COMPUTE_PGM_RSRC2:TGID_X_EN: 1
; COMPUTE_PGM_RSRC2:TGID_Y_EN: 0
; COMPUTE_PGM_RSRC2:TGID_Z_EN: 0
; COMPUTE_PGM_RSRC2:TIDIG_COMP_CNT: 0
	.section	.text._ZN7rocprim17ROCPRIM_400000_NS6detail17trampoline_kernelINS0_14default_configENS1_22reduce_config_selectorIbEEZNS1_11reduce_implILb1ES3_N6hipcub16HIPCUB_304000_NS22TransformInputIteratorIbN2at6native12_GLOBAL__N_19NonZeroOpIlEEPKllEEPiiNS8_6detail34convert_binary_result_type_wrapperINS8_3SumESH_iEEEE10hipError_tPvRmT1_T2_T3_mT4_P12ihipStream_tbEUlT_E0_NS1_11comp_targetILNS1_3genE0ELNS1_11target_archE4294967295ELNS1_3gpuE0ELNS1_3repE0EEENS1_30default_config_static_selectorELNS0_4arch9wavefront6targetE0EEEvSQ_,"axG",@progbits,_ZN7rocprim17ROCPRIM_400000_NS6detail17trampoline_kernelINS0_14default_configENS1_22reduce_config_selectorIbEEZNS1_11reduce_implILb1ES3_N6hipcub16HIPCUB_304000_NS22TransformInputIteratorIbN2at6native12_GLOBAL__N_19NonZeroOpIlEEPKllEEPiiNS8_6detail34convert_binary_result_type_wrapperINS8_3SumESH_iEEEE10hipError_tPvRmT1_T2_T3_mT4_P12ihipStream_tbEUlT_E0_NS1_11comp_targetILNS1_3genE0ELNS1_11target_archE4294967295ELNS1_3gpuE0ELNS1_3repE0EEENS1_30default_config_static_selectorELNS0_4arch9wavefront6targetE0EEEvSQ_,comdat
	.globl	_ZN7rocprim17ROCPRIM_400000_NS6detail17trampoline_kernelINS0_14default_configENS1_22reduce_config_selectorIbEEZNS1_11reduce_implILb1ES3_N6hipcub16HIPCUB_304000_NS22TransformInputIteratorIbN2at6native12_GLOBAL__N_19NonZeroOpIlEEPKllEEPiiNS8_6detail34convert_binary_result_type_wrapperINS8_3SumESH_iEEEE10hipError_tPvRmT1_T2_T3_mT4_P12ihipStream_tbEUlT_E0_NS1_11comp_targetILNS1_3genE0ELNS1_11target_archE4294967295ELNS1_3gpuE0ELNS1_3repE0EEENS1_30default_config_static_selectorELNS0_4arch9wavefront6targetE0EEEvSQ_ ; -- Begin function _ZN7rocprim17ROCPRIM_400000_NS6detail17trampoline_kernelINS0_14default_configENS1_22reduce_config_selectorIbEEZNS1_11reduce_implILb1ES3_N6hipcub16HIPCUB_304000_NS22TransformInputIteratorIbN2at6native12_GLOBAL__N_19NonZeroOpIlEEPKllEEPiiNS8_6detail34convert_binary_result_type_wrapperINS8_3SumESH_iEEEE10hipError_tPvRmT1_T2_T3_mT4_P12ihipStream_tbEUlT_E0_NS1_11comp_targetILNS1_3genE0ELNS1_11target_archE4294967295ELNS1_3gpuE0ELNS1_3repE0EEENS1_30default_config_static_selectorELNS0_4arch9wavefront6targetE0EEEvSQ_
	.p2align	8
	.type	_ZN7rocprim17ROCPRIM_400000_NS6detail17trampoline_kernelINS0_14default_configENS1_22reduce_config_selectorIbEEZNS1_11reduce_implILb1ES3_N6hipcub16HIPCUB_304000_NS22TransformInputIteratorIbN2at6native12_GLOBAL__N_19NonZeroOpIlEEPKllEEPiiNS8_6detail34convert_binary_result_type_wrapperINS8_3SumESH_iEEEE10hipError_tPvRmT1_T2_T3_mT4_P12ihipStream_tbEUlT_E0_NS1_11comp_targetILNS1_3genE0ELNS1_11target_archE4294967295ELNS1_3gpuE0ELNS1_3repE0EEENS1_30default_config_static_selectorELNS0_4arch9wavefront6targetE0EEEvSQ_,@function
_ZN7rocprim17ROCPRIM_400000_NS6detail17trampoline_kernelINS0_14default_configENS1_22reduce_config_selectorIbEEZNS1_11reduce_implILb1ES3_N6hipcub16HIPCUB_304000_NS22TransformInputIteratorIbN2at6native12_GLOBAL__N_19NonZeroOpIlEEPKllEEPiiNS8_6detail34convert_binary_result_type_wrapperINS8_3SumESH_iEEEE10hipError_tPvRmT1_T2_T3_mT4_P12ihipStream_tbEUlT_E0_NS1_11comp_targetILNS1_3genE0ELNS1_11target_archE4294967295ELNS1_3gpuE0ELNS1_3repE0EEENS1_30default_config_static_selectorELNS0_4arch9wavefront6targetE0EEEvSQ_: ; @_ZN7rocprim17ROCPRIM_400000_NS6detail17trampoline_kernelINS0_14default_configENS1_22reduce_config_selectorIbEEZNS1_11reduce_implILb1ES3_N6hipcub16HIPCUB_304000_NS22TransformInputIteratorIbN2at6native12_GLOBAL__N_19NonZeroOpIlEEPKllEEPiiNS8_6detail34convert_binary_result_type_wrapperINS8_3SumESH_iEEEE10hipError_tPvRmT1_T2_T3_mT4_P12ihipStream_tbEUlT_E0_NS1_11comp_targetILNS1_3genE0ELNS1_11target_archE4294967295ELNS1_3gpuE0ELNS1_3repE0EEENS1_30default_config_static_selectorELNS0_4arch9wavefront6targetE0EEEvSQ_
; %bb.0:
	.section	.rodata,"a",@progbits
	.p2align	6, 0x0
	.amdhsa_kernel _ZN7rocprim17ROCPRIM_400000_NS6detail17trampoline_kernelINS0_14default_configENS1_22reduce_config_selectorIbEEZNS1_11reduce_implILb1ES3_N6hipcub16HIPCUB_304000_NS22TransformInputIteratorIbN2at6native12_GLOBAL__N_19NonZeroOpIlEEPKllEEPiiNS8_6detail34convert_binary_result_type_wrapperINS8_3SumESH_iEEEE10hipError_tPvRmT1_T2_T3_mT4_P12ihipStream_tbEUlT_E0_NS1_11comp_targetILNS1_3genE0ELNS1_11target_archE4294967295ELNS1_3gpuE0ELNS1_3repE0EEENS1_30default_config_static_selectorELNS0_4arch9wavefront6targetE0EEEvSQ_
		.amdhsa_group_segment_fixed_size 0
		.amdhsa_private_segment_fixed_size 0
		.amdhsa_kernarg_size 64
		.amdhsa_user_sgpr_count 2
		.amdhsa_user_sgpr_dispatch_ptr 0
		.amdhsa_user_sgpr_queue_ptr 0
		.amdhsa_user_sgpr_kernarg_segment_ptr 1
		.amdhsa_user_sgpr_dispatch_id 0
		.amdhsa_user_sgpr_private_segment_size 0
		.amdhsa_wavefront_size32 1
		.amdhsa_uses_dynamic_stack 0
		.amdhsa_enable_private_segment 0
		.amdhsa_system_sgpr_workgroup_id_x 1
		.amdhsa_system_sgpr_workgroup_id_y 0
		.amdhsa_system_sgpr_workgroup_id_z 0
		.amdhsa_system_sgpr_workgroup_info 0
		.amdhsa_system_vgpr_workitem_id 0
		.amdhsa_next_free_vgpr 1
		.amdhsa_next_free_sgpr 1
		.amdhsa_reserve_vcc 0
		.amdhsa_float_round_mode_32 0
		.amdhsa_float_round_mode_16_64 0
		.amdhsa_float_denorm_mode_32 3
		.amdhsa_float_denorm_mode_16_64 3
		.amdhsa_fp16_overflow 0
		.amdhsa_workgroup_processor_mode 1
		.amdhsa_memory_ordered 1
		.amdhsa_forward_progress 1
		.amdhsa_inst_pref_size 0
		.amdhsa_round_robin_scheduling 0
		.amdhsa_exception_fp_ieee_invalid_op 0
		.amdhsa_exception_fp_denorm_src 0
		.amdhsa_exception_fp_ieee_div_zero 0
		.amdhsa_exception_fp_ieee_overflow 0
		.amdhsa_exception_fp_ieee_underflow 0
		.amdhsa_exception_fp_ieee_inexact 0
		.amdhsa_exception_int_div_zero 0
	.end_amdhsa_kernel
	.section	.text._ZN7rocprim17ROCPRIM_400000_NS6detail17trampoline_kernelINS0_14default_configENS1_22reduce_config_selectorIbEEZNS1_11reduce_implILb1ES3_N6hipcub16HIPCUB_304000_NS22TransformInputIteratorIbN2at6native12_GLOBAL__N_19NonZeroOpIlEEPKllEEPiiNS8_6detail34convert_binary_result_type_wrapperINS8_3SumESH_iEEEE10hipError_tPvRmT1_T2_T3_mT4_P12ihipStream_tbEUlT_E0_NS1_11comp_targetILNS1_3genE0ELNS1_11target_archE4294967295ELNS1_3gpuE0ELNS1_3repE0EEENS1_30default_config_static_selectorELNS0_4arch9wavefront6targetE0EEEvSQ_,"axG",@progbits,_ZN7rocprim17ROCPRIM_400000_NS6detail17trampoline_kernelINS0_14default_configENS1_22reduce_config_selectorIbEEZNS1_11reduce_implILb1ES3_N6hipcub16HIPCUB_304000_NS22TransformInputIteratorIbN2at6native12_GLOBAL__N_19NonZeroOpIlEEPKllEEPiiNS8_6detail34convert_binary_result_type_wrapperINS8_3SumESH_iEEEE10hipError_tPvRmT1_T2_T3_mT4_P12ihipStream_tbEUlT_E0_NS1_11comp_targetILNS1_3genE0ELNS1_11target_archE4294967295ELNS1_3gpuE0ELNS1_3repE0EEENS1_30default_config_static_selectorELNS0_4arch9wavefront6targetE0EEEvSQ_,comdat
.Lfunc_end236:
	.size	_ZN7rocprim17ROCPRIM_400000_NS6detail17trampoline_kernelINS0_14default_configENS1_22reduce_config_selectorIbEEZNS1_11reduce_implILb1ES3_N6hipcub16HIPCUB_304000_NS22TransformInputIteratorIbN2at6native12_GLOBAL__N_19NonZeroOpIlEEPKllEEPiiNS8_6detail34convert_binary_result_type_wrapperINS8_3SumESH_iEEEE10hipError_tPvRmT1_T2_T3_mT4_P12ihipStream_tbEUlT_E0_NS1_11comp_targetILNS1_3genE0ELNS1_11target_archE4294967295ELNS1_3gpuE0ELNS1_3repE0EEENS1_30default_config_static_selectorELNS0_4arch9wavefront6targetE0EEEvSQ_, .Lfunc_end236-_ZN7rocprim17ROCPRIM_400000_NS6detail17trampoline_kernelINS0_14default_configENS1_22reduce_config_selectorIbEEZNS1_11reduce_implILb1ES3_N6hipcub16HIPCUB_304000_NS22TransformInputIteratorIbN2at6native12_GLOBAL__N_19NonZeroOpIlEEPKllEEPiiNS8_6detail34convert_binary_result_type_wrapperINS8_3SumESH_iEEEE10hipError_tPvRmT1_T2_T3_mT4_P12ihipStream_tbEUlT_E0_NS1_11comp_targetILNS1_3genE0ELNS1_11target_archE4294967295ELNS1_3gpuE0ELNS1_3repE0EEENS1_30default_config_static_selectorELNS0_4arch9wavefront6targetE0EEEvSQ_
                                        ; -- End function
	.set _ZN7rocprim17ROCPRIM_400000_NS6detail17trampoline_kernelINS0_14default_configENS1_22reduce_config_selectorIbEEZNS1_11reduce_implILb1ES3_N6hipcub16HIPCUB_304000_NS22TransformInputIteratorIbN2at6native12_GLOBAL__N_19NonZeroOpIlEEPKllEEPiiNS8_6detail34convert_binary_result_type_wrapperINS8_3SumESH_iEEEE10hipError_tPvRmT1_T2_T3_mT4_P12ihipStream_tbEUlT_E0_NS1_11comp_targetILNS1_3genE0ELNS1_11target_archE4294967295ELNS1_3gpuE0ELNS1_3repE0EEENS1_30default_config_static_selectorELNS0_4arch9wavefront6targetE0EEEvSQ_.num_vgpr, 0
	.set _ZN7rocprim17ROCPRIM_400000_NS6detail17trampoline_kernelINS0_14default_configENS1_22reduce_config_selectorIbEEZNS1_11reduce_implILb1ES3_N6hipcub16HIPCUB_304000_NS22TransformInputIteratorIbN2at6native12_GLOBAL__N_19NonZeroOpIlEEPKllEEPiiNS8_6detail34convert_binary_result_type_wrapperINS8_3SumESH_iEEEE10hipError_tPvRmT1_T2_T3_mT4_P12ihipStream_tbEUlT_E0_NS1_11comp_targetILNS1_3genE0ELNS1_11target_archE4294967295ELNS1_3gpuE0ELNS1_3repE0EEENS1_30default_config_static_selectorELNS0_4arch9wavefront6targetE0EEEvSQ_.num_agpr, 0
	.set _ZN7rocprim17ROCPRIM_400000_NS6detail17trampoline_kernelINS0_14default_configENS1_22reduce_config_selectorIbEEZNS1_11reduce_implILb1ES3_N6hipcub16HIPCUB_304000_NS22TransformInputIteratorIbN2at6native12_GLOBAL__N_19NonZeroOpIlEEPKllEEPiiNS8_6detail34convert_binary_result_type_wrapperINS8_3SumESH_iEEEE10hipError_tPvRmT1_T2_T3_mT4_P12ihipStream_tbEUlT_E0_NS1_11comp_targetILNS1_3genE0ELNS1_11target_archE4294967295ELNS1_3gpuE0ELNS1_3repE0EEENS1_30default_config_static_selectorELNS0_4arch9wavefront6targetE0EEEvSQ_.numbered_sgpr, 0
	.set _ZN7rocprim17ROCPRIM_400000_NS6detail17trampoline_kernelINS0_14default_configENS1_22reduce_config_selectorIbEEZNS1_11reduce_implILb1ES3_N6hipcub16HIPCUB_304000_NS22TransformInputIteratorIbN2at6native12_GLOBAL__N_19NonZeroOpIlEEPKllEEPiiNS8_6detail34convert_binary_result_type_wrapperINS8_3SumESH_iEEEE10hipError_tPvRmT1_T2_T3_mT4_P12ihipStream_tbEUlT_E0_NS1_11comp_targetILNS1_3genE0ELNS1_11target_archE4294967295ELNS1_3gpuE0ELNS1_3repE0EEENS1_30default_config_static_selectorELNS0_4arch9wavefront6targetE0EEEvSQ_.num_named_barrier, 0
	.set _ZN7rocprim17ROCPRIM_400000_NS6detail17trampoline_kernelINS0_14default_configENS1_22reduce_config_selectorIbEEZNS1_11reduce_implILb1ES3_N6hipcub16HIPCUB_304000_NS22TransformInputIteratorIbN2at6native12_GLOBAL__N_19NonZeroOpIlEEPKllEEPiiNS8_6detail34convert_binary_result_type_wrapperINS8_3SumESH_iEEEE10hipError_tPvRmT1_T2_T3_mT4_P12ihipStream_tbEUlT_E0_NS1_11comp_targetILNS1_3genE0ELNS1_11target_archE4294967295ELNS1_3gpuE0ELNS1_3repE0EEENS1_30default_config_static_selectorELNS0_4arch9wavefront6targetE0EEEvSQ_.private_seg_size, 0
	.set _ZN7rocprim17ROCPRIM_400000_NS6detail17trampoline_kernelINS0_14default_configENS1_22reduce_config_selectorIbEEZNS1_11reduce_implILb1ES3_N6hipcub16HIPCUB_304000_NS22TransformInputIteratorIbN2at6native12_GLOBAL__N_19NonZeroOpIlEEPKllEEPiiNS8_6detail34convert_binary_result_type_wrapperINS8_3SumESH_iEEEE10hipError_tPvRmT1_T2_T3_mT4_P12ihipStream_tbEUlT_E0_NS1_11comp_targetILNS1_3genE0ELNS1_11target_archE4294967295ELNS1_3gpuE0ELNS1_3repE0EEENS1_30default_config_static_selectorELNS0_4arch9wavefront6targetE0EEEvSQ_.uses_vcc, 0
	.set _ZN7rocprim17ROCPRIM_400000_NS6detail17trampoline_kernelINS0_14default_configENS1_22reduce_config_selectorIbEEZNS1_11reduce_implILb1ES3_N6hipcub16HIPCUB_304000_NS22TransformInputIteratorIbN2at6native12_GLOBAL__N_19NonZeroOpIlEEPKllEEPiiNS8_6detail34convert_binary_result_type_wrapperINS8_3SumESH_iEEEE10hipError_tPvRmT1_T2_T3_mT4_P12ihipStream_tbEUlT_E0_NS1_11comp_targetILNS1_3genE0ELNS1_11target_archE4294967295ELNS1_3gpuE0ELNS1_3repE0EEENS1_30default_config_static_selectorELNS0_4arch9wavefront6targetE0EEEvSQ_.uses_flat_scratch, 0
	.set _ZN7rocprim17ROCPRIM_400000_NS6detail17trampoline_kernelINS0_14default_configENS1_22reduce_config_selectorIbEEZNS1_11reduce_implILb1ES3_N6hipcub16HIPCUB_304000_NS22TransformInputIteratorIbN2at6native12_GLOBAL__N_19NonZeroOpIlEEPKllEEPiiNS8_6detail34convert_binary_result_type_wrapperINS8_3SumESH_iEEEE10hipError_tPvRmT1_T2_T3_mT4_P12ihipStream_tbEUlT_E0_NS1_11comp_targetILNS1_3genE0ELNS1_11target_archE4294967295ELNS1_3gpuE0ELNS1_3repE0EEENS1_30default_config_static_selectorELNS0_4arch9wavefront6targetE0EEEvSQ_.has_dyn_sized_stack, 0
	.set _ZN7rocprim17ROCPRIM_400000_NS6detail17trampoline_kernelINS0_14default_configENS1_22reduce_config_selectorIbEEZNS1_11reduce_implILb1ES3_N6hipcub16HIPCUB_304000_NS22TransformInputIteratorIbN2at6native12_GLOBAL__N_19NonZeroOpIlEEPKllEEPiiNS8_6detail34convert_binary_result_type_wrapperINS8_3SumESH_iEEEE10hipError_tPvRmT1_T2_T3_mT4_P12ihipStream_tbEUlT_E0_NS1_11comp_targetILNS1_3genE0ELNS1_11target_archE4294967295ELNS1_3gpuE0ELNS1_3repE0EEENS1_30default_config_static_selectorELNS0_4arch9wavefront6targetE0EEEvSQ_.has_recursion, 0
	.set _ZN7rocprim17ROCPRIM_400000_NS6detail17trampoline_kernelINS0_14default_configENS1_22reduce_config_selectorIbEEZNS1_11reduce_implILb1ES3_N6hipcub16HIPCUB_304000_NS22TransformInputIteratorIbN2at6native12_GLOBAL__N_19NonZeroOpIlEEPKllEEPiiNS8_6detail34convert_binary_result_type_wrapperINS8_3SumESH_iEEEE10hipError_tPvRmT1_T2_T3_mT4_P12ihipStream_tbEUlT_E0_NS1_11comp_targetILNS1_3genE0ELNS1_11target_archE4294967295ELNS1_3gpuE0ELNS1_3repE0EEENS1_30default_config_static_selectorELNS0_4arch9wavefront6targetE0EEEvSQ_.has_indirect_call, 0
	.section	.AMDGPU.csdata,"",@progbits
; Kernel info:
; codeLenInByte = 0
; TotalNumSgprs: 0
; NumVgprs: 0
; ScratchSize: 0
; MemoryBound: 0
; FloatMode: 240
; IeeeMode: 1
; LDSByteSize: 0 bytes/workgroup (compile time only)
; SGPRBlocks: 0
; VGPRBlocks: 0
; NumSGPRsForWavesPerEU: 1
; NumVGPRsForWavesPerEU: 1
; Occupancy: 16
; WaveLimiterHint : 0
; COMPUTE_PGM_RSRC2:SCRATCH_EN: 0
; COMPUTE_PGM_RSRC2:USER_SGPR: 2
; COMPUTE_PGM_RSRC2:TRAP_HANDLER: 0
; COMPUTE_PGM_RSRC2:TGID_X_EN: 1
; COMPUTE_PGM_RSRC2:TGID_Y_EN: 0
; COMPUTE_PGM_RSRC2:TGID_Z_EN: 0
; COMPUTE_PGM_RSRC2:TIDIG_COMP_CNT: 0
	.section	.text._ZN7rocprim17ROCPRIM_400000_NS6detail17trampoline_kernelINS0_14default_configENS1_22reduce_config_selectorIbEEZNS1_11reduce_implILb1ES3_N6hipcub16HIPCUB_304000_NS22TransformInputIteratorIbN2at6native12_GLOBAL__N_19NonZeroOpIlEEPKllEEPiiNS8_6detail34convert_binary_result_type_wrapperINS8_3SumESH_iEEEE10hipError_tPvRmT1_T2_T3_mT4_P12ihipStream_tbEUlT_E0_NS1_11comp_targetILNS1_3genE5ELNS1_11target_archE942ELNS1_3gpuE9ELNS1_3repE0EEENS1_30default_config_static_selectorELNS0_4arch9wavefront6targetE0EEEvSQ_,"axG",@progbits,_ZN7rocprim17ROCPRIM_400000_NS6detail17trampoline_kernelINS0_14default_configENS1_22reduce_config_selectorIbEEZNS1_11reduce_implILb1ES3_N6hipcub16HIPCUB_304000_NS22TransformInputIteratorIbN2at6native12_GLOBAL__N_19NonZeroOpIlEEPKllEEPiiNS8_6detail34convert_binary_result_type_wrapperINS8_3SumESH_iEEEE10hipError_tPvRmT1_T2_T3_mT4_P12ihipStream_tbEUlT_E0_NS1_11comp_targetILNS1_3genE5ELNS1_11target_archE942ELNS1_3gpuE9ELNS1_3repE0EEENS1_30default_config_static_selectorELNS0_4arch9wavefront6targetE0EEEvSQ_,comdat
	.globl	_ZN7rocprim17ROCPRIM_400000_NS6detail17trampoline_kernelINS0_14default_configENS1_22reduce_config_selectorIbEEZNS1_11reduce_implILb1ES3_N6hipcub16HIPCUB_304000_NS22TransformInputIteratorIbN2at6native12_GLOBAL__N_19NonZeroOpIlEEPKllEEPiiNS8_6detail34convert_binary_result_type_wrapperINS8_3SumESH_iEEEE10hipError_tPvRmT1_T2_T3_mT4_P12ihipStream_tbEUlT_E0_NS1_11comp_targetILNS1_3genE5ELNS1_11target_archE942ELNS1_3gpuE9ELNS1_3repE0EEENS1_30default_config_static_selectorELNS0_4arch9wavefront6targetE0EEEvSQ_ ; -- Begin function _ZN7rocprim17ROCPRIM_400000_NS6detail17trampoline_kernelINS0_14default_configENS1_22reduce_config_selectorIbEEZNS1_11reduce_implILb1ES3_N6hipcub16HIPCUB_304000_NS22TransformInputIteratorIbN2at6native12_GLOBAL__N_19NonZeroOpIlEEPKllEEPiiNS8_6detail34convert_binary_result_type_wrapperINS8_3SumESH_iEEEE10hipError_tPvRmT1_T2_T3_mT4_P12ihipStream_tbEUlT_E0_NS1_11comp_targetILNS1_3genE5ELNS1_11target_archE942ELNS1_3gpuE9ELNS1_3repE0EEENS1_30default_config_static_selectorELNS0_4arch9wavefront6targetE0EEEvSQ_
	.p2align	8
	.type	_ZN7rocprim17ROCPRIM_400000_NS6detail17trampoline_kernelINS0_14default_configENS1_22reduce_config_selectorIbEEZNS1_11reduce_implILb1ES3_N6hipcub16HIPCUB_304000_NS22TransformInputIteratorIbN2at6native12_GLOBAL__N_19NonZeroOpIlEEPKllEEPiiNS8_6detail34convert_binary_result_type_wrapperINS8_3SumESH_iEEEE10hipError_tPvRmT1_T2_T3_mT4_P12ihipStream_tbEUlT_E0_NS1_11comp_targetILNS1_3genE5ELNS1_11target_archE942ELNS1_3gpuE9ELNS1_3repE0EEENS1_30default_config_static_selectorELNS0_4arch9wavefront6targetE0EEEvSQ_,@function
_ZN7rocprim17ROCPRIM_400000_NS6detail17trampoline_kernelINS0_14default_configENS1_22reduce_config_selectorIbEEZNS1_11reduce_implILb1ES3_N6hipcub16HIPCUB_304000_NS22TransformInputIteratorIbN2at6native12_GLOBAL__N_19NonZeroOpIlEEPKllEEPiiNS8_6detail34convert_binary_result_type_wrapperINS8_3SumESH_iEEEE10hipError_tPvRmT1_T2_T3_mT4_P12ihipStream_tbEUlT_E0_NS1_11comp_targetILNS1_3genE5ELNS1_11target_archE942ELNS1_3gpuE9ELNS1_3repE0EEENS1_30default_config_static_selectorELNS0_4arch9wavefront6targetE0EEEvSQ_: ; @_ZN7rocprim17ROCPRIM_400000_NS6detail17trampoline_kernelINS0_14default_configENS1_22reduce_config_selectorIbEEZNS1_11reduce_implILb1ES3_N6hipcub16HIPCUB_304000_NS22TransformInputIteratorIbN2at6native12_GLOBAL__N_19NonZeroOpIlEEPKllEEPiiNS8_6detail34convert_binary_result_type_wrapperINS8_3SumESH_iEEEE10hipError_tPvRmT1_T2_T3_mT4_P12ihipStream_tbEUlT_E0_NS1_11comp_targetILNS1_3genE5ELNS1_11target_archE942ELNS1_3gpuE9ELNS1_3repE0EEENS1_30default_config_static_selectorELNS0_4arch9wavefront6targetE0EEEvSQ_
; %bb.0:
	.section	.rodata,"a",@progbits
	.p2align	6, 0x0
	.amdhsa_kernel _ZN7rocprim17ROCPRIM_400000_NS6detail17trampoline_kernelINS0_14default_configENS1_22reduce_config_selectorIbEEZNS1_11reduce_implILb1ES3_N6hipcub16HIPCUB_304000_NS22TransformInputIteratorIbN2at6native12_GLOBAL__N_19NonZeroOpIlEEPKllEEPiiNS8_6detail34convert_binary_result_type_wrapperINS8_3SumESH_iEEEE10hipError_tPvRmT1_T2_T3_mT4_P12ihipStream_tbEUlT_E0_NS1_11comp_targetILNS1_3genE5ELNS1_11target_archE942ELNS1_3gpuE9ELNS1_3repE0EEENS1_30default_config_static_selectorELNS0_4arch9wavefront6targetE0EEEvSQ_
		.amdhsa_group_segment_fixed_size 0
		.amdhsa_private_segment_fixed_size 0
		.amdhsa_kernarg_size 64
		.amdhsa_user_sgpr_count 2
		.amdhsa_user_sgpr_dispatch_ptr 0
		.amdhsa_user_sgpr_queue_ptr 0
		.amdhsa_user_sgpr_kernarg_segment_ptr 1
		.amdhsa_user_sgpr_dispatch_id 0
		.amdhsa_user_sgpr_private_segment_size 0
		.amdhsa_wavefront_size32 1
		.amdhsa_uses_dynamic_stack 0
		.amdhsa_enable_private_segment 0
		.amdhsa_system_sgpr_workgroup_id_x 1
		.amdhsa_system_sgpr_workgroup_id_y 0
		.amdhsa_system_sgpr_workgroup_id_z 0
		.amdhsa_system_sgpr_workgroup_info 0
		.amdhsa_system_vgpr_workitem_id 0
		.amdhsa_next_free_vgpr 1
		.amdhsa_next_free_sgpr 1
		.amdhsa_reserve_vcc 0
		.amdhsa_float_round_mode_32 0
		.amdhsa_float_round_mode_16_64 0
		.amdhsa_float_denorm_mode_32 3
		.amdhsa_float_denorm_mode_16_64 3
		.amdhsa_fp16_overflow 0
		.amdhsa_workgroup_processor_mode 1
		.amdhsa_memory_ordered 1
		.amdhsa_forward_progress 1
		.amdhsa_inst_pref_size 0
		.amdhsa_round_robin_scheduling 0
		.amdhsa_exception_fp_ieee_invalid_op 0
		.amdhsa_exception_fp_denorm_src 0
		.amdhsa_exception_fp_ieee_div_zero 0
		.amdhsa_exception_fp_ieee_overflow 0
		.amdhsa_exception_fp_ieee_underflow 0
		.amdhsa_exception_fp_ieee_inexact 0
		.amdhsa_exception_int_div_zero 0
	.end_amdhsa_kernel
	.section	.text._ZN7rocprim17ROCPRIM_400000_NS6detail17trampoline_kernelINS0_14default_configENS1_22reduce_config_selectorIbEEZNS1_11reduce_implILb1ES3_N6hipcub16HIPCUB_304000_NS22TransformInputIteratorIbN2at6native12_GLOBAL__N_19NonZeroOpIlEEPKllEEPiiNS8_6detail34convert_binary_result_type_wrapperINS8_3SumESH_iEEEE10hipError_tPvRmT1_T2_T3_mT4_P12ihipStream_tbEUlT_E0_NS1_11comp_targetILNS1_3genE5ELNS1_11target_archE942ELNS1_3gpuE9ELNS1_3repE0EEENS1_30default_config_static_selectorELNS0_4arch9wavefront6targetE0EEEvSQ_,"axG",@progbits,_ZN7rocprim17ROCPRIM_400000_NS6detail17trampoline_kernelINS0_14default_configENS1_22reduce_config_selectorIbEEZNS1_11reduce_implILb1ES3_N6hipcub16HIPCUB_304000_NS22TransformInputIteratorIbN2at6native12_GLOBAL__N_19NonZeroOpIlEEPKllEEPiiNS8_6detail34convert_binary_result_type_wrapperINS8_3SumESH_iEEEE10hipError_tPvRmT1_T2_T3_mT4_P12ihipStream_tbEUlT_E0_NS1_11comp_targetILNS1_3genE5ELNS1_11target_archE942ELNS1_3gpuE9ELNS1_3repE0EEENS1_30default_config_static_selectorELNS0_4arch9wavefront6targetE0EEEvSQ_,comdat
.Lfunc_end237:
	.size	_ZN7rocprim17ROCPRIM_400000_NS6detail17trampoline_kernelINS0_14default_configENS1_22reduce_config_selectorIbEEZNS1_11reduce_implILb1ES3_N6hipcub16HIPCUB_304000_NS22TransformInputIteratorIbN2at6native12_GLOBAL__N_19NonZeroOpIlEEPKllEEPiiNS8_6detail34convert_binary_result_type_wrapperINS8_3SumESH_iEEEE10hipError_tPvRmT1_T2_T3_mT4_P12ihipStream_tbEUlT_E0_NS1_11comp_targetILNS1_3genE5ELNS1_11target_archE942ELNS1_3gpuE9ELNS1_3repE0EEENS1_30default_config_static_selectorELNS0_4arch9wavefront6targetE0EEEvSQ_, .Lfunc_end237-_ZN7rocprim17ROCPRIM_400000_NS6detail17trampoline_kernelINS0_14default_configENS1_22reduce_config_selectorIbEEZNS1_11reduce_implILb1ES3_N6hipcub16HIPCUB_304000_NS22TransformInputIteratorIbN2at6native12_GLOBAL__N_19NonZeroOpIlEEPKllEEPiiNS8_6detail34convert_binary_result_type_wrapperINS8_3SumESH_iEEEE10hipError_tPvRmT1_T2_T3_mT4_P12ihipStream_tbEUlT_E0_NS1_11comp_targetILNS1_3genE5ELNS1_11target_archE942ELNS1_3gpuE9ELNS1_3repE0EEENS1_30default_config_static_selectorELNS0_4arch9wavefront6targetE0EEEvSQ_
                                        ; -- End function
	.set _ZN7rocprim17ROCPRIM_400000_NS6detail17trampoline_kernelINS0_14default_configENS1_22reduce_config_selectorIbEEZNS1_11reduce_implILb1ES3_N6hipcub16HIPCUB_304000_NS22TransformInputIteratorIbN2at6native12_GLOBAL__N_19NonZeroOpIlEEPKllEEPiiNS8_6detail34convert_binary_result_type_wrapperINS8_3SumESH_iEEEE10hipError_tPvRmT1_T2_T3_mT4_P12ihipStream_tbEUlT_E0_NS1_11comp_targetILNS1_3genE5ELNS1_11target_archE942ELNS1_3gpuE9ELNS1_3repE0EEENS1_30default_config_static_selectorELNS0_4arch9wavefront6targetE0EEEvSQ_.num_vgpr, 0
	.set _ZN7rocprim17ROCPRIM_400000_NS6detail17trampoline_kernelINS0_14default_configENS1_22reduce_config_selectorIbEEZNS1_11reduce_implILb1ES3_N6hipcub16HIPCUB_304000_NS22TransformInputIteratorIbN2at6native12_GLOBAL__N_19NonZeroOpIlEEPKllEEPiiNS8_6detail34convert_binary_result_type_wrapperINS8_3SumESH_iEEEE10hipError_tPvRmT1_T2_T3_mT4_P12ihipStream_tbEUlT_E0_NS1_11comp_targetILNS1_3genE5ELNS1_11target_archE942ELNS1_3gpuE9ELNS1_3repE0EEENS1_30default_config_static_selectorELNS0_4arch9wavefront6targetE0EEEvSQ_.num_agpr, 0
	.set _ZN7rocprim17ROCPRIM_400000_NS6detail17trampoline_kernelINS0_14default_configENS1_22reduce_config_selectorIbEEZNS1_11reduce_implILb1ES3_N6hipcub16HIPCUB_304000_NS22TransformInputIteratorIbN2at6native12_GLOBAL__N_19NonZeroOpIlEEPKllEEPiiNS8_6detail34convert_binary_result_type_wrapperINS8_3SumESH_iEEEE10hipError_tPvRmT1_T2_T3_mT4_P12ihipStream_tbEUlT_E0_NS1_11comp_targetILNS1_3genE5ELNS1_11target_archE942ELNS1_3gpuE9ELNS1_3repE0EEENS1_30default_config_static_selectorELNS0_4arch9wavefront6targetE0EEEvSQ_.numbered_sgpr, 0
	.set _ZN7rocprim17ROCPRIM_400000_NS6detail17trampoline_kernelINS0_14default_configENS1_22reduce_config_selectorIbEEZNS1_11reduce_implILb1ES3_N6hipcub16HIPCUB_304000_NS22TransformInputIteratorIbN2at6native12_GLOBAL__N_19NonZeroOpIlEEPKllEEPiiNS8_6detail34convert_binary_result_type_wrapperINS8_3SumESH_iEEEE10hipError_tPvRmT1_T2_T3_mT4_P12ihipStream_tbEUlT_E0_NS1_11comp_targetILNS1_3genE5ELNS1_11target_archE942ELNS1_3gpuE9ELNS1_3repE0EEENS1_30default_config_static_selectorELNS0_4arch9wavefront6targetE0EEEvSQ_.num_named_barrier, 0
	.set _ZN7rocprim17ROCPRIM_400000_NS6detail17trampoline_kernelINS0_14default_configENS1_22reduce_config_selectorIbEEZNS1_11reduce_implILb1ES3_N6hipcub16HIPCUB_304000_NS22TransformInputIteratorIbN2at6native12_GLOBAL__N_19NonZeroOpIlEEPKllEEPiiNS8_6detail34convert_binary_result_type_wrapperINS8_3SumESH_iEEEE10hipError_tPvRmT1_T2_T3_mT4_P12ihipStream_tbEUlT_E0_NS1_11comp_targetILNS1_3genE5ELNS1_11target_archE942ELNS1_3gpuE9ELNS1_3repE0EEENS1_30default_config_static_selectorELNS0_4arch9wavefront6targetE0EEEvSQ_.private_seg_size, 0
	.set _ZN7rocprim17ROCPRIM_400000_NS6detail17trampoline_kernelINS0_14default_configENS1_22reduce_config_selectorIbEEZNS1_11reduce_implILb1ES3_N6hipcub16HIPCUB_304000_NS22TransformInputIteratorIbN2at6native12_GLOBAL__N_19NonZeroOpIlEEPKllEEPiiNS8_6detail34convert_binary_result_type_wrapperINS8_3SumESH_iEEEE10hipError_tPvRmT1_T2_T3_mT4_P12ihipStream_tbEUlT_E0_NS1_11comp_targetILNS1_3genE5ELNS1_11target_archE942ELNS1_3gpuE9ELNS1_3repE0EEENS1_30default_config_static_selectorELNS0_4arch9wavefront6targetE0EEEvSQ_.uses_vcc, 0
	.set _ZN7rocprim17ROCPRIM_400000_NS6detail17trampoline_kernelINS0_14default_configENS1_22reduce_config_selectorIbEEZNS1_11reduce_implILb1ES3_N6hipcub16HIPCUB_304000_NS22TransformInputIteratorIbN2at6native12_GLOBAL__N_19NonZeroOpIlEEPKllEEPiiNS8_6detail34convert_binary_result_type_wrapperINS8_3SumESH_iEEEE10hipError_tPvRmT1_T2_T3_mT4_P12ihipStream_tbEUlT_E0_NS1_11comp_targetILNS1_3genE5ELNS1_11target_archE942ELNS1_3gpuE9ELNS1_3repE0EEENS1_30default_config_static_selectorELNS0_4arch9wavefront6targetE0EEEvSQ_.uses_flat_scratch, 0
	.set _ZN7rocprim17ROCPRIM_400000_NS6detail17trampoline_kernelINS0_14default_configENS1_22reduce_config_selectorIbEEZNS1_11reduce_implILb1ES3_N6hipcub16HIPCUB_304000_NS22TransformInputIteratorIbN2at6native12_GLOBAL__N_19NonZeroOpIlEEPKllEEPiiNS8_6detail34convert_binary_result_type_wrapperINS8_3SumESH_iEEEE10hipError_tPvRmT1_T2_T3_mT4_P12ihipStream_tbEUlT_E0_NS1_11comp_targetILNS1_3genE5ELNS1_11target_archE942ELNS1_3gpuE9ELNS1_3repE0EEENS1_30default_config_static_selectorELNS0_4arch9wavefront6targetE0EEEvSQ_.has_dyn_sized_stack, 0
	.set _ZN7rocprim17ROCPRIM_400000_NS6detail17trampoline_kernelINS0_14default_configENS1_22reduce_config_selectorIbEEZNS1_11reduce_implILb1ES3_N6hipcub16HIPCUB_304000_NS22TransformInputIteratorIbN2at6native12_GLOBAL__N_19NonZeroOpIlEEPKllEEPiiNS8_6detail34convert_binary_result_type_wrapperINS8_3SumESH_iEEEE10hipError_tPvRmT1_T2_T3_mT4_P12ihipStream_tbEUlT_E0_NS1_11comp_targetILNS1_3genE5ELNS1_11target_archE942ELNS1_3gpuE9ELNS1_3repE0EEENS1_30default_config_static_selectorELNS0_4arch9wavefront6targetE0EEEvSQ_.has_recursion, 0
	.set _ZN7rocprim17ROCPRIM_400000_NS6detail17trampoline_kernelINS0_14default_configENS1_22reduce_config_selectorIbEEZNS1_11reduce_implILb1ES3_N6hipcub16HIPCUB_304000_NS22TransformInputIteratorIbN2at6native12_GLOBAL__N_19NonZeroOpIlEEPKllEEPiiNS8_6detail34convert_binary_result_type_wrapperINS8_3SumESH_iEEEE10hipError_tPvRmT1_T2_T3_mT4_P12ihipStream_tbEUlT_E0_NS1_11comp_targetILNS1_3genE5ELNS1_11target_archE942ELNS1_3gpuE9ELNS1_3repE0EEENS1_30default_config_static_selectorELNS0_4arch9wavefront6targetE0EEEvSQ_.has_indirect_call, 0
	.section	.AMDGPU.csdata,"",@progbits
; Kernel info:
; codeLenInByte = 0
; TotalNumSgprs: 0
; NumVgprs: 0
; ScratchSize: 0
; MemoryBound: 0
; FloatMode: 240
; IeeeMode: 1
; LDSByteSize: 0 bytes/workgroup (compile time only)
; SGPRBlocks: 0
; VGPRBlocks: 0
; NumSGPRsForWavesPerEU: 1
; NumVGPRsForWavesPerEU: 1
; Occupancy: 16
; WaveLimiterHint : 0
; COMPUTE_PGM_RSRC2:SCRATCH_EN: 0
; COMPUTE_PGM_RSRC2:USER_SGPR: 2
; COMPUTE_PGM_RSRC2:TRAP_HANDLER: 0
; COMPUTE_PGM_RSRC2:TGID_X_EN: 1
; COMPUTE_PGM_RSRC2:TGID_Y_EN: 0
; COMPUTE_PGM_RSRC2:TGID_Z_EN: 0
; COMPUTE_PGM_RSRC2:TIDIG_COMP_CNT: 0
	.section	.text._ZN7rocprim17ROCPRIM_400000_NS6detail17trampoline_kernelINS0_14default_configENS1_22reduce_config_selectorIbEEZNS1_11reduce_implILb1ES3_N6hipcub16HIPCUB_304000_NS22TransformInputIteratorIbN2at6native12_GLOBAL__N_19NonZeroOpIlEEPKllEEPiiNS8_6detail34convert_binary_result_type_wrapperINS8_3SumESH_iEEEE10hipError_tPvRmT1_T2_T3_mT4_P12ihipStream_tbEUlT_E0_NS1_11comp_targetILNS1_3genE4ELNS1_11target_archE910ELNS1_3gpuE8ELNS1_3repE0EEENS1_30default_config_static_selectorELNS0_4arch9wavefront6targetE0EEEvSQ_,"axG",@progbits,_ZN7rocprim17ROCPRIM_400000_NS6detail17trampoline_kernelINS0_14default_configENS1_22reduce_config_selectorIbEEZNS1_11reduce_implILb1ES3_N6hipcub16HIPCUB_304000_NS22TransformInputIteratorIbN2at6native12_GLOBAL__N_19NonZeroOpIlEEPKllEEPiiNS8_6detail34convert_binary_result_type_wrapperINS8_3SumESH_iEEEE10hipError_tPvRmT1_T2_T3_mT4_P12ihipStream_tbEUlT_E0_NS1_11comp_targetILNS1_3genE4ELNS1_11target_archE910ELNS1_3gpuE8ELNS1_3repE0EEENS1_30default_config_static_selectorELNS0_4arch9wavefront6targetE0EEEvSQ_,comdat
	.globl	_ZN7rocprim17ROCPRIM_400000_NS6detail17trampoline_kernelINS0_14default_configENS1_22reduce_config_selectorIbEEZNS1_11reduce_implILb1ES3_N6hipcub16HIPCUB_304000_NS22TransformInputIteratorIbN2at6native12_GLOBAL__N_19NonZeroOpIlEEPKllEEPiiNS8_6detail34convert_binary_result_type_wrapperINS8_3SumESH_iEEEE10hipError_tPvRmT1_T2_T3_mT4_P12ihipStream_tbEUlT_E0_NS1_11comp_targetILNS1_3genE4ELNS1_11target_archE910ELNS1_3gpuE8ELNS1_3repE0EEENS1_30default_config_static_selectorELNS0_4arch9wavefront6targetE0EEEvSQ_ ; -- Begin function _ZN7rocprim17ROCPRIM_400000_NS6detail17trampoline_kernelINS0_14default_configENS1_22reduce_config_selectorIbEEZNS1_11reduce_implILb1ES3_N6hipcub16HIPCUB_304000_NS22TransformInputIteratorIbN2at6native12_GLOBAL__N_19NonZeroOpIlEEPKllEEPiiNS8_6detail34convert_binary_result_type_wrapperINS8_3SumESH_iEEEE10hipError_tPvRmT1_T2_T3_mT4_P12ihipStream_tbEUlT_E0_NS1_11comp_targetILNS1_3genE4ELNS1_11target_archE910ELNS1_3gpuE8ELNS1_3repE0EEENS1_30default_config_static_selectorELNS0_4arch9wavefront6targetE0EEEvSQ_
	.p2align	8
	.type	_ZN7rocprim17ROCPRIM_400000_NS6detail17trampoline_kernelINS0_14default_configENS1_22reduce_config_selectorIbEEZNS1_11reduce_implILb1ES3_N6hipcub16HIPCUB_304000_NS22TransformInputIteratorIbN2at6native12_GLOBAL__N_19NonZeroOpIlEEPKllEEPiiNS8_6detail34convert_binary_result_type_wrapperINS8_3SumESH_iEEEE10hipError_tPvRmT1_T2_T3_mT4_P12ihipStream_tbEUlT_E0_NS1_11comp_targetILNS1_3genE4ELNS1_11target_archE910ELNS1_3gpuE8ELNS1_3repE0EEENS1_30default_config_static_selectorELNS0_4arch9wavefront6targetE0EEEvSQ_,@function
_ZN7rocprim17ROCPRIM_400000_NS6detail17trampoline_kernelINS0_14default_configENS1_22reduce_config_selectorIbEEZNS1_11reduce_implILb1ES3_N6hipcub16HIPCUB_304000_NS22TransformInputIteratorIbN2at6native12_GLOBAL__N_19NonZeroOpIlEEPKllEEPiiNS8_6detail34convert_binary_result_type_wrapperINS8_3SumESH_iEEEE10hipError_tPvRmT1_T2_T3_mT4_P12ihipStream_tbEUlT_E0_NS1_11comp_targetILNS1_3genE4ELNS1_11target_archE910ELNS1_3gpuE8ELNS1_3repE0EEENS1_30default_config_static_selectorELNS0_4arch9wavefront6targetE0EEEvSQ_: ; @_ZN7rocprim17ROCPRIM_400000_NS6detail17trampoline_kernelINS0_14default_configENS1_22reduce_config_selectorIbEEZNS1_11reduce_implILb1ES3_N6hipcub16HIPCUB_304000_NS22TransformInputIteratorIbN2at6native12_GLOBAL__N_19NonZeroOpIlEEPKllEEPiiNS8_6detail34convert_binary_result_type_wrapperINS8_3SumESH_iEEEE10hipError_tPvRmT1_T2_T3_mT4_P12ihipStream_tbEUlT_E0_NS1_11comp_targetILNS1_3genE4ELNS1_11target_archE910ELNS1_3gpuE8ELNS1_3repE0EEENS1_30default_config_static_selectorELNS0_4arch9wavefront6targetE0EEEvSQ_
; %bb.0:
	.section	.rodata,"a",@progbits
	.p2align	6, 0x0
	.amdhsa_kernel _ZN7rocprim17ROCPRIM_400000_NS6detail17trampoline_kernelINS0_14default_configENS1_22reduce_config_selectorIbEEZNS1_11reduce_implILb1ES3_N6hipcub16HIPCUB_304000_NS22TransformInputIteratorIbN2at6native12_GLOBAL__N_19NonZeroOpIlEEPKllEEPiiNS8_6detail34convert_binary_result_type_wrapperINS8_3SumESH_iEEEE10hipError_tPvRmT1_T2_T3_mT4_P12ihipStream_tbEUlT_E0_NS1_11comp_targetILNS1_3genE4ELNS1_11target_archE910ELNS1_3gpuE8ELNS1_3repE0EEENS1_30default_config_static_selectorELNS0_4arch9wavefront6targetE0EEEvSQ_
		.amdhsa_group_segment_fixed_size 0
		.amdhsa_private_segment_fixed_size 0
		.amdhsa_kernarg_size 64
		.amdhsa_user_sgpr_count 2
		.amdhsa_user_sgpr_dispatch_ptr 0
		.amdhsa_user_sgpr_queue_ptr 0
		.amdhsa_user_sgpr_kernarg_segment_ptr 1
		.amdhsa_user_sgpr_dispatch_id 0
		.amdhsa_user_sgpr_private_segment_size 0
		.amdhsa_wavefront_size32 1
		.amdhsa_uses_dynamic_stack 0
		.amdhsa_enable_private_segment 0
		.amdhsa_system_sgpr_workgroup_id_x 1
		.amdhsa_system_sgpr_workgroup_id_y 0
		.amdhsa_system_sgpr_workgroup_id_z 0
		.amdhsa_system_sgpr_workgroup_info 0
		.amdhsa_system_vgpr_workitem_id 0
		.amdhsa_next_free_vgpr 1
		.amdhsa_next_free_sgpr 1
		.amdhsa_reserve_vcc 0
		.amdhsa_float_round_mode_32 0
		.amdhsa_float_round_mode_16_64 0
		.amdhsa_float_denorm_mode_32 3
		.amdhsa_float_denorm_mode_16_64 3
		.amdhsa_fp16_overflow 0
		.amdhsa_workgroup_processor_mode 1
		.amdhsa_memory_ordered 1
		.amdhsa_forward_progress 1
		.amdhsa_inst_pref_size 0
		.amdhsa_round_robin_scheduling 0
		.amdhsa_exception_fp_ieee_invalid_op 0
		.amdhsa_exception_fp_denorm_src 0
		.amdhsa_exception_fp_ieee_div_zero 0
		.amdhsa_exception_fp_ieee_overflow 0
		.amdhsa_exception_fp_ieee_underflow 0
		.amdhsa_exception_fp_ieee_inexact 0
		.amdhsa_exception_int_div_zero 0
	.end_amdhsa_kernel
	.section	.text._ZN7rocprim17ROCPRIM_400000_NS6detail17trampoline_kernelINS0_14default_configENS1_22reduce_config_selectorIbEEZNS1_11reduce_implILb1ES3_N6hipcub16HIPCUB_304000_NS22TransformInputIteratorIbN2at6native12_GLOBAL__N_19NonZeroOpIlEEPKllEEPiiNS8_6detail34convert_binary_result_type_wrapperINS8_3SumESH_iEEEE10hipError_tPvRmT1_T2_T3_mT4_P12ihipStream_tbEUlT_E0_NS1_11comp_targetILNS1_3genE4ELNS1_11target_archE910ELNS1_3gpuE8ELNS1_3repE0EEENS1_30default_config_static_selectorELNS0_4arch9wavefront6targetE0EEEvSQ_,"axG",@progbits,_ZN7rocprim17ROCPRIM_400000_NS6detail17trampoline_kernelINS0_14default_configENS1_22reduce_config_selectorIbEEZNS1_11reduce_implILb1ES3_N6hipcub16HIPCUB_304000_NS22TransformInputIteratorIbN2at6native12_GLOBAL__N_19NonZeroOpIlEEPKllEEPiiNS8_6detail34convert_binary_result_type_wrapperINS8_3SumESH_iEEEE10hipError_tPvRmT1_T2_T3_mT4_P12ihipStream_tbEUlT_E0_NS1_11comp_targetILNS1_3genE4ELNS1_11target_archE910ELNS1_3gpuE8ELNS1_3repE0EEENS1_30default_config_static_selectorELNS0_4arch9wavefront6targetE0EEEvSQ_,comdat
.Lfunc_end238:
	.size	_ZN7rocprim17ROCPRIM_400000_NS6detail17trampoline_kernelINS0_14default_configENS1_22reduce_config_selectorIbEEZNS1_11reduce_implILb1ES3_N6hipcub16HIPCUB_304000_NS22TransformInputIteratorIbN2at6native12_GLOBAL__N_19NonZeroOpIlEEPKllEEPiiNS8_6detail34convert_binary_result_type_wrapperINS8_3SumESH_iEEEE10hipError_tPvRmT1_T2_T3_mT4_P12ihipStream_tbEUlT_E0_NS1_11comp_targetILNS1_3genE4ELNS1_11target_archE910ELNS1_3gpuE8ELNS1_3repE0EEENS1_30default_config_static_selectorELNS0_4arch9wavefront6targetE0EEEvSQ_, .Lfunc_end238-_ZN7rocprim17ROCPRIM_400000_NS6detail17trampoline_kernelINS0_14default_configENS1_22reduce_config_selectorIbEEZNS1_11reduce_implILb1ES3_N6hipcub16HIPCUB_304000_NS22TransformInputIteratorIbN2at6native12_GLOBAL__N_19NonZeroOpIlEEPKllEEPiiNS8_6detail34convert_binary_result_type_wrapperINS8_3SumESH_iEEEE10hipError_tPvRmT1_T2_T3_mT4_P12ihipStream_tbEUlT_E0_NS1_11comp_targetILNS1_3genE4ELNS1_11target_archE910ELNS1_3gpuE8ELNS1_3repE0EEENS1_30default_config_static_selectorELNS0_4arch9wavefront6targetE0EEEvSQ_
                                        ; -- End function
	.set _ZN7rocprim17ROCPRIM_400000_NS6detail17trampoline_kernelINS0_14default_configENS1_22reduce_config_selectorIbEEZNS1_11reduce_implILb1ES3_N6hipcub16HIPCUB_304000_NS22TransformInputIteratorIbN2at6native12_GLOBAL__N_19NonZeroOpIlEEPKllEEPiiNS8_6detail34convert_binary_result_type_wrapperINS8_3SumESH_iEEEE10hipError_tPvRmT1_T2_T3_mT4_P12ihipStream_tbEUlT_E0_NS1_11comp_targetILNS1_3genE4ELNS1_11target_archE910ELNS1_3gpuE8ELNS1_3repE0EEENS1_30default_config_static_selectorELNS0_4arch9wavefront6targetE0EEEvSQ_.num_vgpr, 0
	.set _ZN7rocprim17ROCPRIM_400000_NS6detail17trampoline_kernelINS0_14default_configENS1_22reduce_config_selectorIbEEZNS1_11reduce_implILb1ES3_N6hipcub16HIPCUB_304000_NS22TransformInputIteratorIbN2at6native12_GLOBAL__N_19NonZeroOpIlEEPKllEEPiiNS8_6detail34convert_binary_result_type_wrapperINS8_3SumESH_iEEEE10hipError_tPvRmT1_T2_T3_mT4_P12ihipStream_tbEUlT_E0_NS1_11comp_targetILNS1_3genE4ELNS1_11target_archE910ELNS1_3gpuE8ELNS1_3repE0EEENS1_30default_config_static_selectorELNS0_4arch9wavefront6targetE0EEEvSQ_.num_agpr, 0
	.set _ZN7rocprim17ROCPRIM_400000_NS6detail17trampoline_kernelINS0_14default_configENS1_22reduce_config_selectorIbEEZNS1_11reduce_implILb1ES3_N6hipcub16HIPCUB_304000_NS22TransformInputIteratorIbN2at6native12_GLOBAL__N_19NonZeroOpIlEEPKllEEPiiNS8_6detail34convert_binary_result_type_wrapperINS8_3SumESH_iEEEE10hipError_tPvRmT1_T2_T3_mT4_P12ihipStream_tbEUlT_E0_NS1_11comp_targetILNS1_3genE4ELNS1_11target_archE910ELNS1_3gpuE8ELNS1_3repE0EEENS1_30default_config_static_selectorELNS0_4arch9wavefront6targetE0EEEvSQ_.numbered_sgpr, 0
	.set _ZN7rocprim17ROCPRIM_400000_NS6detail17trampoline_kernelINS0_14default_configENS1_22reduce_config_selectorIbEEZNS1_11reduce_implILb1ES3_N6hipcub16HIPCUB_304000_NS22TransformInputIteratorIbN2at6native12_GLOBAL__N_19NonZeroOpIlEEPKllEEPiiNS8_6detail34convert_binary_result_type_wrapperINS8_3SumESH_iEEEE10hipError_tPvRmT1_T2_T3_mT4_P12ihipStream_tbEUlT_E0_NS1_11comp_targetILNS1_3genE4ELNS1_11target_archE910ELNS1_3gpuE8ELNS1_3repE0EEENS1_30default_config_static_selectorELNS0_4arch9wavefront6targetE0EEEvSQ_.num_named_barrier, 0
	.set _ZN7rocprim17ROCPRIM_400000_NS6detail17trampoline_kernelINS0_14default_configENS1_22reduce_config_selectorIbEEZNS1_11reduce_implILb1ES3_N6hipcub16HIPCUB_304000_NS22TransformInputIteratorIbN2at6native12_GLOBAL__N_19NonZeroOpIlEEPKllEEPiiNS8_6detail34convert_binary_result_type_wrapperINS8_3SumESH_iEEEE10hipError_tPvRmT1_T2_T3_mT4_P12ihipStream_tbEUlT_E0_NS1_11comp_targetILNS1_3genE4ELNS1_11target_archE910ELNS1_3gpuE8ELNS1_3repE0EEENS1_30default_config_static_selectorELNS0_4arch9wavefront6targetE0EEEvSQ_.private_seg_size, 0
	.set _ZN7rocprim17ROCPRIM_400000_NS6detail17trampoline_kernelINS0_14default_configENS1_22reduce_config_selectorIbEEZNS1_11reduce_implILb1ES3_N6hipcub16HIPCUB_304000_NS22TransformInputIteratorIbN2at6native12_GLOBAL__N_19NonZeroOpIlEEPKllEEPiiNS8_6detail34convert_binary_result_type_wrapperINS8_3SumESH_iEEEE10hipError_tPvRmT1_T2_T3_mT4_P12ihipStream_tbEUlT_E0_NS1_11comp_targetILNS1_3genE4ELNS1_11target_archE910ELNS1_3gpuE8ELNS1_3repE0EEENS1_30default_config_static_selectorELNS0_4arch9wavefront6targetE0EEEvSQ_.uses_vcc, 0
	.set _ZN7rocprim17ROCPRIM_400000_NS6detail17trampoline_kernelINS0_14default_configENS1_22reduce_config_selectorIbEEZNS1_11reduce_implILb1ES3_N6hipcub16HIPCUB_304000_NS22TransformInputIteratorIbN2at6native12_GLOBAL__N_19NonZeroOpIlEEPKllEEPiiNS8_6detail34convert_binary_result_type_wrapperINS8_3SumESH_iEEEE10hipError_tPvRmT1_T2_T3_mT4_P12ihipStream_tbEUlT_E0_NS1_11comp_targetILNS1_3genE4ELNS1_11target_archE910ELNS1_3gpuE8ELNS1_3repE0EEENS1_30default_config_static_selectorELNS0_4arch9wavefront6targetE0EEEvSQ_.uses_flat_scratch, 0
	.set _ZN7rocprim17ROCPRIM_400000_NS6detail17trampoline_kernelINS0_14default_configENS1_22reduce_config_selectorIbEEZNS1_11reduce_implILb1ES3_N6hipcub16HIPCUB_304000_NS22TransformInputIteratorIbN2at6native12_GLOBAL__N_19NonZeroOpIlEEPKllEEPiiNS8_6detail34convert_binary_result_type_wrapperINS8_3SumESH_iEEEE10hipError_tPvRmT1_T2_T3_mT4_P12ihipStream_tbEUlT_E0_NS1_11comp_targetILNS1_3genE4ELNS1_11target_archE910ELNS1_3gpuE8ELNS1_3repE0EEENS1_30default_config_static_selectorELNS0_4arch9wavefront6targetE0EEEvSQ_.has_dyn_sized_stack, 0
	.set _ZN7rocprim17ROCPRIM_400000_NS6detail17trampoline_kernelINS0_14default_configENS1_22reduce_config_selectorIbEEZNS1_11reduce_implILb1ES3_N6hipcub16HIPCUB_304000_NS22TransformInputIteratorIbN2at6native12_GLOBAL__N_19NonZeroOpIlEEPKllEEPiiNS8_6detail34convert_binary_result_type_wrapperINS8_3SumESH_iEEEE10hipError_tPvRmT1_T2_T3_mT4_P12ihipStream_tbEUlT_E0_NS1_11comp_targetILNS1_3genE4ELNS1_11target_archE910ELNS1_3gpuE8ELNS1_3repE0EEENS1_30default_config_static_selectorELNS0_4arch9wavefront6targetE0EEEvSQ_.has_recursion, 0
	.set _ZN7rocprim17ROCPRIM_400000_NS6detail17trampoline_kernelINS0_14default_configENS1_22reduce_config_selectorIbEEZNS1_11reduce_implILb1ES3_N6hipcub16HIPCUB_304000_NS22TransformInputIteratorIbN2at6native12_GLOBAL__N_19NonZeroOpIlEEPKllEEPiiNS8_6detail34convert_binary_result_type_wrapperINS8_3SumESH_iEEEE10hipError_tPvRmT1_T2_T3_mT4_P12ihipStream_tbEUlT_E0_NS1_11comp_targetILNS1_3genE4ELNS1_11target_archE910ELNS1_3gpuE8ELNS1_3repE0EEENS1_30default_config_static_selectorELNS0_4arch9wavefront6targetE0EEEvSQ_.has_indirect_call, 0
	.section	.AMDGPU.csdata,"",@progbits
; Kernel info:
; codeLenInByte = 0
; TotalNumSgprs: 0
; NumVgprs: 0
; ScratchSize: 0
; MemoryBound: 0
; FloatMode: 240
; IeeeMode: 1
; LDSByteSize: 0 bytes/workgroup (compile time only)
; SGPRBlocks: 0
; VGPRBlocks: 0
; NumSGPRsForWavesPerEU: 1
; NumVGPRsForWavesPerEU: 1
; Occupancy: 16
; WaveLimiterHint : 0
; COMPUTE_PGM_RSRC2:SCRATCH_EN: 0
; COMPUTE_PGM_RSRC2:USER_SGPR: 2
; COMPUTE_PGM_RSRC2:TRAP_HANDLER: 0
; COMPUTE_PGM_RSRC2:TGID_X_EN: 1
; COMPUTE_PGM_RSRC2:TGID_Y_EN: 0
; COMPUTE_PGM_RSRC2:TGID_Z_EN: 0
; COMPUTE_PGM_RSRC2:TIDIG_COMP_CNT: 0
	.section	.text._ZN7rocprim17ROCPRIM_400000_NS6detail17trampoline_kernelINS0_14default_configENS1_22reduce_config_selectorIbEEZNS1_11reduce_implILb1ES3_N6hipcub16HIPCUB_304000_NS22TransformInputIteratorIbN2at6native12_GLOBAL__N_19NonZeroOpIlEEPKllEEPiiNS8_6detail34convert_binary_result_type_wrapperINS8_3SumESH_iEEEE10hipError_tPvRmT1_T2_T3_mT4_P12ihipStream_tbEUlT_E0_NS1_11comp_targetILNS1_3genE3ELNS1_11target_archE908ELNS1_3gpuE7ELNS1_3repE0EEENS1_30default_config_static_selectorELNS0_4arch9wavefront6targetE0EEEvSQ_,"axG",@progbits,_ZN7rocprim17ROCPRIM_400000_NS6detail17trampoline_kernelINS0_14default_configENS1_22reduce_config_selectorIbEEZNS1_11reduce_implILb1ES3_N6hipcub16HIPCUB_304000_NS22TransformInputIteratorIbN2at6native12_GLOBAL__N_19NonZeroOpIlEEPKllEEPiiNS8_6detail34convert_binary_result_type_wrapperINS8_3SumESH_iEEEE10hipError_tPvRmT1_T2_T3_mT4_P12ihipStream_tbEUlT_E0_NS1_11comp_targetILNS1_3genE3ELNS1_11target_archE908ELNS1_3gpuE7ELNS1_3repE0EEENS1_30default_config_static_selectorELNS0_4arch9wavefront6targetE0EEEvSQ_,comdat
	.globl	_ZN7rocprim17ROCPRIM_400000_NS6detail17trampoline_kernelINS0_14default_configENS1_22reduce_config_selectorIbEEZNS1_11reduce_implILb1ES3_N6hipcub16HIPCUB_304000_NS22TransformInputIteratorIbN2at6native12_GLOBAL__N_19NonZeroOpIlEEPKllEEPiiNS8_6detail34convert_binary_result_type_wrapperINS8_3SumESH_iEEEE10hipError_tPvRmT1_T2_T3_mT4_P12ihipStream_tbEUlT_E0_NS1_11comp_targetILNS1_3genE3ELNS1_11target_archE908ELNS1_3gpuE7ELNS1_3repE0EEENS1_30default_config_static_selectorELNS0_4arch9wavefront6targetE0EEEvSQ_ ; -- Begin function _ZN7rocprim17ROCPRIM_400000_NS6detail17trampoline_kernelINS0_14default_configENS1_22reduce_config_selectorIbEEZNS1_11reduce_implILb1ES3_N6hipcub16HIPCUB_304000_NS22TransformInputIteratorIbN2at6native12_GLOBAL__N_19NonZeroOpIlEEPKllEEPiiNS8_6detail34convert_binary_result_type_wrapperINS8_3SumESH_iEEEE10hipError_tPvRmT1_T2_T3_mT4_P12ihipStream_tbEUlT_E0_NS1_11comp_targetILNS1_3genE3ELNS1_11target_archE908ELNS1_3gpuE7ELNS1_3repE0EEENS1_30default_config_static_selectorELNS0_4arch9wavefront6targetE0EEEvSQ_
	.p2align	8
	.type	_ZN7rocprim17ROCPRIM_400000_NS6detail17trampoline_kernelINS0_14default_configENS1_22reduce_config_selectorIbEEZNS1_11reduce_implILb1ES3_N6hipcub16HIPCUB_304000_NS22TransformInputIteratorIbN2at6native12_GLOBAL__N_19NonZeroOpIlEEPKllEEPiiNS8_6detail34convert_binary_result_type_wrapperINS8_3SumESH_iEEEE10hipError_tPvRmT1_T2_T3_mT4_P12ihipStream_tbEUlT_E0_NS1_11comp_targetILNS1_3genE3ELNS1_11target_archE908ELNS1_3gpuE7ELNS1_3repE0EEENS1_30default_config_static_selectorELNS0_4arch9wavefront6targetE0EEEvSQ_,@function
_ZN7rocprim17ROCPRIM_400000_NS6detail17trampoline_kernelINS0_14default_configENS1_22reduce_config_selectorIbEEZNS1_11reduce_implILb1ES3_N6hipcub16HIPCUB_304000_NS22TransformInputIteratorIbN2at6native12_GLOBAL__N_19NonZeroOpIlEEPKllEEPiiNS8_6detail34convert_binary_result_type_wrapperINS8_3SumESH_iEEEE10hipError_tPvRmT1_T2_T3_mT4_P12ihipStream_tbEUlT_E0_NS1_11comp_targetILNS1_3genE3ELNS1_11target_archE908ELNS1_3gpuE7ELNS1_3repE0EEENS1_30default_config_static_selectorELNS0_4arch9wavefront6targetE0EEEvSQ_: ; @_ZN7rocprim17ROCPRIM_400000_NS6detail17trampoline_kernelINS0_14default_configENS1_22reduce_config_selectorIbEEZNS1_11reduce_implILb1ES3_N6hipcub16HIPCUB_304000_NS22TransformInputIteratorIbN2at6native12_GLOBAL__N_19NonZeroOpIlEEPKllEEPiiNS8_6detail34convert_binary_result_type_wrapperINS8_3SumESH_iEEEE10hipError_tPvRmT1_T2_T3_mT4_P12ihipStream_tbEUlT_E0_NS1_11comp_targetILNS1_3genE3ELNS1_11target_archE908ELNS1_3gpuE7ELNS1_3repE0EEENS1_30default_config_static_selectorELNS0_4arch9wavefront6targetE0EEEvSQ_
; %bb.0:
	.section	.rodata,"a",@progbits
	.p2align	6, 0x0
	.amdhsa_kernel _ZN7rocprim17ROCPRIM_400000_NS6detail17trampoline_kernelINS0_14default_configENS1_22reduce_config_selectorIbEEZNS1_11reduce_implILb1ES3_N6hipcub16HIPCUB_304000_NS22TransformInputIteratorIbN2at6native12_GLOBAL__N_19NonZeroOpIlEEPKllEEPiiNS8_6detail34convert_binary_result_type_wrapperINS8_3SumESH_iEEEE10hipError_tPvRmT1_T2_T3_mT4_P12ihipStream_tbEUlT_E0_NS1_11comp_targetILNS1_3genE3ELNS1_11target_archE908ELNS1_3gpuE7ELNS1_3repE0EEENS1_30default_config_static_selectorELNS0_4arch9wavefront6targetE0EEEvSQ_
		.amdhsa_group_segment_fixed_size 0
		.amdhsa_private_segment_fixed_size 0
		.amdhsa_kernarg_size 64
		.amdhsa_user_sgpr_count 2
		.amdhsa_user_sgpr_dispatch_ptr 0
		.amdhsa_user_sgpr_queue_ptr 0
		.amdhsa_user_sgpr_kernarg_segment_ptr 1
		.amdhsa_user_sgpr_dispatch_id 0
		.amdhsa_user_sgpr_private_segment_size 0
		.amdhsa_wavefront_size32 1
		.amdhsa_uses_dynamic_stack 0
		.amdhsa_enable_private_segment 0
		.amdhsa_system_sgpr_workgroup_id_x 1
		.amdhsa_system_sgpr_workgroup_id_y 0
		.amdhsa_system_sgpr_workgroup_id_z 0
		.amdhsa_system_sgpr_workgroup_info 0
		.amdhsa_system_vgpr_workitem_id 0
		.amdhsa_next_free_vgpr 1
		.amdhsa_next_free_sgpr 1
		.amdhsa_reserve_vcc 0
		.amdhsa_float_round_mode_32 0
		.amdhsa_float_round_mode_16_64 0
		.amdhsa_float_denorm_mode_32 3
		.amdhsa_float_denorm_mode_16_64 3
		.amdhsa_fp16_overflow 0
		.amdhsa_workgroup_processor_mode 1
		.amdhsa_memory_ordered 1
		.amdhsa_forward_progress 1
		.amdhsa_inst_pref_size 0
		.amdhsa_round_robin_scheduling 0
		.amdhsa_exception_fp_ieee_invalid_op 0
		.amdhsa_exception_fp_denorm_src 0
		.amdhsa_exception_fp_ieee_div_zero 0
		.amdhsa_exception_fp_ieee_overflow 0
		.amdhsa_exception_fp_ieee_underflow 0
		.amdhsa_exception_fp_ieee_inexact 0
		.amdhsa_exception_int_div_zero 0
	.end_amdhsa_kernel
	.section	.text._ZN7rocprim17ROCPRIM_400000_NS6detail17trampoline_kernelINS0_14default_configENS1_22reduce_config_selectorIbEEZNS1_11reduce_implILb1ES3_N6hipcub16HIPCUB_304000_NS22TransformInputIteratorIbN2at6native12_GLOBAL__N_19NonZeroOpIlEEPKllEEPiiNS8_6detail34convert_binary_result_type_wrapperINS8_3SumESH_iEEEE10hipError_tPvRmT1_T2_T3_mT4_P12ihipStream_tbEUlT_E0_NS1_11comp_targetILNS1_3genE3ELNS1_11target_archE908ELNS1_3gpuE7ELNS1_3repE0EEENS1_30default_config_static_selectorELNS0_4arch9wavefront6targetE0EEEvSQ_,"axG",@progbits,_ZN7rocprim17ROCPRIM_400000_NS6detail17trampoline_kernelINS0_14default_configENS1_22reduce_config_selectorIbEEZNS1_11reduce_implILb1ES3_N6hipcub16HIPCUB_304000_NS22TransformInputIteratorIbN2at6native12_GLOBAL__N_19NonZeroOpIlEEPKllEEPiiNS8_6detail34convert_binary_result_type_wrapperINS8_3SumESH_iEEEE10hipError_tPvRmT1_T2_T3_mT4_P12ihipStream_tbEUlT_E0_NS1_11comp_targetILNS1_3genE3ELNS1_11target_archE908ELNS1_3gpuE7ELNS1_3repE0EEENS1_30default_config_static_selectorELNS0_4arch9wavefront6targetE0EEEvSQ_,comdat
.Lfunc_end239:
	.size	_ZN7rocprim17ROCPRIM_400000_NS6detail17trampoline_kernelINS0_14default_configENS1_22reduce_config_selectorIbEEZNS1_11reduce_implILb1ES3_N6hipcub16HIPCUB_304000_NS22TransformInputIteratorIbN2at6native12_GLOBAL__N_19NonZeroOpIlEEPKllEEPiiNS8_6detail34convert_binary_result_type_wrapperINS8_3SumESH_iEEEE10hipError_tPvRmT1_T2_T3_mT4_P12ihipStream_tbEUlT_E0_NS1_11comp_targetILNS1_3genE3ELNS1_11target_archE908ELNS1_3gpuE7ELNS1_3repE0EEENS1_30default_config_static_selectorELNS0_4arch9wavefront6targetE0EEEvSQ_, .Lfunc_end239-_ZN7rocprim17ROCPRIM_400000_NS6detail17trampoline_kernelINS0_14default_configENS1_22reduce_config_selectorIbEEZNS1_11reduce_implILb1ES3_N6hipcub16HIPCUB_304000_NS22TransformInputIteratorIbN2at6native12_GLOBAL__N_19NonZeroOpIlEEPKllEEPiiNS8_6detail34convert_binary_result_type_wrapperINS8_3SumESH_iEEEE10hipError_tPvRmT1_T2_T3_mT4_P12ihipStream_tbEUlT_E0_NS1_11comp_targetILNS1_3genE3ELNS1_11target_archE908ELNS1_3gpuE7ELNS1_3repE0EEENS1_30default_config_static_selectorELNS0_4arch9wavefront6targetE0EEEvSQ_
                                        ; -- End function
	.set _ZN7rocprim17ROCPRIM_400000_NS6detail17trampoline_kernelINS0_14default_configENS1_22reduce_config_selectorIbEEZNS1_11reduce_implILb1ES3_N6hipcub16HIPCUB_304000_NS22TransformInputIteratorIbN2at6native12_GLOBAL__N_19NonZeroOpIlEEPKllEEPiiNS8_6detail34convert_binary_result_type_wrapperINS8_3SumESH_iEEEE10hipError_tPvRmT1_T2_T3_mT4_P12ihipStream_tbEUlT_E0_NS1_11comp_targetILNS1_3genE3ELNS1_11target_archE908ELNS1_3gpuE7ELNS1_3repE0EEENS1_30default_config_static_selectorELNS0_4arch9wavefront6targetE0EEEvSQ_.num_vgpr, 0
	.set _ZN7rocprim17ROCPRIM_400000_NS6detail17trampoline_kernelINS0_14default_configENS1_22reduce_config_selectorIbEEZNS1_11reduce_implILb1ES3_N6hipcub16HIPCUB_304000_NS22TransformInputIteratorIbN2at6native12_GLOBAL__N_19NonZeroOpIlEEPKllEEPiiNS8_6detail34convert_binary_result_type_wrapperINS8_3SumESH_iEEEE10hipError_tPvRmT1_T2_T3_mT4_P12ihipStream_tbEUlT_E0_NS1_11comp_targetILNS1_3genE3ELNS1_11target_archE908ELNS1_3gpuE7ELNS1_3repE0EEENS1_30default_config_static_selectorELNS0_4arch9wavefront6targetE0EEEvSQ_.num_agpr, 0
	.set _ZN7rocprim17ROCPRIM_400000_NS6detail17trampoline_kernelINS0_14default_configENS1_22reduce_config_selectorIbEEZNS1_11reduce_implILb1ES3_N6hipcub16HIPCUB_304000_NS22TransformInputIteratorIbN2at6native12_GLOBAL__N_19NonZeroOpIlEEPKllEEPiiNS8_6detail34convert_binary_result_type_wrapperINS8_3SumESH_iEEEE10hipError_tPvRmT1_T2_T3_mT4_P12ihipStream_tbEUlT_E0_NS1_11comp_targetILNS1_3genE3ELNS1_11target_archE908ELNS1_3gpuE7ELNS1_3repE0EEENS1_30default_config_static_selectorELNS0_4arch9wavefront6targetE0EEEvSQ_.numbered_sgpr, 0
	.set _ZN7rocprim17ROCPRIM_400000_NS6detail17trampoline_kernelINS0_14default_configENS1_22reduce_config_selectorIbEEZNS1_11reduce_implILb1ES3_N6hipcub16HIPCUB_304000_NS22TransformInputIteratorIbN2at6native12_GLOBAL__N_19NonZeroOpIlEEPKllEEPiiNS8_6detail34convert_binary_result_type_wrapperINS8_3SumESH_iEEEE10hipError_tPvRmT1_T2_T3_mT4_P12ihipStream_tbEUlT_E0_NS1_11comp_targetILNS1_3genE3ELNS1_11target_archE908ELNS1_3gpuE7ELNS1_3repE0EEENS1_30default_config_static_selectorELNS0_4arch9wavefront6targetE0EEEvSQ_.num_named_barrier, 0
	.set _ZN7rocprim17ROCPRIM_400000_NS6detail17trampoline_kernelINS0_14default_configENS1_22reduce_config_selectorIbEEZNS1_11reduce_implILb1ES3_N6hipcub16HIPCUB_304000_NS22TransformInputIteratorIbN2at6native12_GLOBAL__N_19NonZeroOpIlEEPKllEEPiiNS8_6detail34convert_binary_result_type_wrapperINS8_3SumESH_iEEEE10hipError_tPvRmT1_T2_T3_mT4_P12ihipStream_tbEUlT_E0_NS1_11comp_targetILNS1_3genE3ELNS1_11target_archE908ELNS1_3gpuE7ELNS1_3repE0EEENS1_30default_config_static_selectorELNS0_4arch9wavefront6targetE0EEEvSQ_.private_seg_size, 0
	.set _ZN7rocprim17ROCPRIM_400000_NS6detail17trampoline_kernelINS0_14default_configENS1_22reduce_config_selectorIbEEZNS1_11reduce_implILb1ES3_N6hipcub16HIPCUB_304000_NS22TransformInputIteratorIbN2at6native12_GLOBAL__N_19NonZeroOpIlEEPKllEEPiiNS8_6detail34convert_binary_result_type_wrapperINS8_3SumESH_iEEEE10hipError_tPvRmT1_T2_T3_mT4_P12ihipStream_tbEUlT_E0_NS1_11comp_targetILNS1_3genE3ELNS1_11target_archE908ELNS1_3gpuE7ELNS1_3repE0EEENS1_30default_config_static_selectorELNS0_4arch9wavefront6targetE0EEEvSQ_.uses_vcc, 0
	.set _ZN7rocprim17ROCPRIM_400000_NS6detail17trampoline_kernelINS0_14default_configENS1_22reduce_config_selectorIbEEZNS1_11reduce_implILb1ES3_N6hipcub16HIPCUB_304000_NS22TransformInputIteratorIbN2at6native12_GLOBAL__N_19NonZeroOpIlEEPKllEEPiiNS8_6detail34convert_binary_result_type_wrapperINS8_3SumESH_iEEEE10hipError_tPvRmT1_T2_T3_mT4_P12ihipStream_tbEUlT_E0_NS1_11comp_targetILNS1_3genE3ELNS1_11target_archE908ELNS1_3gpuE7ELNS1_3repE0EEENS1_30default_config_static_selectorELNS0_4arch9wavefront6targetE0EEEvSQ_.uses_flat_scratch, 0
	.set _ZN7rocprim17ROCPRIM_400000_NS6detail17trampoline_kernelINS0_14default_configENS1_22reduce_config_selectorIbEEZNS1_11reduce_implILb1ES3_N6hipcub16HIPCUB_304000_NS22TransformInputIteratorIbN2at6native12_GLOBAL__N_19NonZeroOpIlEEPKllEEPiiNS8_6detail34convert_binary_result_type_wrapperINS8_3SumESH_iEEEE10hipError_tPvRmT1_T2_T3_mT4_P12ihipStream_tbEUlT_E0_NS1_11comp_targetILNS1_3genE3ELNS1_11target_archE908ELNS1_3gpuE7ELNS1_3repE0EEENS1_30default_config_static_selectorELNS0_4arch9wavefront6targetE0EEEvSQ_.has_dyn_sized_stack, 0
	.set _ZN7rocprim17ROCPRIM_400000_NS6detail17trampoline_kernelINS0_14default_configENS1_22reduce_config_selectorIbEEZNS1_11reduce_implILb1ES3_N6hipcub16HIPCUB_304000_NS22TransformInputIteratorIbN2at6native12_GLOBAL__N_19NonZeroOpIlEEPKllEEPiiNS8_6detail34convert_binary_result_type_wrapperINS8_3SumESH_iEEEE10hipError_tPvRmT1_T2_T3_mT4_P12ihipStream_tbEUlT_E0_NS1_11comp_targetILNS1_3genE3ELNS1_11target_archE908ELNS1_3gpuE7ELNS1_3repE0EEENS1_30default_config_static_selectorELNS0_4arch9wavefront6targetE0EEEvSQ_.has_recursion, 0
	.set _ZN7rocprim17ROCPRIM_400000_NS6detail17trampoline_kernelINS0_14default_configENS1_22reduce_config_selectorIbEEZNS1_11reduce_implILb1ES3_N6hipcub16HIPCUB_304000_NS22TransformInputIteratorIbN2at6native12_GLOBAL__N_19NonZeroOpIlEEPKllEEPiiNS8_6detail34convert_binary_result_type_wrapperINS8_3SumESH_iEEEE10hipError_tPvRmT1_T2_T3_mT4_P12ihipStream_tbEUlT_E0_NS1_11comp_targetILNS1_3genE3ELNS1_11target_archE908ELNS1_3gpuE7ELNS1_3repE0EEENS1_30default_config_static_selectorELNS0_4arch9wavefront6targetE0EEEvSQ_.has_indirect_call, 0
	.section	.AMDGPU.csdata,"",@progbits
; Kernel info:
; codeLenInByte = 0
; TotalNumSgprs: 0
; NumVgprs: 0
; ScratchSize: 0
; MemoryBound: 0
; FloatMode: 240
; IeeeMode: 1
; LDSByteSize: 0 bytes/workgroup (compile time only)
; SGPRBlocks: 0
; VGPRBlocks: 0
; NumSGPRsForWavesPerEU: 1
; NumVGPRsForWavesPerEU: 1
; Occupancy: 16
; WaveLimiterHint : 0
; COMPUTE_PGM_RSRC2:SCRATCH_EN: 0
; COMPUTE_PGM_RSRC2:USER_SGPR: 2
; COMPUTE_PGM_RSRC2:TRAP_HANDLER: 0
; COMPUTE_PGM_RSRC2:TGID_X_EN: 1
; COMPUTE_PGM_RSRC2:TGID_Y_EN: 0
; COMPUTE_PGM_RSRC2:TGID_Z_EN: 0
; COMPUTE_PGM_RSRC2:TIDIG_COMP_CNT: 0
	.section	.text._ZN7rocprim17ROCPRIM_400000_NS6detail17trampoline_kernelINS0_14default_configENS1_22reduce_config_selectorIbEEZNS1_11reduce_implILb1ES3_N6hipcub16HIPCUB_304000_NS22TransformInputIteratorIbN2at6native12_GLOBAL__N_19NonZeroOpIlEEPKllEEPiiNS8_6detail34convert_binary_result_type_wrapperINS8_3SumESH_iEEEE10hipError_tPvRmT1_T2_T3_mT4_P12ihipStream_tbEUlT_E0_NS1_11comp_targetILNS1_3genE2ELNS1_11target_archE906ELNS1_3gpuE6ELNS1_3repE0EEENS1_30default_config_static_selectorELNS0_4arch9wavefront6targetE0EEEvSQ_,"axG",@progbits,_ZN7rocprim17ROCPRIM_400000_NS6detail17trampoline_kernelINS0_14default_configENS1_22reduce_config_selectorIbEEZNS1_11reduce_implILb1ES3_N6hipcub16HIPCUB_304000_NS22TransformInputIteratorIbN2at6native12_GLOBAL__N_19NonZeroOpIlEEPKllEEPiiNS8_6detail34convert_binary_result_type_wrapperINS8_3SumESH_iEEEE10hipError_tPvRmT1_T2_T3_mT4_P12ihipStream_tbEUlT_E0_NS1_11comp_targetILNS1_3genE2ELNS1_11target_archE906ELNS1_3gpuE6ELNS1_3repE0EEENS1_30default_config_static_selectorELNS0_4arch9wavefront6targetE0EEEvSQ_,comdat
	.globl	_ZN7rocprim17ROCPRIM_400000_NS6detail17trampoline_kernelINS0_14default_configENS1_22reduce_config_selectorIbEEZNS1_11reduce_implILb1ES3_N6hipcub16HIPCUB_304000_NS22TransformInputIteratorIbN2at6native12_GLOBAL__N_19NonZeroOpIlEEPKllEEPiiNS8_6detail34convert_binary_result_type_wrapperINS8_3SumESH_iEEEE10hipError_tPvRmT1_T2_T3_mT4_P12ihipStream_tbEUlT_E0_NS1_11comp_targetILNS1_3genE2ELNS1_11target_archE906ELNS1_3gpuE6ELNS1_3repE0EEENS1_30default_config_static_selectorELNS0_4arch9wavefront6targetE0EEEvSQ_ ; -- Begin function _ZN7rocprim17ROCPRIM_400000_NS6detail17trampoline_kernelINS0_14default_configENS1_22reduce_config_selectorIbEEZNS1_11reduce_implILb1ES3_N6hipcub16HIPCUB_304000_NS22TransformInputIteratorIbN2at6native12_GLOBAL__N_19NonZeroOpIlEEPKllEEPiiNS8_6detail34convert_binary_result_type_wrapperINS8_3SumESH_iEEEE10hipError_tPvRmT1_T2_T3_mT4_P12ihipStream_tbEUlT_E0_NS1_11comp_targetILNS1_3genE2ELNS1_11target_archE906ELNS1_3gpuE6ELNS1_3repE0EEENS1_30default_config_static_selectorELNS0_4arch9wavefront6targetE0EEEvSQ_
	.p2align	8
	.type	_ZN7rocprim17ROCPRIM_400000_NS6detail17trampoline_kernelINS0_14default_configENS1_22reduce_config_selectorIbEEZNS1_11reduce_implILb1ES3_N6hipcub16HIPCUB_304000_NS22TransformInputIteratorIbN2at6native12_GLOBAL__N_19NonZeroOpIlEEPKllEEPiiNS8_6detail34convert_binary_result_type_wrapperINS8_3SumESH_iEEEE10hipError_tPvRmT1_T2_T3_mT4_P12ihipStream_tbEUlT_E0_NS1_11comp_targetILNS1_3genE2ELNS1_11target_archE906ELNS1_3gpuE6ELNS1_3repE0EEENS1_30default_config_static_selectorELNS0_4arch9wavefront6targetE0EEEvSQ_,@function
_ZN7rocprim17ROCPRIM_400000_NS6detail17trampoline_kernelINS0_14default_configENS1_22reduce_config_selectorIbEEZNS1_11reduce_implILb1ES3_N6hipcub16HIPCUB_304000_NS22TransformInputIteratorIbN2at6native12_GLOBAL__N_19NonZeroOpIlEEPKllEEPiiNS8_6detail34convert_binary_result_type_wrapperINS8_3SumESH_iEEEE10hipError_tPvRmT1_T2_T3_mT4_P12ihipStream_tbEUlT_E0_NS1_11comp_targetILNS1_3genE2ELNS1_11target_archE906ELNS1_3gpuE6ELNS1_3repE0EEENS1_30default_config_static_selectorELNS0_4arch9wavefront6targetE0EEEvSQ_: ; @_ZN7rocprim17ROCPRIM_400000_NS6detail17trampoline_kernelINS0_14default_configENS1_22reduce_config_selectorIbEEZNS1_11reduce_implILb1ES3_N6hipcub16HIPCUB_304000_NS22TransformInputIteratorIbN2at6native12_GLOBAL__N_19NonZeroOpIlEEPKllEEPiiNS8_6detail34convert_binary_result_type_wrapperINS8_3SumESH_iEEEE10hipError_tPvRmT1_T2_T3_mT4_P12ihipStream_tbEUlT_E0_NS1_11comp_targetILNS1_3genE2ELNS1_11target_archE906ELNS1_3gpuE6ELNS1_3repE0EEENS1_30default_config_static_selectorELNS0_4arch9wavefront6targetE0EEEvSQ_
; %bb.0:
	.section	.rodata,"a",@progbits
	.p2align	6, 0x0
	.amdhsa_kernel _ZN7rocprim17ROCPRIM_400000_NS6detail17trampoline_kernelINS0_14default_configENS1_22reduce_config_selectorIbEEZNS1_11reduce_implILb1ES3_N6hipcub16HIPCUB_304000_NS22TransformInputIteratorIbN2at6native12_GLOBAL__N_19NonZeroOpIlEEPKllEEPiiNS8_6detail34convert_binary_result_type_wrapperINS8_3SumESH_iEEEE10hipError_tPvRmT1_T2_T3_mT4_P12ihipStream_tbEUlT_E0_NS1_11comp_targetILNS1_3genE2ELNS1_11target_archE906ELNS1_3gpuE6ELNS1_3repE0EEENS1_30default_config_static_selectorELNS0_4arch9wavefront6targetE0EEEvSQ_
		.amdhsa_group_segment_fixed_size 0
		.amdhsa_private_segment_fixed_size 0
		.amdhsa_kernarg_size 64
		.amdhsa_user_sgpr_count 2
		.amdhsa_user_sgpr_dispatch_ptr 0
		.amdhsa_user_sgpr_queue_ptr 0
		.amdhsa_user_sgpr_kernarg_segment_ptr 1
		.amdhsa_user_sgpr_dispatch_id 0
		.amdhsa_user_sgpr_private_segment_size 0
		.amdhsa_wavefront_size32 1
		.amdhsa_uses_dynamic_stack 0
		.amdhsa_enable_private_segment 0
		.amdhsa_system_sgpr_workgroup_id_x 1
		.amdhsa_system_sgpr_workgroup_id_y 0
		.amdhsa_system_sgpr_workgroup_id_z 0
		.amdhsa_system_sgpr_workgroup_info 0
		.amdhsa_system_vgpr_workitem_id 0
		.amdhsa_next_free_vgpr 1
		.amdhsa_next_free_sgpr 1
		.amdhsa_reserve_vcc 0
		.amdhsa_float_round_mode_32 0
		.amdhsa_float_round_mode_16_64 0
		.amdhsa_float_denorm_mode_32 3
		.amdhsa_float_denorm_mode_16_64 3
		.amdhsa_fp16_overflow 0
		.amdhsa_workgroup_processor_mode 1
		.amdhsa_memory_ordered 1
		.amdhsa_forward_progress 1
		.amdhsa_inst_pref_size 0
		.amdhsa_round_robin_scheduling 0
		.amdhsa_exception_fp_ieee_invalid_op 0
		.amdhsa_exception_fp_denorm_src 0
		.amdhsa_exception_fp_ieee_div_zero 0
		.amdhsa_exception_fp_ieee_overflow 0
		.amdhsa_exception_fp_ieee_underflow 0
		.amdhsa_exception_fp_ieee_inexact 0
		.amdhsa_exception_int_div_zero 0
	.end_amdhsa_kernel
	.section	.text._ZN7rocprim17ROCPRIM_400000_NS6detail17trampoline_kernelINS0_14default_configENS1_22reduce_config_selectorIbEEZNS1_11reduce_implILb1ES3_N6hipcub16HIPCUB_304000_NS22TransformInputIteratorIbN2at6native12_GLOBAL__N_19NonZeroOpIlEEPKllEEPiiNS8_6detail34convert_binary_result_type_wrapperINS8_3SumESH_iEEEE10hipError_tPvRmT1_T2_T3_mT4_P12ihipStream_tbEUlT_E0_NS1_11comp_targetILNS1_3genE2ELNS1_11target_archE906ELNS1_3gpuE6ELNS1_3repE0EEENS1_30default_config_static_selectorELNS0_4arch9wavefront6targetE0EEEvSQ_,"axG",@progbits,_ZN7rocprim17ROCPRIM_400000_NS6detail17trampoline_kernelINS0_14default_configENS1_22reduce_config_selectorIbEEZNS1_11reduce_implILb1ES3_N6hipcub16HIPCUB_304000_NS22TransformInputIteratorIbN2at6native12_GLOBAL__N_19NonZeroOpIlEEPKllEEPiiNS8_6detail34convert_binary_result_type_wrapperINS8_3SumESH_iEEEE10hipError_tPvRmT1_T2_T3_mT4_P12ihipStream_tbEUlT_E0_NS1_11comp_targetILNS1_3genE2ELNS1_11target_archE906ELNS1_3gpuE6ELNS1_3repE0EEENS1_30default_config_static_selectorELNS0_4arch9wavefront6targetE0EEEvSQ_,comdat
.Lfunc_end240:
	.size	_ZN7rocprim17ROCPRIM_400000_NS6detail17trampoline_kernelINS0_14default_configENS1_22reduce_config_selectorIbEEZNS1_11reduce_implILb1ES3_N6hipcub16HIPCUB_304000_NS22TransformInputIteratorIbN2at6native12_GLOBAL__N_19NonZeroOpIlEEPKllEEPiiNS8_6detail34convert_binary_result_type_wrapperINS8_3SumESH_iEEEE10hipError_tPvRmT1_T2_T3_mT4_P12ihipStream_tbEUlT_E0_NS1_11comp_targetILNS1_3genE2ELNS1_11target_archE906ELNS1_3gpuE6ELNS1_3repE0EEENS1_30default_config_static_selectorELNS0_4arch9wavefront6targetE0EEEvSQ_, .Lfunc_end240-_ZN7rocprim17ROCPRIM_400000_NS6detail17trampoline_kernelINS0_14default_configENS1_22reduce_config_selectorIbEEZNS1_11reduce_implILb1ES3_N6hipcub16HIPCUB_304000_NS22TransformInputIteratorIbN2at6native12_GLOBAL__N_19NonZeroOpIlEEPKllEEPiiNS8_6detail34convert_binary_result_type_wrapperINS8_3SumESH_iEEEE10hipError_tPvRmT1_T2_T3_mT4_P12ihipStream_tbEUlT_E0_NS1_11comp_targetILNS1_3genE2ELNS1_11target_archE906ELNS1_3gpuE6ELNS1_3repE0EEENS1_30default_config_static_selectorELNS0_4arch9wavefront6targetE0EEEvSQ_
                                        ; -- End function
	.set _ZN7rocprim17ROCPRIM_400000_NS6detail17trampoline_kernelINS0_14default_configENS1_22reduce_config_selectorIbEEZNS1_11reduce_implILb1ES3_N6hipcub16HIPCUB_304000_NS22TransformInputIteratorIbN2at6native12_GLOBAL__N_19NonZeroOpIlEEPKllEEPiiNS8_6detail34convert_binary_result_type_wrapperINS8_3SumESH_iEEEE10hipError_tPvRmT1_T2_T3_mT4_P12ihipStream_tbEUlT_E0_NS1_11comp_targetILNS1_3genE2ELNS1_11target_archE906ELNS1_3gpuE6ELNS1_3repE0EEENS1_30default_config_static_selectorELNS0_4arch9wavefront6targetE0EEEvSQ_.num_vgpr, 0
	.set _ZN7rocprim17ROCPRIM_400000_NS6detail17trampoline_kernelINS0_14default_configENS1_22reduce_config_selectorIbEEZNS1_11reduce_implILb1ES3_N6hipcub16HIPCUB_304000_NS22TransformInputIteratorIbN2at6native12_GLOBAL__N_19NonZeroOpIlEEPKllEEPiiNS8_6detail34convert_binary_result_type_wrapperINS8_3SumESH_iEEEE10hipError_tPvRmT1_T2_T3_mT4_P12ihipStream_tbEUlT_E0_NS1_11comp_targetILNS1_3genE2ELNS1_11target_archE906ELNS1_3gpuE6ELNS1_3repE0EEENS1_30default_config_static_selectorELNS0_4arch9wavefront6targetE0EEEvSQ_.num_agpr, 0
	.set _ZN7rocprim17ROCPRIM_400000_NS6detail17trampoline_kernelINS0_14default_configENS1_22reduce_config_selectorIbEEZNS1_11reduce_implILb1ES3_N6hipcub16HIPCUB_304000_NS22TransformInputIteratorIbN2at6native12_GLOBAL__N_19NonZeroOpIlEEPKllEEPiiNS8_6detail34convert_binary_result_type_wrapperINS8_3SumESH_iEEEE10hipError_tPvRmT1_T2_T3_mT4_P12ihipStream_tbEUlT_E0_NS1_11comp_targetILNS1_3genE2ELNS1_11target_archE906ELNS1_3gpuE6ELNS1_3repE0EEENS1_30default_config_static_selectorELNS0_4arch9wavefront6targetE0EEEvSQ_.numbered_sgpr, 0
	.set _ZN7rocprim17ROCPRIM_400000_NS6detail17trampoline_kernelINS0_14default_configENS1_22reduce_config_selectorIbEEZNS1_11reduce_implILb1ES3_N6hipcub16HIPCUB_304000_NS22TransformInputIteratorIbN2at6native12_GLOBAL__N_19NonZeroOpIlEEPKllEEPiiNS8_6detail34convert_binary_result_type_wrapperINS8_3SumESH_iEEEE10hipError_tPvRmT1_T2_T3_mT4_P12ihipStream_tbEUlT_E0_NS1_11comp_targetILNS1_3genE2ELNS1_11target_archE906ELNS1_3gpuE6ELNS1_3repE0EEENS1_30default_config_static_selectorELNS0_4arch9wavefront6targetE0EEEvSQ_.num_named_barrier, 0
	.set _ZN7rocprim17ROCPRIM_400000_NS6detail17trampoline_kernelINS0_14default_configENS1_22reduce_config_selectorIbEEZNS1_11reduce_implILb1ES3_N6hipcub16HIPCUB_304000_NS22TransformInputIteratorIbN2at6native12_GLOBAL__N_19NonZeroOpIlEEPKllEEPiiNS8_6detail34convert_binary_result_type_wrapperINS8_3SumESH_iEEEE10hipError_tPvRmT1_T2_T3_mT4_P12ihipStream_tbEUlT_E0_NS1_11comp_targetILNS1_3genE2ELNS1_11target_archE906ELNS1_3gpuE6ELNS1_3repE0EEENS1_30default_config_static_selectorELNS0_4arch9wavefront6targetE0EEEvSQ_.private_seg_size, 0
	.set _ZN7rocprim17ROCPRIM_400000_NS6detail17trampoline_kernelINS0_14default_configENS1_22reduce_config_selectorIbEEZNS1_11reduce_implILb1ES3_N6hipcub16HIPCUB_304000_NS22TransformInputIteratorIbN2at6native12_GLOBAL__N_19NonZeroOpIlEEPKllEEPiiNS8_6detail34convert_binary_result_type_wrapperINS8_3SumESH_iEEEE10hipError_tPvRmT1_T2_T3_mT4_P12ihipStream_tbEUlT_E0_NS1_11comp_targetILNS1_3genE2ELNS1_11target_archE906ELNS1_3gpuE6ELNS1_3repE0EEENS1_30default_config_static_selectorELNS0_4arch9wavefront6targetE0EEEvSQ_.uses_vcc, 0
	.set _ZN7rocprim17ROCPRIM_400000_NS6detail17trampoline_kernelINS0_14default_configENS1_22reduce_config_selectorIbEEZNS1_11reduce_implILb1ES3_N6hipcub16HIPCUB_304000_NS22TransformInputIteratorIbN2at6native12_GLOBAL__N_19NonZeroOpIlEEPKllEEPiiNS8_6detail34convert_binary_result_type_wrapperINS8_3SumESH_iEEEE10hipError_tPvRmT1_T2_T3_mT4_P12ihipStream_tbEUlT_E0_NS1_11comp_targetILNS1_3genE2ELNS1_11target_archE906ELNS1_3gpuE6ELNS1_3repE0EEENS1_30default_config_static_selectorELNS0_4arch9wavefront6targetE0EEEvSQ_.uses_flat_scratch, 0
	.set _ZN7rocprim17ROCPRIM_400000_NS6detail17trampoline_kernelINS0_14default_configENS1_22reduce_config_selectorIbEEZNS1_11reduce_implILb1ES3_N6hipcub16HIPCUB_304000_NS22TransformInputIteratorIbN2at6native12_GLOBAL__N_19NonZeroOpIlEEPKllEEPiiNS8_6detail34convert_binary_result_type_wrapperINS8_3SumESH_iEEEE10hipError_tPvRmT1_T2_T3_mT4_P12ihipStream_tbEUlT_E0_NS1_11comp_targetILNS1_3genE2ELNS1_11target_archE906ELNS1_3gpuE6ELNS1_3repE0EEENS1_30default_config_static_selectorELNS0_4arch9wavefront6targetE0EEEvSQ_.has_dyn_sized_stack, 0
	.set _ZN7rocprim17ROCPRIM_400000_NS6detail17trampoline_kernelINS0_14default_configENS1_22reduce_config_selectorIbEEZNS1_11reduce_implILb1ES3_N6hipcub16HIPCUB_304000_NS22TransformInputIteratorIbN2at6native12_GLOBAL__N_19NonZeroOpIlEEPKllEEPiiNS8_6detail34convert_binary_result_type_wrapperINS8_3SumESH_iEEEE10hipError_tPvRmT1_T2_T3_mT4_P12ihipStream_tbEUlT_E0_NS1_11comp_targetILNS1_3genE2ELNS1_11target_archE906ELNS1_3gpuE6ELNS1_3repE0EEENS1_30default_config_static_selectorELNS0_4arch9wavefront6targetE0EEEvSQ_.has_recursion, 0
	.set _ZN7rocprim17ROCPRIM_400000_NS6detail17trampoline_kernelINS0_14default_configENS1_22reduce_config_selectorIbEEZNS1_11reduce_implILb1ES3_N6hipcub16HIPCUB_304000_NS22TransformInputIteratorIbN2at6native12_GLOBAL__N_19NonZeroOpIlEEPKllEEPiiNS8_6detail34convert_binary_result_type_wrapperINS8_3SumESH_iEEEE10hipError_tPvRmT1_T2_T3_mT4_P12ihipStream_tbEUlT_E0_NS1_11comp_targetILNS1_3genE2ELNS1_11target_archE906ELNS1_3gpuE6ELNS1_3repE0EEENS1_30default_config_static_selectorELNS0_4arch9wavefront6targetE0EEEvSQ_.has_indirect_call, 0
	.section	.AMDGPU.csdata,"",@progbits
; Kernel info:
; codeLenInByte = 0
; TotalNumSgprs: 0
; NumVgprs: 0
; ScratchSize: 0
; MemoryBound: 0
; FloatMode: 240
; IeeeMode: 1
; LDSByteSize: 0 bytes/workgroup (compile time only)
; SGPRBlocks: 0
; VGPRBlocks: 0
; NumSGPRsForWavesPerEU: 1
; NumVGPRsForWavesPerEU: 1
; Occupancy: 16
; WaveLimiterHint : 0
; COMPUTE_PGM_RSRC2:SCRATCH_EN: 0
; COMPUTE_PGM_RSRC2:USER_SGPR: 2
; COMPUTE_PGM_RSRC2:TRAP_HANDLER: 0
; COMPUTE_PGM_RSRC2:TGID_X_EN: 1
; COMPUTE_PGM_RSRC2:TGID_Y_EN: 0
; COMPUTE_PGM_RSRC2:TGID_Z_EN: 0
; COMPUTE_PGM_RSRC2:TIDIG_COMP_CNT: 0
	.section	.text._ZN7rocprim17ROCPRIM_400000_NS6detail17trampoline_kernelINS0_14default_configENS1_22reduce_config_selectorIbEEZNS1_11reduce_implILb1ES3_N6hipcub16HIPCUB_304000_NS22TransformInputIteratorIbN2at6native12_GLOBAL__N_19NonZeroOpIlEEPKllEEPiiNS8_6detail34convert_binary_result_type_wrapperINS8_3SumESH_iEEEE10hipError_tPvRmT1_T2_T3_mT4_P12ihipStream_tbEUlT_E0_NS1_11comp_targetILNS1_3genE10ELNS1_11target_archE1201ELNS1_3gpuE5ELNS1_3repE0EEENS1_30default_config_static_selectorELNS0_4arch9wavefront6targetE0EEEvSQ_,"axG",@progbits,_ZN7rocprim17ROCPRIM_400000_NS6detail17trampoline_kernelINS0_14default_configENS1_22reduce_config_selectorIbEEZNS1_11reduce_implILb1ES3_N6hipcub16HIPCUB_304000_NS22TransformInputIteratorIbN2at6native12_GLOBAL__N_19NonZeroOpIlEEPKllEEPiiNS8_6detail34convert_binary_result_type_wrapperINS8_3SumESH_iEEEE10hipError_tPvRmT1_T2_T3_mT4_P12ihipStream_tbEUlT_E0_NS1_11comp_targetILNS1_3genE10ELNS1_11target_archE1201ELNS1_3gpuE5ELNS1_3repE0EEENS1_30default_config_static_selectorELNS0_4arch9wavefront6targetE0EEEvSQ_,comdat
	.globl	_ZN7rocprim17ROCPRIM_400000_NS6detail17trampoline_kernelINS0_14default_configENS1_22reduce_config_selectorIbEEZNS1_11reduce_implILb1ES3_N6hipcub16HIPCUB_304000_NS22TransformInputIteratorIbN2at6native12_GLOBAL__N_19NonZeroOpIlEEPKllEEPiiNS8_6detail34convert_binary_result_type_wrapperINS8_3SumESH_iEEEE10hipError_tPvRmT1_T2_T3_mT4_P12ihipStream_tbEUlT_E0_NS1_11comp_targetILNS1_3genE10ELNS1_11target_archE1201ELNS1_3gpuE5ELNS1_3repE0EEENS1_30default_config_static_selectorELNS0_4arch9wavefront6targetE0EEEvSQ_ ; -- Begin function _ZN7rocprim17ROCPRIM_400000_NS6detail17trampoline_kernelINS0_14default_configENS1_22reduce_config_selectorIbEEZNS1_11reduce_implILb1ES3_N6hipcub16HIPCUB_304000_NS22TransformInputIteratorIbN2at6native12_GLOBAL__N_19NonZeroOpIlEEPKllEEPiiNS8_6detail34convert_binary_result_type_wrapperINS8_3SumESH_iEEEE10hipError_tPvRmT1_T2_T3_mT4_P12ihipStream_tbEUlT_E0_NS1_11comp_targetILNS1_3genE10ELNS1_11target_archE1201ELNS1_3gpuE5ELNS1_3repE0EEENS1_30default_config_static_selectorELNS0_4arch9wavefront6targetE0EEEvSQ_
	.p2align	8
	.type	_ZN7rocprim17ROCPRIM_400000_NS6detail17trampoline_kernelINS0_14default_configENS1_22reduce_config_selectorIbEEZNS1_11reduce_implILb1ES3_N6hipcub16HIPCUB_304000_NS22TransformInputIteratorIbN2at6native12_GLOBAL__N_19NonZeroOpIlEEPKllEEPiiNS8_6detail34convert_binary_result_type_wrapperINS8_3SumESH_iEEEE10hipError_tPvRmT1_T2_T3_mT4_P12ihipStream_tbEUlT_E0_NS1_11comp_targetILNS1_3genE10ELNS1_11target_archE1201ELNS1_3gpuE5ELNS1_3repE0EEENS1_30default_config_static_selectorELNS0_4arch9wavefront6targetE0EEEvSQ_,@function
_ZN7rocprim17ROCPRIM_400000_NS6detail17trampoline_kernelINS0_14default_configENS1_22reduce_config_selectorIbEEZNS1_11reduce_implILb1ES3_N6hipcub16HIPCUB_304000_NS22TransformInputIteratorIbN2at6native12_GLOBAL__N_19NonZeroOpIlEEPKllEEPiiNS8_6detail34convert_binary_result_type_wrapperINS8_3SumESH_iEEEE10hipError_tPvRmT1_T2_T3_mT4_P12ihipStream_tbEUlT_E0_NS1_11comp_targetILNS1_3genE10ELNS1_11target_archE1201ELNS1_3gpuE5ELNS1_3repE0EEENS1_30default_config_static_selectorELNS0_4arch9wavefront6targetE0EEEvSQ_: ; @_ZN7rocprim17ROCPRIM_400000_NS6detail17trampoline_kernelINS0_14default_configENS1_22reduce_config_selectorIbEEZNS1_11reduce_implILb1ES3_N6hipcub16HIPCUB_304000_NS22TransformInputIteratorIbN2at6native12_GLOBAL__N_19NonZeroOpIlEEPKllEEPiiNS8_6detail34convert_binary_result_type_wrapperINS8_3SumESH_iEEEE10hipError_tPvRmT1_T2_T3_mT4_P12ihipStream_tbEUlT_E0_NS1_11comp_targetILNS1_3genE10ELNS1_11target_archE1201ELNS1_3gpuE5ELNS1_3repE0EEENS1_30default_config_static_selectorELNS0_4arch9wavefront6targetE0EEEvSQ_
; %bb.0:
	s_clause 0x2
	s_load_b256 s[16:23], s[0:1], 0x10
	s_load_b64 s[4:5], s[0:1], 0x0
	s_load_b64 s[26:27], s[0:1], 0x30
	s_lshl_b32 s2, ttmp9, 12
	s_mov_b32 s3, 0
	v_mbcnt_lo_u32_b32 v18, -1, 0
	v_lshlrev_b32_e32 v19, 3, v0
	s_mov_b32 s24, ttmp9
	s_mov_b32 s25, s3
	s_wait_kmcnt 0x0
	s_lshl_b64 s[6:7], s[16:17], 3
	s_lshr_b64 s[8:9], s[18:19], 12
	s_add_nc_u64 s[4:5], s[4:5], s[6:7]
	s_lshl_b64 s[6:7], s[2:3], 3
	s_cmp_lg_u64 s[8:9], s[24:25]
	s_add_nc_u64 s[16:17], s[4:5], s[6:7]
	s_cbranch_scc0 .LBB241_6
; %bb.1:
	s_clause 0xf
	global_load_b64 v[1:2], v19, s[16:17]
	global_load_b64 v[3:4], v19, s[16:17] offset:4096
	global_load_b64 v[5:6], v19, s[16:17] offset:2048
	;; [unrolled: 1-line block ×15, first 2 shown]
	s_mov_b32 s3, exec_lo
	s_wait_loadcnt 0xf
	v_cmp_ne_u64_e32 vcc_lo, 0, v[1:2]
	v_cndmask_b32_e64 v1, 0, 1, vcc_lo
	s_wait_loadcnt 0xe
	v_cmp_ne_u64_e32 vcc_lo, 0, v[3:4]
	s_wait_alu 0xfffd
	v_cndmask_b32_e64 v2, 0, 1, vcc_lo
	s_wait_loadcnt 0xd
	v_cmp_ne_u64_e32 vcc_lo, 0, v[5:6]
	s_wait_alu 0xfffd
	v_add_co_ci_u32_e64 v1, null, 0, v1, vcc_lo
	s_wait_loadcnt 0xc
	v_cmp_ne_u64_e32 vcc_lo, 0, v[7:8]
	s_wait_alu 0xfffd
	v_cndmask_b32_e64 v3, 0, 1, vcc_lo
	s_wait_loadcnt 0xb
	v_cmp_ne_u64_e32 vcc_lo, 0, v[9:10]
	s_wait_alu 0xfffd
	v_add_co_ci_u32_e64 v1, null, v1, v2, vcc_lo
	s_wait_loadcnt 0xa
	v_cmp_ne_u64_e32 vcc_lo, 0, v[11:12]
	s_wait_alu 0xfffd
	v_cndmask_b32_e64 v2, 0, 1, vcc_lo
	s_wait_loadcnt 0x9
	v_cmp_ne_u64_e32 vcc_lo, 0, v[13:14]
	s_wait_alu 0xfffd
	v_add_co_ci_u32_e64 v1, null, v1, v3, vcc_lo
	s_wait_loadcnt 0x8
	v_cmp_ne_u64_e32 vcc_lo, 0, v[15:16]
	s_wait_alu 0xfffd
	v_cndmask_b32_e64 v3, 0, 1, vcc_lo
	s_wait_loadcnt 0x7
	v_cmp_ne_u64_e32 vcc_lo, 0, v[20:21]
	s_wait_alu 0xfffd
	v_add_co_ci_u32_e64 v1, null, v1, v2, vcc_lo
	s_wait_loadcnt 0x6
	v_cmp_ne_u64_e32 vcc_lo, 0, v[22:23]
	s_wait_alu 0xfffd
	v_cndmask_b32_e64 v2, 0, 1, vcc_lo
	s_wait_loadcnt 0x5
	v_cmp_ne_u64_e32 vcc_lo, 0, v[24:25]
	s_wait_alu 0xfffd
	v_add_co_ci_u32_e64 v1, null, v1, v3, vcc_lo
	s_wait_loadcnt 0x4
	v_cmp_ne_u64_e32 vcc_lo, 0, v[26:27]
	s_wait_alu 0xfffd
	v_cndmask_b32_e64 v3, 0, 1, vcc_lo
	s_wait_loadcnt 0x3
	v_cmp_ne_u64_e32 vcc_lo, 0, v[28:29]
	s_wait_alu 0xfffd
	v_add_co_ci_u32_e64 v1, null, v1, v2, vcc_lo
	s_wait_loadcnt 0x2
	v_cmp_ne_u64_e32 vcc_lo, 0, v[30:31]
	s_wait_alu 0xfffd
	v_cndmask_b32_e64 v2, 0, 1, vcc_lo
	s_wait_loadcnt 0x1
	v_cmp_ne_u64_e32 vcc_lo, 0, v[32:33]
	s_wait_alu 0xfffd
	v_add_co_ci_u32_e64 v1, null, v1, v3, vcc_lo
	s_wait_loadcnt 0x0
	v_cmp_ne_u64_e32 vcc_lo, 0, v[34:35]
	s_wait_alu 0xfffd
	s_delay_alu instid0(VALU_DEP_2) | instskip(NEXT) | instid1(VALU_DEP_1)
	v_add_co_ci_u32_e64 v1, null, v1, v2, vcc_lo
	v_mov_b32_dpp v2, v1 quad_perm:[1,0,3,2] row_mask:0xf bank_mask:0xf
	s_delay_alu instid0(VALU_DEP_1) | instskip(NEXT) | instid1(VALU_DEP_1)
	v_add_nc_u32_e32 v1, v1, v2
	v_mov_b32_dpp v2, v1 quad_perm:[2,3,0,1] row_mask:0xf bank_mask:0xf
	s_delay_alu instid0(VALU_DEP_1) | instskip(NEXT) | instid1(VALU_DEP_1)
	v_add_nc_u32_e32 v1, v1, v2
	v_mov_b32_dpp v2, v1 row_ror:4 row_mask:0xf bank_mask:0xf
	s_delay_alu instid0(VALU_DEP_1) | instskip(NEXT) | instid1(VALU_DEP_1)
	v_add_nc_u32_e32 v1, v1, v2
	v_mov_b32_dpp v2, v1 row_ror:8 row_mask:0xf bank_mask:0xf
	s_delay_alu instid0(VALU_DEP_1)
	v_add_nc_u32_e32 v1, v1, v2
	ds_swizzle_b32 v2, v1 offset:swizzle(BROADCAST,32,15)
	s_wait_dscnt 0x0
	v_dual_mov_b32 v2, 0 :: v_dual_add_nc_u32 v1, v1, v2
	ds_bpermute_b32 v1, v2, v1 offset:124
	v_cmpx_eq_u32_e32 0, v18
	s_cbranch_execz .LBB241_3
; %bb.2:
	v_lshrrev_b32_e32 v2, 3, v0
	s_delay_alu instid0(VALU_DEP_1)
	v_and_b32_e32 v2, 28, v2
	s_wait_dscnt 0x0
	ds_store_b32 v2, v1
.LBB241_3:
	s_or_b32 exec_lo, exec_lo, s3
	s_delay_alu instid0(SALU_CYCLE_1)
	s_mov_b32 s3, exec_lo
	s_wait_dscnt 0x0
	s_barrier_signal -1
	s_barrier_wait -1
	global_inv scope:SCOPE_SE
	v_cmpx_gt_u32_e32 32, v0
	s_cbranch_execz .LBB241_5
; %bb.4:
	v_and_b32_e32 v1, 7, v18
	s_delay_alu instid0(VALU_DEP_1)
	v_lshlrev_b32_e32 v2, 2, v1
	v_cmp_ne_u32_e32 vcc_lo, 7, v1
	ds_load_b32 v2, v2
	s_wait_alu 0xfffd
	v_add_co_ci_u32_e64 v3, null, 0, v18, vcc_lo
	v_cmp_gt_u32_e32 vcc_lo, 6, v1
	s_delay_alu instid0(VALU_DEP_2) | instskip(SKIP_2) | instid1(VALU_DEP_1)
	v_lshlrev_b32_e32 v3, 2, v3
	s_wait_alu 0xfffd
	v_cndmask_b32_e64 v1, 0, 2, vcc_lo
	v_add_lshl_u32 v1, v1, v18, 2
	s_wait_dscnt 0x0
	ds_bpermute_b32 v3, v3, v2
	s_wait_dscnt 0x0
	v_add_nc_u32_e32 v2, v3, v2
	v_lshlrev_b32_e32 v3, 2, v18
	ds_bpermute_b32 v1, v1, v2
	s_wait_dscnt 0x0
	v_add_nc_u32_e32 v1, v1, v2
	v_or_b32_e32 v2, 16, v3
	ds_bpermute_b32 v2, v2, v1
	s_wait_dscnt 0x0
	v_add_nc_u32_e32 v1, v2, v1
.LBB241_5:
	s_or_b32 exec_lo, exec_lo, s3
	s_branch .LBB241_44
.LBB241_6:
                                        ; implicit-def: $vgpr1
	s_cbranch_execz .LBB241_44
; %bb.7:
	v_mov_b32_e32 v1, 0
	s_sub_co_i32 s28, s18, s2
	s_mov_b32 s2, exec_lo
	s_delay_alu instid0(VALU_DEP_1)
	v_dual_mov_b32 v2, v1 :: v_dual_mov_b32 v3, v1
	v_dual_mov_b32 v4, v1 :: v_dual_mov_b32 v5, v1
	;; [unrolled: 1-line block ×7, first 2 shown]
	v_mov_b32_e32 v16, v1
	v_cmpx_gt_u32_e64 s28, v0
	s_cbranch_execz .LBB241_9
; %bb.8:
	global_load_b64 v[13:14], v19, s[16:17]
	v_dual_mov_b32 v3, v1 :: v_dual_mov_b32 v4, v1
	v_dual_mov_b32 v5, v1 :: v_dual_mov_b32 v6, v1
	;; [unrolled: 1-line block ×6, first 2 shown]
	v_mov_b32_e32 v17, v1
	s_wait_loadcnt 0x0
	v_cmp_ne_u64_e32 vcc_lo, 0, v[13:14]
	v_dual_mov_b32 v13, v1 :: v_dual_mov_b32 v14, v1
	v_cndmask_b32_e64 v2, 0, 1, vcc_lo
	s_delay_alu instid0(VALU_DEP_1) | instskip(NEXT) | instid1(VALU_DEP_1)
	v_and_b32_e32 v2, 0xffff, v2
	v_mov_b32_e32 v1, v2
	v_mov_b32_e32 v2, v3
	;; [unrolled: 1-line block ×16, first 2 shown]
.LBB241_9:
	s_or_b32 exec_lo, exec_lo, s2
	v_or_b32_e32 v17, 0x100, v0
	s_delay_alu instid0(VALU_DEP_1)
	v_cmp_gt_u32_e32 vcc_lo, s28, v17
	s_and_saveexec_b32 s3, vcc_lo
	s_cbranch_execz .LBB241_11
; %bb.10:
	global_load_b64 v[20:21], v19, s[16:17] offset:2048
	s_wait_loadcnt 0x0
	v_cmp_ne_u64_e64 s2, 0, v[20:21]
	s_delay_alu instid0(VALU_DEP_1)
	v_cndmask_b32_e64 v2, 0, 1, s2
.LBB241_11:
	s_or_b32 exec_lo, exec_lo, s3
	v_or_b32_e32 v17, 0x200, v0
	s_delay_alu instid0(VALU_DEP_1)
	v_cmp_gt_u32_e64 s2, s28, v17
	s_and_saveexec_b32 s4, s2
	s_cbranch_execz .LBB241_13
; %bb.12:
	global_load_b64 v[20:21], v19, s[16:17] offset:4096
	s_wait_loadcnt 0x0
	v_cmp_ne_u64_e64 s3, 0, v[20:21]
	s_wait_alu 0xf1ff
	s_delay_alu instid0(VALU_DEP_1)
	v_cndmask_b32_e64 v3, 0, 1, s3
.LBB241_13:
	s_or_b32 exec_lo, exec_lo, s4
	v_or_b32_e32 v17, 0x300, v0
	s_delay_alu instid0(VALU_DEP_1)
	v_cmp_gt_u32_e64 s3, s28, v17
	s_and_saveexec_b32 s5, s3
	s_cbranch_execz .LBB241_15
; %bb.14:
	global_load_b64 v[20:21], v19, s[16:17] offset:6144
	s_wait_loadcnt 0x0
	v_cmp_ne_u64_e64 s4, 0, v[20:21]
	s_delay_alu instid0(VALU_DEP_1)
	v_cndmask_b32_e64 v4, 0, 1, s4
.LBB241_15:
	s_or_b32 exec_lo, exec_lo, s5
	v_or_b32_e32 v17, 0x400, v0
	s_delay_alu instid0(VALU_DEP_1)
	v_cmp_gt_u32_e64 s4, s28, v17
	s_and_saveexec_b32 s6, s4
	s_cbranch_execz .LBB241_17
; %bb.16:
	global_load_b64 v[20:21], v19, s[16:17] offset:8192
	s_wait_loadcnt 0x0
	v_cmp_ne_u64_e64 s5, 0, v[20:21]
	s_wait_alu 0xf1ff
	s_delay_alu instid0(VALU_DEP_1)
	v_cndmask_b32_e64 v5, 0, 1, s5
.LBB241_17:
	s_or_b32 exec_lo, exec_lo, s6
	v_or_b32_e32 v17, 0x500, v0
	s_delay_alu instid0(VALU_DEP_1)
	v_cmp_gt_u32_e64 s5, s28, v17
	s_and_saveexec_b32 s7, s5
	;; [unrolled: 27-line block ×6, first 2 shown]
	s_cbranch_execz .LBB241_35
; %bb.34:
	global_load_b64 v[20:21], v19, s[16:17] offset:26624
	s_wait_loadcnt 0x0
	v_cmp_ne_u64_e64 s14, 0, v[20:21]
	s_delay_alu instid0(VALU_DEP_1)
	v_cndmask_b32_e64 v14, 0, 1, s14
.LBB241_35:
	s_or_b32 exec_lo, exec_lo, s15
	v_or_b32_e32 v17, 0xe00, v0
	s_delay_alu instid0(VALU_DEP_1)
	v_cmp_gt_u32_e64 s14, s28, v17
	s_and_saveexec_b32 s29, s14
	s_cbranch_execz .LBB241_37
; %bb.36:
	global_load_b64 v[20:21], v19, s[16:17] offset:28672
	s_wait_loadcnt 0x0
	v_cmp_ne_u64_e64 s15, 0, v[20:21]
	s_wait_alu 0xf1ff
	s_delay_alu instid0(VALU_DEP_1)
	v_cndmask_b32_e64 v15, 0, 1, s15
.LBB241_37:
	s_wait_alu 0xfffe
	s_or_b32 exec_lo, exec_lo, s29
	v_or_b32_e32 v17, 0xf00, v0
	s_delay_alu instid0(VALU_DEP_1)
	v_cmp_gt_u32_e64 s15, s28, v17
	s_and_saveexec_b32 s29, s15
	s_cbranch_execz .LBB241_39
; %bb.38:
	global_load_b64 v[16:17], v19, s[16:17] offset:30720
	s_wait_loadcnt 0x0
	v_cmp_ne_u64_e64 s16, 0, v[16:17]
	s_delay_alu instid0(VALU_DEP_1)
	v_cndmask_b32_e64 v16, 0, 1, s16
.LBB241_39:
	s_wait_alu 0xfffe
	s_or_b32 exec_lo, exec_lo, s29
	v_cndmask_b32_e32 v2, 0, v2, vcc_lo
	v_cndmask_b32_e64 v3, 0, v3, s2
	v_cndmask_b32_e64 v4, 0, v4, s3
	v_cmp_ne_u32_e32 vcc_lo, 31, v18
	s_min_u32 s2, s28, 0x100
	v_add_nc_u32_e32 v1, v2, v1
	v_cndmask_b32_e64 v2, 0, v5, s4
	v_cndmask_b32_e64 v5, 0, v6, s5
	;; [unrolled: 1-line block ×3, first 2 shown]
	s_mov_b32 s3, exec_lo
	v_add3_u32 v1, v1, v3, v4
	v_cndmask_b32_e64 v3, 0, v7, s6
	v_cndmask_b32_e64 v4, 0, v8, s7
	s_delay_alu instid0(VALU_DEP_3) | instskip(SKIP_2) | instid1(VALU_DEP_3)
	v_add3_u32 v1, v1, v2, v5
	v_cndmask_b32_e64 v2, 0, v9, s8
	v_cndmask_b32_e64 v5, 0, v10, s9
	v_add3_u32 v1, v1, v3, v4
	v_cndmask_b32_e64 v3, 0, v11, s10
	v_cndmask_b32_e64 v4, 0, v12, s11
	s_delay_alu instid0(VALU_DEP_3) | instskip(SKIP_2) | instid1(VALU_DEP_3)
	v_add3_u32 v1, v1, v2, v5
	v_cndmask_b32_e64 v2, 0, v13, s12
	v_cndmask_b32_e64 v5, 0, v14, s13
	v_add3_u32 v1, v1, v3, v4
	v_cndmask_b32_e64 v3, 0, v16, s15
	s_wait_alu 0xfffd
	v_add_co_ci_u32_e64 v4, null, 0, v18, vcc_lo
	v_cmp_gt_u32_e32 vcc_lo, 30, v18
	v_add3_u32 v1, v1, v2, v5
	s_delay_alu instid0(VALU_DEP_3)
	v_lshlrev_b32_e32 v2, 2, v4
	v_add_nc_u32_e32 v4, 1, v18
	s_wait_alu 0xfffd
	v_cndmask_b32_e64 v5, 0, 2, vcc_lo
	v_add3_u32 v1, v1, v6, v3
	v_and_b32_e32 v3, 0xe0, v0
	ds_bpermute_b32 v2, v2, v1
	s_wait_alu 0xfffe
	v_sub_nc_u32_e64 v3, s2, v3 clamp
	s_delay_alu instid0(VALU_DEP_1)
	v_cmp_lt_u32_e32 vcc_lo, v4, v3
	v_add_lshl_u32 v4, v5, v18, 2
	s_wait_dscnt 0x0
	s_wait_alu 0xfffd
	v_cndmask_b32_e32 v2, 0, v2, vcc_lo
	v_cmp_gt_u32_e32 vcc_lo, 28, v18
	s_delay_alu instid0(VALU_DEP_2) | instskip(SKIP_4) | instid1(VALU_DEP_1)
	v_add_nc_u32_e32 v1, v1, v2
	s_wait_alu 0xfffd
	v_cndmask_b32_e64 v5, 0, 4, vcc_lo
	ds_bpermute_b32 v2, v4, v1
	v_add_nc_u32_e32 v4, 2, v18
	v_cmp_lt_u32_e32 vcc_lo, v4, v3
	v_add_lshl_u32 v4, v5, v18, 2
	s_wait_dscnt 0x0
	s_wait_alu 0xfffd
	v_cndmask_b32_e32 v2, 0, v2, vcc_lo
	v_cmp_gt_u32_e32 vcc_lo, 24, v18
	s_delay_alu instid0(VALU_DEP_2) | instskip(SKIP_4) | instid1(VALU_DEP_1)
	v_add_nc_u32_e32 v1, v1, v2
	s_wait_alu 0xfffd
	v_cndmask_b32_e64 v5, 0, 8, vcc_lo
	ds_bpermute_b32 v2, v4, v1
	v_add_nc_u32_e32 v4, 4, v18
	v_cmp_lt_u32_e32 vcc_lo, v4, v3
	v_add_lshl_u32 v4, v5, v18, 2
	v_add_nc_u32_e32 v5, 8, v18
	s_wait_dscnt 0x0
	s_wait_alu 0xfffd
	v_cndmask_b32_e32 v2, 0, v2, vcc_lo
	s_delay_alu instid0(VALU_DEP_2) | instskip(NEXT) | instid1(VALU_DEP_2)
	v_cmp_lt_u32_e32 vcc_lo, v5, v3
	v_add_nc_u32_e32 v1, v1, v2
	v_lshlrev_b32_e32 v2, 2, v18
	ds_bpermute_b32 v4, v4, v1
	v_or_b32_e32 v5, 64, v2
	s_wait_dscnt 0x0
	s_wait_alu 0xfffd
	v_cndmask_b32_e32 v4, 0, v4, vcc_lo
	s_delay_alu instid0(VALU_DEP_1) | instskip(SKIP_2) | instid1(VALU_DEP_1)
	v_add_nc_u32_e32 v1, v1, v4
	ds_bpermute_b32 v4, v5, v1
	v_add_nc_u32_e32 v5, 16, v18
	v_cmp_lt_u32_e32 vcc_lo, v5, v3
	s_wait_dscnt 0x0
	s_wait_alu 0xfffd
	v_cndmask_b32_e32 v3, 0, v4, vcc_lo
	s_delay_alu instid0(VALU_DEP_1)
	v_add_nc_u32_e32 v1, v1, v3
	v_cmpx_eq_u32_e32 0, v18
; %bb.40:
	v_lshrrev_b32_e32 v3, 3, v0
	s_delay_alu instid0(VALU_DEP_1)
	v_and_b32_e32 v3, 28, v3
	ds_store_b32 v3, v1 offset:32
; %bb.41:
	s_or_b32 exec_lo, exec_lo, s3
	s_delay_alu instid0(SALU_CYCLE_1)
	s_mov_b32 s3, exec_lo
	s_wait_loadcnt_dscnt 0x0
	s_barrier_signal -1
	s_barrier_wait -1
	global_inv scope:SCOPE_SE
	v_cmpx_gt_u32_e32 8, v0
	s_cbranch_execz .LBB241_43
; %bb.42:
	ds_load_b32 v1, v2 offset:32
	v_and_b32_e32 v3, 7, v18
	s_add_co_i32 s2, s2, 31
	v_or_b32_e32 v2, 16, v2
	s_wait_alu 0xfffe
	s_lshr_b32 s2, s2, 5
	v_cmp_ne_u32_e32 vcc_lo, 7, v3
	v_add_nc_u32_e32 v5, 1, v3
	s_wait_alu 0xfffd
	v_add_co_ci_u32_e64 v4, null, 0, v18, vcc_lo
	v_cmp_gt_u32_e32 vcc_lo, 6, v3
	s_delay_alu instid0(VALU_DEP_2)
	v_lshlrev_b32_e32 v4, 2, v4
	s_wait_alu 0xfffd
	v_cndmask_b32_e64 v6, 0, 2, vcc_lo
	s_wait_alu 0xfffe
	v_cmp_gt_u32_e32 vcc_lo, s2, v5
	s_wait_dscnt 0x0
	ds_bpermute_b32 v4, v4, v1
	v_add_lshl_u32 v5, v6, v18, 2
	s_wait_dscnt 0x0
	s_wait_alu 0xfffd
	v_cndmask_b32_e32 v4, 0, v4, vcc_lo
	s_delay_alu instid0(VALU_DEP_1) | instskip(SKIP_3) | instid1(VALU_DEP_2)
	v_add_nc_u32_e32 v1, v4, v1
	ds_bpermute_b32 v4, v5, v1
	v_add_nc_u32_e32 v5, 2, v3
	v_add_nc_u32_e32 v3, 4, v3
	v_cmp_gt_u32_e32 vcc_lo, s2, v5
	s_wait_dscnt 0x0
	s_wait_alu 0xfffd
	v_cndmask_b32_e32 v4, 0, v4, vcc_lo
	v_cmp_gt_u32_e32 vcc_lo, s2, v3
	s_delay_alu instid0(VALU_DEP_2) | instskip(SKIP_4) | instid1(VALU_DEP_1)
	v_add_nc_u32_e32 v1, v1, v4
	ds_bpermute_b32 v2, v2, v1
	s_wait_dscnt 0x0
	s_wait_alu 0xfffd
	v_cndmask_b32_e32 v2, 0, v2, vcc_lo
	v_add_nc_u32_e32 v1, v1, v2
.LBB241_43:
	s_wait_alu 0xfffe
	s_or_b32 exec_lo, exec_lo, s3
.LBB241_44:
	s_load_b32 s0, s[0:1], 0x38
	s_mov_b32 s1, exec_lo
	v_cmpx_eq_u32_e32 0, v0
	s_cbranch_execz .LBB241_46
; %bb.45:
	s_mul_u64 s[2:3], s[26:27], s[22:23]
	s_wait_alu 0xfffe
	s_lshl_b64 s[2:3], s[2:3], 2
	s_cmp_eq_u64 s[18:19], 0
	s_wait_alu 0xfffe
	s_add_nc_u64 s[2:3], s[20:21], s[2:3]
	s_cselect_b32 s1, -1, 0
	s_wait_kmcnt 0x0
	v_cndmask_b32_e64 v0, v1, s0, s1
	v_mov_b32_e32 v1, 0
	s_lshl_b64 s[0:1], s[24:25], 2
	s_wait_alu 0xfffe
	s_add_nc_u64 s[0:1], s[2:3], s[0:1]
	global_store_b32 v1, v0, s[0:1]
.LBB241_46:
	s_endpgm
	.section	.rodata,"a",@progbits
	.p2align	6, 0x0
	.amdhsa_kernel _ZN7rocprim17ROCPRIM_400000_NS6detail17trampoline_kernelINS0_14default_configENS1_22reduce_config_selectorIbEEZNS1_11reduce_implILb1ES3_N6hipcub16HIPCUB_304000_NS22TransformInputIteratorIbN2at6native12_GLOBAL__N_19NonZeroOpIlEEPKllEEPiiNS8_6detail34convert_binary_result_type_wrapperINS8_3SumESH_iEEEE10hipError_tPvRmT1_T2_T3_mT4_P12ihipStream_tbEUlT_E0_NS1_11comp_targetILNS1_3genE10ELNS1_11target_archE1201ELNS1_3gpuE5ELNS1_3repE0EEENS1_30default_config_static_selectorELNS0_4arch9wavefront6targetE0EEEvSQ_
		.amdhsa_group_segment_fixed_size 64
		.amdhsa_private_segment_fixed_size 0
		.amdhsa_kernarg_size 64
		.amdhsa_user_sgpr_count 2
		.amdhsa_user_sgpr_dispatch_ptr 0
		.amdhsa_user_sgpr_queue_ptr 0
		.amdhsa_user_sgpr_kernarg_segment_ptr 1
		.amdhsa_user_sgpr_dispatch_id 0
		.amdhsa_user_sgpr_private_segment_size 0
		.amdhsa_wavefront_size32 1
		.amdhsa_uses_dynamic_stack 0
		.amdhsa_enable_private_segment 0
		.amdhsa_system_sgpr_workgroup_id_x 1
		.amdhsa_system_sgpr_workgroup_id_y 0
		.amdhsa_system_sgpr_workgroup_id_z 0
		.amdhsa_system_sgpr_workgroup_info 0
		.amdhsa_system_vgpr_workitem_id 0
		.amdhsa_next_free_vgpr 36
		.amdhsa_next_free_sgpr 30
		.amdhsa_reserve_vcc 1
		.amdhsa_float_round_mode_32 0
		.amdhsa_float_round_mode_16_64 0
		.amdhsa_float_denorm_mode_32 3
		.amdhsa_float_denorm_mode_16_64 3
		.amdhsa_fp16_overflow 0
		.amdhsa_workgroup_processor_mode 1
		.amdhsa_memory_ordered 1
		.amdhsa_forward_progress 1
		.amdhsa_inst_pref_size 25
		.amdhsa_round_robin_scheduling 0
		.amdhsa_exception_fp_ieee_invalid_op 0
		.amdhsa_exception_fp_denorm_src 0
		.amdhsa_exception_fp_ieee_div_zero 0
		.amdhsa_exception_fp_ieee_overflow 0
		.amdhsa_exception_fp_ieee_underflow 0
		.amdhsa_exception_fp_ieee_inexact 0
		.amdhsa_exception_int_div_zero 0
	.end_amdhsa_kernel
	.section	.text._ZN7rocprim17ROCPRIM_400000_NS6detail17trampoline_kernelINS0_14default_configENS1_22reduce_config_selectorIbEEZNS1_11reduce_implILb1ES3_N6hipcub16HIPCUB_304000_NS22TransformInputIteratorIbN2at6native12_GLOBAL__N_19NonZeroOpIlEEPKllEEPiiNS8_6detail34convert_binary_result_type_wrapperINS8_3SumESH_iEEEE10hipError_tPvRmT1_T2_T3_mT4_P12ihipStream_tbEUlT_E0_NS1_11comp_targetILNS1_3genE10ELNS1_11target_archE1201ELNS1_3gpuE5ELNS1_3repE0EEENS1_30default_config_static_selectorELNS0_4arch9wavefront6targetE0EEEvSQ_,"axG",@progbits,_ZN7rocprim17ROCPRIM_400000_NS6detail17trampoline_kernelINS0_14default_configENS1_22reduce_config_selectorIbEEZNS1_11reduce_implILb1ES3_N6hipcub16HIPCUB_304000_NS22TransformInputIteratorIbN2at6native12_GLOBAL__N_19NonZeroOpIlEEPKllEEPiiNS8_6detail34convert_binary_result_type_wrapperINS8_3SumESH_iEEEE10hipError_tPvRmT1_T2_T3_mT4_P12ihipStream_tbEUlT_E0_NS1_11comp_targetILNS1_3genE10ELNS1_11target_archE1201ELNS1_3gpuE5ELNS1_3repE0EEENS1_30default_config_static_selectorELNS0_4arch9wavefront6targetE0EEEvSQ_,comdat
.Lfunc_end241:
	.size	_ZN7rocprim17ROCPRIM_400000_NS6detail17trampoline_kernelINS0_14default_configENS1_22reduce_config_selectorIbEEZNS1_11reduce_implILb1ES3_N6hipcub16HIPCUB_304000_NS22TransformInputIteratorIbN2at6native12_GLOBAL__N_19NonZeroOpIlEEPKllEEPiiNS8_6detail34convert_binary_result_type_wrapperINS8_3SumESH_iEEEE10hipError_tPvRmT1_T2_T3_mT4_P12ihipStream_tbEUlT_E0_NS1_11comp_targetILNS1_3genE10ELNS1_11target_archE1201ELNS1_3gpuE5ELNS1_3repE0EEENS1_30default_config_static_selectorELNS0_4arch9wavefront6targetE0EEEvSQ_, .Lfunc_end241-_ZN7rocprim17ROCPRIM_400000_NS6detail17trampoline_kernelINS0_14default_configENS1_22reduce_config_selectorIbEEZNS1_11reduce_implILb1ES3_N6hipcub16HIPCUB_304000_NS22TransformInputIteratorIbN2at6native12_GLOBAL__N_19NonZeroOpIlEEPKllEEPiiNS8_6detail34convert_binary_result_type_wrapperINS8_3SumESH_iEEEE10hipError_tPvRmT1_T2_T3_mT4_P12ihipStream_tbEUlT_E0_NS1_11comp_targetILNS1_3genE10ELNS1_11target_archE1201ELNS1_3gpuE5ELNS1_3repE0EEENS1_30default_config_static_selectorELNS0_4arch9wavefront6targetE0EEEvSQ_
                                        ; -- End function
	.set _ZN7rocprim17ROCPRIM_400000_NS6detail17trampoline_kernelINS0_14default_configENS1_22reduce_config_selectorIbEEZNS1_11reduce_implILb1ES3_N6hipcub16HIPCUB_304000_NS22TransformInputIteratorIbN2at6native12_GLOBAL__N_19NonZeroOpIlEEPKllEEPiiNS8_6detail34convert_binary_result_type_wrapperINS8_3SumESH_iEEEE10hipError_tPvRmT1_T2_T3_mT4_P12ihipStream_tbEUlT_E0_NS1_11comp_targetILNS1_3genE10ELNS1_11target_archE1201ELNS1_3gpuE5ELNS1_3repE0EEENS1_30default_config_static_selectorELNS0_4arch9wavefront6targetE0EEEvSQ_.num_vgpr, 36
	.set _ZN7rocprim17ROCPRIM_400000_NS6detail17trampoline_kernelINS0_14default_configENS1_22reduce_config_selectorIbEEZNS1_11reduce_implILb1ES3_N6hipcub16HIPCUB_304000_NS22TransformInputIteratorIbN2at6native12_GLOBAL__N_19NonZeroOpIlEEPKllEEPiiNS8_6detail34convert_binary_result_type_wrapperINS8_3SumESH_iEEEE10hipError_tPvRmT1_T2_T3_mT4_P12ihipStream_tbEUlT_E0_NS1_11comp_targetILNS1_3genE10ELNS1_11target_archE1201ELNS1_3gpuE5ELNS1_3repE0EEENS1_30default_config_static_selectorELNS0_4arch9wavefront6targetE0EEEvSQ_.num_agpr, 0
	.set _ZN7rocprim17ROCPRIM_400000_NS6detail17trampoline_kernelINS0_14default_configENS1_22reduce_config_selectorIbEEZNS1_11reduce_implILb1ES3_N6hipcub16HIPCUB_304000_NS22TransformInputIteratorIbN2at6native12_GLOBAL__N_19NonZeroOpIlEEPKllEEPiiNS8_6detail34convert_binary_result_type_wrapperINS8_3SumESH_iEEEE10hipError_tPvRmT1_T2_T3_mT4_P12ihipStream_tbEUlT_E0_NS1_11comp_targetILNS1_3genE10ELNS1_11target_archE1201ELNS1_3gpuE5ELNS1_3repE0EEENS1_30default_config_static_selectorELNS0_4arch9wavefront6targetE0EEEvSQ_.numbered_sgpr, 30
	.set _ZN7rocprim17ROCPRIM_400000_NS6detail17trampoline_kernelINS0_14default_configENS1_22reduce_config_selectorIbEEZNS1_11reduce_implILb1ES3_N6hipcub16HIPCUB_304000_NS22TransformInputIteratorIbN2at6native12_GLOBAL__N_19NonZeroOpIlEEPKllEEPiiNS8_6detail34convert_binary_result_type_wrapperINS8_3SumESH_iEEEE10hipError_tPvRmT1_T2_T3_mT4_P12ihipStream_tbEUlT_E0_NS1_11comp_targetILNS1_3genE10ELNS1_11target_archE1201ELNS1_3gpuE5ELNS1_3repE0EEENS1_30default_config_static_selectorELNS0_4arch9wavefront6targetE0EEEvSQ_.num_named_barrier, 0
	.set _ZN7rocprim17ROCPRIM_400000_NS6detail17trampoline_kernelINS0_14default_configENS1_22reduce_config_selectorIbEEZNS1_11reduce_implILb1ES3_N6hipcub16HIPCUB_304000_NS22TransformInputIteratorIbN2at6native12_GLOBAL__N_19NonZeroOpIlEEPKllEEPiiNS8_6detail34convert_binary_result_type_wrapperINS8_3SumESH_iEEEE10hipError_tPvRmT1_T2_T3_mT4_P12ihipStream_tbEUlT_E0_NS1_11comp_targetILNS1_3genE10ELNS1_11target_archE1201ELNS1_3gpuE5ELNS1_3repE0EEENS1_30default_config_static_selectorELNS0_4arch9wavefront6targetE0EEEvSQ_.private_seg_size, 0
	.set _ZN7rocprim17ROCPRIM_400000_NS6detail17trampoline_kernelINS0_14default_configENS1_22reduce_config_selectorIbEEZNS1_11reduce_implILb1ES3_N6hipcub16HIPCUB_304000_NS22TransformInputIteratorIbN2at6native12_GLOBAL__N_19NonZeroOpIlEEPKllEEPiiNS8_6detail34convert_binary_result_type_wrapperINS8_3SumESH_iEEEE10hipError_tPvRmT1_T2_T3_mT4_P12ihipStream_tbEUlT_E0_NS1_11comp_targetILNS1_3genE10ELNS1_11target_archE1201ELNS1_3gpuE5ELNS1_3repE0EEENS1_30default_config_static_selectorELNS0_4arch9wavefront6targetE0EEEvSQ_.uses_vcc, 1
	.set _ZN7rocprim17ROCPRIM_400000_NS6detail17trampoline_kernelINS0_14default_configENS1_22reduce_config_selectorIbEEZNS1_11reduce_implILb1ES3_N6hipcub16HIPCUB_304000_NS22TransformInputIteratorIbN2at6native12_GLOBAL__N_19NonZeroOpIlEEPKllEEPiiNS8_6detail34convert_binary_result_type_wrapperINS8_3SumESH_iEEEE10hipError_tPvRmT1_T2_T3_mT4_P12ihipStream_tbEUlT_E0_NS1_11comp_targetILNS1_3genE10ELNS1_11target_archE1201ELNS1_3gpuE5ELNS1_3repE0EEENS1_30default_config_static_selectorELNS0_4arch9wavefront6targetE0EEEvSQ_.uses_flat_scratch, 0
	.set _ZN7rocprim17ROCPRIM_400000_NS6detail17trampoline_kernelINS0_14default_configENS1_22reduce_config_selectorIbEEZNS1_11reduce_implILb1ES3_N6hipcub16HIPCUB_304000_NS22TransformInputIteratorIbN2at6native12_GLOBAL__N_19NonZeroOpIlEEPKllEEPiiNS8_6detail34convert_binary_result_type_wrapperINS8_3SumESH_iEEEE10hipError_tPvRmT1_T2_T3_mT4_P12ihipStream_tbEUlT_E0_NS1_11comp_targetILNS1_3genE10ELNS1_11target_archE1201ELNS1_3gpuE5ELNS1_3repE0EEENS1_30default_config_static_selectorELNS0_4arch9wavefront6targetE0EEEvSQ_.has_dyn_sized_stack, 0
	.set _ZN7rocprim17ROCPRIM_400000_NS6detail17trampoline_kernelINS0_14default_configENS1_22reduce_config_selectorIbEEZNS1_11reduce_implILb1ES3_N6hipcub16HIPCUB_304000_NS22TransformInputIteratorIbN2at6native12_GLOBAL__N_19NonZeroOpIlEEPKllEEPiiNS8_6detail34convert_binary_result_type_wrapperINS8_3SumESH_iEEEE10hipError_tPvRmT1_T2_T3_mT4_P12ihipStream_tbEUlT_E0_NS1_11comp_targetILNS1_3genE10ELNS1_11target_archE1201ELNS1_3gpuE5ELNS1_3repE0EEENS1_30default_config_static_selectorELNS0_4arch9wavefront6targetE0EEEvSQ_.has_recursion, 0
	.set _ZN7rocprim17ROCPRIM_400000_NS6detail17trampoline_kernelINS0_14default_configENS1_22reduce_config_selectorIbEEZNS1_11reduce_implILb1ES3_N6hipcub16HIPCUB_304000_NS22TransformInputIteratorIbN2at6native12_GLOBAL__N_19NonZeroOpIlEEPKllEEPiiNS8_6detail34convert_binary_result_type_wrapperINS8_3SumESH_iEEEE10hipError_tPvRmT1_T2_T3_mT4_P12ihipStream_tbEUlT_E0_NS1_11comp_targetILNS1_3genE10ELNS1_11target_archE1201ELNS1_3gpuE5ELNS1_3repE0EEENS1_30default_config_static_selectorELNS0_4arch9wavefront6targetE0EEEvSQ_.has_indirect_call, 0
	.section	.AMDGPU.csdata,"",@progbits
; Kernel info:
; codeLenInByte = 3084
; TotalNumSgprs: 32
; NumVgprs: 36
; ScratchSize: 0
; MemoryBound: 0
; FloatMode: 240
; IeeeMode: 1
; LDSByteSize: 64 bytes/workgroup (compile time only)
; SGPRBlocks: 0
; VGPRBlocks: 4
; NumSGPRsForWavesPerEU: 32
; NumVGPRsForWavesPerEU: 36
; Occupancy: 16
; WaveLimiterHint : 1
; COMPUTE_PGM_RSRC2:SCRATCH_EN: 0
; COMPUTE_PGM_RSRC2:USER_SGPR: 2
; COMPUTE_PGM_RSRC2:TRAP_HANDLER: 0
; COMPUTE_PGM_RSRC2:TGID_X_EN: 1
; COMPUTE_PGM_RSRC2:TGID_Y_EN: 0
; COMPUTE_PGM_RSRC2:TGID_Z_EN: 0
; COMPUTE_PGM_RSRC2:TIDIG_COMP_CNT: 0
	.section	.text._ZN7rocprim17ROCPRIM_400000_NS6detail17trampoline_kernelINS0_14default_configENS1_22reduce_config_selectorIbEEZNS1_11reduce_implILb1ES3_N6hipcub16HIPCUB_304000_NS22TransformInputIteratorIbN2at6native12_GLOBAL__N_19NonZeroOpIlEEPKllEEPiiNS8_6detail34convert_binary_result_type_wrapperINS8_3SumESH_iEEEE10hipError_tPvRmT1_T2_T3_mT4_P12ihipStream_tbEUlT_E0_NS1_11comp_targetILNS1_3genE10ELNS1_11target_archE1200ELNS1_3gpuE4ELNS1_3repE0EEENS1_30default_config_static_selectorELNS0_4arch9wavefront6targetE0EEEvSQ_,"axG",@progbits,_ZN7rocprim17ROCPRIM_400000_NS6detail17trampoline_kernelINS0_14default_configENS1_22reduce_config_selectorIbEEZNS1_11reduce_implILb1ES3_N6hipcub16HIPCUB_304000_NS22TransformInputIteratorIbN2at6native12_GLOBAL__N_19NonZeroOpIlEEPKllEEPiiNS8_6detail34convert_binary_result_type_wrapperINS8_3SumESH_iEEEE10hipError_tPvRmT1_T2_T3_mT4_P12ihipStream_tbEUlT_E0_NS1_11comp_targetILNS1_3genE10ELNS1_11target_archE1200ELNS1_3gpuE4ELNS1_3repE0EEENS1_30default_config_static_selectorELNS0_4arch9wavefront6targetE0EEEvSQ_,comdat
	.globl	_ZN7rocprim17ROCPRIM_400000_NS6detail17trampoline_kernelINS0_14default_configENS1_22reduce_config_selectorIbEEZNS1_11reduce_implILb1ES3_N6hipcub16HIPCUB_304000_NS22TransformInputIteratorIbN2at6native12_GLOBAL__N_19NonZeroOpIlEEPKllEEPiiNS8_6detail34convert_binary_result_type_wrapperINS8_3SumESH_iEEEE10hipError_tPvRmT1_T2_T3_mT4_P12ihipStream_tbEUlT_E0_NS1_11comp_targetILNS1_3genE10ELNS1_11target_archE1200ELNS1_3gpuE4ELNS1_3repE0EEENS1_30default_config_static_selectorELNS0_4arch9wavefront6targetE0EEEvSQ_ ; -- Begin function _ZN7rocprim17ROCPRIM_400000_NS6detail17trampoline_kernelINS0_14default_configENS1_22reduce_config_selectorIbEEZNS1_11reduce_implILb1ES3_N6hipcub16HIPCUB_304000_NS22TransformInputIteratorIbN2at6native12_GLOBAL__N_19NonZeroOpIlEEPKllEEPiiNS8_6detail34convert_binary_result_type_wrapperINS8_3SumESH_iEEEE10hipError_tPvRmT1_T2_T3_mT4_P12ihipStream_tbEUlT_E0_NS1_11comp_targetILNS1_3genE10ELNS1_11target_archE1200ELNS1_3gpuE4ELNS1_3repE0EEENS1_30default_config_static_selectorELNS0_4arch9wavefront6targetE0EEEvSQ_
	.p2align	8
	.type	_ZN7rocprim17ROCPRIM_400000_NS6detail17trampoline_kernelINS0_14default_configENS1_22reduce_config_selectorIbEEZNS1_11reduce_implILb1ES3_N6hipcub16HIPCUB_304000_NS22TransformInputIteratorIbN2at6native12_GLOBAL__N_19NonZeroOpIlEEPKllEEPiiNS8_6detail34convert_binary_result_type_wrapperINS8_3SumESH_iEEEE10hipError_tPvRmT1_T2_T3_mT4_P12ihipStream_tbEUlT_E0_NS1_11comp_targetILNS1_3genE10ELNS1_11target_archE1200ELNS1_3gpuE4ELNS1_3repE0EEENS1_30default_config_static_selectorELNS0_4arch9wavefront6targetE0EEEvSQ_,@function
_ZN7rocprim17ROCPRIM_400000_NS6detail17trampoline_kernelINS0_14default_configENS1_22reduce_config_selectorIbEEZNS1_11reduce_implILb1ES3_N6hipcub16HIPCUB_304000_NS22TransformInputIteratorIbN2at6native12_GLOBAL__N_19NonZeroOpIlEEPKllEEPiiNS8_6detail34convert_binary_result_type_wrapperINS8_3SumESH_iEEEE10hipError_tPvRmT1_T2_T3_mT4_P12ihipStream_tbEUlT_E0_NS1_11comp_targetILNS1_3genE10ELNS1_11target_archE1200ELNS1_3gpuE4ELNS1_3repE0EEENS1_30default_config_static_selectorELNS0_4arch9wavefront6targetE0EEEvSQ_: ; @_ZN7rocprim17ROCPRIM_400000_NS6detail17trampoline_kernelINS0_14default_configENS1_22reduce_config_selectorIbEEZNS1_11reduce_implILb1ES3_N6hipcub16HIPCUB_304000_NS22TransformInputIteratorIbN2at6native12_GLOBAL__N_19NonZeroOpIlEEPKllEEPiiNS8_6detail34convert_binary_result_type_wrapperINS8_3SumESH_iEEEE10hipError_tPvRmT1_T2_T3_mT4_P12ihipStream_tbEUlT_E0_NS1_11comp_targetILNS1_3genE10ELNS1_11target_archE1200ELNS1_3gpuE4ELNS1_3repE0EEENS1_30default_config_static_selectorELNS0_4arch9wavefront6targetE0EEEvSQ_
; %bb.0:
	.section	.rodata,"a",@progbits
	.p2align	6, 0x0
	.amdhsa_kernel _ZN7rocprim17ROCPRIM_400000_NS6detail17trampoline_kernelINS0_14default_configENS1_22reduce_config_selectorIbEEZNS1_11reduce_implILb1ES3_N6hipcub16HIPCUB_304000_NS22TransformInputIteratorIbN2at6native12_GLOBAL__N_19NonZeroOpIlEEPKllEEPiiNS8_6detail34convert_binary_result_type_wrapperINS8_3SumESH_iEEEE10hipError_tPvRmT1_T2_T3_mT4_P12ihipStream_tbEUlT_E0_NS1_11comp_targetILNS1_3genE10ELNS1_11target_archE1200ELNS1_3gpuE4ELNS1_3repE0EEENS1_30default_config_static_selectorELNS0_4arch9wavefront6targetE0EEEvSQ_
		.amdhsa_group_segment_fixed_size 0
		.amdhsa_private_segment_fixed_size 0
		.amdhsa_kernarg_size 64
		.amdhsa_user_sgpr_count 2
		.amdhsa_user_sgpr_dispatch_ptr 0
		.amdhsa_user_sgpr_queue_ptr 0
		.amdhsa_user_sgpr_kernarg_segment_ptr 1
		.amdhsa_user_sgpr_dispatch_id 0
		.amdhsa_user_sgpr_private_segment_size 0
		.amdhsa_wavefront_size32 1
		.amdhsa_uses_dynamic_stack 0
		.amdhsa_enable_private_segment 0
		.amdhsa_system_sgpr_workgroup_id_x 1
		.amdhsa_system_sgpr_workgroup_id_y 0
		.amdhsa_system_sgpr_workgroup_id_z 0
		.amdhsa_system_sgpr_workgroup_info 0
		.amdhsa_system_vgpr_workitem_id 0
		.amdhsa_next_free_vgpr 1
		.amdhsa_next_free_sgpr 1
		.amdhsa_reserve_vcc 0
		.amdhsa_float_round_mode_32 0
		.amdhsa_float_round_mode_16_64 0
		.amdhsa_float_denorm_mode_32 3
		.amdhsa_float_denorm_mode_16_64 3
		.amdhsa_fp16_overflow 0
		.amdhsa_workgroup_processor_mode 1
		.amdhsa_memory_ordered 1
		.amdhsa_forward_progress 1
		.amdhsa_inst_pref_size 0
		.amdhsa_round_robin_scheduling 0
		.amdhsa_exception_fp_ieee_invalid_op 0
		.amdhsa_exception_fp_denorm_src 0
		.amdhsa_exception_fp_ieee_div_zero 0
		.amdhsa_exception_fp_ieee_overflow 0
		.amdhsa_exception_fp_ieee_underflow 0
		.amdhsa_exception_fp_ieee_inexact 0
		.amdhsa_exception_int_div_zero 0
	.end_amdhsa_kernel
	.section	.text._ZN7rocprim17ROCPRIM_400000_NS6detail17trampoline_kernelINS0_14default_configENS1_22reduce_config_selectorIbEEZNS1_11reduce_implILb1ES3_N6hipcub16HIPCUB_304000_NS22TransformInputIteratorIbN2at6native12_GLOBAL__N_19NonZeroOpIlEEPKllEEPiiNS8_6detail34convert_binary_result_type_wrapperINS8_3SumESH_iEEEE10hipError_tPvRmT1_T2_T3_mT4_P12ihipStream_tbEUlT_E0_NS1_11comp_targetILNS1_3genE10ELNS1_11target_archE1200ELNS1_3gpuE4ELNS1_3repE0EEENS1_30default_config_static_selectorELNS0_4arch9wavefront6targetE0EEEvSQ_,"axG",@progbits,_ZN7rocprim17ROCPRIM_400000_NS6detail17trampoline_kernelINS0_14default_configENS1_22reduce_config_selectorIbEEZNS1_11reduce_implILb1ES3_N6hipcub16HIPCUB_304000_NS22TransformInputIteratorIbN2at6native12_GLOBAL__N_19NonZeroOpIlEEPKllEEPiiNS8_6detail34convert_binary_result_type_wrapperINS8_3SumESH_iEEEE10hipError_tPvRmT1_T2_T3_mT4_P12ihipStream_tbEUlT_E0_NS1_11comp_targetILNS1_3genE10ELNS1_11target_archE1200ELNS1_3gpuE4ELNS1_3repE0EEENS1_30default_config_static_selectorELNS0_4arch9wavefront6targetE0EEEvSQ_,comdat
.Lfunc_end242:
	.size	_ZN7rocprim17ROCPRIM_400000_NS6detail17trampoline_kernelINS0_14default_configENS1_22reduce_config_selectorIbEEZNS1_11reduce_implILb1ES3_N6hipcub16HIPCUB_304000_NS22TransformInputIteratorIbN2at6native12_GLOBAL__N_19NonZeroOpIlEEPKllEEPiiNS8_6detail34convert_binary_result_type_wrapperINS8_3SumESH_iEEEE10hipError_tPvRmT1_T2_T3_mT4_P12ihipStream_tbEUlT_E0_NS1_11comp_targetILNS1_3genE10ELNS1_11target_archE1200ELNS1_3gpuE4ELNS1_3repE0EEENS1_30default_config_static_selectorELNS0_4arch9wavefront6targetE0EEEvSQ_, .Lfunc_end242-_ZN7rocprim17ROCPRIM_400000_NS6detail17trampoline_kernelINS0_14default_configENS1_22reduce_config_selectorIbEEZNS1_11reduce_implILb1ES3_N6hipcub16HIPCUB_304000_NS22TransformInputIteratorIbN2at6native12_GLOBAL__N_19NonZeroOpIlEEPKllEEPiiNS8_6detail34convert_binary_result_type_wrapperINS8_3SumESH_iEEEE10hipError_tPvRmT1_T2_T3_mT4_P12ihipStream_tbEUlT_E0_NS1_11comp_targetILNS1_3genE10ELNS1_11target_archE1200ELNS1_3gpuE4ELNS1_3repE0EEENS1_30default_config_static_selectorELNS0_4arch9wavefront6targetE0EEEvSQ_
                                        ; -- End function
	.set _ZN7rocprim17ROCPRIM_400000_NS6detail17trampoline_kernelINS0_14default_configENS1_22reduce_config_selectorIbEEZNS1_11reduce_implILb1ES3_N6hipcub16HIPCUB_304000_NS22TransformInputIteratorIbN2at6native12_GLOBAL__N_19NonZeroOpIlEEPKllEEPiiNS8_6detail34convert_binary_result_type_wrapperINS8_3SumESH_iEEEE10hipError_tPvRmT1_T2_T3_mT4_P12ihipStream_tbEUlT_E0_NS1_11comp_targetILNS1_3genE10ELNS1_11target_archE1200ELNS1_3gpuE4ELNS1_3repE0EEENS1_30default_config_static_selectorELNS0_4arch9wavefront6targetE0EEEvSQ_.num_vgpr, 0
	.set _ZN7rocprim17ROCPRIM_400000_NS6detail17trampoline_kernelINS0_14default_configENS1_22reduce_config_selectorIbEEZNS1_11reduce_implILb1ES3_N6hipcub16HIPCUB_304000_NS22TransformInputIteratorIbN2at6native12_GLOBAL__N_19NonZeroOpIlEEPKllEEPiiNS8_6detail34convert_binary_result_type_wrapperINS8_3SumESH_iEEEE10hipError_tPvRmT1_T2_T3_mT4_P12ihipStream_tbEUlT_E0_NS1_11comp_targetILNS1_3genE10ELNS1_11target_archE1200ELNS1_3gpuE4ELNS1_3repE0EEENS1_30default_config_static_selectorELNS0_4arch9wavefront6targetE0EEEvSQ_.num_agpr, 0
	.set _ZN7rocprim17ROCPRIM_400000_NS6detail17trampoline_kernelINS0_14default_configENS1_22reduce_config_selectorIbEEZNS1_11reduce_implILb1ES3_N6hipcub16HIPCUB_304000_NS22TransformInputIteratorIbN2at6native12_GLOBAL__N_19NonZeroOpIlEEPKllEEPiiNS8_6detail34convert_binary_result_type_wrapperINS8_3SumESH_iEEEE10hipError_tPvRmT1_T2_T3_mT4_P12ihipStream_tbEUlT_E0_NS1_11comp_targetILNS1_3genE10ELNS1_11target_archE1200ELNS1_3gpuE4ELNS1_3repE0EEENS1_30default_config_static_selectorELNS0_4arch9wavefront6targetE0EEEvSQ_.numbered_sgpr, 0
	.set _ZN7rocprim17ROCPRIM_400000_NS6detail17trampoline_kernelINS0_14default_configENS1_22reduce_config_selectorIbEEZNS1_11reduce_implILb1ES3_N6hipcub16HIPCUB_304000_NS22TransformInputIteratorIbN2at6native12_GLOBAL__N_19NonZeroOpIlEEPKllEEPiiNS8_6detail34convert_binary_result_type_wrapperINS8_3SumESH_iEEEE10hipError_tPvRmT1_T2_T3_mT4_P12ihipStream_tbEUlT_E0_NS1_11comp_targetILNS1_3genE10ELNS1_11target_archE1200ELNS1_3gpuE4ELNS1_3repE0EEENS1_30default_config_static_selectorELNS0_4arch9wavefront6targetE0EEEvSQ_.num_named_barrier, 0
	.set _ZN7rocprim17ROCPRIM_400000_NS6detail17trampoline_kernelINS0_14default_configENS1_22reduce_config_selectorIbEEZNS1_11reduce_implILb1ES3_N6hipcub16HIPCUB_304000_NS22TransformInputIteratorIbN2at6native12_GLOBAL__N_19NonZeroOpIlEEPKllEEPiiNS8_6detail34convert_binary_result_type_wrapperINS8_3SumESH_iEEEE10hipError_tPvRmT1_T2_T3_mT4_P12ihipStream_tbEUlT_E0_NS1_11comp_targetILNS1_3genE10ELNS1_11target_archE1200ELNS1_3gpuE4ELNS1_3repE0EEENS1_30default_config_static_selectorELNS0_4arch9wavefront6targetE0EEEvSQ_.private_seg_size, 0
	.set _ZN7rocprim17ROCPRIM_400000_NS6detail17trampoline_kernelINS0_14default_configENS1_22reduce_config_selectorIbEEZNS1_11reduce_implILb1ES3_N6hipcub16HIPCUB_304000_NS22TransformInputIteratorIbN2at6native12_GLOBAL__N_19NonZeroOpIlEEPKllEEPiiNS8_6detail34convert_binary_result_type_wrapperINS8_3SumESH_iEEEE10hipError_tPvRmT1_T2_T3_mT4_P12ihipStream_tbEUlT_E0_NS1_11comp_targetILNS1_3genE10ELNS1_11target_archE1200ELNS1_3gpuE4ELNS1_3repE0EEENS1_30default_config_static_selectorELNS0_4arch9wavefront6targetE0EEEvSQ_.uses_vcc, 0
	.set _ZN7rocprim17ROCPRIM_400000_NS6detail17trampoline_kernelINS0_14default_configENS1_22reduce_config_selectorIbEEZNS1_11reduce_implILb1ES3_N6hipcub16HIPCUB_304000_NS22TransformInputIteratorIbN2at6native12_GLOBAL__N_19NonZeroOpIlEEPKllEEPiiNS8_6detail34convert_binary_result_type_wrapperINS8_3SumESH_iEEEE10hipError_tPvRmT1_T2_T3_mT4_P12ihipStream_tbEUlT_E0_NS1_11comp_targetILNS1_3genE10ELNS1_11target_archE1200ELNS1_3gpuE4ELNS1_3repE0EEENS1_30default_config_static_selectorELNS0_4arch9wavefront6targetE0EEEvSQ_.uses_flat_scratch, 0
	.set _ZN7rocprim17ROCPRIM_400000_NS6detail17trampoline_kernelINS0_14default_configENS1_22reduce_config_selectorIbEEZNS1_11reduce_implILb1ES3_N6hipcub16HIPCUB_304000_NS22TransformInputIteratorIbN2at6native12_GLOBAL__N_19NonZeroOpIlEEPKllEEPiiNS8_6detail34convert_binary_result_type_wrapperINS8_3SumESH_iEEEE10hipError_tPvRmT1_T2_T3_mT4_P12ihipStream_tbEUlT_E0_NS1_11comp_targetILNS1_3genE10ELNS1_11target_archE1200ELNS1_3gpuE4ELNS1_3repE0EEENS1_30default_config_static_selectorELNS0_4arch9wavefront6targetE0EEEvSQ_.has_dyn_sized_stack, 0
	.set _ZN7rocprim17ROCPRIM_400000_NS6detail17trampoline_kernelINS0_14default_configENS1_22reduce_config_selectorIbEEZNS1_11reduce_implILb1ES3_N6hipcub16HIPCUB_304000_NS22TransformInputIteratorIbN2at6native12_GLOBAL__N_19NonZeroOpIlEEPKllEEPiiNS8_6detail34convert_binary_result_type_wrapperINS8_3SumESH_iEEEE10hipError_tPvRmT1_T2_T3_mT4_P12ihipStream_tbEUlT_E0_NS1_11comp_targetILNS1_3genE10ELNS1_11target_archE1200ELNS1_3gpuE4ELNS1_3repE0EEENS1_30default_config_static_selectorELNS0_4arch9wavefront6targetE0EEEvSQ_.has_recursion, 0
	.set _ZN7rocprim17ROCPRIM_400000_NS6detail17trampoline_kernelINS0_14default_configENS1_22reduce_config_selectorIbEEZNS1_11reduce_implILb1ES3_N6hipcub16HIPCUB_304000_NS22TransformInputIteratorIbN2at6native12_GLOBAL__N_19NonZeroOpIlEEPKllEEPiiNS8_6detail34convert_binary_result_type_wrapperINS8_3SumESH_iEEEE10hipError_tPvRmT1_T2_T3_mT4_P12ihipStream_tbEUlT_E0_NS1_11comp_targetILNS1_3genE10ELNS1_11target_archE1200ELNS1_3gpuE4ELNS1_3repE0EEENS1_30default_config_static_selectorELNS0_4arch9wavefront6targetE0EEEvSQ_.has_indirect_call, 0
	.section	.AMDGPU.csdata,"",@progbits
; Kernel info:
; codeLenInByte = 0
; TotalNumSgprs: 0
; NumVgprs: 0
; ScratchSize: 0
; MemoryBound: 0
; FloatMode: 240
; IeeeMode: 1
; LDSByteSize: 0 bytes/workgroup (compile time only)
; SGPRBlocks: 0
; VGPRBlocks: 0
; NumSGPRsForWavesPerEU: 1
; NumVGPRsForWavesPerEU: 1
; Occupancy: 16
; WaveLimiterHint : 0
; COMPUTE_PGM_RSRC2:SCRATCH_EN: 0
; COMPUTE_PGM_RSRC2:USER_SGPR: 2
; COMPUTE_PGM_RSRC2:TRAP_HANDLER: 0
; COMPUTE_PGM_RSRC2:TGID_X_EN: 1
; COMPUTE_PGM_RSRC2:TGID_Y_EN: 0
; COMPUTE_PGM_RSRC2:TGID_Z_EN: 0
; COMPUTE_PGM_RSRC2:TIDIG_COMP_CNT: 0
	.section	.text._ZN7rocprim17ROCPRIM_400000_NS6detail17trampoline_kernelINS0_14default_configENS1_22reduce_config_selectorIbEEZNS1_11reduce_implILb1ES3_N6hipcub16HIPCUB_304000_NS22TransformInputIteratorIbN2at6native12_GLOBAL__N_19NonZeroOpIlEEPKllEEPiiNS8_6detail34convert_binary_result_type_wrapperINS8_3SumESH_iEEEE10hipError_tPvRmT1_T2_T3_mT4_P12ihipStream_tbEUlT_E0_NS1_11comp_targetILNS1_3genE9ELNS1_11target_archE1100ELNS1_3gpuE3ELNS1_3repE0EEENS1_30default_config_static_selectorELNS0_4arch9wavefront6targetE0EEEvSQ_,"axG",@progbits,_ZN7rocprim17ROCPRIM_400000_NS6detail17trampoline_kernelINS0_14default_configENS1_22reduce_config_selectorIbEEZNS1_11reduce_implILb1ES3_N6hipcub16HIPCUB_304000_NS22TransformInputIteratorIbN2at6native12_GLOBAL__N_19NonZeroOpIlEEPKllEEPiiNS8_6detail34convert_binary_result_type_wrapperINS8_3SumESH_iEEEE10hipError_tPvRmT1_T2_T3_mT4_P12ihipStream_tbEUlT_E0_NS1_11comp_targetILNS1_3genE9ELNS1_11target_archE1100ELNS1_3gpuE3ELNS1_3repE0EEENS1_30default_config_static_selectorELNS0_4arch9wavefront6targetE0EEEvSQ_,comdat
	.globl	_ZN7rocprim17ROCPRIM_400000_NS6detail17trampoline_kernelINS0_14default_configENS1_22reduce_config_selectorIbEEZNS1_11reduce_implILb1ES3_N6hipcub16HIPCUB_304000_NS22TransformInputIteratorIbN2at6native12_GLOBAL__N_19NonZeroOpIlEEPKllEEPiiNS8_6detail34convert_binary_result_type_wrapperINS8_3SumESH_iEEEE10hipError_tPvRmT1_T2_T3_mT4_P12ihipStream_tbEUlT_E0_NS1_11comp_targetILNS1_3genE9ELNS1_11target_archE1100ELNS1_3gpuE3ELNS1_3repE0EEENS1_30default_config_static_selectorELNS0_4arch9wavefront6targetE0EEEvSQ_ ; -- Begin function _ZN7rocprim17ROCPRIM_400000_NS6detail17trampoline_kernelINS0_14default_configENS1_22reduce_config_selectorIbEEZNS1_11reduce_implILb1ES3_N6hipcub16HIPCUB_304000_NS22TransformInputIteratorIbN2at6native12_GLOBAL__N_19NonZeroOpIlEEPKllEEPiiNS8_6detail34convert_binary_result_type_wrapperINS8_3SumESH_iEEEE10hipError_tPvRmT1_T2_T3_mT4_P12ihipStream_tbEUlT_E0_NS1_11comp_targetILNS1_3genE9ELNS1_11target_archE1100ELNS1_3gpuE3ELNS1_3repE0EEENS1_30default_config_static_selectorELNS0_4arch9wavefront6targetE0EEEvSQ_
	.p2align	8
	.type	_ZN7rocprim17ROCPRIM_400000_NS6detail17trampoline_kernelINS0_14default_configENS1_22reduce_config_selectorIbEEZNS1_11reduce_implILb1ES3_N6hipcub16HIPCUB_304000_NS22TransformInputIteratorIbN2at6native12_GLOBAL__N_19NonZeroOpIlEEPKllEEPiiNS8_6detail34convert_binary_result_type_wrapperINS8_3SumESH_iEEEE10hipError_tPvRmT1_T2_T3_mT4_P12ihipStream_tbEUlT_E0_NS1_11comp_targetILNS1_3genE9ELNS1_11target_archE1100ELNS1_3gpuE3ELNS1_3repE0EEENS1_30default_config_static_selectorELNS0_4arch9wavefront6targetE0EEEvSQ_,@function
_ZN7rocprim17ROCPRIM_400000_NS6detail17trampoline_kernelINS0_14default_configENS1_22reduce_config_selectorIbEEZNS1_11reduce_implILb1ES3_N6hipcub16HIPCUB_304000_NS22TransformInputIteratorIbN2at6native12_GLOBAL__N_19NonZeroOpIlEEPKllEEPiiNS8_6detail34convert_binary_result_type_wrapperINS8_3SumESH_iEEEE10hipError_tPvRmT1_T2_T3_mT4_P12ihipStream_tbEUlT_E0_NS1_11comp_targetILNS1_3genE9ELNS1_11target_archE1100ELNS1_3gpuE3ELNS1_3repE0EEENS1_30default_config_static_selectorELNS0_4arch9wavefront6targetE0EEEvSQ_: ; @_ZN7rocprim17ROCPRIM_400000_NS6detail17trampoline_kernelINS0_14default_configENS1_22reduce_config_selectorIbEEZNS1_11reduce_implILb1ES3_N6hipcub16HIPCUB_304000_NS22TransformInputIteratorIbN2at6native12_GLOBAL__N_19NonZeroOpIlEEPKllEEPiiNS8_6detail34convert_binary_result_type_wrapperINS8_3SumESH_iEEEE10hipError_tPvRmT1_T2_T3_mT4_P12ihipStream_tbEUlT_E0_NS1_11comp_targetILNS1_3genE9ELNS1_11target_archE1100ELNS1_3gpuE3ELNS1_3repE0EEENS1_30default_config_static_selectorELNS0_4arch9wavefront6targetE0EEEvSQ_
; %bb.0:
	.section	.rodata,"a",@progbits
	.p2align	6, 0x0
	.amdhsa_kernel _ZN7rocprim17ROCPRIM_400000_NS6detail17trampoline_kernelINS0_14default_configENS1_22reduce_config_selectorIbEEZNS1_11reduce_implILb1ES3_N6hipcub16HIPCUB_304000_NS22TransformInputIteratorIbN2at6native12_GLOBAL__N_19NonZeroOpIlEEPKllEEPiiNS8_6detail34convert_binary_result_type_wrapperINS8_3SumESH_iEEEE10hipError_tPvRmT1_T2_T3_mT4_P12ihipStream_tbEUlT_E0_NS1_11comp_targetILNS1_3genE9ELNS1_11target_archE1100ELNS1_3gpuE3ELNS1_3repE0EEENS1_30default_config_static_selectorELNS0_4arch9wavefront6targetE0EEEvSQ_
		.amdhsa_group_segment_fixed_size 0
		.amdhsa_private_segment_fixed_size 0
		.amdhsa_kernarg_size 64
		.amdhsa_user_sgpr_count 2
		.amdhsa_user_sgpr_dispatch_ptr 0
		.amdhsa_user_sgpr_queue_ptr 0
		.amdhsa_user_sgpr_kernarg_segment_ptr 1
		.amdhsa_user_sgpr_dispatch_id 0
		.amdhsa_user_sgpr_private_segment_size 0
		.amdhsa_wavefront_size32 1
		.amdhsa_uses_dynamic_stack 0
		.amdhsa_enable_private_segment 0
		.amdhsa_system_sgpr_workgroup_id_x 1
		.amdhsa_system_sgpr_workgroup_id_y 0
		.amdhsa_system_sgpr_workgroup_id_z 0
		.amdhsa_system_sgpr_workgroup_info 0
		.amdhsa_system_vgpr_workitem_id 0
		.amdhsa_next_free_vgpr 1
		.amdhsa_next_free_sgpr 1
		.amdhsa_reserve_vcc 0
		.amdhsa_float_round_mode_32 0
		.amdhsa_float_round_mode_16_64 0
		.amdhsa_float_denorm_mode_32 3
		.amdhsa_float_denorm_mode_16_64 3
		.amdhsa_fp16_overflow 0
		.amdhsa_workgroup_processor_mode 1
		.amdhsa_memory_ordered 1
		.amdhsa_forward_progress 1
		.amdhsa_inst_pref_size 0
		.amdhsa_round_robin_scheduling 0
		.amdhsa_exception_fp_ieee_invalid_op 0
		.amdhsa_exception_fp_denorm_src 0
		.amdhsa_exception_fp_ieee_div_zero 0
		.amdhsa_exception_fp_ieee_overflow 0
		.amdhsa_exception_fp_ieee_underflow 0
		.amdhsa_exception_fp_ieee_inexact 0
		.amdhsa_exception_int_div_zero 0
	.end_amdhsa_kernel
	.section	.text._ZN7rocprim17ROCPRIM_400000_NS6detail17trampoline_kernelINS0_14default_configENS1_22reduce_config_selectorIbEEZNS1_11reduce_implILb1ES3_N6hipcub16HIPCUB_304000_NS22TransformInputIteratorIbN2at6native12_GLOBAL__N_19NonZeroOpIlEEPKllEEPiiNS8_6detail34convert_binary_result_type_wrapperINS8_3SumESH_iEEEE10hipError_tPvRmT1_T2_T3_mT4_P12ihipStream_tbEUlT_E0_NS1_11comp_targetILNS1_3genE9ELNS1_11target_archE1100ELNS1_3gpuE3ELNS1_3repE0EEENS1_30default_config_static_selectorELNS0_4arch9wavefront6targetE0EEEvSQ_,"axG",@progbits,_ZN7rocprim17ROCPRIM_400000_NS6detail17trampoline_kernelINS0_14default_configENS1_22reduce_config_selectorIbEEZNS1_11reduce_implILb1ES3_N6hipcub16HIPCUB_304000_NS22TransformInputIteratorIbN2at6native12_GLOBAL__N_19NonZeroOpIlEEPKllEEPiiNS8_6detail34convert_binary_result_type_wrapperINS8_3SumESH_iEEEE10hipError_tPvRmT1_T2_T3_mT4_P12ihipStream_tbEUlT_E0_NS1_11comp_targetILNS1_3genE9ELNS1_11target_archE1100ELNS1_3gpuE3ELNS1_3repE0EEENS1_30default_config_static_selectorELNS0_4arch9wavefront6targetE0EEEvSQ_,comdat
.Lfunc_end243:
	.size	_ZN7rocprim17ROCPRIM_400000_NS6detail17trampoline_kernelINS0_14default_configENS1_22reduce_config_selectorIbEEZNS1_11reduce_implILb1ES3_N6hipcub16HIPCUB_304000_NS22TransformInputIteratorIbN2at6native12_GLOBAL__N_19NonZeroOpIlEEPKllEEPiiNS8_6detail34convert_binary_result_type_wrapperINS8_3SumESH_iEEEE10hipError_tPvRmT1_T2_T3_mT4_P12ihipStream_tbEUlT_E0_NS1_11comp_targetILNS1_3genE9ELNS1_11target_archE1100ELNS1_3gpuE3ELNS1_3repE0EEENS1_30default_config_static_selectorELNS0_4arch9wavefront6targetE0EEEvSQ_, .Lfunc_end243-_ZN7rocprim17ROCPRIM_400000_NS6detail17trampoline_kernelINS0_14default_configENS1_22reduce_config_selectorIbEEZNS1_11reduce_implILb1ES3_N6hipcub16HIPCUB_304000_NS22TransformInputIteratorIbN2at6native12_GLOBAL__N_19NonZeroOpIlEEPKllEEPiiNS8_6detail34convert_binary_result_type_wrapperINS8_3SumESH_iEEEE10hipError_tPvRmT1_T2_T3_mT4_P12ihipStream_tbEUlT_E0_NS1_11comp_targetILNS1_3genE9ELNS1_11target_archE1100ELNS1_3gpuE3ELNS1_3repE0EEENS1_30default_config_static_selectorELNS0_4arch9wavefront6targetE0EEEvSQ_
                                        ; -- End function
	.set _ZN7rocprim17ROCPRIM_400000_NS6detail17trampoline_kernelINS0_14default_configENS1_22reduce_config_selectorIbEEZNS1_11reduce_implILb1ES3_N6hipcub16HIPCUB_304000_NS22TransformInputIteratorIbN2at6native12_GLOBAL__N_19NonZeroOpIlEEPKllEEPiiNS8_6detail34convert_binary_result_type_wrapperINS8_3SumESH_iEEEE10hipError_tPvRmT1_T2_T3_mT4_P12ihipStream_tbEUlT_E0_NS1_11comp_targetILNS1_3genE9ELNS1_11target_archE1100ELNS1_3gpuE3ELNS1_3repE0EEENS1_30default_config_static_selectorELNS0_4arch9wavefront6targetE0EEEvSQ_.num_vgpr, 0
	.set _ZN7rocprim17ROCPRIM_400000_NS6detail17trampoline_kernelINS0_14default_configENS1_22reduce_config_selectorIbEEZNS1_11reduce_implILb1ES3_N6hipcub16HIPCUB_304000_NS22TransformInputIteratorIbN2at6native12_GLOBAL__N_19NonZeroOpIlEEPKllEEPiiNS8_6detail34convert_binary_result_type_wrapperINS8_3SumESH_iEEEE10hipError_tPvRmT1_T2_T3_mT4_P12ihipStream_tbEUlT_E0_NS1_11comp_targetILNS1_3genE9ELNS1_11target_archE1100ELNS1_3gpuE3ELNS1_3repE0EEENS1_30default_config_static_selectorELNS0_4arch9wavefront6targetE0EEEvSQ_.num_agpr, 0
	.set _ZN7rocprim17ROCPRIM_400000_NS6detail17trampoline_kernelINS0_14default_configENS1_22reduce_config_selectorIbEEZNS1_11reduce_implILb1ES3_N6hipcub16HIPCUB_304000_NS22TransformInputIteratorIbN2at6native12_GLOBAL__N_19NonZeroOpIlEEPKllEEPiiNS8_6detail34convert_binary_result_type_wrapperINS8_3SumESH_iEEEE10hipError_tPvRmT1_T2_T3_mT4_P12ihipStream_tbEUlT_E0_NS1_11comp_targetILNS1_3genE9ELNS1_11target_archE1100ELNS1_3gpuE3ELNS1_3repE0EEENS1_30default_config_static_selectorELNS0_4arch9wavefront6targetE0EEEvSQ_.numbered_sgpr, 0
	.set _ZN7rocprim17ROCPRIM_400000_NS6detail17trampoline_kernelINS0_14default_configENS1_22reduce_config_selectorIbEEZNS1_11reduce_implILb1ES3_N6hipcub16HIPCUB_304000_NS22TransformInputIteratorIbN2at6native12_GLOBAL__N_19NonZeroOpIlEEPKllEEPiiNS8_6detail34convert_binary_result_type_wrapperINS8_3SumESH_iEEEE10hipError_tPvRmT1_T2_T3_mT4_P12ihipStream_tbEUlT_E0_NS1_11comp_targetILNS1_3genE9ELNS1_11target_archE1100ELNS1_3gpuE3ELNS1_3repE0EEENS1_30default_config_static_selectorELNS0_4arch9wavefront6targetE0EEEvSQ_.num_named_barrier, 0
	.set _ZN7rocprim17ROCPRIM_400000_NS6detail17trampoline_kernelINS0_14default_configENS1_22reduce_config_selectorIbEEZNS1_11reduce_implILb1ES3_N6hipcub16HIPCUB_304000_NS22TransformInputIteratorIbN2at6native12_GLOBAL__N_19NonZeroOpIlEEPKllEEPiiNS8_6detail34convert_binary_result_type_wrapperINS8_3SumESH_iEEEE10hipError_tPvRmT1_T2_T3_mT4_P12ihipStream_tbEUlT_E0_NS1_11comp_targetILNS1_3genE9ELNS1_11target_archE1100ELNS1_3gpuE3ELNS1_3repE0EEENS1_30default_config_static_selectorELNS0_4arch9wavefront6targetE0EEEvSQ_.private_seg_size, 0
	.set _ZN7rocprim17ROCPRIM_400000_NS6detail17trampoline_kernelINS0_14default_configENS1_22reduce_config_selectorIbEEZNS1_11reduce_implILb1ES3_N6hipcub16HIPCUB_304000_NS22TransformInputIteratorIbN2at6native12_GLOBAL__N_19NonZeroOpIlEEPKllEEPiiNS8_6detail34convert_binary_result_type_wrapperINS8_3SumESH_iEEEE10hipError_tPvRmT1_T2_T3_mT4_P12ihipStream_tbEUlT_E0_NS1_11comp_targetILNS1_3genE9ELNS1_11target_archE1100ELNS1_3gpuE3ELNS1_3repE0EEENS1_30default_config_static_selectorELNS0_4arch9wavefront6targetE0EEEvSQ_.uses_vcc, 0
	.set _ZN7rocprim17ROCPRIM_400000_NS6detail17trampoline_kernelINS0_14default_configENS1_22reduce_config_selectorIbEEZNS1_11reduce_implILb1ES3_N6hipcub16HIPCUB_304000_NS22TransformInputIteratorIbN2at6native12_GLOBAL__N_19NonZeroOpIlEEPKllEEPiiNS8_6detail34convert_binary_result_type_wrapperINS8_3SumESH_iEEEE10hipError_tPvRmT1_T2_T3_mT4_P12ihipStream_tbEUlT_E0_NS1_11comp_targetILNS1_3genE9ELNS1_11target_archE1100ELNS1_3gpuE3ELNS1_3repE0EEENS1_30default_config_static_selectorELNS0_4arch9wavefront6targetE0EEEvSQ_.uses_flat_scratch, 0
	.set _ZN7rocprim17ROCPRIM_400000_NS6detail17trampoline_kernelINS0_14default_configENS1_22reduce_config_selectorIbEEZNS1_11reduce_implILb1ES3_N6hipcub16HIPCUB_304000_NS22TransformInputIteratorIbN2at6native12_GLOBAL__N_19NonZeroOpIlEEPKllEEPiiNS8_6detail34convert_binary_result_type_wrapperINS8_3SumESH_iEEEE10hipError_tPvRmT1_T2_T3_mT4_P12ihipStream_tbEUlT_E0_NS1_11comp_targetILNS1_3genE9ELNS1_11target_archE1100ELNS1_3gpuE3ELNS1_3repE0EEENS1_30default_config_static_selectorELNS0_4arch9wavefront6targetE0EEEvSQ_.has_dyn_sized_stack, 0
	.set _ZN7rocprim17ROCPRIM_400000_NS6detail17trampoline_kernelINS0_14default_configENS1_22reduce_config_selectorIbEEZNS1_11reduce_implILb1ES3_N6hipcub16HIPCUB_304000_NS22TransformInputIteratorIbN2at6native12_GLOBAL__N_19NonZeroOpIlEEPKllEEPiiNS8_6detail34convert_binary_result_type_wrapperINS8_3SumESH_iEEEE10hipError_tPvRmT1_T2_T3_mT4_P12ihipStream_tbEUlT_E0_NS1_11comp_targetILNS1_3genE9ELNS1_11target_archE1100ELNS1_3gpuE3ELNS1_3repE0EEENS1_30default_config_static_selectorELNS0_4arch9wavefront6targetE0EEEvSQ_.has_recursion, 0
	.set _ZN7rocprim17ROCPRIM_400000_NS6detail17trampoline_kernelINS0_14default_configENS1_22reduce_config_selectorIbEEZNS1_11reduce_implILb1ES3_N6hipcub16HIPCUB_304000_NS22TransformInputIteratorIbN2at6native12_GLOBAL__N_19NonZeroOpIlEEPKllEEPiiNS8_6detail34convert_binary_result_type_wrapperINS8_3SumESH_iEEEE10hipError_tPvRmT1_T2_T3_mT4_P12ihipStream_tbEUlT_E0_NS1_11comp_targetILNS1_3genE9ELNS1_11target_archE1100ELNS1_3gpuE3ELNS1_3repE0EEENS1_30default_config_static_selectorELNS0_4arch9wavefront6targetE0EEEvSQ_.has_indirect_call, 0
	.section	.AMDGPU.csdata,"",@progbits
; Kernel info:
; codeLenInByte = 0
; TotalNumSgprs: 0
; NumVgprs: 0
; ScratchSize: 0
; MemoryBound: 0
; FloatMode: 240
; IeeeMode: 1
; LDSByteSize: 0 bytes/workgroup (compile time only)
; SGPRBlocks: 0
; VGPRBlocks: 0
; NumSGPRsForWavesPerEU: 1
; NumVGPRsForWavesPerEU: 1
; Occupancy: 16
; WaveLimiterHint : 0
; COMPUTE_PGM_RSRC2:SCRATCH_EN: 0
; COMPUTE_PGM_RSRC2:USER_SGPR: 2
; COMPUTE_PGM_RSRC2:TRAP_HANDLER: 0
; COMPUTE_PGM_RSRC2:TGID_X_EN: 1
; COMPUTE_PGM_RSRC2:TGID_Y_EN: 0
; COMPUTE_PGM_RSRC2:TGID_Z_EN: 0
; COMPUTE_PGM_RSRC2:TIDIG_COMP_CNT: 0
	.section	.text._ZN7rocprim17ROCPRIM_400000_NS6detail17trampoline_kernelINS0_14default_configENS1_22reduce_config_selectorIbEEZNS1_11reduce_implILb1ES3_N6hipcub16HIPCUB_304000_NS22TransformInputIteratorIbN2at6native12_GLOBAL__N_19NonZeroOpIlEEPKllEEPiiNS8_6detail34convert_binary_result_type_wrapperINS8_3SumESH_iEEEE10hipError_tPvRmT1_T2_T3_mT4_P12ihipStream_tbEUlT_E0_NS1_11comp_targetILNS1_3genE8ELNS1_11target_archE1030ELNS1_3gpuE2ELNS1_3repE0EEENS1_30default_config_static_selectorELNS0_4arch9wavefront6targetE0EEEvSQ_,"axG",@progbits,_ZN7rocprim17ROCPRIM_400000_NS6detail17trampoline_kernelINS0_14default_configENS1_22reduce_config_selectorIbEEZNS1_11reduce_implILb1ES3_N6hipcub16HIPCUB_304000_NS22TransformInputIteratorIbN2at6native12_GLOBAL__N_19NonZeroOpIlEEPKllEEPiiNS8_6detail34convert_binary_result_type_wrapperINS8_3SumESH_iEEEE10hipError_tPvRmT1_T2_T3_mT4_P12ihipStream_tbEUlT_E0_NS1_11comp_targetILNS1_3genE8ELNS1_11target_archE1030ELNS1_3gpuE2ELNS1_3repE0EEENS1_30default_config_static_selectorELNS0_4arch9wavefront6targetE0EEEvSQ_,comdat
	.globl	_ZN7rocprim17ROCPRIM_400000_NS6detail17trampoline_kernelINS0_14default_configENS1_22reduce_config_selectorIbEEZNS1_11reduce_implILb1ES3_N6hipcub16HIPCUB_304000_NS22TransformInputIteratorIbN2at6native12_GLOBAL__N_19NonZeroOpIlEEPKllEEPiiNS8_6detail34convert_binary_result_type_wrapperINS8_3SumESH_iEEEE10hipError_tPvRmT1_T2_T3_mT4_P12ihipStream_tbEUlT_E0_NS1_11comp_targetILNS1_3genE8ELNS1_11target_archE1030ELNS1_3gpuE2ELNS1_3repE0EEENS1_30default_config_static_selectorELNS0_4arch9wavefront6targetE0EEEvSQ_ ; -- Begin function _ZN7rocprim17ROCPRIM_400000_NS6detail17trampoline_kernelINS0_14default_configENS1_22reduce_config_selectorIbEEZNS1_11reduce_implILb1ES3_N6hipcub16HIPCUB_304000_NS22TransformInputIteratorIbN2at6native12_GLOBAL__N_19NonZeroOpIlEEPKllEEPiiNS8_6detail34convert_binary_result_type_wrapperINS8_3SumESH_iEEEE10hipError_tPvRmT1_T2_T3_mT4_P12ihipStream_tbEUlT_E0_NS1_11comp_targetILNS1_3genE8ELNS1_11target_archE1030ELNS1_3gpuE2ELNS1_3repE0EEENS1_30default_config_static_selectorELNS0_4arch9wavefront6targetE0EEEvSQ_
	.p2align	8
	.type	_ZN7rocprim17ROCPRIM_400000_NS6detail17trampoline_kernelINS0_14default_configENS1_22reduce_config_selectorIbEEZNS1_11reduce_implILb1ES3_N6hipcub16HIPCUB_304000_NS22TransformInputIteratorIbN2at6native12_GLOBAL__N_19NonZeroOpIlEEPKllEEPiiNS8_6detail34convert_binary_result_type_wrapperINS8_3SumESH_iEEEE10hipError_tPvRmT1_T2_T3_mT4_P12ihipStream_tbEUlT_E0_NS1_11comp_targetILNS1_3genE8ELNS1_11target_archE1030ELNS1_3gpuE2ELNS1_3repE0EEENS1_30default_config_static_selectorELNS0_4arch9wavefront6targetE0EEEvSQ_,@function
_ZN7rocprim17ROCPRIM_400000_NS6detail17trampoline_kernelINS0_14default_configENS1_22reduce_config_selectorIbEEZNS1_11reduce_implILb1ES3_N6hipcub16HIPCUB_304000_NS22TransformInputIteratorIbN2at6native12_GLOBAL__N_19NonZeroOpIlEEPKllEEPiiNS8_6detail34convert_binary_result_type_wrapperINS8_3SumESH_iEEEE10hipError_tPvRmT1_T2_T3_mT4_P12ihipStream_tbEUlT_E0_NS1_11comp_targetILNS1_3genE8ELNS1_11target_archE1030ELNS1_3gpuE2ELNS1_3repE0EEENS1_30default_config_static_selectorELNS0_4arch9wavefront6targetE0EEEvSQ_: ; @_ZN7rocprim17ROCPRIM_400000_NS6detail17trampoline_kernelINS0_14default_configENS1_22reduce_config_selectorIbEEZNS1_11reduce_implILb1ES3_N6hipcub16HIPCUB_304000_NS22TransformInputIteratorIbN2at6native12_GLOBAL__N_19NonZeroOpIlEEPKllEEPiiNS8_6detail34convert_binary_result_type_wrapperINS8_3SumESH_iEEEE10hipError_tPvRmT1_T2_T3_mT4_P12ihipStream_tbEUlT_E0_NS1_11comp_targetILNS1_3genE8ELNS1_11target_archE1030ELNS1_3gpuE2ELNS1_3repE0EEENS1_30default_config_static_selectorELNS0_4arch9wavefront6targetE0EEEvSQ_
; %bb.0:
	.section	.rodata,"a",@progbits
	.p2align	6, 0x0
	.amdhsa_kernel _ZN7rocprim17ROCPRIM_400000_NS6detail17trampoline_kernelINS0_14default_configENS1_22reduce_config_selectorIbEEZNS1_11reduce_implILb1ES3_N6hipcub16HIPCUB_304000_NS22TransformInputIteratorIbN2at6native12_GLOBAL__N_19NonZeroOpIlEEPKllEEPiiNS8_6detail34convert_binary_result_type_wrapperINS8_3SumESH_iEEEE10hipError_tPvRmT1_T2_T3_mT4_P12ihipStream_tbEUlT_E0_NS1_11comp_targetILNS1_3genE8ELNS1_11target_archE1030ELNS1_3gpuE2ELNS1_3repE0EEENS1_30default_config_static_selectorELNS0_4arch9wavefront6targetE0EEEvSQ_
		.amdhsa_group_segment_fixed_size 0
		.amdhsa_private_segment_fixed_size 0
		.amdhsa_kernarg_size 64
		.amdhsa_user_sgpr_count 2
		.amdhsa_user_sgpr_dispatch_ptr 0
		.amdhsa_user_sgpr_queue_ptr 0
		.amdhsa_user_sgpr_kernarg_segment_ptr 1
		.amdhsa_user_sgpr_dispatch_id 0
		.amdhsa_user_sgpr_private_segment_size 0
		.amdhsa_wavefront_size32 1
		.amdhsa_uses_dynamic_stack 0
		.amdhsa_enable_private_segment 0
		.amdhsa_system_sgpr_workgroup_id_x 1
		.amdhsa_system_sgpr_workgroup_id_y 0
		.amdhsa_system_sgpr_workgroup_id_z 0
		.amdhsa_system_sgpr_workgroup_info 0
		.amdhsa_system_vgpr_workitem_id 0
		.amdhsa_next_free_vgpr 1
		.amdhsa_next_free_sgpr 1
		.amdhsa_reserve_vcc 0
		.amdhsa_float_round_mode_32 0
		.amdhsa_float_round_mode_16_64 0
		.amdhsa_float_denorm_mode_32 3
		.amdhsa_float_denorm_mode_16_64 3
		.amdhsa_fp16_overflow 0
		.amdhsa_workgroup_processor_mode 1
		.amdhsa_memory_ordered 1
		.amdhsa_forward_progress 1
		.amdhsa_inst_pref_size 0
		.amdhsa_round_robin_scheduling 0
		.amdhsa_exception_fp_ieee_invalid_op 0
		.amdhsa_exception_fp_denorm_src 0
		.amdhsa_exception_fp_ieee_div_zero 0
		.amdhsa_exception_fp_ieee_overflow 0
		.amdhsa_exception_fp_ieee_underflow 0
		.amdhsa_exception_fp_ieee_inexact 0
		.amdhsa_exception_int_div_zero 0
	.end_amdhsa_kernel
	.section	.text._ZN7rocprim17ROCPRIM_400000_NS6detail17trampoline_kernelINS0_14default_configENS1_22reduce_config_selectorIbEEZNS1_11reduce_implILb1ES3_N6hipcub16HIPCUB_304000_NS22TransformInputIteratorIbN2at6native12_GLOBAL__N_19NonZeroOpIlEEPKllEEPiiNS8_6detail34convert_binary_result_type_wrapperINS8_3SumESH_iEEEE10hipError_tPvRmT1_T2_T3_mT4_P12ihipStream_tbEUlT_E0_NS1_11comp_targetILNS1_3genE8ELNS1_11target_archE1030ELNS1_3gpuE2ELNS1_3repE0EEENS1_30default_config_static_selectorELNS0_4arch9wavefront6targetE0EEEvSQ_,"axG",@progbits,_ZN7rocprim17ROCPRIM_400000_NS6detail17trampoline_kernelINS0_14default_configENS1_22reduce_config_selectorIbEEZNS1_11reduce_implILb1ES3_N6hipcub16HIPCUB_304000_NS22TransformInputIteratorIbN2at6native12_GLOBAL__N_19NonZeroOpIlEEPKllEEPiiNS8_6detail34convert_binary_result_type_wrapperINS8_3SumESH_iEEEE10hipError_tPvRmT1_T2_T3_mT4_P12ihipStream_tbEUlT_E0_NS1_11comp_targetILNS1_3genE8ELNS1_11target_archE1030ELNS1_3gpuE2ELNS1_3repE0EEENS1_30default_config_static_selectorELNS0_4arch9wavefront6targetE0EEEvSQ_,comdat
.Lfunc_end244:
	.size	_ZN7rocprim17ROCPRIM_400000_NS6detail17trampoline_kernelINS0_14default_configENS1_22reduce_config_selectorIbEEZNS1_11reduce_implILb1ES3_N6hipcub16HIPCUB_304000_NS22TransformInputIteratorIbN2at6native12_GLOBAL__N_19NonZeroOpIlEEPKllEEPiiNS8_6detail34convert_binary_result_type_wrapperINS8_3SumESH_iEEEE10hipError_tPvRmT1_T2_T3_mT4_P12ihipStream_tbEUlT_E0_NS1_11comp_targetILNS1_3genE8ELNS1_11target_archE1030ELNS1_3gpuE2ELNS1_3repE0EEENS1_30default_config_static_selectorELNS0_4arch9wavefront6targetE0EEEvSQ_, .Lfunc_end244-_ZN7rocprim17ROCPRIM_400000_NS6detail17trampoline_kernelINS0_14default_configENS1_22reduce_config_selectorIbEEZNS1_11reduce_implILb1ES3_N6hipcub16HIPCUB_304000_NS22TransformInputIteratorIbN2at6native12_GLOBAL__N_19NonZeroOpIlEEPKllEEPiiNS8_6detail34convert_binary_result_type_wrapperINS8_3SumESH_iEEEE10hipError_tPvRmT1_T2_T3_mT4_P12ihipStream_tbEUlT_E0_NS1_11comp_targetILNS1_3genE8ELNS1_11target_archE1030ELNS1_3gpuE2ELNS1_3repE0EEENS1_30default_config_static_selectorELNS0_4arch9wavefront6targetE0EEEvSQ_
                                        ; -- End function
	.set _ZN7rocprim17ROCPRIM_400000_NS6detail17trampoline_kernelINS0_14default_configENS1_22reduce_config_selectorIbEEZNS1_11reduce_implILb1ES3_N6hipcub16HIPCUB_304000_NS22TransformInputIteratorIbN2at6native12_GLOBAL__N_19NonZeroOpIlEEPKllEEPiiNS8_6detail34convert_binary_result_type_wrapperINS8_3SumESH_iEEEE10hipError_tPvRmT1_T2_T3_mT4_P12ihipStream_tbEUlT_E0_NS1_11comp_targetILNS1_3genE8ELNS1_11target_archE1030ELNS1_3gpuE2ELNS1_3repE0EEENS1_30default_config_static_selectorELNS0_4arch9wavefront6targetE0EEEvSQ_.num_vgpr, 0
	.set _ZN7rocprim17ROCPRIM_400000_NS6detail17trampoline_kernelINS0_14default_configENS1_22reduce_config_selectorIbEEZNS1_11reduce_implILb1ES3_N6hipcub16HIPCUB_304000_NS22TransformInputIteratorIbN2at6native12_GLOBAL__N_19NonZeroOpIlEEPKllEEPiiNS8_6detail34convert_binary_result_type_wrapperINS8_3SumESH_iEEEE10hipError_tPvRmT1_T2_T3_mT4_P12ihipStream_tbEUlT_E0_NS1_11comp_targetILNS1_3genE8ELNS1_11target_archE1030ELNS1_3gpuE2ELNS1_3repE0EEENS1_30default_config_static_selectorELNS0_4arch9wavefront6targetE0EEEvSQ_.num_agpr, 0
	.set _ZN7rocprim17ROCPRIM_400000_NS6detail17trampoline_kernelINS0_14default_configENS1_22reduce_config_selectorIbEEZNS1_11reduce_implILb1ES3_N6hipcub16HIPCUB_304000_NS22TransformInputIteratorIbN2at6native12_GLOBAL__N_19NonZeroOpIlEEPKllEEPiiNS8_6detail34convert_binary_result_type_wrapperINS8_3SumESH_iEEEE10hipError_tPvRmT1_T2_T3_mT4_P12ihipStream_tbEUlT_E0_NS1_11comp_targetILNS1_3genE8ELNS1_11target_archE1030ELNS1_3gpuE2ELNS1_3repE0EEENS1_30default_config_static_selectorELNS0_4arch9wavefront6targetE0EEEvSQ_.numbered_sgpr, 0
	.set _ZN7rocprim17ROCPRIM_400000_NS6detail17trampoline_kernelINS0_14default_configENS1_22reduce_config_selectorIbEEZNS1_11reduce_implILb1ES3_N6hipcub16HIPCUB_304000_NS22TransformInputIteratorIbN2at6native12_GLOBAL__N_19NonZeroOpIlEEPKllEEPiiNS8_6detail34convert_binary_result_type_wrapperINS8_3SumESH_iEEEE10hipError_tPvRmT1_T2_T3_mT4_P12ihipStream_tbEUlT_E0_NS1_11comp_targetILNS1_3genE8ELNS1_11target_archE1030ELNS1_3gpuE2ELNS1_3repE0EEENS1_30default_config_static_selectorELNS0_4arch9wavefront6targetE0EEEvSQ_.num_named_barrier, 0
	.set _ZN7rocprim17ROCPRIM_400000_NS6detail17trampoline_kernelINS0_14default_configENS1_22reduce_config_selectorIbEEZNS1_11reduce_implILb1ES3_N6hipcub16HIPCUB_304000_NS22TransformInputIteratorIbN2at6native12_GLOBAL__N_19NonZeroOpIlEEPKllEEPiiNS8_6detail34convert_binary_result_type_wrapperINS8_3SumESH_iEEEE10hipError_tPvRmT1_T2_T3_mT4_P12ihipStream_tbEUlT_E0_NS1_11comp_targetILNS1_3genE8ELNS1_11target_archE1030ELNS1_3gpuE2ELNS1_3repE0EEENS1_30default_config_static_selectorELNS0_4arch9wavefront6targetE0EEEvSQ_.private_seg_size, 0
	.set _ZN7rocprim17ROCPRIM_400000_NS6detail17trampoline_kernelINS0_14default_configENS1_22reduce_config_selectorIbEEZNS1_11reduce_implILb1ES3_N6hipcub16HIPCUB_304000_NS22TransformInputIteratorIbN2at6native12_GLOBAL__N_19NonZeroOpIlEEPKllEEPiiNS8_6detail34convert_binary_result_type_wrapperINS8_3SumESH_iEEEE10hipError_tPvRmT1_T2_T3_mT4_P12ihipStream_tbEUlT_E0_NS1_11comp_targetILNS1_3genE8ELNS1_11target_archE1030ELNS1_3gpuE2ELNS1_3repE0EEENS1_30default_config_static_selectorELNS0_4arch9wavefront6targetE0EEEvSQ_.uses_vcc, 0
	.set _ZN7rocprim17ROCPRIM_400000_NS6detail17trampoline_kernelINS0_14default_configENS1_22reduce_config_selectorIbEEZNS1_11reduce_implILb1ES3_N6hipcub16HIPCUB_304000_NS22TransformInputIteratorIbN2at6native12_GLOBAL__N_19NonZeroOpIlEEPKllEEPiiNS8_6detail34convert_binary_result_type_wrapperINS8_3SumESH_iEEEE10hipError_tPvRmT1_T2_T3_mT4_P12ihipStream_tbEUlT_E0_NS1_11comp_targetILNS1_3genE8ELNS1_11target_archE1030ELNS1_3gpuE2ELNS1_3repE0EEENS1_30default_config_static_selectorELNS0_4arch9wavefront6targetE0EEEvSQ_.uses_flat_scratch, 0
	.set _ZN7rocprim17ROCPRIM_400000_NS6detail17trampoline_kernelINS0_14default_configENS1_22reduce_config_selectorIbEEZNS1_11reduce_implILb1ES3_N6hipcub16HIPCUB_304000_NS22TransformInputIteratorIbN2at6native12_GLOBAL__N_19NonZeroOpIlEEPKllEEPiiNS8_6detail34convert_binary_result_type_wrapperINS8_3SumESH_iEEEE10hipError_tPvRmT1_T2_T3_mT4_P12ihipStream_tbEUlT_E0_NS1_11comp_targetILNS1_3genE8ELNS1_11target_archE1030ELNS1_3gpuE2ELNS1_3repE0EEENS1_30default_config_static_selectorELNS0_4arch9wavefront6targetE0EEEvSQ_.has_dyn_sized_stack, 0
	.set _ZN7rocprim17ROCPRIM_400000_NS6detail17trampoline_kernelINS0_14default_configENS1_22reduce_config_selectorIbEEZNS1_11reduce_implILb1ES3_N6hipcub16HIPCUB_304000_NS22TransformInputIteratorIbN2at6native12_GLOBAL__N_19NonZeroOpIlEEPKllEEPiiNS8_6detail34convert_binary_result_type_wrapperINS8_3SumESH_iEEEE10hipError_tPvRmT1_T2_T3_mT4_P12ihipStream_tbEUlT_E0_NS1_11comp_targetILNS1_3genE8ELNS1_11target_archE1030ELNS1_3gpuE2ELNS1_3repE0EEENS1_30default_config_static_selectorELNS0_4arch9wavefront6targetE0EEEvSQ_.has_recursion, 0
	.set _ZN7rocprim17ROCPRIM_400000_NS6detail17trampoline_kernelINS0_14default_configENS1_22reduce_config_selectorIbEEZNS1_11reduce_implILb1ES3_N6hipcub16HIPCUB_304000_NS22TransformInputIteratorIbN2at6native12_GLOBAL__N_19NonZeroOpIlEEPKllEEPiiNS8_6detail34convert_binary_result_type_wrapperINS8_3SumESH_iEEEE10hipError_tPvRmT1_T2_T3_mT4_P12ihipStream_tbEUlT_E0_NS1_11comp_targetILNS1_3genE8ELNS1_11target_archE1030ELNS1_3gpuE2ELNS1_3repE0EEENS1_30default_config_static_selectorELNS0_4arch9wavefront6targetE0EEEvSQ_.has_indirect_call, 0
	.section	.AMDGPU.csdata,"",@progbits
; Kernel info:
; codeLenInByte = 0
; TotalNumSgprs: 0
; NumVgprs: 0
; ScratchSize: 0
; MemoryBound: 0
; FloatMode: 240
; IeeeMode: 1
; LDSByteSize: 0 bytes/workgroup (compile time only)
; SGPRBlocks: 0
; VGPRBlocks: 0
; NumSGPRsForWavesPerEU: 1
; NumVGPRsForWavesPerEU: 1
; Occupancy: 16
; WaveLimiterHint : 0
; COMPUTE_PGM_RSRC2:SCRATCH_EN: 0
; COMPUTE_PGM_RSRC2:USER_SGPR: 2
; COMPUTE_PGM_RSRC2:TRAP_HANDLER: 0
; COMPUTE_PGM_RSRC2:TGID_X_EN: 1
; COMPUTE_PGM_RSRC2:TGID_Y_EN: 0
; COMPUTE_PGM_RSRC2:TGID_Z_EN: 0
; COMPUTE_PGM_RSRC2:TIDIG_COMP_CNT: 0
	.section	.text._ZN7rocprim17ROCPRIM_400000_NS6detail17trampoline_kernelINS0_14default_configENS1_22reduce_config_selectorIbEEZNS1_11reduce_implILb1ES3_N6hipcub16HIPCUB_304000_NS22TransformInputIteratorIbN2at6native12_GLOBAL__N_19NonZeroOpIlEEPKllEEPiiNS8_6detail34convert_binary_result_type_wrapperINS8_3SumESH_iEEEE10hipError_tPvRmT1_T2_T3_mT4_P12ihipStream_tbEUlT_E1_NS1_11comp_targetILNS1_3genE0ELNS1_11target_archE4294967295ELNS1_3gpuE0ELNS1_3repE0EEENS1_30default_config_static_selectorELNS0_4arch9wavefront6targetE0EEEvSQ_,"axG",@progbits,_ZN7rocprim17ROCPRIM_400000_NS6detail17trampoline_kernelINS0_14default_configENS1_22reduce_config_selectorIbEEZNS1_11reduce_implILb1ES3_N6hipcub16HIPCUB_304000_NS22TransformInputIteratorIbN2at6native12_GLOBAL__N_19NonZeroOpIlEEPKllEEPiiNS8_6detail34convert_binary_result_type_wrapperINS8_3SumESH_iEEEE10hipError_tPvRmT1_T2_T3_mT4_P12ihipStream_tbEUlT_E1_NS1_11comp_targetILNS1_3genE0ELNS1_11target_archE4294967295ELNS1_3gpuE0ELNS1_3repE0EEENS1_30default_config_static_selectorELNS0_4arch9wavefront6targetE0EEEvSQ_,comdat
	.globl	_ZN7rocprim17ROCPRIM_400000_NS6detail17trampoline_kernelINS0_14default_configENS1_22reduce_config_selectorIbEEZNS1_11reduce_implILb1ES3_N6hipcub16HIPCUB_304000_NS22TransformInputIteratorIbN2at6native12_GLOBAL__N_19NonZeroOpIlEEPKllEEPiiNS8_6detail34convert_binary_result_type_wrapperINS8_3SumESH_iEEEE10hipError_tPvRmT1_T2_T3_mT4_P12ihipStream_tbEUlT_E1_NS1_11comp_targetILNS1_3genE0ELNS1_11target_archE4294967295ELNS1_3gpuE0ELNS1_3repE0EEENS1_30default_config_static_selectorELNS0_4arch9wavefront6targetE0EEEvSQ_ ; -- Begin function _ZN7rocprim17ROCPRIM_400000_NS6detail17trampoline_kernelINS0_14default_configENS1_22reduce_config_selectorIbEEZNS1_11reduce_implILb1ES3_N6hipcub16HIPCUB_304000_NS22TransformInputIteratorIbN2at6native12_GLOBAL__N_19NonZeroOpIlEEPKllEEPiiNS8_6detail34convert_binary_result_type_wrapperINS8_3SumESH_iEEEE10hipError_tPvRmT1_T2_T3_mT4_P12ihipStream_tbEUlT_E1_NS1_11comp_targetILNS1_3genE0ELNS1_11target_archE4294967295ELNS1_3gpuE0ELNS1_3repE0EEENS1_30default_config_static_selectorELNS0_4arch9wavefront6targetE0EEEvSQ_
	.p2align	8
	.type	_ZN7rocprim17ROCPRIM_400000_NS6detail17trampoline_kernelINS0_14default_configENS1_22reduce_config_selectorIbEEZNS1_11reduce_implILb1ES3_N6hipcub16HIPCUB_304000_NS22TransformInputIteratorIbN2at6native12_GLOBAL__N_19NonZeroOpIlEEPKllEEPiiNS8_6detail34convert_binary_result_type_wrapperINS8_3SumESH_iEEEE10hipError_tPvRmT1_T2_T3_mT4_P12ihipStream_tbEUlT_E1_NS1_11comp_targetILNS1_3genE0ELNS1_11target_archE4294967295ELNS1_3gpuE0ELNS1_3repE0EEENS1_30default_config_static_selectorELNS0_4arch9wavefront6targetE0EEEvSQ_,@function
_ZN7rocprim17ROCPRIM_400000_NS6detail17trampoline_kernelINS0_14default_configENS1_22reduce_config_selectorIbEEZNS1_11reduce_implILb1ES3_N6hipcub16HIPCUB_304000_NS22TransformInputIteratorIbN2at6native12_GLOBAL__N_19NonZeroOpIlEEPKllEEPiiNS8_6detail34convert_binary_result_type_wrapperINS8_3SumESH_iEEEE10hipError_tPvRmT1_T2_T3_mT4_P12ihipStream_tbEUlT_E1_NS1_11comp_targetILNS1_3genE0ELNS1_11target_archE4294967295ELNS1_3gpuE0ELNS1_3repE0EEENS1_30default_config_static_selectorELNS0_4arch9wavefront6targetE0EEEvSQ_: ; @_ZN7rocprim17ROCPRIM_400000_NS6detail17trampoline_kernelINS0_14default_configENS1_22reduce_config_selectorIbEEZNS1_11reduce_implILb1ES3_N6hipcub16HIPCUB_304000_NS22TransformInputIteratorIbN2at6native12_GLOBAL__N_19NonZeroOpIlEEPKllEEPiiNS8_6detail34convert_binary_result_type_wrapperINS8_3SumESH_iEEEE10hipError_tPvRmT1_T2_T3_mT4_P12ihipStream_tbEUlT_E1_NS1_11comp_targetILNS1_3genE0ELNS1_11target_archE4294967295ELNS1_3gpuE0ELNS1_3repE0EEENS1_30default_config_static_selectorELNS0_4arch9wavefront6targetE0EEEvSQ_
; %bb.0:
	.section	.rodata,"a",@progbits
	.p2align	6, 0x0
	.amdhsa_kernel _ZN7rocprim17ROCPRIM_400000_NS6detail17trampoline_kernelINS0_14default_configENS1_22reduce_config_selectorIbEEZNS1_11reduce_implILb1ES3_N6hipcub16HIPCUB_304000_NS22TransformInputIteratorIbN2at6native12_GLOBAL__N_19NonZeroOpIlEEPKllEEPiiNS8_6detail34convert_binary_result_type_wrapperINS8_3SumESH_iEEEE10hipError_tPvRmT1_T2_T3_mT4_P12ihipStream_tbEUlT_E1_NS1_11comp_targetILNS1_3genE0ELNS1_11target_archE4294967295ELNS1_3gpuE0ELNS1_3repE0EEENS1_30default_config_static_selectorELNS0_4arch9wavefront6targetE0EEEvSQ_
		.amdhsa_group_segment_fixed_size 0
		.amdhsa_private_segment_fixed_size 0
		.amdhsa_kernarg_size 48
		.amdhsa_user_sgpr_count 2
		.amdhsa_user_sgpr_dispatch_ptr 0
		.amdhsa_user_sgpr_queue_ptr 0
		.amdhsa_user_sgpr_kernarg_segment_ptr 1
		.amdhsa_user_sgpr_dispatch_id 0
		.amdhsa_user_sgpr_private_segment_size 0
		.amdhsa_wavefront_size32 1
		.amdhsa_uses_dynamic_stack 0
		.amdhsa_enable_private_segment 0
		.amdhsa_system_sgpr_workgroup_id_x 1
		.amdhsa_system_sgpr_workgroup_id_y 0
		.amdhsa_system_sgpr_workgroup_id_z 0
		.amdhsa_system_sgpr_workgroup_info 0
		.amdhsa_system_vgpr_workitem_id 0
		.amdhsa_next_free_vgpr 1
		.amdhsa_next_free_sgpr 1
		.amdhsa_reserve_vcc 0
		.amdhsa_float_round_mode_32 0
		.amdhsa_float_round_mode_16_64 0
		.amdhsa_float_denorm_mode_32 3
		.amdhsa_float_denorm_mode_16_64 3
		.amdhsa_fp16_overflow 0
		.amdhsa_workgroup_processor_mode 1
		.amdhsa_memory_ordered 1
		.amdhsa_forward_progress 1
		.amdhsa_inst_pref_size 0
		.amdhsa_round_robin_scheduling 0
		.amdhsa_exception_fp_ieee_invalid_op 0
		.amdhsa_exception_fp_denorm_src 0
		.amdhsa_exception_fp_ieee_div_zero 0
		.amdhsa_exception_fp_ieee_overflow 0
		.amdhsa_exception_fp_ieee_underflow 0
		.amdhsa_exception_fp_ieee_inexact 0
		.amdhsa_exception_int_div_zero 0
	.end_amdhsa_kernel
	.section	.text._ZN7rocprim17ROCPRIM_400000_NS6detail17trampoline_kernelINS0_14default_configENS1_22reduce_config_selectorIbEEZNS1_11reduce_implILb1ES3_N6hipcub16HIPCUB_304000_NS22TransformInputIteratorIbN2at6native12_GLOBAL__N_19NonZeroOpIlEEPKllEEPiiNS8_6detail34convert_binary_result_type_wrapperINS8_3SumESH_iEEEE10hipError_tPvRmT1_T2_T3_mT4_P12ihipStream_tbEUlT_E1_NS1_11comp_targetILNS1_3genE0ELNS1_11target_archE4294967295ELNS1_3gpuE0ELNS1_3repE0EEENS1_30default_config_static_selectorELNS0_4arch9wavefront6targetE0EEEvSQ_,"axG",@progbits,_ZN7rocprim17ROCPRIM_400000_NS6detail17trampoline_kernelINS0_14default_configENS1_22reduce_config_selectorIbEEZNS1_11reduce_implILb1ES3_N6hipcub16HIPCUB_304000_NS22TransformInputIteratorIbN2at6native12_GLOBAL__N_19NonZeroOpIlEEPKllEEPiiNS8_6detail34convert_binary_result_type_wrapperINS8_3SumESH_iEEEE10hipError_tPvRmT1_T2_T3_mT4_P12ihipStream_tbEUlT_E1_NS1_11comp_targetILNS1_3genE0ELNS1_11target_archE4294967295ELNS1_3gpuE0ELNS1_3repE0EEENS1_30default_config_static_selectorELNS0_4arch9wavefront6targetE0EEEvSQ_,comdat
.Lfunc_end245:
	.size	_ZN7rocprim17ROCPRIM_400000_NS6detail17trampoline_kernelINS0_14default_configENS1_22reduce_config_selectorIbEEZNS1_11reduce_implILb1ES3_N6hipcub16HIPCUB_304000_NS22TransformInputIteratorIbN2at6native12_GLOBAL__N_19NonZeroOpIlEEPKllEEPiiNS8_6detail34convert_binary_result_type_wrapperINS8_3SumESH_iEEEE10hipError_tPvRmT1_T2_T3_mT4_P12ihipStream_tbEUlT_E1_NS1_11comp_targetILNS1_3genE0ELNS1_11target_archE4294967295ELNS1_3gpuE0ELNS1_3repE0EEENS1_30default_config_static_selectorELNS0_4arch9wavefront6targetE0EEEvSQ_, .Lfunc_end245-_ZN7rocprim17ROCPRIM_400000_NS6detail17trampoline_kernelINS0_14default_configENS1_22reduce_config_selectorIbEEZNS1_11reduce_implILb1ES3_N6hipcub16HIPCUB_304000_NS22TransformInputIteratorIbN2at6native12_GLOBAL__N_19NonZeroOpIlEEPKllEEPiiNS8_6detail34convert_binary_result_type_wrapperINS8_3SumESH_iEEEE10hipError_tPvRmT1_T2_T3_mT4_P12ihipStream_tbEUlT_E1_NS1_11comp_targetILNS1_3genE0ELNS1_11target_archE4294967295ELNS1_3gpuE0ELNS1_3repE0EEENS1_30default_config_static_selectorELNS0_4arch9wavefront6targetE0EEEvSQ_
                                        ; -- End function
	.set _ZN7rocprim17ROCPRIM_400000_NS6detail17trampoline_kernelINS0_14default_configENS1_22reduce_config_selectorIbEEZNS1_11reduce_implILb1ES3_N6hipcub16HIPCUB_304000_NS22TransformInputIteratorIbN2at6native12_GLOBAL__N_19NonZeroOpIlEEPKllEEPiiNS8_6detail34convert_binary_result_type_wrapperINS8_3SumESH_iEEEE10hipError_tPvRmT1_T2_T3_mT4_P12ihipStream_tbEUlT_E1_NS1_11comp_targetILNS1_3genE0ELNS1_11target_archE4294967295ELNS1_3gpuE0ELNS1_3repE0EEENS1_30default_config_static_selectorELNS0_4arch9wavefront6targetE0EEEvSQ_.num_vgpr, 0
	.set _ZN7rocprim17ROCPRIM_400000_NS6detail17trampoline_kernelINS0_14default_configENS1_22reduce_config_selectorIbEEZNS1_11reduce_implILb1ES3_N6hipcub16HIPCUB_304000_NS22TransformInputIteratorIbN2at6native12_GLOBAL__N_19NonZeroOpIlEEPKllEEPiiNS8_6detail34convert_binary_result_type_wrapperINS8_3SumESH_iEEEE10hipError_tPvRmT1_T2_T3_mT4_P12ihipStream_tbEUlT_E1_NS1_11comp_targetILNS1_3genE0ELNS1_11target_archE4294967295ELNS1_3gpuE0ELNS1_3repE0EEENS1_30default_config_static_selectorELNS0_4arch9wavefront6targetE0EEEvSQ_.num_agpr, 0
	.set _ZN7rocprim17ROCPRIM_400000_NS6detail17trampoline_kernelINS0_14default_configENS1_22reduce_config_selectorIbEEZNS1_11reduce_implILb1ES3_N6hipcub16HIPCUB_304000_NS22TransformInputIteratorIbN2at6native12_GLOBAL__N_19NonZeroOpIlEEPKllEEPiiNS8_6detail34convert_binary_result_type_wrapperINS8_3SumESH_iEEEE10hipError_tPvRmT1_T2_T3_mT4_P12ihipStream_tbEUlT_E1_NS1_11comp_targetILNS1_3genE0ELNS1_11target_archE4294967295ELNS1_3gpuE0ELNS1_3repE0EEENS1_30default_config_static_selectorELNS0_4arch9wavefront6targetE0EEEvSQ_.numbered_sgpr, 0
	.set _ZN7rocprim17ROCPRIM_400000_NS6detail17trampoline_kernelINS0_14default_configENS1_22reduce_config_selectorIbEEZNS1_11reduce_implILb1ES3_N6hipcub16HIPCUB_304000_NS22TransformInputIteratorIbN2at6native12_GLOBAL__N_19NonZeroOpIlEEPKllEEPiiNS8_6detail34convert_binary_result_type_wrapperINS8_3SumESH_iEEEE10hipError_tPvRmT1_T2_T3_mT4_P12ihipStream_tbEUlT_E1_NS1_11comp_targetILNS1_3genE0ELNS1_11target_archE4294967295ELNS1_3gpuE0ELNS1_3repE0EEENS1_30default_config_static_selectorELNS0_4arch9wavefront6targetE0EEEvSQ_.num_named_barrier, 0
	.set _ZN7rocprim17ROCPRIM_400000_NS6detail17trampoline_kernelINS0_14default_configENS1_22reduce_config_selectorIbEEZNS1_11reduce_implILb1ES3_N6hipcub16HIPCUB_304000_NS22TransformInputIteratorIbN2at6native12_GLOBAL__N_19NonZeroOpIlEEPKllEEPiiNS8_6detail34convert_binary_result_type_wrapperINS8_3SumESH_iEEEE10hipError_tPvRmT1_T2_T3_mT4_P12ihipStream_tbEUlT_E1_NS1_11comp_targetILNS1_3genE0ELNS1_11target_archE4294967295ELNS1_3gpuE0ELNS1_3repE0EEENS1_30default_config_static_selectorELNS0_4arch9wavefront6targetE0EEEvSQ_.private_seg_size, 0
	.set _ZN7rocprim17ROCPRIM_400000_NS6detail17trampoline_kernelINS0_14default_configENS1_22reduce_config_selectorIbEEZNS1_11reduce_implILb1ES3_N6hipcub16HIPCUB_304000_NS22TransformInputIteratorIbN2at6native12_GLOBAL__N_19NonZeroOpIlEEPKllEEPiiNS8_6detail34convert_binary_result_type_wrapperINS8_3SumESH_iEEEE10hipError_tPvRmT1_T2_T3_mT4_P12ihipStream_tbEUlT_E1_NS1_11comp_targetILNS1_3genE0ELNS1_11target_archE4294967295ELNS1_3gpuE0ELNS1_3repE0EEENS1_30default_config_static_selectorELNS0_4arch9wavefront6targetE0EEEvSQ_.uses_vcc, 0
	.set _ZN7rocprim17ROCPRIM_400000_NS6detail17trampoline_kernelINS0_14default_configENS1_22reduce_config_selectorIbEEZNS1_11reduce_implILb1ES3_N6hipcub16HIPCUB_304000_NS22TransformInputIteratorIbN2at6native12_GLOBAL__N_19NonZeroOpIlEEPKllEEPiiNS8_6detail34convert_binary_result_type_wrapperINS8_3SumESH_iEEEE10hipError_tPvRmT1_T2_T3_mT4_P12ihipStream_tbEUlT_E1_NS1_11comp_targetILNS1_3genE0ELNS1_11target_archE4294967295ELNS1_3gpuE0ELNS1_3repE0EEENS1_30default_config_static_selectorELNS0_4arch9wavefront6targetE0EEEvSQ_.uses_flat_scratch, 0
	.set _ZN7rocprim17ROCPRIM_400000_NS6detail17trampoline_kernelINS0_14default_configENS1_22reduce_config_selectorIbEEZNS1_11reduce_implILb1ES3_N6hipcub16HIPCUB_304000_NS22TransformInputIteratorIbN2at6native12_GLOBAL__N_19NonZeroOpIlEEPKllEEPiiNS8_6detail34convert_binary_result_type_wrapperINS8_3SumESH_iEEEE10hipError_tPvRmT1_T2_T3_mT4_P12ihipStream_tbEUlT_E1_NS1_11comp_targetILNS1_3genE0ELNS1_11target_archE4294967295ELNS1_3gpuE0ELNS1_3repE0EEENS1_30default_config_static_selectorELNS0_4arch9wavefront6targetE0EEEvSQ_.has_dyn_sized_stack, 0
	.set _ZN7rocprim17ROCPRIM_400000_NS6detail17trampoline_kernelINS0_14default_configENS1_22reduce_config_selectorIbEEZNS1_11reduce_implILb1ES3_N6hipcub16HIPCUB_304000_NS22TransformInputIteratorIbN2at6native12_GLOBAL__N_19NonZeroOpIlEEPKllEEPiiNS8_6detail34convert_binary_result_type_wrapperINS8_3SumESH_iEEEE10hipError_tPvRmT1_T2_T3_mT4_P12ihipStream_tbEUlT_E1_NS1_11comp_targetILNS1_3genE0ELNS1_11target_archE4294967295ELNS1_3gpuE0ELNS1_3repE0EEENS1_30default_config_static_selectorELNS0_4arch9wavefront6targetE0EEEvSQ_.has_recursion, 0
	.set _ZN7rocprim17ROCPRIM_400000_NS6detail17trampoline_kernelINS0_14default_configENS1_22reduce_config_selectorIbEEZNS1_11reduce_implILb1ES3_N6hipcub16HIPCUB_304000_NS22TransformInputIteratorIbN2at6native12_GLOBAL__N_19NonZeroOpIlEEPKllEEPiiNS8_6detail34convert_binary_result_type_wrapperINS8_3SumESH_iEEEE10hipError_tPvRmT1_T2_T3_mT4_P12ihipStream_tbEUlT_E1_NS1_11comp_targetILNS1_3genE0ELNS1_11target_archE4294967295ELNS1_3gpuE0ELNS1_3repE0EEENS1_30default_config_static_selectorELNS0_4arch9wavefront6targetE0EEEvSQ_.has_indirect_call, 0
	.section	.AMDGPU.csdata,"",@progbits
; Kernel info:
; codeLenInByte = 0
; TotalNumSgprs: 0
; NumVgprs: 0
; ScratchSize: 0
; MemoryBound: 0
; FloatMode: 240
; IeeeMode: 1
; LDSByteSize: 0 bytes/workgroup (compile time only)
; SGPRBlocks: 0
; VGPRBlocks: 0
; NumSGPRsForWavesPerEU: 1
; NumVGPRsForWavesPerEU: 1
; Occupancy: 16
; WaveLimiterHint : 0
; COMPUTE_PGM_RSRC2:SCRATCH_EN: 0
; COMPUTE_PGM_RSRC2:USER_SGPR: 2
; COMPUTE_PGM_RSRC2:TRAP_HANDLER: 0
; COMPUTE_PGM_RSRC2:TGID_X_EN: 1
; COMPUTE_PGM_RSRC2:TGID_Y_EN: 0
; COMPUTE_PGM_RSRC2:TGID_Z_EN: 0
; COMPUTE_PGM_RSRC2:TIDIG_COMP_CNT: 0
	.section	.text._ZN7rocprim17ROCPRIM_400000_NS6detail17trampoline_kernelINS0_14default_configENS1_22reduce_config_selectorIbEEZNS1_11reduce_implILb1ES3_N6hipcub16HIPCUB_304000_NS22TransformInputIteratorIbN2at6native12_GLOBAL__N_19NonZeroOpIlEEPKllEEPiiNS8_6detail34convert_binary_result_type_wrapperINS8_3SumESH_iEEEE10hipError_tPvRmT1_T2_T3_mT4_P12ihipStream_tbEUlT_E1_NS1_11comp_targetILNS1_3genE5ELNS1_11target_archE942ELNS1_3gpuE9ELNS1_3repE0EEENS1_30default_config_static_selectorELNS0_4arch9wavefront6targetE0EEEvSQ_,"axG",@progbits,_ZN7rocprim17ROCPRIM_400000_NS6detail17trampoline_kernelINS0_14default_configENS1_22reduce_config_selectorIbEEZNS1_11reduce_implILb1ES3_N6hipcub16HIPCUB_304000_NS22TransformInputIteratorIbN2at6native12_GLOBAL__N_19NonZeroOpIlEEPKllEEPiiNS8_6detail34convert_binary_result_type_wrapperINS8_3SumESH_iEEEE10hipError_tPvRmT1_T2_T3_mT4_P12ihipStream_tbEUlT_E1_NS1_11comp_targetILNS1_3genE5ELNS1_11target_archE942ELNS1_3gpuE9ELNS1_3repE0EEENS1_30default_config_static_selectorELNS0_4arch9wavefront6targetE0EEEvSQ_,comdat
	.globl	_ZN7rocprim17ROCPRIM_400000_NS6detail17trampoline_kernelINS0_14default_configENS1_22reduce_config_selectorIbEEZNS1_11reduce_implILb1ES3_N6hipcub16HIPCUB_304000_NS22TransformInputIteratorIbN2at6native12_GLOBAL__N_19NonZeroOpIlEEPKllEEPiiNS8_6detail34convert_binary_result_type_wrapperINS8_3SumESH_iEEEE10hipError_tPvRmT1_T2_T3_mT4_P12ihipStream_tbEUlT_E1_NS1_11comp_targetILNS1_3genE5ELNS1_11target_archE942ELNS1_3gpuE9ELNS1_3repE0EEENS1_30default_config_static_selectorELNS0_4arch9wavefront6targetE0EEEvSQ_ ; -- Begin function _ZN7rocprim17ROCPRIM_400000_NS6detail17trampoline_kernelINS0_14default_configENS1_22reduce_config_selectorIbEEZNS1_11reduce_implILb1ES3_N6hipcub16HIPCUB_304000_NS22TransformInputIteratorIbN2at6native12_GLOBAL__N_19NonZeroOpIlEEPKllEEPiiNS8_6detail34convert_binary_result_type_wrapperINS8_3SumESH_iEEEE10hipError_tPvRmT1_T2_T3_mT4_P12ihipStream_tbEUlT_E1_NS1_11comp_targetILNS1_3genE5ELNS1_11target_archE942ELNS1_3gpuE9ELNS1_3repE0EEENS1_30default_config_static_selectorELNS0_4arch9wavefront6targetE0EEEvSQ_
	.p2align	8
	.type	_ZN7rocprim17ROCPRIM_400000_NS6detail17trampoline_kernelINS0_14default_configENS1_22reduce_config_selectorIbEEZNS1_11reduce_implILb1ES3_N6hipcub16HIPCUB_304000_NS22TransformInputIteratorIbN2at6native12_GLOBAL__N_19NonZeroOpIlEEPKllEEPiiNS8_6detail34convert_binary_result_type_wrapperINS8_3SumESH_iEEEE10hipError_tPvRmT1_T2_T3_mT4_P12ihipStream_tbEUlT_E1_NS1_11comp_targetILNS1_3genE5ELNS1_11target_archE942ELNS1_3gpuE9ELNS1_3repE0EEENS1_30default_config_static_selectorELNS0_4arch9wavefront6targetE0EEEvSQ_,@function
_ZN7rocprim17ROCPRIM_400000_NS6detail17trampoline_kernelINS0_14default_configENS1_22reduce_config_selectorIbEEZNS1_11reduce_implILb1ES3_N6hipcub16HIPCUB_304000_NS22TransformInputIteratorIbN2at6native12_GLOBAL__N_19NonZeroOpIlEEPKllEEPiiNS8_6detail34convert_binary_result_type_wrapperINS8_3SumESH_iEEEE10hipError_tPvRmT1_T2_T3_mT4_P12ihipStream_tbEUlT_E1_NS1_11comp_targetILNS1_3genE5ELNS1_11target_archE942ELNS1_3gpuE9ELNS1_3repE0EEENS1_30default_config_static_selectorELNS0_4arch9wavefront6targetE0EEEvSQ_: ; @_ZN7rocprim17ROCPRIM_400000_NS6detail17trampoline_kernelINS0_14default_configENS1_22reduce_config_selectorIbEEZNS1_11reduce_implILb1ES3_N6hipcub16HIPCUB_304000_NS22TransformInputIteratorIbN2at6native12_GLOBAL__N_19NonZeroOpIlEEPKllEEPiiNS8_6detail34convert_binary_result_type_wrapperINS8_3SumESH_iEEEE10hipError_tPvRmT1_T2_T3_mT4_P12ihipStream_tbEUlT_E1_NS1_11comp_targetILNS1_3genE5ELNS1_11target_archE942ELNS1_3gpuE9ELNS1_3repE0EEENS1_30default_config_static_selectorELNS0_4arch9wavefront6targetE0EEEvSQ_
; %bb.0:
	.section	.rodata,"a",@progbits
	.p2align	6, 0x0
	.amdhsa_kernel _ZN7rocprim17ROCPRIM_400000_NS6detail17trampoline_kernelINS0_14default_configENS1_22reduce_config_selectorIbEEZNS1_11reduce_implILb1ES3_N6hipcub16HIPCUB_304000_NS22TransformInputIteratorIbN2at6native12_GLOBAL__N_19NonZeroOpIlEEPKllEEPiiNS8_6detail34convert_binary_result_type_wrapperINS8_3SumESH_iEEEE10hipError_tPvRmT1_T2_T3_mT4_P12ihipStream_tbEUlT_E1_NS1_11comp_targetILNS1_3genE5ELNS1_11target_archE942ELNS1_3gpuE9ELNS1_3repE0EEENS1_30default_config_static_selectorELNS0_4arch9wavefront6targetE0EEEvSQ_
		.amdhsa_group_segment_fixed_size 0
		.amdhsa_private_segment_fixed_size 0
		.amdhsa_kernarg_size 48
		.amdhsa_user_sgpr_count 2
		.amdhsa_user_sgpr_dispatch_ptr 0
		.amdhsa_user_sgpr_queue_ptr 0
		.amdhsa_user_sgpr_kernarg_segment_ptr 1
		.amdhsa_user_sgpr_dispatch_id 0
		.amdhsa_user_sgpr_private_segment_size 0
		.amdhsa_wavefront_size32 1
		.amdhsa_uses_dynamic_stack 0
		.amdhsa_enable_private_segment 0
		.amdhsa_system_sgpr_workgroup_id_x 1
		.amdhsa_system_sgpr_workgroup_id_y 0
		.amdhsa_system_sgpr_workgroup_id_z 0
		.amdhsa_system_sgpr_workgroup_info 0
		.amdhsa_system_vgpr_workitem_id 0
		.amdhsa_next_free_vgpr 1
		.amdhsa_next_free_sgpr 1
		.amdhsa_reserve_vcc 0
		.amdhsa_float_round_mode_32 0
		.amdhsa_float_round_mode_16_64 0
		.amdhsa_float_denorm_mode_32 3
		.amdhsa_float_denorm_mode_16_64 3
		.amdhsa_fp16_overflow 0
		.amdhsa_workgroup_processor_mode 1
		.amdhsa_memory_ordered 1
		.amdhsa_forward_progress 1
		.amdhsa_inst_pref_size 0
		.amdhsa_round_robin_scheduling 0
		.amdhsa_exception_fp_ieee_invalid_op 0
		.amdhsa_exception_fp_denorm_src 0
		.amdhsa_exception_fp_ieee_div_zero 0
		.amdhsa_exception_fp_ieee_overflow 0
		.amdhsa_exception_fp_ieee_underflow 0
		.amdhsa_exception_fp_ieee_inexact 0
		.amdhsa_exception_int_div_zero 0
	.end_amdhsa_kernel
	.section	.text._ZN7rocprim17ROCPRIM_400000_NS6detail17trampoline_kernelINS0_14default_configENS1_22reduce_config_selectorIbEEZNS1_11reduce_implILb1ES3_N6hipcub16HIPCUB_304000_NS22TransformInputIteratorIbN2at6native12_GLOBAL__N_19NonZeroOpIlEEPKllEEPiiNS8_6detail34convert_binary_result_type_wrapperINS8_3SumESH_iEEEE10hipError_tPvRmT1_T2_T3_mT4_P12ihipStream_tbEUlT_E1_NS1_11comp_targetILNS1_3genE5ELNS1_11target_archE942ELNS1_3gpuE9ELNS1_3repE0EEENS1_30default_config_static_selectorELNS0_4arch9wavefront6targetE0EEEvSQ_,"axG",@progbits,_ZN7rocprim17ROCPRIM_400000_NS6detail17trampoline_kernelINS0_14default_configENS1_22reduce_config_selectorIbEEZNS1_11reduce_implILb1ES3_N6hipcub16HIPCUB_304000_NS22TransformInputIteratorIbN2at6native12_GLOBAL__N_19NonZeroOpIlEEPKllEEPiiNS8_6detail34convert_binary_result_type_wrapperINS8_3SumESH_iEEEE10hipError_tPvRmT1_T2_T3_mT4_P12ihipStream_tbEUlT_E1_NS1_11comp_targetILNS1_3genE5ELNS1_11target_archE942ELNS1_3gpuE9ELNS1_3repE0EEENS1_30default_config_static_selectorELNS0_4arch9wavefront6targetE0EEEvSQ_,comdat
.Lfunc_end246:
	.size	_ZN7rocprim17ROCPRIM_400000_NS6detail17trampoline_kernelINS0_14default_configENS1_22reduce_config_selectorIbEEZNS1_11reduce_implILb1ES3_N6hipcub16HIPCUB_304000_NS22TransformInputIteratorIbN2at6native12_GLOBAL__N_19NonZeroOpIlEEPKllEEPiiNS8_6detail34convert_binary_result_type_wrapperINS8_3SumESH_iEEEE10hipError_tPvRmT1_T2_T3_mT4_P12ihipStream_tbEUlT_E1_NS1_11comp_targetILNS1_3genE5ELNS1_11target_archE942ELNS1_3gpuE9ELNS1_3repE0EEENS1_30default_config_static_selectorELNS0_4arch9wavefront6targetE0EEEvSQ_, .Lfunc_end246-_ZN7rocprim17ROCPRIM_400000_NS6detail17trampoline_kernelINS0_14default_configENS1_22reduce_config_selectorIbEEZNS1_11reduce_implILb1ES3_N6hipcub16HIPCUB_304000_NS22TransformInputIteratorIbN2at6native12_GLOBAL__N_19NonZeroOpIlEEPKllEEPiiNS8_6detail34convert_binary_result_type_wrapperINS8_3SumESH_iEEEE10hipError_tPvRmT1_T2_T3_mT4_P12ihipStream_tbEUlT_E1_NS1_11comp_targetILNS1_3genE5ELNS1_11target_archE942ELNS1_3gpuE9ELNS1_3repE0EEENS1_30default_config_static_selectorELNS0_4arch9wavefront6targetE0EEEvSQ_
                                        ; -- End function
	.set _ZN7rocprim17ROCPRIM_400000_NS6detail17trampoline_kernelINS0_14default_configENS1_22reduce_config_selectorIbEEZNS1_11reduce_implILb1ES3_N6hipcub16HIPCUB_304000_NS22TransformInputIteratorIbN2at6native12_GLOBAL__N_19NonZeroOpIlEEPKllEEPiiNS8_6detail34convert_binary_result_type_wrapperINS8_3SumESH_iEEEE10hipError_tPvRmT1_T2_T3_mT4_P12ihipStream_tbEUlT_E1_NS1_11comp_targetILNS1_3genE5ELNS1_11target_archE942ELNS1_3gpuE9ELNS1_3repE0EEENS1_30default_config_static_selectorELNS0_4arch9wavefront6targetE0EEEvSQ_.num_vgpr, 0
	.set _ZN7rocprim17ROCPRIM_400000_NS6detail17trampoline_kernelINS0_14default_configENS1_22reduce_config_selectorIbEEZNS1_11reduce_implILb1ES3_N6hipcub16HIPCUB_304000_NS22TransformInputIteratorIbN2at6native12_GLOBAL__N_19NonZeroOpIlEEPKllEEPiiNS8_6detail34convert_binary_result_type_wrapperINS8_3SumESH_iEEEE10hipError_tPvRmT1_T2_T3_mT4_P12ihipStream_tbEUlT_E1_NS1_11comp_targetILNS1_3genE5ELNS1_11target_archE942ELNS1_3gpuE9ELNS1_3repE0EEENS1_30default_config_static_selectorELNS0_4arch9wavefront6targetE0EEEvSQ_.num_agpr, 0
	.set _ZN7rocprim17ROCPRIM_400000_NS6detail17trampoline_kernelINS0_14default_configENS1_22reduce_config_selectorIbEEZNS1_11reduce_implILb1ES3_N6hipcub16HIPCUB_304000_NS22TransformInputIteratorIbN2at6native12_GLOBAL__N_19NonZeroOpIlEEPKllEEPiiNS8_6detail34convert_binary_result_type_wrapperINS8_3SumESH_iEEEE10hipError_tPvRmT1_T2_T3_mT4_P12ihipStream_tbEUlT_E1_NS1_11comp_targetILNS1_3genE5ELNS1_11target_archE942ELNS1_3gpuE9ELNS1_3repE0EEENS1_30default_config_static_selectorELNS0_4arch9wavefront6targetE0EEEvSQ_.numbered_sgpr, 0
	.set _ZN7rocprim17ROCPRIM_400000_NS6detail17trampoline_kernelINS0_14default_configENS1_22reduce_config_selectorIbEEZNS1_11reduce_implILb1ES3_N6hipcub16HIPCUB_304000_NS22TransformInputIteratorIbN2at6native12_GLOBAL__N_19NonZeroOpIlEEPKllEEPiiNS8_6detail34convert_binary_result_type_wrapperINS8_3SumESH_iEEEE10hipError_tPvRmT1_T2_T3_mT4_P12ihipStream_tbEUlT_E1_NS1_11comp_targetILNS1_3genE5ELNS1_11target_archE942ELNS1_3gpuE9ELNS1_3repE0EEENS1_30default_config_static_selectorELNS0_4arch9wavefront6targetE0EEEvSQ_.num_named_barrier, 0
	.set _ZN7rocprim17ROCPRIM_400000_NS6detail17trampoline_kernelINS0_14default_configENS1_22reduce_config_selectorIbEEZNS1_11reduce_implILb1ES3_N6hipcub16HIPCUB_304000_NS22TransformInputIteratorIbN2at6native12_GLOBAL__N_19NonZeroOpIlEEPKllEEPiiNS8_6detail34convert_binary_result_type_wrapperINS8_3SumESH_iEEEE10hipError_tPvRmT1_T2_T3_mT4_P12ihipStream_tbEUlT_E1_NS1_11comp_targetILNS1_3genE5ELNS1_11target_archE942ELNS1_3gpuE9ELNS1_3repE0EEENS1_30default_config_static_selectorELNS0_4arch9wavefront6targetE0EEEvSQ_.private_seg_size, 0
	.set _ZN7rocprim17ROCPRIM_400000_NS6detail17trampoline_kernelINS0_14default_configENS1_22reduce_config_selectorIbEEZNS1_11reduce_implILb1ES3_N6hipcub16HIPCUB_304000_NS22TransformInputIteratorIbN2at6native12_GLOBAL__N_19NonZeroOpIlEEPKllEEPiiNS8_6detail34convert_binary_result_type_wrapperINS8_3SumESH_iEEEE10hipError_tPvRmT1_T2_T3_mT4_P12ihipStream_tbEUlT_E1_NS1_11comp_targetILNS1_3genE5ELNS1_11target_archE942ELNS1_3gpuE9ELNS1_3repE0EEENS1_30default_config_static_selectorELNS0_4arch9wavefront6targetE0EEEvSQ_.uses_vcc, 0
	.set _ZN7rocprim17ROCPRIM_400000_NS6detail17trampoline_kernelINS0_14default_configENS1_22reduce_config_selectorIbEEZNS1_11reduce_implILb1ES3_N6hipcub16HIPCUB_304000_NS22TransformInputIteratorIbN2at6native12_GLOBAL__N_19NonZeroOpIlEEPKllEEPiiNS8_6detail34convert_binary_result_type_wrapperINS8_3SumESH_iEEEE10hipError_tPvRmT1_T2_T3_mT4_P12ihipStream_tbEUlT_E1_NS1_11comp_targetILNS1_3genE5ELNS1_11target_archE942ELNS1_3gpuE9ELNS1_3repE0EEENS1_30default_config_static_selectorELNS0_4arch9wavefront6targetE0EEEvSQ_.uses_flat_scratch, 0
	.set _ZN7rocprim17ROCPRIM_400000_NS6detail17trampoline_kernelINS0_14default_configENS1_22reduce_config_selectorIbEEZNS1_11reduce_implILb1ES3_N6hipcub16HIPCUB_304000_NS22TransformInputIteratorIbN2at6native12_GLOBAL__N_19NonZeroOpIlEEPKllEEPiiNS8_6detail34convert_binary_result_type_wrapperINS8_3SumESH_iEEEE10hipError_tPvRmT1_T2_T3_mT4_P12ihipStream_tbEUlT_E1_NS1_11comp_targetILNS1_3genE5ELNS1_11target_archE942ELNS1_3gpuE9ELNS1_3repE0EEENS1_30default_config_static_selectorELNS0_4arch9wavefront6targetE0EEEvSQ_.has_dyn_sized_stack, 0
	.set _ZN7rocprim17ROCPRIM_400000_NS6detail17trampoline_kernelINS0_14default_configENS1_22reduce_config_selectorIbEEZNS1_11reduce_implILb1ES3_N6hipcub16HIPCUB_304000_NS22TransformInputIteratorIbN2at6native12_GLOBAL__N_19NonZeroOpIlEEPKllEEPiiNS8_6detail34convert_binary_result_type_wrapperINS8_3SumESH_iEEEE10hipError_tPvRmT1_T2_T3_mT4_P12ihipStream_tbEUlT_E1_NS1_11comp_targetILNS1_3genE5ELNS1_11target_archE942ELNS1_3gpuE9ELNS1_3repE0EEENS1_30default_config_static_selectorELNS0_4arch9wavefront6targetE0EEEvSQ_.has_recursion, 0
	.set _ZN7rocprim17ROCPRIM_400000_NS6detail17trampoline_kernelINS0_14default_configENS1_22reduce_config_selectorIbEEZNS1_11reduce_implILb1ES3_N6hipcub16HIPCUB_304000_NS22TransformInputIteratorIbN2at6native12_GLOBAL__N_19NonZeroOpIlEEPKllEEPiiNS8_6detail34convert_binary_result_type_wrapperINS8_3SumESH_iEEEE10hipError_tPvRmT1_T2_T3_mT4_P12ihipStream_tbEUlT_E1_NS1_11comp_targetILNS1_3genE5ELNS1_11target_archE942ELNS1_3gpuE9ELNS1_3repE0EEENS1_30default_config_static_selectorELNS0_4arch9wavefront6targetE0EEEvSQ_.has_indirect_call, 0
	.section	.AMDGPU.csdata,"",@progbits
; Kernel info:
; codeLenInByte = 0
; TotalNumSgprs: 0
; NumVgprs: 0
; ScratchSize: 0
; MemoryBound: 0
; FloatMode: 240
; IeeeMode: 1
; LDSByteSize: 0 bytes/workgroup (compile time only)
; SGPRBlocks: 0
; VGPRBlocks: 0
; NumSGPRsForWavesPerEU: 1
; NumVGPRsForWavesPerEU: 1
; Occupancy: 16
; WaveLimiterHint : 0
; COMPUTE_PGM_RSRC2:SCRATCH_EN: 0
; COMPUTE_PGM_RSRC2:USER_SGPR: 2
; COMPUTE_PGM_RSRC2:TRAP_HANDLER: 0
; COMPUTE_PGM_RSRC2:TGID_X_EN: 1
; COMPUTE_PGM_RSRC2:TGID_Y_EN: 0
; COMPUTE_PGM_RSRC2:TGID_Z_EN: 0
; COMPUTE_PGM_RSRC2:TIDIG_COMP_CNT: 0
	.section	.text._ZN7rocprim17ROCPRIM_400000_NS6detail17trampoline_kernelINS0_14default_configENS1_22reduce_config_selectorIbEEZNS1_11reduce_implILb1ES3_N6hipcub16HIPCUB_304000_NS22TransformInputIteratorIbN2at6native12_GLOBAL__N_19NonZeroOpIlEEPKllEEPiiNS8_6detail34convert_binary_result_type_wrapperINS8_3SumESH_iEEEE10hipError_tPvRmT1_T2_T3_mT4_P12ihipStream_tbEUlT_E1_NS1_11comp_targetILNS1_3genE4ELNS1_11target_archE910ELNS1_3gpuE8ELNS1_3repE0EEENS1_30default_config_static_selectorELNS0_4arch9wavefront6targetE0EEEvSQ_,"axG",@progbits,_ZN7rocprim17ROCPRIM_400000_NS6detail17trampoline_kernelINS0_14default_configENS1_22reduce_config_selectorIbEEZNS1_11reduce_implILb1ES3_N6hipcub16HIPCUB_304000_NS22TransformInputIteratorIbN2at6native12_GLOBAL__N_19NonZeroOpIlEEPKllEEPiiNS8_6detail34convert_binary_result_type_wrapperINS8_3SumESH_iEEEE10hipError_tPvRmT1_T2_T3_mT4_P12ihipStream_tbEUlT_E1_NS1_11comp_targetILNS1_3genE4ELNS1_11target_archE910ELNS1_3gpuE8ELNS1_3repE0EEENS1_30default_config_static_selectorELNS0_4arch9wavefront6targetE0EEEvSQ_,comdat
	.globl	_ZN7rocprim17ROCPRIM_400000_NS6detail17trampoline_kernelINS0_14default_configENS1_22reduce_config_selectorIbEEZNS1_11reduce_implILb1ES3_N6hipcub16HIPCUB_304000_NS22TransformInputIteratorIbN2at6native12_GLOBAL__N_19NonZeroOpIlEEPKllEEPiiNS8_6detail34convert_binary_result_type_wrapperINS8_3SumESH_iEEEE10hipError_tPvRmT1_T2_T3_mT4_P12ihipStream_tbEUlT_E1_NS1_11comp_targetILNS1_3genE4ELNS1_11target_archE910ELNS1_3gpuE8ELNS1_3repE0EEENS1_30default_config_static_selectorELNS0_4arch9wavefront6targetE0EEEvSQ_ ; -- Begin function _ZN7rocprim17ROCPRIM_400000_NS6detail17trampoline_kernelINS0_14default_configENS1_22reduce_config_selectorIbEEZNS1_11reduce_implILb1ES3_N6hipcub16HIPCUB_304000_NS22TransformInputIteratorIbN2at6native12_GLOBAL__N_19NonZeroOpIlEEPKllEEPiiNS8_6detail34convert_binary_result_type_wrapperINS8_3SumESH_iEEEE10hipError_tPvRmT1_T2_T3_mT4_P12ihipStream_tbEUlT_E1_NS1_11comp_targetILNS1_3genE4ELNS1_11target_archE910ELNS1_3gpuE8ELNS1_3repE0EEENS1_30default_config_static_selectorELNS0_4arch9wavefront6targetE0EEEvSQ_
	.p2align	8
	.type	_ZN7rocprim17ROCPRIM_400000_NS6detail17trampoline_kernelINS0_14default_configENS1_22reduce_config_selectorIbEEZNS1_11reduce_implILb1ES3_N6hipcub16HIPCUB_304000_NS22TransformInputIteratorIbN2at6native12_GLOBAL__N_19NonZeroOpIlEEPKllEEPiiNS8_6detail34convert_binary_result_type_wrapperINS8_3SumESH_iEEEE10hipError_tPvRmT1_T2_T3_mT4_P12ihipStream_tbEUlT_E1_NS1_11comp_targetILNS1_3genE4ELNS1_11target_archE910ELNS1_3gpuE8ELNS1_3repE0EEENS1_30default_config_static_selectorELNS0_4arch9wavefront6targetE0EEEvSQ_,@function
_ZN7rocprim17ROCPRIM_400000_NS6detail17trampoline_kernelINS0_14default_configENS1_22reduce_config_selectorIbEEZNS1_11reduce_implILb1ES3_N6hipcub16HIPCUB_304000_NS22TransformInputIteratorIbN2at6native12_GLOBAL__N_19NonZeroOpIlEEPKllEEPiiNS8_6detail34convert_binary_result_type_wrapperINS8_3SumESH_iEEEE10hipError_tPvRmT1_T2_T3_mT4_P12ihipStream_tbEUlT_E1_NS1_11comp_targetILNS1_3genE4ELNS1_11target_archE910ELNS1_3gpuE8ELNS1_3repE0EEENS1_30default_config_static_selectorELNS0_4arch9wavefront6targetE0EEEvSQ_: ; @_ZN7rocprim17ROCPRIM_400000_NS6detail17trampoline_kernelINS0_14default_configENS1_22reduce_config_selectorIbEEZNS1_11reduce_implILb1ES3_N6hipcub16HIPCUB_304000_NS22TransformInputIteratorIbN2at6native12_GLOBAL__N_19NonZeroOpIlEEPKllEEPiiNS8_6detail34convert_binary_result_type_wrapperINS8_3SumESH_iEEEE10hipError_tPvRmT1_T2_T3_mT4_P12ihipStream_tbEUlT_E1_NS1_11comp_targetILNS1_3genE4ELNS1_11target_archE910ELNS1_3gpuE8ELNS1_3repE0EEENS1_30default_config_static_selectorELNS0_4arch9wavefront6targetE0EEEvSQ_
; %bb.0:
	.section	.rodata,"a",@progbits
	.p2align	6, 0x0
	.amdhsa_kernel _ZN7rocprim17ROCPRIM_400000_NS6detail17trampoline_kernelINS0_14default_configENS1_22reduce_config_selectorIbEEZNS1_11reduce_implILb1ES3_N6hipcub16HIPCUB_304000_NS22TransformInputIteratorIbN2at6native12_GLOBAL__N_19NonZeroOpIlEEPKllEEPiiNS8_6detail34convert_binary_result_type_wrapperINS8_3SumESH_iEEEE10hipError_tPvRmT1_T2_T3_mT4_P12ihipStream_tbEUlT_E1_NS1_11comp_targetILNS1_3genE4ELNS1_11target_archE910ELNS1_3gpuE8ELNS1_3repE0EEENS1_30default_config_static_selectorELNS0_4arch9wavefront6targetE0EEEvSQ_
		.amdhsa_group_segment_fixed_size 0
		.amdhsa_private_segment_fixed_size 0
		.amdhsa_kernarg_size 48
		.amdhsa_user_sgpr_count 2
		.amdhsa_user_sgpr_dispatch_ptr 0
		.amdhsa_user_sgpr_queue_ptr 0
		.amdhsa_user_sgpr_kernarg_segment_ptr 1
		.amdhsa_user_sgpr_dispatch_id 0
		.amdhsa_user_sgpr_private_segment_size 0
		.amdhsa_wavefront_size32 1
		.amdhsa_uses_dynamic_stack 0
		.amdhsa_enable_private_segment 0
		.amdhsa_system_sgpr_workgroup_id_x 1
		.amdhsa_system_sgpr_workgroup_id_y 0
		.amdhsa_system_sgpr_workgroup_id_z 0
		.amdhsa_system_sgpr_workgroup_info 0
		.amdhsa_system_vgpr_workitem_id 0
		.amdhsa_next_free_vgpr 1
		.amdhsa_next_free_sgpr 1
		.amdhsa_reserve_vcc 0
		.amdhsa_float_round_mode_32 0
		.amdhsa_float_round_mode_16_64 0
		.amdhsa_float_denorm_mode_32 3
		.amdhsa_float_denorm_mode_16_64 3
		.amdhsa_fp16_overflow 0
		.amdhsa_workgroup_processor_mode 1
		.amdhsa_memory_ordered 1
		.amdhsa_forward_progress 1
		.amdhsa_inst_pref_size 0
		.amdhsa_round_robin_scheduling 0
		.amdhsa_exception_fp_ieee_invalid_op 0
		.amdhsa_exception_fp_denorm_src 0
		.amdhsa_exception_fp_ieee_div_zero 0
		.amdhsa_exception_fp_ieee_overflow 0
		.amdhsa_exception_fp_ieee_underflow 0
		.amdhsa_exception_fp_ieee_inexact 0
		.amdhsa_exception_int_div_zero 0
	.end_amdhsa_kernel
	.section	.text._ZN7rocprim17ROCPRIM_400000_NS6detail17trampoline_kernelINS0_14default_configENS1_22reduce_config_selectorIbEEZNS1_11reduce_implILb1ES3_N6hipcub16HIPCUB_304000_NS22TransformInputIteratorIbN2at6native12_GLOBAL__N_19NonZeroOpIlEEPKllEEPiiNS8_6detail34convert_binary_result_type_wrapperINS8_3SumESH_iEEEE10hipError_tPvRmT1_T2_T3_mT4_P12ihipStream_tbEUlT_E1_NS1_11comp_targetILNS1_3genE4ELNS1_11target_archE910ELNS1_3gpuE8ELNS1_3repE0EEENS1_30default_config_static_selectorELNS0_4arch9wavefront6targetE0EEEvSQ_,"axG",@progbits,_ZN7rocprim17ROCPRIM_400000_NS6detail17trampoline_kernelINS0_14default_configENS1_22reduce_config_selectorIbEEZNS1_11reduce_implILb1ES3_N6hipcub16HIPCUB_304000_NS22TransformInputIteratorIbN2at6native12_GLOBAL__N_19NonZeroOpIlEEPKllEEPiiNS8_6detail34convert_binary_result_type_wrapperINS8_3SumESH_iEEEE10hipError_tPvRmT1_T2_T3_mT4_P12ihipStream_tbEUlT_E1_NS1_11comp_targetILNS1_3genE4ELNS1_11target_archE910ELNS1_3gpuE8ELNS1_3repE0EEENS1_30default_config_static_selectorELNS0_4arch9wavefront6targetE0EEEvSQ_,comdat
.Lfunc_end247:
	.size	_ZN7rocprim17ROCPRIM_400000_NS6detail17trampoline_kernelINS0_14default_configENS1_22reduce_config_selectorIbEEZNS1_11reduce_implILb1ES3_N6hipcub16HIPCUB_304000_NS22TransformInputIteratorIbN2at6native12_GLOBAL__N_19NonZeroOpIlEEPKllEEPiiNS8_6detail34convert_binary_result_type_wrapperINS8_3SumESH_iEEEE10hipError_tPvRmT1_T2_T3_mT4_P12ihipStream_tbEUlT_E1_NS1_11comp_targetILNS1_3genE4ELNS1_11target_archE910ELNS1_3gpuE8ELNS1_3repE0EEENS1_30default_config_static_selectorELNS0_4arch9wavefront6targetE0EEEvSQ_, .Lfunc_end247-_ZN7rocprim17ROCPRIM_400000_NS6detail17trampoline_kernelINS0_14default_configENS1_22reduce_config_selectorIbEEZNS1_11reduce_implILb1ES3_N6hipcub16HIPCUB_304000_NS22TransformInputIteratorIbN2at6native12_GLOBAL__N_19NonZeroOpIlEEPKllEEPiiNS8_6detail34convert_binary_result_type_wrapperINS8_3SumESH_iEEEE10hipError_tPvRmT1_T2_T3_mT4_P12ihipStream_tbEUlT_E1_NS1_11comp_targetILNS1_3genE4ELNS1_11target_archE910ELNS1_3gpuE8ELNS1_3repE0EEENS1_30default_config_static_selectorELNS0_4arch9wavefront6targetE0EEEvSQ_
                                        ; -- End function
	.set _ZN7rocprim17ROCPRIM_400000_NS6detail17trampoline_kernelINS0_14default_configENS1_22reduce_config_selectorIbEEZNS1_11reduce_implILb1ES3_N6hipcub16HIPCUB_304000_NS22TransformInputIteratorIbN2at6native12_GLOBAL__N_19NonZeroOpIlEEPKllEEPiiNS8_6detail34convert_binary_result_type_wrapperINS8_3SumESH_iEEEE10hipError_tPvRmT1_T2_T3_mT4_P12ihipStream_tbEUlT_E1_NS1_11comp_targetILNS1_3genE4ELNS1_11target_archE910ELNS1_3gpuE8ELNS1_3repE0EEENS1_30default_config_static_selectorELNS0_4arch9wavefront6targetE0EEEvSQ_.num_vgpr, 0
	.set _ZN7rocprim17ROCPRIM_400000_NS6detail17trampoline_kernelINS0_14default_configENS1_22reduce_config_selectorIbEEZNS1_11reduce_implILb1ES3_N6hipcub16HIPCUB_304000_NS22TransformInputIteratorIbN2at6native12_GLOBAL__N_19NonZeroOpIlEEPKllEEPiiNS8_6detail34convert_binary_result_type_wrapperINS8_3SumESH_iEEEE10hipError_tPvRmT1_T2_T3_mT4_P12ihipStream_tbEUlT_E1_NS1_11comp_targetILNS1_3genE4ELNS1_11target_archE910ELNS1_3gpuE8ELNS1_3repE0EEENS1_30default_config_static_selectorELNS0_4arch9wavefront6targetE0EEEvSQ_.num_agpr, 0
	.set _ZN7rocprim17ROCPRIM_400000_NS6detail17trampoline_kernelINS0_14default_configENS1_22reduce_config_selectorIbEEZNS1_11reduce_implILb1ES3_N6hipcub16HIPCUB_304000_NS22TransformInputIteratorIbN2at6native12_GLOBAL__N_19NonZeroOpIlEEPKllEEPiiNS8_6detail34convert_binary_result_type_wrapperINS8_3SumESH_iEEEE10hipError_tPvRmT1_T2_T3_mT4_P12ihipStream_tbEUlT_E1_NS1_11comp_targetILNS1_3genE4ELNS1_11target_archE910ELNS1_3gpuE8ELNS1_3repE0EEENS1_30default_config_static_selectorELNS0_4arch9wavefront6targetE0EEEvSQ_.numbered_sgpr, 0
	.set _ZN7rocprim17ROCPRIM_400000_NS6detail17trampoline_kernelINS0_14default_configENS1_22reduce_config_selectorIbEEZNS1_11reduce_implILb1ES3_N6hipcub16HIPCUB_304000_NS22TransformInputIteratorIbN2at6native12_GLOBAL__N_19NonZeroOpIlEEPKllEEPiiNS8_6detail34convert_binary_result_type_wrapperINS8_3SumESH_iEEEE10hipError_tPvRmT1_T2_T3_mT4_P12ihipStream_tbEUlT_E1_NS1_11comp_targetILNS1_3genE4ELNS1_11target_archE910ELNS1_3gpuE8ELNS1_3repE0EEENS1_30default_config_static_selectorELNS0_4arch9wavefront6targetE0EEEvSQ_.num_named_barrier, 0
	.set _ZN7rocprim17ROCPRIM_400000_NS6detail17trampoline_kernelINS0_14default_configENS1_22reduce_config_selectorIbEEZNS1_11reduce_implILb1ES3_N6hipcub16HIPCUB_304000_NS22TransformInputIteratorIbN2at6native12_GLOBAL__N_19NonZeroOpIlEEPKllEEPiiNS8_6detail34convert_binary_result_type_wrapperINS8_3SumESH_iEEEE10hipError_tPvRmT1_T2_T3_mT4_P12ihipStream_tbEUlT_E1_NS1_11comp_targetILNS1_3genE4ELNS1_11target_archE910ELNS1_3gpuE8ELNS1_3repE0EEENS1_30default_config_static_selectorELNS0_4arch9wavefront6targetE0EEEvSQ_.private_seg_size, 0
	.set _ZN7rocprim17ROCPRIM_400000_NS6detail17trampoline_kernelINS0_14default_configENS1_22reduce_config_selectorIbEEZNS1_11reduce_implILb1ES3_N6hipcub16HIPCUB_304000_NS22TransformInputIteratorIbN2at6native12_GLOBAL__N_19NonZeroOpIlEEPKllEEPiiNS8_6detail34convert_binary_result_type_wrapperINS8_3SumESH_iEEEE10hipError_tPvRmT1_T2_T3_mT4_P12ihipStream_tbEUlT_E1_NS1_11comp_targetILNS1_3genE4ELNS1_11target_archE910ELNS1_3gpuE8ELNS1_3repE0EEENS1_30default_config_static_selectorELNS0_4arch9wavefront6targetE0EEEvSQ_.uses_vcc, 0
	.set _ZN7rocprim17ROCPRIM_400000_NS6detail17trampoline_kernelINS0_14default_configENS1_22reduce_config_selectorIbEEZNS1_11reduce_implILb1ES3_N6hipcub16HIPCUB_304000_NS22TransformInputIteratorIbN2at6native12_GLOBAL__N_19NonZeroOpIlEEPKllEEPiiNS8_6detail34convert_binary_result_type_wrapperINS8_3SumESH_iEEEE10hipError_tPvRmT1_T2_T3_mT4_P12ihipStream_tbEUlT_E1_NS1_11comp_targetILNS1_3genE4ELNS1_11target_archE910ELNS1_3gpuE8ELNS1_3repE0EEENS1_30default_config_static_selectorELNS0_4arch9wavefront6targetE0EEEvSQ_.uses_flat_scratch, 0
	.set _ZN7rocprim17ROCPRIM_400000_NS6detail17trampoline_kernelINS0_14default_configENS1_22reduce_config_selectorIbEEZNS1_11reduce_implILb1ES3_N6hipcub16HIPCUB_304000_NS22TransformInputIteratorIbN2at6native12_GLOBAL__N_19NonZeroOpIlEEPKllEEPiiNS8_6detail34convert_binary_result_type_wrapperINS8_3SumESH_iEEEE10hipError_tPvRmT1_T2_T3_mT4_P12ihipStream_tbEUlT_E1_NS1_11comp_targetILNS1_3genE4ELNS1_11target_archE910ELNS1_3gpuE8ELNS1_3repE0EEENS1_30default_config_static_selectorELNS0_4arch9wavefront6targetE0EEEvSQ_.has_dyn_sized_stack, 0
	.set _ZN7rocprim17ROCPRIM_400000_NS6detail17trampoline_kernelINS0_14default_configENS1_22reduce_config_selectorIbEEZNS1_11reduce_implILb1ES3_N6hipcub16HIPCUB_304000_NS22TransformInputIteratorIbN2at6native12_GLOBAL__N_19NonZeroOpIlEEPKllEEPiiNS8_6detail34convert_binary_result_type_wrapperINS8_3SumESH_iEEEE10hipError_tPvRmT1_T2_T3_mT4_P12ihipStream_tbEUlT_E1_NS1_11comp_targetILNS1_3genE4ELNS1_11target_archE910ELNS1_3gpuE8ELNS1_3repE0EEENS1_30default_config_static_selectorELNS0_4arch9wavefront6targetE0EEEvSQ_.has_recursion, 0
	.set _ZN7rocprim17ROCPRIM_400000_NS6detail17trampoline_kernelINS0_14default_configENS1_22reduce_config_selectorIbEEZNS1_11reduce_implILb1ES3_N6hipcub16HIPCUB_304000_NS22TransformInputIteratorIbN2at6native12_GLOBAL__N_19NonZeroOpIlEEPKllEEPiiNS8_6detail34convert_binary_result_type_wrapperINS8_3SumESH_iEEEE10hipError_tPvRmT1_T2_T3_mT4_P12ihipStream_tbEUlT_E1_NS1_11comp_targetILNS1_3genE4ELNS1_11target_archE910ELNS1_3gpuE8ELNS1_3repE0EEENS1_30default_config_static_selectorELNS0_4arch9wavefront6targetE0EEEvSQ_.has_indirect_call, 0
	.section	.AMDGPU.csdata,"",@progbits
; Kernel info:
; codeLenInByte = 0
; TotalNumSgprs: 0
; NumVgprs: 0
; ScratchSize: 0
; MemoryBound: 0
; FloatMode: 240
; IeeeMode: 1
; LDSByteSize: 0 bytes/workgroup (compile time only)
; SGPRBlocks: 0
; VGPRBlocks: 0
; NumSGPRsForWavesPerEU: 1
; NumVGPRsForWavesPerEU: 1
; Occupancy: 16
; WaveLimiterHint : 0
; COMPUTE_PGM_RSRC2:SCRATCH_EN: 0
; COMPUTE_PGM_RSRC2:USER_SGPR: 2
; COMPUTE_PGM_RSRC2:TRAP_HANDLER: 0
; COMPUTE_PGM_RSRC2:TGID_X_EN: 1
; COMPUTE_PGM_RSRC2:TGID_Y_EN: 0
; COMPUTE_PGM_RSRC2:TGID_Z_EN: 0
; COMPUTE_PGM_RSRC2:TIDIG_COMP_CNT: 0
	.section	.text._ZN7rocprim17ROCPRIM_400000_NS6detail17trampoline_kernelINS0_14default_configENS1_22reduce_config_selectorIbEEZNS1_11reduce_implILb1ES3_N6hipcub16HIPCUB_304000_NS22TransformInputIteratorIbN2at6native12_GLOBAL__N_19NonZeroOpIlEEPKllEEPiiNS8_6detail34convert_binary_result_type_wrapperINS8_3SumESH_iEEEE10hipError_tPvRmT1_T2_T3_mT4_P12ihipStream_tbEUlT_E1_NS1_11comp_targetILNS1_3genE3ELNS1_11target_archE908ELNS1_3gpuE7ELNS1_3repE0EEENS1_30default_config_static_selectorELNS0_4arch9wavefront6targetE0EEEvSQ_,"axG",@progbits,_ZN7rocprim17ROCPRIM_400000_NS6detail17trampoline_kernelINS0_14default_configENS1_22reduce_config_selectorIbEEZNS1_11reduce_implILb1ES3_N6hipcub16HIPCUB_304000_NS22TransformInputIteratorIbN2at6native12_GLOBAL__N_19NonZeroOpIlEEPKllEEPiiNS8_6detail34convert_binary_result_type_wrapperINS8_3SumESH_iEEEE10hipError_tPvRmT1_T2_T3_mT4_P12ihipStream_tbEUlT_E1_NS1_11comp_targetILNS1_3genE3ELNS1_11target_archE908ELNS1_3gpuE7ELNS1_3repE0EEENS1_30default_config_static_selectorELNS0_4arch9wavefront6targetE0EEEvSQ_,comdat
	.globl	_ZN7rocprim17ROCPRIM_400000_NS6detail17trampoline_kernelINS0_14default_configENS1_22reduce_config_selectorIbEEZNS1_11reduce_implILb1ES3_N6hipcub16HIPCUB_304000_NS22TransformInputIteratorIbN2at6native12_GLOBAL__N_19NonZeroOpIlEEPKllEEPiiNS8_6detail34convert_binary_result_type_wrapperINS8_3SumESH_iEEEE10hipError_tPvRmT1_T2_T3_mT4_P12ihipStream_tbEUlT_E1_NS1_11comp_targetILNS1_3genE3ELNS1_11target_archE908ELNS1_3gpuE7ELNS1_3repE0EEENS1_30default_config_static_selectorELNS0_4arch9wavefront6targetE0EEEvSQ_ ; -- Begin function _ZN7rocprim17ROCPRIM_400000_NS6detail17trampoline_kernelINS0_14default_configENS1_22reduce_config_selectorIbEEZNS1_11reduce_implILb1ES3_N6hipcub16HIPCUB_304000_NS22TransformInputIteratorIbN2at6native12_GLOBAL__N_19NonZeroOpIlEEPKllEEPiiNS8_6detail34convert_binary_result_type_wrapperINS8_3SumESH_iEEEE10hipError_tPvRmT1_T2_T3_mT4_P12ihipStream_tbEUlT_E1_NS1_11comp_targetILNS1_3genE3ELNS1_11target_archE908ELNS1_3gpuE7ELNS1_3repE0EEENS1_30default_config_static_selectorELNS0_4arch9wavefront6targetE0EEEvSQ_
	.p2align	8
	.type	_ZN7rocprim17ROCPRIM_400000_NS6detail17trampoline_kernelINS0_14default_configENS1_22reduce_config_selectorIbEEZNS1_11reduce_implILb1ES3_N6hipcub16HIPCUB_304000_NS22TransformInputIteratorIbN2at6native12_GLOBAL__N_19NonZeroOpIlEEPKllEEPiiNS8_6detail34convert_binary_result_type_wrapperINS8_3SumESH_iEEEE10hipError_tPvRmT1_T2_T3_mT4_P12ihipStream_tbEUlT_E1_NS1_11comp_targetILNS1_3genE3ELNS1_11target_archE908ELNS1_3gpuE7ELNS1_3repE0EEENS1_30default_config_static_selectorELNS0_4arch9wavefront6targetE0EEEvSQ_,@function
_ZN7rocprim17ROCPRIM_400000_NS6detail17trampoline_kernelINS0_14default_configENS1_22reduce_config_selectorIbEEZNS1_11reduce_implILb1ES3_N6hipcub16HIPCUB_304000_NS22TransformInputIteratorIbN2at6native12_GLOBAL__N_19NonZeroOpIlEEPKllEEPiiNS8_6detail34convert_binary_result_type_wrapperINS8_3SumESH_iEEEE10hipError_tPvRmT1_T2_T3_mT4_P12ihipStream_tbEUlT_E1_NS1_11comp_targetILNS1_3genE3ELNS1_11target_archE908ELNS1_3gpuE7ELNS1_3repE0EEENS1_30default_config_static_selectorELNS0_4arch9wavefront6targetE0EEEvSQ_: ; @_ZN7rocprim17ROCPRIM_400000_NS6detail17trampoline_kernelINS0_14default_configENS1_22reduce_config_selectorIbEEZNS1_11reduce_implILb1ES3_N6hipcub16HIPCUB_304000_NS22TransformInputIteratorIbN2at6native12_GLOBAL__N_19NonZeroOpIlEEPKllEEPiiNS8_6detail34convert_binary_result_type_wrapperINS8_3SumESH_iEEEE10hipError_tPvRmT1_T2_T3_mT4_P12ihipStream_tbEUlT_E1_NS1_11comp_targetILNS1_3genE3ELNS1_11target_archE908ELNS1_3gpuE7ELNS1_3repE0EEENS1_30default_config_static_selectorELNS0_4arch9wavefront6targetE0EEEvSQ_
; %bb.0:
	.section	.rodata,"a",@progbits
	.p2align	6, 0x0
	.amdhsa_kernel _ZN7rocprim17ROCPRIM_400000_NS6detail17trampoline_kernelINS0_14default_configENS1_22reduce_config_selectorIbEEZNS1_11reduce_implILb1ES3_N6hipcub16HIPCUB_304000_NS22TransformInputIteratorIbN2at6native12_GLOBAL__N_19NonZeroOpIlEEPKllEEPiiNS8_6detail34convert_binary_result_type_wrapperINS8_3SumESH_iEEEE10hipError_tPvRmT1_T2_T3_mT4_P12ihipStream_tbEUlT_E1_NS1_11comp_targetILNS1_3genE3ELNS1_11target_archE908ELNS1_3gpuE7ELNS1_3repE0EEENS1_30default_config_static_selectorELNS0_4arch9wavefront6targetE0EEEvSQ_
		.amdhsa_group_segment_fixed_size 0
		.amdhsa_private_segment_fixed_size 0
		.amdhsa_kernarg_size 48
		.amdhsa_user_sgpr_count 2
		.amdhsa_user_sgpr_dispatch_ptr 0
		.amdhsa_user_sgpr_queue_ptr 0
		.amdhsa_user_sgpr_kernarg_segment_ptr 1
		.amdhsa_user_sgpr_dispatch_id 0
		.amdhsa_user_sgpr_private_segment_size 0
		.amdhsa_wavefront_size32 1
		.amdhsa_uses_dynamic_stack 0
		.amdhsa_enable_private_segment 0
		.amdhsa_system_sgpr_workgroup_id_x 1
		.amdhsa_system_sgpr_workgroup_id_y 0
		.amdhsa_system_sgpr_workgroup_id_z 0
		.amdhsa_system_sgpr_workgroup_info 0
		.amdhsa_system_vgpr_workitem_id 0
		.amdhsa_next_free_vgpr 1
		.amdhsa_next_free_sgpr 1
		.amdhsa_reserve_vcc 0
		.amdhsa_float_round_mode_32 0
		.amdhsa_float_round_mode_16_64 0
		.amdhsa_float_denorm_mode_32 3
		.amdhsa_float_denorm_mode_16_64 3
		.amdhsa_fp16_overflow 0
		.amdhsa_workgroup_processor_mode 1
		.amdhsa_memory_ordered 1
		.amdhsa_forward_progress 1
		.amdhsa_inst_pref_size 0
		.amdhsa_round_robin_scheduling 0
		.amdhsa_exception_fp_ieee_invalid_op 0
		.amdhsa_exception_fp_denorm_src 0
		.amdhsa_exception_fp_ieee_div_zero 0
		.amdhsa_exception_fp_ieee_overflow 0
		.amdhsa_exception_fp_ieee_underflow 0
		.amdhsa_exception_fp_ieee_inexact 0
		.amdhsa_exception_int_div_zero 0
	.end_amdhsa_kernel
	.section	.text._ZN7rocprim17ROCPRIM_400000_NS6detail17trampoline_kernelINS0_14default_configENS1_22reduce_config_selectorIbEEZNS1_11reduce_implILb1ES3_N6hipcub16HIPCUB_304000_NS22TransformInputIteratorIbN2at6native12_GLOBAL__N_19NonZeroOpIlEEPKllEEPiiNS8_6detail34convert_binary_result_type_wrapperINS8_3SumESH_iEEEE10hipError_tPvRmT1_T2_T3_mT4_P12ihipStream_tbEUlT_E1_NS1_11comp_targetILNS1_3genE3ELNS1_11target_archE908ELNS1_3gpuE7ELNS1_3repE0EEENS1_30default_config_static_selectorELNS0_4arch9wavefront6targetE0EEEvSQ_,"axG",@progbits,_ZN7rocprim17ROCPRIM_400000_NS6detail17trampoline_kernelINS0_14default_configENS1_22reduce_config_selectorIbEEZNS1_11reduce_implILb1ES3_N6hipcub16HIPCUB_304000_NS22TransformInputIteratorIbN2at6native12_GLOBAL__N_19NonZeroOpIlEEPKllEEPiiNS8_6detail34convert_binary_result_type_wrapperINS8_3SumESH_iEEEE10hipError_tPvRmT1_T2_T3_mT4_P12ihipStream_tbEUlT_E1_NS1_11comp_targetILNS1_3genE3ELNS1_11target_archE908ELNS1_3gpuE7ELNS1_3repE0EEENS1_30default_config_static_selectorELNS0_4arch9wavefront6targetE0EEEvSQ_,comdat
.Lfunc_end248:
	.size	_ZN7rocprim17ROCPRIM_400000_NS6detail17trampoline_kernelINS0_14default_configENS1_22reduce_config_selectorIbEEZNS1_11reduce_implILb1ES3_N6hipcub16HIPCUB_304000_NS22TransformInputIteratorIbN2at6native12_GLOBAL__N_19NonZeroOpIlEEPKllEEPiiNS8_6detail34convert_binary_result_type_wrapperINS8_3SumESH_iEEEE10hipError_tPvRmT1_T2_T3_mT4_P12ihipStream_tbEUlT_E1_NS1_11comp_targetILNS1_3genE3ELNS1_11target_archE908ELNS1_3gpuE7ELNS1_3repE0EEENS1_30default_config_static_selectorELNS0_4arch9wavefront6targetE0EEEvSQ_, .Lfunc_end248-_ZN7rocprim17ROCPRIM_400000_NS6detail17trampoline_kernelINS0_14default_configENS1_22reduce_config_selectorIbEEZNS1_11reduce_implILb1ES3_N6hipcub16HIPCUB_304000_NS22TransformInputIteratorIbN2at6native12_GLOBAL__N_19NonZeroOpIlEEPKllEEPiiNS8_6detail34convert_binary_result_type_wrapperINS8_3SumESH_iEEEE10hipError_tPvRmT1_T2_T3_mT4_P12ihipStream_tbEUlT_E1_NS1_11comp_targetILNS1_3genE3ELNS1_11target_archE908ELNS1_3gpuE7ELNS1_3repE0EEENS1_30default_config_static_selectorELNS0_4arch9wavefront6targetE0EEEvSQ_
                                        ; -- End function
	.set _ZN7rocprim17ROCPRIM_400000_NS6detail17trampoline_kernelINS0_14default_configENS1_22reduce_config_selectorIbEEZNS1_11reduce_implILb1ES3_N6hipcub16HIPCUB_304000_NS22TransformInputIteratorIbN2at6native12_GLOBAL__N_19NonZeroOpIlEEPKllEEPiiNS8_6detail34convert_binary_result_type_wrapperINS8_3SumESH_iEEEE10hipError_tPvRmT1_T2_T3_mT4_P12ihipStream_tbEUlT_E1_NS1_11comp_targetILNS1_3genE3ELNS1_11target_archE908ELNS1_3gpuE7ELNS1_3repE0EEENS1_30default_config_static_selectorELNS0_4arch9wavefront6targetE0EEEvSQ_.num_vgpr, 0
	.set _ZN7rocprim17ROCPRIM_400000_NS6detail17trampoline_kernelINS0_14default_configENS1_22reduce_config_selectorIbEEZNS1_11reduce_implILb1ES3_N6hipcub16HIPCUB_304000_NS22TransformInputIteratorIbN2at6native12_GLOBAL__N_19NonZeroOpIlEEPKllEEPiiNS8_6detail34convert_binary_result_type_wrapperINS8_3SumESH_iEEEE10hipError_tPvRmT1_T2_T3_mT4_P12ihipStream_tbEUlT_E1_NS1_11comp_targetILNS1_3genE3ELNS1_11target_archE908ELNS1_3gpuE7ELNS1_3repE0EEENS1_30default_config_static_selectorELNS0_4arch9wavefront6targetE0EEEvSQ_.num_agpr, 0
	.set _ZN7rocprim17ROCPRIM_400000_NS6detail17trampoline_kernelINS0_14default_configENS1_22reduce_config_selectorIbEEZNS1_11reduce_implILb1ES3_N6hipcub16HIPCUB_304000_NS22TransformInputIteratorIbN2at6native12_GLOBAL__N_19NonZeroOpIlEEPKllEEPiiNS8_6detail34convert_binary_result_type_wrapperINS8_3SumESH_iEEEE10hipError_tPvRmT1_T2_T3_mT4_P12ihipStream_tbEUlT_E1_NS1_11comp_targetILNS1_3genE3ELNS1_11target_archE908ELNS1_3gpuE7ELNS1_3repE0EEENS1_30default_config_static_selectorELNS0_4arch9wavefront6targetE0EEEvSQ_.numbered_sgpr, 0
	.set _ZN7rocprim17ROCPRIM_400000_NS6detail17trampoline_kernelINS0_14default_configENS1_22reduce_config_selectorIbEEZNS1_11reduce_implILb1ES3_N6hipcub16HIPCUB_304000_NS22TransformInputIteratorIbN2at6native12_GLOBAL__N_19NonZeroOpIlEEPKllEEPiiNS8_6detail34convert_binary_result_type_wrapperINS8_3SumESH_iEEEE10hipError_tPvRmT1_T2_T3_mT4_P12ihipStream_tbEUlT_E1_NS1_11comp_targetILNS1_3genE3ELNS1_11target_archE908ELNS1_3gpuE7ELNS1_3repE0EEENS1_30default_config_static_selectorELNS0_4arch9wavefront6targetE0EEEvSQ_.num_named_barrier, 0
	.set _ZN7rocprim17ROCPRIM_400000_NS6detail17trampoline_kernelINS0_14default_configENS1_22reduce_config_selectorIbEEZNS1_11reduce_implILb1ES3_N6hipcub16HIPCUB_304000_NS22TransformInputIteratorIbN2at6native12_GLOBAL__N_19NonZeroOpIlEEPKllEEPiiNS8_6detail34convert_binary_result_type_wrapperINS8_3SumESH_iEEEE10hipError_tPvRmT1_T2_T3_mT4_P12ihipStream_tbEUlT_E1_NS1_11comp_targetILNS1_3genE3ELNS1_11target_archE908ELNS1_3gpuE7ELNS1_3repE0EEENS1_30default_config_static_selectorELNS0_4arch9wavefront6targetE0EEEvSQ_.private_seg_size, 0
	.set _ZN7rocprim17ROCPRIM_400000_NS6detail17trampoline_kernelINS0_14default_configENS1_22reduce_config_selectorIbEEZNS1_11reduce_implILb1ES3_N6hipcub16HIPCUB_304000_NS22TransformInputIteratorIbN2at6native12_GLOBAL__N_19NonZeroOpIlEEPKllEEPiiNS8_6detail34convert_binary_result_type_wrapperINS8_3SumESH_iEEEE10hipError_tPvRmT1_T2_T3_mT4_P12ihipStream_tbEUlT_E1_NS1_11comp_targetILNS1_3genE3ELNS1_11target_archE908ELNS1_3gpuE7ELNS1_3repE0EEENS1_30default_config_static_selectorELNS0_4arch9wavefront6targetE0EEEvSQ_.uses_vcc, 0
	.set _ZN7rocprim17ROCPRIM_400000_NS6detail17trampoline_kernelINS0_14default_configENS1_22reduce_config_selectorIbEEZNS1_11reduce_implILb1ES3_N6hipcub16HIPCUB_304000_NS22TransformInputIteratorIbN2at6native12_GLOBAL__N_19NonZeroOpIlEEPKllEEPiiNS8_6detail34convert_binary_result_type_wrapperINS8_3SumESH_iEEEE10hipError_tPvRmT1_T2_T3_mT4_P12ihipStream_tbEUlT_E1_NS1_11comp_targetILNS1_3genE3ELNS1_11target_archE908ELNS1_3gpuE7ELNS1_3repE0EEENS1_30default_config_static_selectorELNS0_4arch9wavefront6targetE0EEEvSQ_.uses_flat_scratch, 0
	.set _ZN7rocprim17ROCPRIM_400000_NS6detail17trampoline_kernelINS0_14default_configENS1_22reduce_config_selectorIbEEZNS1_11reduce_implILb1ES3_N6hipcub16HIPCUB_304000_NS22TransformInputIteratorIbN2at6native12_GLOBAL__N_19NonZeroOpIlEEPKllEEPiiNS8_6detail34convert_binary_result_type_wrapperINS8_3SumESH_iEEEE10hipError_tPvRmT1_T2_T3_mT4_P12ihipStream_tbEUlT_E1_NS1_11comp_targetILNS1_3genE3ELNS1_11target_archE908ELNS1_3gpuE7ELNS1_3repE0EEENS1_30default_config_static_selectorELNS0_4arch9wavefront6targetE0EEEvSQ_.has_dyn_sized_stack, 0
	.set _ZN7rocprim17ROCPRIM_400000_NS6detail17trampoline_kernelINS0_14default_configENS1_22reduce_config_selectorIbEEZNS1_11reduce_implILb1ES3_N6hipcub16HIPCUB_304000_NS22TransformInputIteratorIbN2at6native12_GLOBAL__N_19NonZeroOpIlEEPKllEEPiiNS8_6detail34convert_binary_result_type_wrapperINS8_3SumESH_iEEEE10hipError_tPvRmT1_T2_T3_mT4_P12ihipStream_tbEUlT_E1_NS1_11comp_targetILNS1_3genE3ELNS1_11target_archE908ELNS1_3gpuE7ELNS1_3repE0EEENS1_30default_config_static_selectorELNS0_4arch9wavefront6targetE0EEEvSQ_.has_recursion, 0
	.set _ZN7rocprim17ROCPRIM_400000_NS6detail17trampoline_kernelINS0_14default_configENS1_22reduce_config_selectorIbEEZNS1_11reduce_implILb1ES3_N6hipcub16HIPCUB_304000_NS22TransformInputIteratorIbN2at6native12_GLOBAL__N_19NonZeroOpIlEEPKllEEPiiNS8_6detail34convert_binary_result_type_wrapperINS8_3SumESH_iEEEE10hipError_tPvRmT1_T2_T3_mT4_P12ihipStream_tbEUlT_E1_NS1_11comp_targetILNS1_3genE3ELNS1_11target_archE908ELNS1_3gpuE7ELNS1_3repE0EEENS1_30default_config_static_selectorELNS0_4arch9wavefront6targetE0EEEvSQ_.has_indirect_call, 0
	.section	.AMDGPU.csdata,"",@progbits
; Kernel info:
; codeLenInByte = 0
; TotalNumSgprs: 0
; NumVgprs: 0
; ScratchSize: 0
; MemoryBound: 0
; FloatMode: 240
; IeeeMode: 1
; LDSByteSize: 0 bytes/workgroup (compile time only)
; SGPRBlocks: 0
; VGPRBlocks: 0
; NumSGPRsForWavesPerEU: 1
; NumVGPRsForWavesPerEU: 1
; Occupancy: 16
; WaveLimiterHint : 0
; COMPUTE_PGM_RSRC2:SCRATCH_EN: 0
; COMPUTE_PGM_RSRC2:USER_SGPR: 2
; COMPUTE_PGM_RSRC2:TRAP_HANDLER: 0
; COMPUTE_PGM_RSRC2:TGID_X_EN: 1
; COMPUTE_PGM_RSRC2:TGID_Y_EN: 0
; COMPUTE_PGM_RSRC2:TGID_Z_EN: 0
; COMPUTE_PGM_RSRC2:TIDIG_COMP_CNT: 0
	.section	.text._ZN7rocprim17ROCPRIM_400000_NS6detail17trampoline_kernelINS0_14default_configENS1_22reduce_config_selectorIbEEZNS1_11reduce_implILb1ES3_N6hipcub16HIPCUB_304000_NS22TransformInputIteratorIbN2at6native12_GLOBAL__N_19NonZeroOpIlEEPKllEEPiiNS8_6detail34convert_binary_result_type_wrapperINS8_3SumESH_iEEEE10hipError_tPvRmT1_T2_T3_mT4_P12ihipStream_tbEUlT_E1_NS1_11comp_targetILNS1_3genE2ELNS1_11target_archE906ELNS1_3gpuE6ELNS1_3repE0EEENS1_30default_config_static_selectorELNS0_4arch9wavefront6targetE0EEEvSQ_,"axG",@progbits,_ZN7rocprim17ROCPRIM_400000_NS6detail17trampoline_kernelINS0_14default_configENS1_22reduce_config_selectorIbEEZNS1_11reduce_implILb1ES3_N6hipcub16HIPCUB_304000_NS22TransformInputIteratorIbN2at6native12_GLOBAL__N_19NonZeroOpIlEEPKllEEPiiNS8_6detail34convert_binary_result_type_wrapperINS8_3SumESH_iEEEE10hipError_tPvRmT1_T2_T3_mT4_P12ihipStream_tbEUlT_E1_NS1_11comp_targetILNS1_3genE2ELNS1_11target_archE906ELNS1_3gpuE6ELNS1_3repE0EEENS1_30default_config_static_selectorELNS0_4arch9wavefront6targetE0EEEvSQ_,comdat
	.globl	_ZN7rocprim17ROCPRIM_400000_NS6detail17trampoline_kernelINS0_14default_configENS1_22reduce_config_selectorIbEEZNS1_11reduce_implILb1ES3_N6hipcub16HIPCUB_304000_NS22TransformInputIteratorIbN2at6native12_GLOBAL__N_19NonZeroOpIlEEPKllEEPiiNS8_6detail34convert_binary_result_type_wrapperINS8_3SumESH_iEEEE10hipError_tPvRmT1_T2_T3_mT4_P12ihipStream_tbEUlT_E1_NS1_11comp_targetILNS1_3genE2ELNS1_11target_archE906ELNS1_3gpuE6ELNS1_3repE0EEENS1_30default_config_static_selectorELNS0_4arch9wavefront6targetE0EEEvSQ_ ; -- Begin function _ZN7rocprim17ROCPRIM_400000_NS6detail17trampoline_kernelINS0_14default_configENS1_22reduce_config_selectorIbEEZNS1_11reduce_implILb1ES3_N6hipcub16HIPCUB_304000_NS22TransformInputIteratorIbN2at6native12_GLOBAL__N_19NonZeroOpIlEEPKllEEPiiNS8_6detail34convert_binary_result_type_wrapperINS8_3SumESH_iEEEE10hipError_tPvRmT1_T2_T3_mT4_P12ihipStream_tbEUlT_E1_NS1_11comp_targetILNS1_3genE2ELNS1_11target_archE906ELNS1_3gpuE6ELNS1_3repE0EEENS1_30default_config_static_selectorELNS0_4arch9wavefront6targetE0EEEvSQ_
	.p2align	8
	.type	_ZN7rocprim17ROCPRIM_400000_NS6detail17trampoline_kernelINS0_14default_configENS1_22reduce_config_selectorIbEEZNS1_11reduce_implILb1ES3_N6hipcub16HIPCUB_304000_NS22TransformInputIteratorIbN2at6native12_GLOBAL__N_19NonZeroOpIlEEPKllEEPiiNS8_6detail34convert_binary_result_type_wrapperINS8_3SumESH_iEEEE10hipError_tPvRmT1_T2_T3_mT4_P12ihipStream_tbEUlT_E1_NS1_11comp_targetILNS1_3genE2ELNS1_11target_archE906ELNS1_3gpuE6ELNS1_3repE0EEENS1_30default_config_static_selectorELNS0_4arch9wavefront6targetE0EEEvSQ_,@function
_ZN7rocprim17ROCPRIM_400000_NS6detail17trampoline_kernelINS0_14default_configENS1_22reduce_config_selectorIbEEZNS1_11reduce_implILb1ES3_N6hipcub16HIPCUB_304000_NS22TransformInputIteratorIbN2at6native12_GLOBAL__N_19NonZeroOpIlEEPKllEEPiiNS8_6detail34convert_binary_result_type_wrapperINS8_3SumESH_iEEEE10hipError_tPvRmT1_T2_T3_mT4_P12ihipStream_tbEUlT_E1_NS1_11comp_targetILNS1_3genE2ELNS1_11target_archE906ELNS1_3gpuE6ELNS1_3repE0EEENS1_30default_config_static_selectorELNS0_4arch9wavefront6targetE0EEEvSQ_: ; @_ZN7rocprim17ROCPRIM_400000_NS6detail17trampoline_kernelINS0_14default_configENS1_22reduce_config_selectorIbEEZNS1_11reduce_implILb1ES3_N6hipcub16HIPCUB_304000_NS22TransformInputIteratorIbN2at6native12_GLOBAL__N_19NonZeroOpIlEEPKllEEPiiNS8_6detail34convert_binary_result_type_wrapperINS8_3SumESH_iEEEE10hipError_tPvRmT1_T2_T3_mT4_P12ihipStream_tbEUlT_E1_NS1_11comp_targetILNS1_3genE2ELNS1_11target_archE906ELNS1_3gpuE6ELNS1_3repE0EEENS1_30default_config_static_selectorELNS0_4arch9wavefront6targetE0EEEvSQ_
; %bb.0:
	.section	.rodata,"a",@progbits
	.p2align	6, 0x0
	.amdhsa_kernel _ZN7rocprim17ROCPRIM_400000_NS6detail17trampoline_kernelINS0_14default_configENS1_22reduce_config_selectorIbEEZNS1_11reduce_implILb1ES3_N6hipcub16HIPCUB_304000_NS22TransformInputIteratorIbN2at6native12_GLOBAL__N_19NonZeroOpIlEEPKllEEPiiNS8_6detail34convert_binary_result_type_wrapperINS8_3SumESH_iEEEE10hipError_tPvRmT1_T2_T3_mT4_P12ihipStream_tbEUlT_E1_NS1_11comp_targetILNS1_3genE2ELNS1_11target_archE906ELNS1_3gpuE6ELNS1_3repE0EEENS1_30default_config_static_selectorELNS0_4arch9wavefront6targetE0EEEvSQ_
		.amdhsa_group_segment_fixed_size 0
		.amdhsa_private_segment_fixed_size 0
		.amdhsa_kernarg_size 48
		.amdhsa_user_sgpr_count 2
		.amdhsa_user_sgpr_dispatch_ptr 0
		.amdhsa_user_sgpr_queue_ptr 0
		.amdhsa_user_sgpr_kernarg_segment_ptr 1
		.amdhsa_user_sgpr_dispatch_id 0
		.amdhsa_user_sgpr_private_segment_size 0
		.amdhsa_wavefront_size32 1
		.amdhsa_uses_dynamic_stack 0
		.amdhsa_enable_private_segment 0
		.amdhsa_system_sgpr_workgroup_id_x 1
		.amdhsa_system_sgpr_workgroup_id_y 0
		.amdhsa_system_sgpr_workgroup_id_z 0
		.amdhsa_system_sgpr_workgroup_info 0
		.amdhsa_system_vgpr_workitem_id 0
		.amdhsa_next_free_vgpr 1
		.amdhsa_next_free_sgpr 1
		.amdhsa_reserve_vcc 0
		.amdhsa_float_round_mode_32 0
		.amdhsa_float_round_mode_16_64 0
		.amdhsa_float_denorm_mode_32 3
		.amdhsa_float_denorm_mode_16_64 3
		.amdhsa_fp16_overflow 0
		.amdhsa_workgroup_processor_mode 1
		.amdhsa_memory_ordered 1
		.amdhsa_forward_progress 1
		.amdhsa_inst_pref_size 0
		.amdhsa_round_robin_scheduling 0
		.amdhsa_exception_fp_ieee_invalid_op 0
		.amdhsa_exception_fp_denorm_src 0
		.amdhsa_exception_fp_ieee_div_zero 0
		.amdhsa_exception_fp_ieee_overflow 0
		.amdhsa_exception_fp_ieee_underflow 0
		.amdhsa_exception_fp_ieee_inexact 0
		.amdhsa_exception_int_div_zero 0
	.end_amdhsa_kernel
	.section	.text._ZN7rocprim17ROCPRIM_400000_NS6detail17trampoline_kernelINS0_14default_configENS1_22reduce_config_selectorIbEEZNS1_11reduce_implILb1ES3_N6hipcub16HIPCUB_304000_NS22TransformInputIteratorIbN2at6native12_GLOBAL__N_19NonZeroOpIlEEPKllEEPiiNS8_6detail34convert_binary_result_type_wrapperINS8_3SumESH_iEEEE10hipError_tPvRmT1_T2_T3_mT4_P12ihipStream_tbEUlT_E1_NS1_11comp_targetILNS1_3genE2ELNS1_11target_archE906ELNS1_3gpuE6ELNS1_3repE0EEENS1_30default_config_static_selectorELNS0_4arch9wavefront6targetE0EEEvSQ_,"axG",@progbits,_ZN7rocprim17ROCPRIM_400000_NS6detail17trampoline_kernelINS0_14default_configENS1_22reduce_config_selectorIbEEZNS1_11reduce_implILb1ES3_N6hipcub16HIPCUB_304000_NS22TransformInputIteratorIbN2at6native12_GLOBAL__N_19NonZeroOpIlEEPKllEEPiiNS8_6detail34convert_binary_result_type_wrapperINS8_3SumESH_iEEEE10hipError_tPvRmT1_T2_T3_mT4_P12ihipStream_tbEUlT_E1_NS1_11comp_targetILNS1_3genE2ELNS1_11target_archE906ELNS1_3gpuE6ELNS1_3repE0EEENS1_30default_config_static_selectorELNS0_4arch9wavefront6targetE0EEEvSQ_,comdat
.Lfunc_end249:
	.size	_ZN7rocprim17ROCPRIM_400000_NS6detail17trampoline_kernelINS0_14default_configENS1_22reduce_config_selectorIbEEZNS1_11reduce_implILb1ES3_N6hipcub16HIPCUB_304000_NS22TransformInputIteratorIbN2at6native12_GLOBAL__N_19NonZeroOpIlEEPKllEEPiiNS8_6detail34convert_binary_result_type_wrapperINS8_3SumESH_iEEEE10hipError_tPvRmT1_T2_T3_mT4_P12ihipStream_tbEUlT_E1_NS1_11comp_targetILNS1_3genE2ELNS1_11target_archE906ELNS1_3gpuE6ELNS1_3repE0EEENS1_30default_config_static_selectorELNS0_4arch9wavefront6targetE0EEEvSQ_, .Lfunc_end249-_ZN7rocprim17ROCPRIM_400000_NS6detail17trampoline_kernelINS0_14default_configENS1_22reduce_config_selectorIbEEZNS1_11reduce_implILb1ES3_N6hipcub16HIPCUB_304000_NS22TransformInputIteratorIbN2at6native12_GLOBAL__N_19NonZeroOpIlEEPKllEEPiiNS8_6detail34convert_binary_result_type_wrapperINS8_3SumESH_iEEEE10hipError_tPvRmT1_T2_T3_mT4_P12ihipStream_tbEUlT_E1_NS1_11comp_targetILNS1_3genE2ELNS1_11target_archE906ELNS1_3gpuE6ELNS1_3repE0EEENS1_30default_config_static_selectorELNS0_4arch9wavefront6targetE0EEEvSQ_
                                        ; -- End function
	.set _ZN7rocprim17ROCPRIM_400000_NS6detail17trampoline_kernelINS0_14default_configENS1_22reduce_config_selectorIbEEZNS1_11reduce_implILb1ES3_N6hipcub16HIPCUB_304000_NS22TransformInputIteratorIbN2at6native12_GLOBAL__N_19NonZeroOpIlEEPKllEEPiiNS8_6detail34convert_binary_result_type_wrapperINS8_3SumESH_iEEEE10hipError_tPvRmT1_T2_T3_mT4_P12ihipStream_tbEUlT_E1_NS1_11comp_targetILNS1_3genE2ELNS1_11target_archE906ELNS1_3gpuE6ELNS1_3repE0EEENS1_30default_config_static_selectorELNS0_4arch9wavefront6targetE0EEEvSQ_.num_vgpr, 0
	.set _ZN7rocprim17ROCPRIM_400000_NS6detail17trampoline_kernelINS0_14default_configENS1_22reduce_config_selectorIbEEZNS1_11reduce_implILb1ES3_N6hipcub16HIPCUB_304000_NS22TransformInputIteratorIbN2at6native12_GLOBAL__N_19NonZeroOpIlEEPKllEEPiiNS8_6detail34convert_binary_result_type_wrapperINS8_3SumESH_iEEEE10hipError_tPvRmT1_T2_T3_mT4_P12ihipStream_tbEUlT_E1_NS1_11comp_targetILNS1_3genE2ELNS1_11target_archE906ELNS1_3gpuE6ELNS1_3repE0EEENS1_30default_config_static_selectorELNS0_4arch9wavefront6targetE0EEEvSQ_.num_agpr, 0
	.set _ZN7rocprim17ROCPRIM_400000_NS6detail17trampoline_kernelINS0_14default_configENS1_22reduce_config_selectorIbEEZNS1_11reduce_implILb1ES3_N6hipcub16HIPCUB_304000_NS22TransformInputIteratorIbN2at6native12_GLOBAL__N_19NonZeroOpIlEEPKllEEPiiNS8_6detail34convert_binary_result_type_wrapperINS8_3SumESH_iEEEE10hipError_tPvRmT1_T2_T3_mT4_P12ihipStream_tbEUlT_E1_NS1_11comp_targetILNS1_3genE2ELNS1_11target_archE906ELNS1_3gpuE6ELNS1_3repE0EEENS1_30default_config_static_selectorELNS0_4arch9wavefront6targetE0EEEvSQ_.numbered_sgpr, 0
	.set _ZN7rocprim17ROCPRIM_400000_NS6detail17trampoline_kernelINS0_14default_configENS1_22reduce_config_selectorIbEEZNS1_11reduce_implILb1ES3_N6hipcub16HIPCUB_304000_NS22TransformInputIteratorIbN2at6native12_GLOBAL__N_19NonZeroOpIlEEPKllEEPiiNS8_6detail34convert_binary_result_type_wrapperINS8_3SumESH_iEEEE10hipError_tPvRmT1_T2_T3_mT4_P12ihipStream_tbEUlT_E1_NS1_11comp_targetILNS1_3genE2ELNS1_11target_archE906ELNS1_3gpuE6ELNS1_3repE0EEENS1_30default_config_static_selectorELNS0_4arch9wavefront6targetE0EEEvSQ_.num_named_barrier, 0
	.set _ZN7rocprim17ROCPRIM_400000_NS6detail17trampoline_kernelINS0_14default_configENS1_22reduce_config_selectorIbEEZNS1_11reduce_implILb1ES3_N6hipcub16HIPCUB_304000_NS22TransformInputIteratorIbN2at6native12_GLOBAL__N_19NonZeroOpIlEEPKllEEPiiNS8_6detail34convert_binary_result_type_wrapperINS8_3SumESH_iEEEE10hipError_tPvRmT1_T2_T3_mT4_P12ihipStream_tbEUlT_E1_NS1_11comp_targetILNS1_3genE2ELNS1_11target_archE906ELNS1_3gpuE6ELNS1_3repE0EEENS1_30default_config_static_selectorELNS0_4arch9wavefront6targetE0EEEvSQ_.private_seg_size, 0
	.set _ZN7rocprim17ROCPRIM_400000_NS6detail17trampoline_kernelINS0_14default_configENS1_22reduce_config_selectorIbEEZNS1_11reduce_implILb1ES3_N6hipcub16HIPCUB_304000_NS22TransformInputIteratorIbN2at6native12_GLOBAL__N_19NonZeroOpIlEEPKllEEPiiNS8_6detail34convert_binary_result_type_wrapperINS8_3SumESH_iEEEE10hipError_tPvRmT1_T2_T3_mT4_P12ihipStream_tbEUlT_E1_NS1_11comp_targetILNS1_3genE2ELNS1_11target_archE906ELNS1_3gpuE6ELNS1_3repE0EEENS1_30default_config_static_selectorELNS0_4arch9wavefront6targetE0EEEvSQ_.uses_vcc, 0
	.set _ZN7rocprim17ROCPRIM_400000_NS6detail17trampoline_kernelINS0_14default_configENS1_22reduce_config_selectorIbEEZNS1_11reduce_implILb1ES3_N6hipcub16HIPCUB_304000_NS22TransformInputIteratorIbN2at6native12_GLOBAL__N_19NonZeroOpIlEEPKllEEPiiNS8_6detail34convert_binary_result_type_wrapperINS8_3SumESH_iEEEE10hipError_tPvRmT1_T2_T3_mT4_P12ihipStream_tbEUlT_E1_NS1_11comp_targetILNS1_3genE2ELNS1_11target_archE906ELNS1_3gpuE6ELNS1_3repE0EEENS1_30default_config_static_selectorELNS0_4arch9wavefront6targetE0EEEvSQ_.uses_flat_scratch, 0
	.set _ZN7rocprim17ROCPRIM_400000_NS6detail17trampoline_kernelINS0_14default_configENS1_22reduce_config_selectorIbEEZNS1_11reduce_implILb1ES3_N6hipcub16HIPCUB_304000_NS22TransformInputIteratorIbN2at6native12_GLOBAL__N_19NonZeroOpIlEEPKllEEPiiNS8_6detail34convert_binary_result_type_wrapperINS8_3SumESH_iEEEE10hipError_tPvRmT1_T2_T3_mT4_P12ihipStream_tbEUlT_E1_NS1_11comp_targetILNS1_3genE2ELNS1_11target_archE906ELNS1_3gpuE6ELNS1_3repE0EEENS1_30default_config_static_selectorELNS0_4arch9wavefront6targetE0EEEvSQ_.has_dyn_sized_stack, 0
	.set _ZN7rocprim17ROCPRIM_400000_NS6detail17trampoline_kernelINS0_14default_configENS1_22reduce_config_selectorIbEEZNS1_11reduce_implILb1ES3_N6hipcub16HIPCUB_304000_NS22TransformInputIteratorIbN2at6native12_GLOBAL__N_19NonZeroOpIlEEPKllEEPiiNS8_6detail34convert_binary_result_type_wrapperINS8_3SumESH_iEEEE10hipError_tPvRmT1_T2_T3_mT4_P12ihipStream_tbEUlT_E1_NS1_11comp_targetILNS1_3genE2ELNS1_11target_archE906ELNS1_3gpuE6ELNS1_3repE0EEENS1_30default_config_static_selectorELNS0_4arch9wavefront6targetE0EEEvSQ_.has_recursion, 0
	.set _ZN7rocprim17ROCPRIM_400000_NS6detail17trampoline_kernelINS0_14default_configENS1_22reduce_config_selectorIbEEZNS1_11reduce_implILb1ES3_N6hipcub16HIPCUB_304000_NS22TransformInputIteratorIbN2at6native12_GLOBAL__N_19NonZeroOpIlEEPKllEEPiiNS8_6detail34convert_binary_result_type_wrapperINS8_3SumESH_iEEEE10hipError_tPvRmT1_T2_T3_mT4_P12ihipStream_tbEUlT_E1_NS1_11comp_targetILNS1_3genE2ELNS1_11target_archE906ELNS1_3gpuE6ELNS1_3repE0EEENS1_30default_config_static_selectorELNS0_4arch9wavefront6targetE0EEEvSQ_.has_indirect_call, 0
	.section	.AMDGPU.csdata,"",@progbits
; Kernel info:
; codeLenInByte = 0
; TotalNumSgprs: 0
; NumVgprs: 0
; ScratchSize: 0
; MemoryBound: 0
; FloatMode: 240
; IeeeMode: 1
; LDSByteSize: 0 bytes/workgroup (compile time only)
; SGPRBlocks: 0
; VGPRBlocks: 0
; NumSGPRsForWavesPerEU: 1
; NumVGPRsForWavesPerEU: 1
; Occupancy: 16
; WaveLimiterHint : 0
; COMPUTE_PGM_RSRC2:SCRATCH_EN: 0
; COMPUTE_PGM_RSRC2:USER_SGPR: 2
; COMPUTE_PGM_RSRC2:TRAP_HANDLER: 0
; COMPUTE_PGM_RSRC2:TGID_X_EN: 1
; COMPUTE_PGM_RSRC2:TGID_Y_EN: 0
; COMPUTE_PGM_RSRC2:TGID_Z_EN: 0
; COMPUTE_PGM_RSRC2:TIDIG_COMP_CNT: 0
	.section	.text._ZN7rocprim17ROCPRIM_400000_NS6detail17trampoline_kernelINS0_14default_configENS1_22reduce_config_selectorIbEEZNS1_11reduce_implILb1ES3_N6hipcub16HIPCUB_304000_NS22TransformInputIteratorIbN2at6native12_GLOBAL__N_19NonZeroOpIlEEPKllEEPiiNS8_6detail34convert_binary_result_type_wrapperINS8_3SumESH_iEEEE10hipError_tPvRmT1_T2_T3_mT4_P12ihipStream_tbEUlT_E1_NS1_11comp_targetILNS1_3genE10ELNS1_11target_archE1201ELNS1_3gpuE5ELNS1_3repE0EEENS1_30default_config_static_selectorELNS0_4arch9wavefront6targetE0EEEvSQ_,"axG",@progbits,_ZN7rocprim17ROCPRIM_400000_NS6detail17trampoline_kernelINS0_14default_configENS1_22reduce_config_selectorIbEEZNS1_11reduce_implILb1ES3_N6hipcub16HIPCUB_304000_NS22TransformInputIteratorIbN2at6native12_GLOBAL__N_19NonZeroOpIlEEPKllEEPiiNS8_6detail34convert_binary_result_type_wrapperINS8_3SumESH_iEEEE10hipError_tPvRmT1_T2_T3_mT4_P12ihipStream_tbEUlT_E1_NS1_11comp_targetILNS1_3genE10ELNS1_11target_archE1201ELNS1_3gpuE5ELNS1_3repE0EEENS1_30default_config_static_selectorELNS0_4arch9wavefront6targetE0EEEvSQ_,comdat
	.globl	_ZN7rocprim17ROCPRIM_400000_NS6detail17trampoline_kernelINS0_14default_configENS1_22reduce_config_selectorIbEEZNS1_11reduce_implILb1ES3_N6hipcub16HIPCUB_304000_NS22TransformInputIteratorIbN2at6native12_GLOBAL__N_19NonZeroOpIlEEPKllEEPiiNS8_6detail34convert_binary_result_type_wrapperINS8_3SumESH_iEEEE10hipError_tPvRmT1_T2_T3_mT4_P12ihipStream_tbEUlT_E1_NS1_11comp_targetILNS1_3genE10ELNS1_11target_archE1201ELNS1_3gpuE5ELNS1_3repE0EEENS1_30default_config_static_selectorELNS0_4arch9wavefront6targetE0EEEvSQ_ ; -- Begin function _ZN7rocprim17ROCPRIM_400000_NS6detail17trampoline_kernelINS0_14default_configENS1_22reduce_config_selectorIbEEZNS1_11reduce_implILb1ES3_N6hipcub16HIPCUB_304000_NS22TransformInputIteratorIbN2at6native12_GLOBAL__N_19NonZeroOpIlEEPKllEEPiiNS8_6detail34convert_binary_result_type_wrapperINS8_3SumESH_iEEEE10hipError_tPvRmT1_T2_T3_mT4_P12ihipStream_tbEUlT_E1_NS1_11comp_targetILNS1_3genE10ELNS1_11target_archE1201ELNS1_3gpuE5ELNS1_3repE0EEENS1_30default_config_static_selectorELNS0_4arch9wavefront6targetE0EEEvSQ_
	.p2align	8
	.type	_ZN7rocprim17ROCPRIM_400000_NS6detail17trampoline_kernelINS0_14default_configENS1_22reduce_config_selectorIbEEZNS1_11reduce_implILb1ES3_N6hipcub16HIPCUB_304000_NS22TransformInputIteratorIbN2at6native12_GLOBAL__N_19NonZeroOpIlEEPKllEEPiiNS8_6detail34convert_binary_result_type_wrapperINS8_3SumESH_iEEEE10hipError_tPvRmT1_T2_T3_mT4_P12ihipStream_tbEUlT_E1_NS1_11comp_targetILNS1_3genE10ELNS1_11target_archE1201ELNS1_3gpuE5ELNS1_3repE0EEENS1_30default_config_static_selectorELNS0_4arch9wavefront6targetE0EEEvSQ_,@function
_ZN7rocprim17ROCPRIM_400000_NS6detail17trampoline_kernelINS0_14default_configENS1_22reduce_config_selectorIbEEZNS1_11reduce_implILb1ES3_N6hipcub16HIPCUB_304000_NS22TransformInputIteratorIbN2at6native12_GLOBAL__N_19NonZeroOpIlEEPKllEEPiiNS8_6detail34convert_binary_result_type_wrapperINS8_3SumESH_iEEEE10hipError_tPvRmT1_T2_T3_mT4_P12ihipStream_tbEUlT_E1_NS1_11comp_targetILNS1_3genE10ELNS1_11target_archE1201ELNS1_3gpuE5ELNS1_3repE0EEENS1_30default_config_static_selectorELNS0_4arch9wavefront6targetE0EEEvSQ_: ; @_ZN7rocprim17ROCPRIM_400000_NS6detail17trampoline_kernelINS0_14default_configENS1_22reduce_config_selectorIbEEZNS1_11reduce_implILb1ES3_N6hipcub16HIPCUB_304000_NS22TransformInputIteratorIbN2at6native12_GLOBAL__N_19NonZeroOpIlEEPKllEEPiiNS8_6detail34convert_binary_result_type_wrapperINS8_3SumESH_iEEEE10hipError_tPvRmT1_T2_T3_mT4_P12ihipStream_tbEUlT_E1_NS1_11comp_targetILNS1_3genE10ELNS1_11target_archE1201ELNS1_3gpuE5ELNS1_3repE0EEENS1_30default_config_static_selectorELNS0_4arch9wavefront6targetE0EEEvSQ_
; %bb.0:
	s_clause 0x2
	s_load_b32 s44, s[0:1], 0x4
	s_load_b64 s[40:41], s[0:1], 0x8
	s_load_b128 s[36:39], s[0:1], 0x18
	s_mov_b32 s34, ttmp9
	s_wait_kmcnt 0x0
	s_cmp_lt_i32 s44, 16
	s_cbranch_scc1 .LBB250_12
; %bb.1:
	s_cmp_gt_i32 s44, 63
	s_cbranch_scc0 .LBB250_13
; %bb.2:
	s_cmp_gt_i32 s44, 0x7f
	s_cbranch_scc0 .LBB250_22
; %bb.3:
	s_cmp_eq_u32 s44, 0x80
	s_mov_b32 s5, 0
	s_cbranch_scc0 .LBB250_23
; %bb.4:
	s_mov_b32 s35, 0
	s_lshl_b32 s8, s34, 15
	s_mov_b32 s9, s35
	s_lshr_b64 s[2:3], s[36:37], 15
	s_lshl_b64 s[6:7], s[8:9], 3
	s_cmp_lg_u64 s[2:3], s[34:35]
	s_add_nc_u64 s[6:7], s[40:41], s[6:7]
	s_cbranch_scc0 .LBB250_34
; %bb.5:
	v_lshlrev_b32_e32 v1, 3, v0
	s_clause 0x1f
	global_load_b64 v[2:3], v1, s[6:7] offset:4096
	global_load_b64 v[4:5], v1, s[6:7]
	global_load_b64 v[6:7], v1, s[6:7] offset:6144
	global_load_b64 v[8:9], v1, s[6:7] offset:2048
	;; [unrolled: 1-line block ×30, first 2 shown]
	s_clause 0x1f
	global_load_b64 v[66:67], v1, s[6:7] offset:59392
	global_load_b64 v[68:69], v1, s[6:7] offset:65536
	;; [unrolled: 1-line block ×32, first 2 shown]
	s_clause 0x3
	global_load_b64 v[130:131], v1, s[6:7] offset:131072
	global_load_b64 v[132:133], v1, s[6:7] offset:133120
	;; [unrolled: 1-line block ×4, first 2 shown]
	s_wait_loadcnt 0x3e
	v_cmp_ne_u64_e32 vcc_lo, 0, v[2:3]
	v_cmp_ne_u64_e64 s2, 0, v[4:5]
	v_cmp_ne_u64_e64 s3, 0, v[10:11]
	v_cndmask_b32_e64 v139, 0, 1, vcc_lo
	s_delay_alu instid0(VALU_DEP_3)
	v_cndmask_b32_e64 v138, 0, 1, s2
	v_cmp_ne_u64_e64 s2, 0, v[8:9]
	s_clause 0x3
	global_load_b64 v[2:3], v1, s[6:7] offset:139264
	global_load_b64 v[4:5], v1, s[6:7] offset:141312
	;; [unrolled: 1-line block ×4, first 2 shown]
	v_cmp_ne_u64_e32 vcc_lo, 0, v[12:13]
	s_wait_alu 0xf1ff
	v_add_co_ci_u32_e64 v138, null, 0, v138, s2
	v_cmp_ne_u64_e64 s2, 0, v[6:7]
	s_wait_alu 0xfffd
	v_cndmask_b32_e64 v140, 0, 1, vcc_lo
	s_wait_loadcnt 0x3e
	v_cmp_ne_u64_e32 vcc_lo, 0, v[14:15]
	s_wait_alu 0xf1ff
	v_add_co_ci_u32_e64 v138, null, v138, v139, s2
	v_cmp_ne_u64_e64 s2, 0, v[18:19]
	s_clause 0x3
	global_load_b64 v[6:7], v1, s[6:7] offset:147456
	global_load_b64 v[12:13], v1, s[6:7] offset:149504
	;; [unrolled: 1-line block ×4, first 2 shown]
	v_cndmask_b32_e64 v139, 0, 1, s3
	v_cmp_ne_u64_e64 s3, 0, v[16:17]
	s_wait_alu 0xf1ff
	v_add_co_ci_u32_e64 v138, null, v138, v140, s2
	v_cmp_ne_u64_e64 s2, 0, v[20:21]
	s_delay_alu instid0(VALU_DEP_2) | instskip(SKIP_3) | instid1(VALU_DEP_3)
	v_add_co_ci_u32_e64 v138, null, v138, v139, s3
	s_wait_loadcnt 0x3e
	v_cmp_ne_u64_e64 s3, 0, v[26:27]
	s_wait_alu 0xf1ff
	v_cndmask_b32_e64 v140, 0, 1, s2
	v_cmp_ne_u64_e64 s2, 0, v[22:23]
	s_clause 0x3
	global_load_b64 v[16:17], v1, s[6:7] offset:155648
	global_load_b64 v[20:21], v1, s[6:7] offset:157696
	global_load_b64 v[22:23], v1, s[6:7] offset:159744
	global_load_b64 v[26:27], v1, s[6:7] offset:161792
	s_wait_alu 0xfffd
	v_cndmask_b32_e64 v139, 0, 1, vcc_lo
	v_cmp_ne_u64_e32 vcc_lo, 0, v[28:29]
	v_add_co_ci_u32_e64 v138, null, v138, v140, s3
	v_cmp_ne_u64_e64 s3, 0, v[24:25]
	s_wait_alu 0xfffd
	v_cndmask_b32_e64 v140, 0, 1, vcc_lo
	s_wait_loadcnt 0x3e
	v_cmp_ne_u64_e32 vcc_lo, 0, v[30:31]
	s_wait_loadcnt 0x1e
	v_cmp_ne_u64_e64 s4, 0, v[100:101]
	s_wait_alu 0xf1ff
	v_add_co_ci_u32_e64 v138, null, v138, v139, s3
	v_cmp_ne_u64_e64 s3, 0, v[34:35]
	s_clause 0x3
	global_load_b64 v[24:25], v1, s[6:7] offset:163840
	global_load_b64 v[28:29], v1, s[6:7] offset:165888
	;; [unrolled: 1-line block ×4, first 2 shown]
	v_cndmask_b32_e64 v139, 0, 1, s2
	v_cmp_ne_u64_e64 s2, 0, v[36:37]
	v_cndmask_b32_e64 v100, 0, 1, s4
	s_wait_loadcnt 0x1e
	v_cmp_ne_u64_e64 s4, 0, v[108:109]
	s_wait_alu 0xf1ff
	v_add_co_ci_u32_e64 v138, null, v138, v140, s3
	v_cmp_ne_u64_e64 s3, 0, v[32:33]
	v_cndmask_b32_e64 v140, 0, 1, s2
	v_cmp_ne_u64_e64 s2, 0, v[38:39]
	v_cndmask_b32_e64 v108, 0, 1, s4
	v_cmp_ne_u64_e64 s4, 0, v[104:105]
	s_wait_alu 0xf1ff
	v_add_co_ci_u32_e64 v138, null, v138, v139, s3
	v_cmp_ne_u64_e64 s3, 0, v[42:43]
	s_clause 0x3
	global_load_b64 v[32:33], v1, s[6:7] offset:172032
	global_load_b64 v[36:37], v1, s[6:7] offset:174080
	global_load_b64 v[38:39], v1, s[6:7] offset:176128
	global_load_b64 v[42:43], v1, s[6:7] offset:178176
	s_wait_alu 0xfffd
	v_cndmask_b32_e64 v139, 0, 1, vcc_lo
	v_cmp_ne_u64_e32 vcc_lo, 0, v[44:45]
	s_wait_alu 0xf1ff
	v_add_co_ci_u32_e64 v138, null, v138, v140, s3
	v_cmp_ne_u64_e64 s3, 0, v[40:41]
	s_wait_alu 0xfffd
	v_cndmask_b32_e64 v140, 0, 1, vcc_lo
	v_cmp_ne_u64_e32 vcc_lo, 0, v[46:47]
	s_wait_alu 0xf1ff
	s_delay_alu instid0(VALU_DEP_3)
	v_add_co_ci_u32_e64 v138, null, v138, v139, s3
	v_cmp_ne_u64_e64 s3, 0, v[50:51]
	s_clause 0x3
	global_load_b64 v[40:41], v1, s[6:7] offset:180224
	global_load_b64 v[44:45], v1, s[6:7] offset:182272
	;; [unrolled: 1-line block ×4, first 2 shown]
	v_cndmask_b32_e64 v139, 0, 1, s2
	v_cmp_ne_u64_e64 s2, 0, v[52:53]
	s_wait_alu 0xf1ff
	v_add_co_ci_u32_e64 v138, null, v138, v140, s3
	v_cmp_ne_u64_e64 s3, 0, v[48:49]
	s_delay_alu instid0(VALU_DEP_3) | instskip(SKIP_2) | instid1(VALU_DEP_3)
	v_cndmask_b32_e64 v140, 0, 1, s2
	v_cmp_ne_u64_e64 s2, 0, v[54:55]
	s_wait_alu 0xf1ff
	v_add_co_ci_u32_e64 v138, null, v138, v139, s3
	v_cmp_ne_u64_e64 s3, 0, v[58:59]
	s_clause 0x3
	global_load_b64 v[48:49], v1, s[6:7] offset:188416
	global_load_b64 v[52:53], v1, s[6:7] offset:190464
	;; [unrolled: 1-line block ×4, first 2 shown]
	s_wait_alu 0xfffd
	v_cndmask_b32_e64 v139, 0, 1, vcc_lo
	v_cmp_ne_u64_e32 vcc_lo, 0, v[60:61]
	s_wait_alu 0xf1ff
	v_add_co_ci_u32_e64 v138, null, v138, v140, s3
	v_cmp_ne_u64_e64 s3, 0, v[56:57]
	s_wait_alu 0xfffd
	v_cndmask_b32_e64 v140, 0, 1, vcc_lo
	v_cmp_ne_u64_e32 vcc_lo, 0, v[62:63]
	s_wait_alu 0xf1ff
	s_delay_alu instid0(VALU_DEP_3)
	v_add_co_ci_u32_e64 v138, null, v138, v139, s3
	v_cmp_ne_u64_e64 s3, 0, v[66:67]
	s_clause 0x3
	global_load_b64 v[56:57], v1, s[6:7] offset:196608
	global_load_b64 v[60:61], v1, s[6:7] offset:198656
	;; [unrolled: 1-line block ×4, first 2 shown]
	v_cndmask_b32_e64 v139, 0, 1, s2
	v_cmp_ne_u64_e64 s2, 0, v[68:69]
	s_wait_alu 0xf1ff
	v_add_co_ci_u32_e64 v138, null, v138, v140, s3
	v_cmp_ne_u64_e64 s3, 0, v[64:65]
	s_delay_alu instid0(VALU_DEP_3) | instskip(SKIP_2) | instid1(VALU_DEP_3)
	v_cndmask_b32_e64 v140, 0, 1, s2
	v_cmp_ne_u64_e64 s2, 0, v[70:71]
	s_wait_alu 0xf1ff
	v_add_co_ci_u32_e64 v138, null, v138, v139, s3
	v_cmp_ne_u64_e64 s3, 0, v[74:75]
	s_clause 0x3
	global_load_b64 v[64:65], v1, s[6:7] offset:204800
	global_load_b64 v[68:69], v1, s[6:7] offset:206848
	;; [unrolled: 1-line block ×4, first 2 shown]
	s_wait_alu 0xfffd
	v_cndmask_b32_e64 v139, 0, 1, vcc_lo
	v_cmp_ne_u64_e32 vcc_lo, 0, v[76:77]
	s_wait_alu 0xf1ff
	v_add_co_ci_u32_e64 v138, null, v138, v140, s3
	v_cmp_ne_u64_e64 s3, 0, v[72:73]
	s_wait_alu 0xfffd
	v_cndmask_b32_e64 v140, 0, 1, vcc_lo
	v_cmp_ne_u64_e32 vcc_lo, 0, v[78:79]
	s_wait_alu 0xf1ff
	s_delay_alu instid0(VALU_DEP_3)
	v_add_co_ci_u32_e64 v138, null, v138, v139, s3
	v_cmp_ne_u64_e64 s3, 0, v[82:83]
	v_cndmask_b32_e64 v139, 0, 1, s2
	v_cmp_ne_u64_e64 s2, 0, v[84:85]
	s_clause 0x3
	global_load_b64 v[72:73], v1, s[6:7] offset:212992
	global_load_b64 v[76:77], v1, s[6:7] offset:215040
	;; [unrolled: 1-line block ×4, first 2 shown]
	s_wait_alu 0xf1ff
	v_add_co_ci_u32_e64 v138, null, v138, v140, s3
	v_cmp_ne_u64_e64 s3, 0, v[80:81]
	v_cndmask_b32_e64 v140, 0, 1, s2
	v_cmp_ne_u64_e64 s2, 0, v[86:87]
	s_wait_alu 0xf1ff
	s_delay_alu instid0(VALU_DEP_3)
	v_add_co_ci_u32_e64 v138, null, v138, v139, s3
	v_cmp_ne_u64_e64 s3, 0, v[90:91]
	s_wait_alu 0xfffd
	v_cndmask_b32_e64 v139, 0, 1, vcc_lo
	v_cmp_ne_u64_e32 vcc_lo, 0, v[92:93]
	s_clause 0x3
	global_load_b64 v[80:81], v1, s[6:7] offset:221184
	global_load_b64 v[84:85], v1, s[6:7] offset:223232
	;; [unrolled: 1-line block ×4, first 2 shown]
	s_wait_alu 0xf1ff
	v_add_co_ci_u32_e64 v138, null, v138, v140, s3
	v_cmp_ne_u64_e64 s3, 0, v[88:89]
	s_wait_alu 0xfffd
	v_cndmask_b32_e64 v140, 0, 1, vcc_lo
	v_cmp_ne_u64_e32 vcc_lo, 0, v[94:95]
	s_wait_alu 0xf1ff
	s_delay_alu instid0(VALU_DEP_3)
	v_add_co_ci_u32_e64 v138, null, v138, v139, s3
	v_cmp_ne_u64_e64 s3, 0, v[98:99]
	s_clause 0x3
	global_load_b64 v[88:89], v1, s[6:7] offset:229376
	global_load_b64 v[92:93], v1, s[6:7] offset:231424
	;; [unrolled: 1-line block ×4, first 2 shown]
	s_wait_alu 0xf1ff
	v_add_co_ci_u32_e64 v101, null, v138, v140, s3
	v_cmp_ne_u64_e64 s3, 0, v[102:103]
	s_wait_alu 0xf1ff
	s_delay_alu instid0(VALU_DEP_1) | instskip(SKIP_2) | instid1(VALU_DEP_1)
	v_cndmask_b32_e64 v138, 0, 1, s3
	v_cmp_ne_u64_e64 s3, 0, v[96:97]
	s_wait_alu 0xf1ff
	v_add_co_ci_u32_e64 v139, null, v101, v100, s3
	v_cmp_ne_u64_e64 s3, 0, v[106:107]
	s_clause 0x3
	global_load_b64 v[96:97], v1, s[6:7] offset:237568
	global_load_b64 v[100:101], v1, s[6:7] offset:239616
	;; [unrolled: 1-line block ×4, first 2 shown]
	s_wait_alu 0xf1ff
	v_add_co_ci_u32_e64 v109, null, v139, v138, s3
	s_wait_loadcnt 0x3e
	v_cmp_ne_u64_e64 s3, 0, v[110:111]
	s_delay_alu instid0(VALU_DEP_2) | instskip(SKIP_2) | instid1(VALU_DEP_3)
	v_add_co_ci_u32_e64 v139, null, v109, v108, s4
	v_cmp_ne_u64_e64 s4, 0, v[114:115]
	s_wait_alu 0xf1ff
	v_cndmask_b32_e64 v138, 0, 1, s3
	v_cmp_ne_u64_e64 s3, 0, v[112:113]
	s_clause 0x4
	global_load_b64 v[104:105], v1, s[6:7] offset:245760
	global_load_b64 v[108:109], v1, s[6:7] offset:247808
	;; [unrolled: 1-line block ×5, first 2 shown]
	v_add_co_ci_u32_e64 v138, null, v139, v138, s4
	s_wait_alu 0xf1ff
	v_cndmask_b32_e64 v139, 0, 1, s3
	v_cmp_ne_u64_e64 s3, 0, v[116:117]
	s_wait_alu 0xf1ff
	s_delay_alu instid0(VALU_DEP_1) | instskip(SKIP_3) | instid1(VALU_DEP_1)
	v_cndmask_b32_e64 v140, 0, 1, s3
	s_wait_loadcnt 0x3e
	v_cmp_ne_u64_e64 s3, 0, v[118:119]
	s_wait_alu 0xf1ff
	v_add_co_ci_u32_e64 v138, null, v138, v139, s3
	v_cmp_ne_u64_e64 s3, 0, v[122:123]
	s_wait_alu 0xfffd
	v_cndmask_b32_e64 v139, 0, 1, vcc_lo
	v_cmp_ne_u64_e32 vcc_lo, 0, v[120:121]
	s_clause 0x2
	global_load_b64 v[116:117], v1, s[6:7] offset:258048
	global_load_b64 v[118:119], v1, s[6:7] offset:260096
	;; [unrolled: 1-line block ×3, first 2 shown]
	v_cndmask_b32_e64 v1, 0, 1, s2
	s_mov_b32 s2, exec_lo
	s_wait_alu 0xf1ff
	v_add_co_ci_u32_e64 v138, null, v138, v140, s3
	s_wait_alu 0xfffd
	s_delay_alu instid0(VALU_DEP_1)
	v_add_co_ci_u32_e64 v1, null, v138, v1, vcc_lo
	v_cmp_ne_u64_e32 vcc_lo, 0, v[126:127]
	s_wait_alu 0xfffd
	v_cndmask_b32_e64 v120, 0, 1, vcc_lo
	v_cmp_ne_u64_e32 vcc_lo, 0, v[124:125]
	s_wait_alu 0xfffd
	v_add_co_ci_u32_e64 v1, null, v1, v139, vcc_lo
	s_wait_loadcnt 0x3e
	v_cmp_ne_u64_e32 vcc_lo, 0, v[130:131]
	s_wait_alu 0xfffd
	v_cndmask_b32_e64 v121, 0, 1, vcc_lo
	v_cmp_ne_u64_e32 vcc_lo, 0, v[128:129]
	s_wait_alu 0xfffd
	v_add_co_ci_u32_e64 v1, null, v1, v120, vcc_lo
	s_wait_loadcnt 0x3d
	;; [unrolled: 7-line block ×32, first 2 shown]
	v_cmp_ne_u64_e32 vcc_lo, 0, v[116:117]
	s_wait_alu 0xfffd
	v_cndmask_b32_e64 v3, 0, 1, vcc_lo
	s_wait_loadcnt 0x0
	v_cmp_ne_u64_e32 vcc_lo, 0, v[122:123]
	s_wait_alu 0xfffd
	v_add_co_ci_u32_e64 v1, null, v1, v2, vcc_lo
	v_cmp_ne_u64_e32 vcc_lo, 0, v[118:119]
	s_wait_alu 0xfffd
	s_delay_alu instid0(VALU_DEP_2) | instskip(NEXT) | instid1(VALU_DEP_1)
	v_add_co_ci_u32_e64 v1, null, v1, v3, vcc_lo
	v_mov_b32_dpp v2, v1 quad_perm:[1,0,3,2] row_mask:0xf bank_mask:0xf
	s_delay_alu instid0(VALU_DEP_1) | instskip(NEXT) | instid1(VALU_DEP_1)
	v_add_nc_u32_e32 v1, v1, v2
	v_mov_b32_dpp v2, v1 quad_perm:[2,3,0,1] row_mask:0xf bank_mask:0xf
	s_delay_alu instid0(VALU_DEP_1) | instskip(NEXT) | instid1(VALU_DEP_1)
	v_add_nc_u32_e32 v1, v1, v2
	v_mov_b32_dpp v2, v1 row_ror:4 row_mask:0xf bank_mask:0xf
	s_delay_alu instid0(VALU_DEP_1) | instskip(NEXT) | instid1(VALU_DEP_1)
	v_add_nc_u32_e32 v1, v1, v2
	v_mov_b32_dpp v2, v1 row_ror:8 row_mask:0xf bank_mask:0xf
	s_delay_alu instid0(VALU_DEP_1)
	v_add_nc_u32_e32 v1, v1, v2
	ds_swizzle_b32 v2, v1 offset:swizzle(BROADCAST,32,15)
	s_wait_dscnt 0x0
	v_dual_mov_b32 v2, 0 :: v_dual_add_nc_u32 v1, v1, v2
	ds_bpermute_b32 v1, v2, v1 offset:124
	v_mbcnt_lo_u32_b32 v2, -1, 0
	s_delay_alu instid0(VALU_DEP_1)
	v_cmpx_eq_u32_e32 0, v2
	s_cbranch_execz .LBB250_7
; %bb.6:
	v_lshrrev_b32_e32 v3, 3, v0
	s_delay_alu instid0(VALU_DEP_1)
	v_and_b32_e32 v3, 28, v3
	s_wait_dscnt 0x0
	ds_store_b32 v3, v1
.LBB250_7:
	s_wait_alu 0xfffe
	s_or_b32 exec_lo, exec_lo, s2
	s_delay_alu instid0(SALU_CYCLE_1)
	s_mov_b32 s2, exec_lo
	s_wait_dscnt 0x0
	s_barrier_signal -1
	s_barrier_wait -1
	global_inv scope:SCOPE_SE
	v_cmpx_gt_u32_e32 32, v0
	s_cbranch_execz .LBB250_9
; %bb.8:
	v_and_b32_e32 v1, 7, v2
	s_delay_alu instid0(VALU_DEP_1)
	v_lshlrev_b32_e32 v3, 2, v1
	v_cmp_ne_u32_e32 vcc_lo, 7, v1
	ds_load_b32 v3, v3
	s_wait_alu 0xfffd
	v_add_co_ci_u32_e64 v4, null, 0, v2, vcc_lo
	v_cmp_gt_u32_e32 vcc_lo, 6, v1
	s_delay_alu instid0(VALU_DEP_2) | instskip(SKIP_2) | instid1(VALU_DEP_1)
	v_lshlrev_b32_e32 v4, 2, v4
	s_wait_alu 0xfffd
	v_cndmask_b32_e64 v1, 0, 2, vcc_lo
	v_add_lshl_u32 v1, v1, v2, 2
	v_lshlrev_b32_e32 v2, 2, v2
	s_delay_alu instid0(VALU_DEP_1)
	v_or_b32_e32 v2, 16, v2
	s_wait_dscnt 0x0
	ds_bpermute_b32 v4, v4, v3
	s_wait_dscnt 0x0
	v_add_nc_u32_e32 v3, v4, v3
	ds_bpermute_b32 v1, v1, v3
	s_wait_dscnt 0x0
	v_add_nc_u32_e32 v1, v1, v3
	;; [unrolled: 3-line block ×3, first 2 shown]
.LBB250_9:
	s_wait_alu 0xfffe
	s_or_b32 exec_lo, exec_lo, s2
.LBB250_10:
	v_cmp_eq_u32_e64 s2, 0, v0
	s_and_b32 vcc_lo, exec_lo, s5
	s_wait_alu 0xfffe
	s_cbranch_vccnz .LBB250_24
.LBB250_11:
	s_branch .LBB250_512
.LBB250_12:
	s_mov_b32 s2, 0
                                        ; implicit-def: $vgpr1
	s_cbranch_execz .LBB250_623
	s_branch .LBB250_513
.LBB250_13:
	s_mov_b32 s2, 0
                                        ; implicit-def: $vgpr1
	s_cbranch_execz .LBB250_512
; %bb.14:
	s_cmp_gt_i32 s44, 31
	s_cbranch_scc0 .LBB250_31
; %bb.15:
	s_cmp_eq_u32 s44, 32
	s_cbranch_scc0 .LBB250_32
; %bb.16:
	s_mov_b32 s35, 0
	s_lshl_b32 s2, s34, 13
	s_mov_b32 s3, s35
	s_lshr_b64 s[4:5], s[36:37], 13
	s_lshl_b64 s[6:7], s[2:3], 3
	s_cmp_lg_u64 s[4:5], s[34:35]
	s_add_nc_u64 s[42:43], s[40:41], s[6:7]
	s_cbranch_scc0 .LBB250_296
; %bb.17:
	v_lshlrev_b32_e32 v63, 3, v0
	s_mov_b32 s3, exec_lo
	s_clause 0x1f
	global_load_b64 v[1:2], v63, s[42:43]
	global_load_b64 v[3:4], v63, s[42:43] offset:4096
	global_load_b64 v[5:6], v63, s[42:43] offset:2048
	;; [unrolled: 1-line block ×31, first 2 shown]
	s_wait_loadcnt 0x1f
	v_cmp_ne_u64_e32 vcc_lo, 0, v[1:2]
	v_cndmask_b32_e64 v1, 0, 1, vcc_lo
	s_wait_loadcnt 0x1e
	v_cmp_ne_u64_e32 vcc_lo, 0, v[3:4]
	s_wait_alu 0xfffd
	v_cndmask_b32_e64 v2, 0, 1, vcc_lo
	s_wait_loadcnt 0x1d
	v_cmp_ne_u64_e32 vcc_lo, 0, v[5:6]
	s_wait_alu 0xfffd
	v_add_co_ci_u32_e64 v1, null, 0, v1, vcc_lo
	s_wait_loadcnt 0x1c
	v_cmp_ne_u64_e32 vcc_lo, 0, v[7:8]
	s_wait_alu 0xfffd
	v_cndmask_b32_e64 v3, 0, 1, vcc_lo
	s_wait_loadcnt 0x1b
	v_cmp_ne_u64_e32 vcc_lo, 0, v[9:10]
	s_wait_alu 0xfffd
	v_add_co_ci_u32_e64 v1, null, v1, v2, vcc_lo
	;; [unrolled: 8-line block ×15, first 2 shown]
	s_wait_loadcnt 0x0
	v_cmp_ne_u64_e32 vcc_lo, 0, v[63:64]
	s_wait_alu 0xfffd
	s_delay_alu instid0(VALU_DEP_2) | instskip(NEXT) | instid1(VALU_DEP_1)
	v_add_co_ci_u32_e64 v1, null, v1, v2, vcc_lo
	v_mov_b32_dpp v2, v1 quad_perm:[1,0,3,2] row_mask:0xf bank_mask:0xf
	s_delay_alu instid0(VALU_DEP_1) | instskip(NEXT) | instid1(VALU_DEP_1)
	v_add_nc_u32_e32 v1, v1, v2
	v_mov_b32_dpp v2, v1 quad_perm:[2,3,0,1] row_mask:0xf bank_mask:0xf
	s_delay_alu instid0(VALU_DEP_1) | instskip(NEXT) | instid1(VALU_DEP_1)
	v_add_nc_u32_e32 v1, v1, v2
	v_mov_b32_dpp v2, v1 row_ror:4 row_mask:0xf bank_mask:0xf
	s_delay_alu instid0(VALU_DEP_1) | instskip(NEXT) | instid1(VALU_DEP_1)
	v_add_nc_u32_e32 v1, v1, v2
	v_mov_b32_dpp v2, v1 row_ror:8 row_mask:0xf bank_mask:0xf
	s_delay_alu instid0(VALU_DEP_1)
	v_add_nc_u32_e32 v1, v1, v2
	ds_swizzle_b32 v2, v1 offset:swizzle(BROADCAST,32,15)
	s_wait_dscnt 0x0
	v_dual_mov_b32 v2, 0 :: v_dual_add_nc_u32 v1, v1, v2
	ds_bpermute_b32 v1, v2, v1 offset:124
	v_mbcnt_lo_u32_b32 v2, -1, 0
	s_delay_alu instid0(VALU_DEP_1)
	v_cmpx_eq_u32_e32 0, v2
	s_cbranch_execz .LBB250_19
; %bb.18:
	v_lshrrev_b32_e32 v3, 3, v0
	s_delay_alu instid0(VALU_DEP_1)
	v_and_b32_e32 v3, 28, v3
	s_wait_dscnt 0x0
	ds_store_b32 v3, v1 offset:128
.LBB250_19:
	s_or_b32 exec_lo, exec_lo, s3
	s_delay_alu instid0(SALU_CYCLE_1)
	s_mov_b32 s3, exec_lo
	s_wait_dscnt 0x0
	s_barrier_signal -1
	s_barrier_wait -1
	global_inv scope:SCOPE_SE
	v_cmpx_gt_u32_e32 32, v0
	s_cbranch_execz .LBB250_21
; %bb.20:
	v_and_b32_e32 v1, 7, v2
	s_delay_alu instid0(VALU_DEP_1)
	v_lshlrev_b32_e32 v3, 2, v1
	v_cmp_ne_u32_e32 vcc_lo, 7, v1
	ds_load_b32 v3, v3 offset:128
	s_wait_alu 0xfffd
	v_add_co_ci_u32_e64 v4, null, 0, v2, vcc_lo
	v_cmp_gt_u32_e32 vcc_lo, 6, v1
	s_delay_alu instid0(VALU_DEP_2) | instskip(SKIP_2) | instid1(VALU_DEP_1)
	v_lshlrev_b32_e32 v4, 2, v4
	s_wait_alu 0xfffd
	v_cndmask_b32_e64 v1, 0, 2, vcc_lo
	v_add_lshl_u32 v1, v1, v2, 2
	v_lshlrev_b32_e32 v2, 2, v2
	s_delay_alu instid0(VALU_DEP_1)
	v_or_b32_e32 v2, 16, v2
	s_wait_dscnt 0x0
	ds_bpermute_b32 v4, v4, v3
	s_wait_dscnt 0x0
	v_add_nc_u32_e32 v3, v4, v3
	ds_bpermute_b32 v1, v1, v3
	s_wait_dscnt 0x0
	v_add_nc_u32_e32 v1, v1, v3
	;; [unrolled: 3-line block ×3, first 2 shown]
.LBB250_21:
	s_or_b32 exec_lo, exec_lo, s3
	s_mov_b32 s3, 0
	s_branch .LBB250_297
.LBB250_22:
	s_mov_b32 s5, -1
.LBB250_23:
	s_mov_b32 s2, 0
                                        ; implicit-def: $vgpr1
	s_and_b32 vcc_lo, exec_lo, s5
	s_cbranch_vccz .LBB250_11
.LBB250_24:
	s_cmp_eq_u32 s44, 64
	s_cbranch_scc0 .LBB250_33
; %bb.25:
	s_mov_b32 s35, 0
	s_lshl_b32 s4, s34, 14
	s_mov_b32 s5, s35
	s_lshr_b64 s[2:3], s[36:37], 14
	s_wait_alu 0xfffe
	s_lshl_b64 s[6:7], s[4:5], 3
	s_cmp_lg_u64 s[2:3], s[34:35]
	s_add_nc_u64 s[2:3], s[40:41], s[6:7]
	s_cbranch_scc0 .LBB250_376
; %bb.26:
	v_lshlrev_b32_e32 v127, 3, v0
	s_mov_b32 s5, exec_lo
	s_clause 0x1f
	global_load_b64 v[1:2], v127, s[2:3]
	global_load_b64 v[3:4], v127, s[2:3] offset:4096
	global_load_b64 v[5:6], v127, s[2:3] offset:6144
	;; [unrolled: 1-line block ×31, first 2 shown]
	s_clause 0x1f
	global_load_b64 v[65:66], v127, s[2:3] offset:65536
	global_load_b64 v[67:68], v127, s[2:3] offset:69632
	;; [unrolled: 1-line block ×32, first 2 shown]
	s_wait_loadcnt 0x3e
	v_cmp_ne_u64_e32 vcc_lo, 0, v[1:2]
	s_wait_alu 0xfffd
	v_cndmask_b32_e64 v1, 0, 1, vcc_lo
	v_cmp_ne_u64_e32 vcc_lo, 0, v[3:4]
	s_wait_alu 0xfffd
	v_cndmask_b32_e64 v2, 0, 1, vcc_lo
	s_wait_loadcnt 0x3c
	v_cmp_ne_u64_e32 vcc_lo, 0, v[7:8]
	s_wait_alu 0xfffd
	v_add_co_ci_u32_e64 v1, null, 0, v1, vcc_lo
	s_wait_loadcnt 0x3b
	v_cmp_ne_u64_e32 vcc_lo, 0, v[9:10]
	s_wait_alu 0xfffd
	v_cndmask_b32_e64 v3, 0, 1, vcc_lo
	v_cmp_ne_u64_e32 vcc_lo, 0, v[5:6]
	s_wait_alu 0xfffd
	v_add_co_ci_u32_e64 v1, null, v1, v2, vcc_lo
	s_wait_loadcnt 0x3a
	v_cmp_ne_u64_e32 vcc_lo, 0, v[11:12]
	s_wait_alu 0xfffd
	v_cndmask_b32_e64 v2, 0, 1, vcc_lo
	s_wait_loadcnt 0x38
	v_cmp_ne_u64_e32 vcc_lo, 0, v[15:16]
	s_wait_alu 0xfffd
	v_add_co_ci_u32_e64 v1, null, v1, v3, vcc_lo
	s_wait_loadcnt 0x37
	v_cmp_ne_u64_e32 vcc_lo, 0, v[17:18]
	s_wait_alu 0xfffd
	v_cndmask_b32_e64 v3, 0, 1, vcc_lo
	v_cmp_ne_u64_e32 vcc_lo, 0, v[13:14]
	s_wait_alu 0xfffd
	v_add_co_ci_u32_e64 v1, null, v1, v2, vcc_lo
	s_wait_loadcnt 0x36
	;; [unrolled: 15-line block ×3, first 2 shown]
	v_cmp_ne_u64_e32 vcc_lo, 0, v[27:28]
	s_wait_alu 0xfffd
	v_cndmask_b32_e64 v2, 0, 1, vcc_lo
	s_wait_loadcnt 0x31
	v_cmp_ne_u64_e32 vcc_lo, 0, v[29:30]
	s_wait_alu 0xfffd
	v_add_co_ci_u32_e64 v1, null, v1, v3, vcc_lo
	s_wait_loadcnt 0x30
	v_cmp_ne_u64_e32 vcc_lo, 0, v[31:32]
	s_wait_alu 0xfffd
	v_cndmask_b32_e64 v3, 0, 1, vcc_lo
	s_wait_loadcnt 0x2f
	v_cmp_ne_u64_e32 vcc_lo, 0, v[33:34]
	s_wait_alu 0xfffd
	v_add_co_ci_u32_e64 v1, null, v1, v2, vcc_lo
	s_wait_loadcnt 0x2e
	;; [unrolled: 8-line block ×3, first 2 shown]
	v_cmp_ne_u64_e32 vcc_lo, 0, v[41:42]
	s_wait_alu 0xfffd
	v_cndmask_b32_e64 v3, 0, 1, vcc_lo
	v_cmp_ne_u64_e32 vcc_lo, 0, v[37:38]
	s_wait_alu 0xfffd
	v_add_co_ci_u32_e64 v1, null, v1, v2, vcc_lo
	s_wait_loadcnt 0x2a
	v_cmp_ne_u64_e32 vcc_lo, 0, v[43:44]
	s_wait_alu 0xfffd
	v_cndmask_b32_e64 v2, 0, 1, vcc_lo
	s_wait_loadcnt 0x28
	v_cmp_ne_u64_e32 vcc_lo, 0, v[47:48]
	s_wait_alu 0xfffd
	v_add_co_ci_u32_e64 v1, null, v1, v3, vcc_lo
	s_wait_loadcnt 0x27
	v_cmp_ne_u64_e32 vcc_lo, 0, v[49:50]
	s_wait_alu 0xfffd
	v_cndmask_b32_e64 v3, 0, 1, vcc_lo
	v_cmp_ne_u64_e32 vcc_lo, 0, v[45:46]
	s_wait_alu 0xfffd
	v_add_co_ci_u32_e64 v1, null, v1, v2, vcc_lo
	s_wait_loadcnt 0x26
	v_cmp_ne_u64_e32 vcc_lo, 0, v[51:52]
	s_wait_alu 0xfffd
	v_cndmask_b32_e64 v2, 0, 1, vcc_lo
	s_wait_loadcnt 0x24
	v_cmp_ne_u64_e32 vcc_lo, 0, v[55:56]
	s_wait_alu 0xfffd
	v_add_co_ci_u32_e64 v1, null, v1, v3, vcc_lo
	s_wait_loadcnt 0x23
	;; [unrolled: 15-line block ×5, first 2 shown]
	v_cmp_ne_u64_e32 vcc_lo, 0, v[79:80]
	s_wait_alu 0xfffd
	v_cndmask_b32_e64 v3, 0, 1, vcc_lo
	s_wait_loadcnt 0x17
	v_cmp_ne_u64_e32 vcc_lo, 0, v[81:82]
	s_wait_alu 0xfffd
	v_add_co_ci_u32_e64 v1, null, v1, v2, vcc_lo
	s_wait_loadcnt 0x16
	v_cmp_ne_u64_e32 vcc_lo, 0, v[83:84]
	s_wait_alu 0xfffd
	v_cndmask_b32_e64 v2, 0, 1, vcc_lo
	s_wait_loadcnt 0x15
	v_cmp_ne_u64_e32 vcc_lo, 0, v[85:86]
	s_wait_alu 0xfffd
	v_add_co_ci_u32_e64 v1, null, v1, v3, vcc_lo
	s_wait_loadcnt 0x14
	;; [unrolled: 8-line block ×11, first 2 shown]
	v_cmp_ne_u64_e32 vcc_lo, 0, v[123:124]
	s_wait_alu 0xfffd
	v_cndmask_b32_e64 v2, 0, 1, vcc_lo
	s_wait_loadcnt 0x0
	v_cmp_ne_u64_e32 vcc_lo, 0, v[127:128]
	s_wait_alu 0xfffd
	v_add_co_ci_u32_e64 v1, null, v1, v3, vcc_lo
	v_cmp_ne_u64_e32 vcc_lo, 0, v[125:126]
	s_wait_alu 0xfffd
	s_delay_alu instid0(VALU_DEP_2) | instskip(NEXT) | instid1(VALU_DEP_1)
	v_add_co_ci_u32_e64 v1, null, v1, v2, vcc_lo
	v_mov_b32_dpp v2, v1 quad_perm:[1,0,3,2] row_mask:0xf bank_mask:0xf
	s_delay_alu instid0(VALU_DEP_1) | instskip(NEXT) | instid1(VALU_DEP_1)
	v_add_nc_u32_e32 v1, v1, v2
	v_mov_b32_dpp v2, v1 quad_perm:[2,3,0,1] row_mask:0xf bank_mask:0xf
	s_delay_alu instid0(VALU_DEP_1) | instskip(NEXT) | instid1(VALU_DEP_1)
	v_add_nc_u32_e32 v1, v1, v2
	v_mov_b32_dpp v2, v1 row_ror:4 row_mask:0xf bank_mask:0xf
	s_delay_alu instid0(VALU_DEP_1) | instskip(NEXT) | instid1(VALU_DEP_1)
	v_add_nc_u32_e32 v1, v1, v2
	v_mov_b32_dpp v2, v1 row_ror:8 row_mask:0xf bank_mask:0xf
	s_delay_alu instid0(VALU_DEP_1)
	v_add_nc_u32_e32 v1, v1, v2
	ds_swizzle_b32 v2, v1 offset:swizzle(BROADCAST,32,15)
	s_wait_dscnt 0x0
	v_dual_mov_b32 v2, 0 :: v_dual_add_nc_u32 v1, v1, v2
	ds_bpermute_b32 v1, v2, v1 offset:124
	v_mbcnt_lo_u32_b32 v2, -1, 0
	s_delay_alu instid0(VALU_DEP_1)
	v_cmpx_eq_u32_e32 0, v2
	s_cbranch_execz .LBB250_28
; %bb.27:
	v_lshrrev_b32_e32 v3, 3, v0
	s_delay_alu instid0(VALU_DEP_1)
	v_and_b32_e32 v3, 28, v3
	s_wait_dscnt 0x0
	ds_store_b32 v3, v1 offset:192
.LBB250_28:
	s_wait_alu 0xfffe
	s_or_b32 exec_lo, exec_lo, s5
	s_delay_alu instid0(SALU_CYCLE_1)
	s_mov_b32 s5, exec_lo
	s_wait_dscnt 0x0
	s_barrier_signal -1
	s_barrier_wait -1
	global_inv scope:SCOPE_SE
	v_cmpx_gt_u32_e32 32, v0
	s_cbranch_execz .LBB250_30
; %bb.29:
	v_and_b32_e32 v1, 7, v2
	s_delay_alu instid0(VALU_DEP_1)
	v_lshlrev_b32_e32 v3, 2, v1
	v_cmp_ne_u32_e32 vcc_lo, 7, v1
	ds_load_b32 v3, v3 offset:192
	s_wait_alu 0xfffd
	v_add_co_ci_u32_e64 v4, null, 0, v2, vcc_lo
	v_cmp_gt_u32_e32 vcc_lo, 6, v1
	s_delay_alu instid0(VALU_DEP_2) | instskip(SKIP_2) | instid1(VALU_DEP_1)
	v_lshlrev_b32_e32 v4, 2, v4
	s_wait_alu 0xfffd
	v_cndmask_b32_e64 v1, 0, 2, vcc_lo
	v_add_lshl_u32 v1, v1, v2, 2
	v_lshlrev_b32_e32 v2, 2, v2
	s_delay_alu instid0(VALU_DEP_1)
	v_or_b32_e32 v2, 16, v2
	s_wait_dscnt 0x0
	ds_bpermute_b32 v4, v4, v3
	s_wait_dscnt 0x0
	v_add_nc_u32_e32 v3, v4, v3
	ds_bpermute_b32 v1, v1, v3
	s_wait_dscnt 0x0
	v_add_nc_u32_e32 v1, v1, v3
	;; [unrolled: 3-line block ×3, first 2 shown]
.LBB250_30:
	s_wait_alu 0xfffe
	s_or_b32 exec_lo, exec_lo, s5
	s_mov_b32 s5, 0
	s_branch .LBB250_377
.LBB250_31:
                                        ; implicit-def: $vgpr1
	s_cbranch_execz .LBB250_512
	s_branch .LBB250_368
.LBB250_32:
                                        ; implicit-def: $vgpr1
	s_branch .LBB250_512
.LBB250_33:
                                        ; implicit-def: $vgpr1
	s_branch .LBB250_512
.LBB250_34:
                                        ; implicit-def: $vgpr1
	s_cbranch_execz .LBB250_10
; %bb.35:
	s_sub_co_i32 s2, s36, s8
	s_mov_b32 s3, exec_lo
                                        ; implicit-def: $vgpr1
	v_cmpx_gt_u32_e64 s2, v0
	s_cbranch_execz .LBB250_37
; %bb.36:
	v_lshlrev_b32_e32 v1, 3, v0
	global_load_b64 v[1:2], v1, s[6:7]
	s_wait_loadcnt 0x0
	v_cmp_ne_u64_e32 vcc_lo, 0, v[1:2]
	v_cndmask_b32_e64 v1, 0, 1, vcc_lo
.LBB250_37:
	s_or_b32 exec_lo, exec_lo, s3
	v_or_b32_e32 v3, 0x100, v0
	v_mov_b32_e32 v2, 0
	s_delay_alu instid0(VALU_DEP_2)
	v_cmp_gt_u32_e32 vcc_lo, s2, v3
	v_mov_b32_e32 v3, 0
	s_and_saveexec_b32 s3, vcc_lo
	s_cbranch_execz .LBB250_39
; %bb.38:
	v_lshlrev_b32_e32 v3, 3, v0
	global_load_b64 v[3:4], v3, s[6:7] offset:2048
	s_wait_loadcnt 0x0
	v_cmp_ne_u64_e32 vcc_lo, 0, v[3:4]
	s_wait_alu 0xfffd
	v_cndmask_b32_e64 v3, 0, 1, vcc_lo
.LBB250_39:
	s_wait_alu 0xfffe
	s_or_b32 exec_lo, exec_lo, s3
	v_or_b32_e32 v4, 0x200, v0
	s_mov_b32 s3, exec_lo
	s_delay_alu instid0(VALU_DEP_1)
	v_cmpx_gt_u32_e64 s2, v4
	s_cbranch_execz .LBB250_41
; %bb.40:
	v_lshlrev_b32_e32 v2, 3, v0
	global_load_b64 v[4:5], v2, s[6:7] offset:4096
	s_wait_loadcnt 0x0
	v_cmp_ne_u64_e32 vcc_lo, 0, v[4:5]
	s_wait_alu 0xfffd
	v_cndmask_b32_e64 v2, 0, 1, vcc_lo
.LBB250_41:
	s_wait_alu 0xfffe
	s_or_b32 exec_lo, exec_lo, s3
	v_or_b32_e32 v5, 0x300, v0
	v_mov_b32_e32 v4, 0
	s_delay_alu instid0(VALU_DEP_2)
	v_cmp_gt_u32_e32 vcc_lo, s2, v5
	v_mov_b32_e32 v5, 0
	s_and_saveexec_b32 s3, vcc_lo
	s_cbranch_execz .LBB250_43
; %bb.42:
	v_lshlrev_b32_e32 v5, 3, v0
	global_load_b64 v[5:6], v5, s[6:7] offset:6144
	s_wait_loadcnt 0x0
	v_cmp_ne_u64_e32 vcc_lo, 0, v[5:6]
	s_wait_alu 0xfffd
	v_cndmask_b32_e64 v5, 0, 1, vcc_lo
.LBB250_43:
	s_wait_alu 0xfffe
	s_or_b32 exec_lo, exec_lo, s3
	v_or_b32_e32 v6, 0x400, v0
	s_mov_b32 s3, exec_lo
	s_delay_alu instid0(VALU_DEP_1)
	v_cmpx_gt_u32_e64 s2, v6
	s_cbranch_execz .LBB250_45
; %bb.44:
	v_lshlrev_b32_e32 v4, 3, v0
	global_load_b64 v[6:7], v4, s[6:7] offset:8192
	s_wait_loadcnt 0x0
	v_cmp_ne_u64_e32 vcc_lo, 0, v[6:7]
	s_wait_alu 0xfffd
	v_cndmask_b32_e64 v4, 0, 1, vcc_lo
.LBB250_45:
	s_wait_alu 0xfffe
	;; [unrolled: 32-line block ×63, first 2 shown]
	s_or_b32 exec_lo, exec_lo, s3
	v_or_b32_e32 v128, 0x7f00, v0
	s_delay_alu instid0(VALU_DEP_1)
	v_cmp_gt_u32_e32 vcc_lo, s2, v128
	v_mov_b32_e32 v128, 0
	s_and_saveexec_b32 s3, vcc_lo
	s_cbranch_execz .LBB250_291
; %bb.290:
	v_lshlrev_b32_e32 v128, 3, v0
	global_load_b64 v[128:129], v128, s[6:7] offset:260096
	s_wait_loadcnt 0x0
	v_cmp_ne_u64_e32 vcc_lo, 0, v[128:129]
	s_wait_alu 0xfffd
	v_cndmask_b32_e64 v128, 0, 1, vcc_lo
.LBB250_291:
	s_wait_alu 0xfffe
	s_or_b32 exec_lo, exec_lo, s3
	v_add_nc_u32_e32 v1, v3, v1
	s_min_u32 s2, s2, 0x100
	s_mov_b32 s3, exec_lo
	s_delay_alu instid0(VALU_DEP_1) | instskip(SKIP_1) | instid1(VALU_DEP_2)
	v_add3_u32 v1, v1, v2, v5
	v_mbcnt_lo_u32_b32 v2, -1, 0
	v_add3_u32 v1, v1, v4, v7
	s_delay_alu instid0(VALU_DEP_2) | instskip(SKIP_1) | instid1(VALU_DEP_3)
	v_cmp_ne_u32_e32 vcc_lo, 31, v2
	v_add_nc_u32_e32 v5, 1, v2
	v_add3_u32 v1, v1, v6, v9
	s_wait_alu 0xfffd
	v_add_co_ci_u32_e64 v3, null, 0, v2, vcc_lo
	v_cmp_gt_u32_e32 vcc_lo, 30, v2
	s_delay_alu instid0(VALU_DEP_3) | instskip(NEXT) | instid1(VALU_DEP_3)
	v_add3_u32 v1, v1, v8, v11
	v_lshlrev_b32_e32 v3, 2, v3
	s_wait_alu 0xfffd
	v_cndmask_b32_e64 v6, 0, 2, vcc_lo
	s_delay_alu instid0(VALU_DEP_3) | instskip(NEXT) | instid1(VALU_DEP_1)
	v_add3_u32 v1, v1, v10, v13
	v_add3_u32 v1, v1, v12, v15
	s_delay_alu instid0(VALU_DEP_1) | instskip(NEXT) | instid1(VALU_DEP_1)
	v_add3_u32 v1, v1, v14, v17
	v_add3_u32 v1, v1, v16, v19
	s_delay_alu instid0(VALU_DEP_1) | instskip(NEXT) | instid1(VALU_DEP_1)
	;; [unrolled: 3-line block ×28, first 2 shown]
	v_add3_u32 v1, v1, v122, v125
	v_add3_u32 v1, v1, v124, v127
	s_delay_alu instid0(VALU_DEP_1) | instskip(SKIP_3) | instid1(VALU_DEP_1)
	v_add3_u32 v1, v1, v126, v128
	ds_bpermute_b32 v3, v3, v1
	v_and_b32_e32 v4, 0xe0, v0
	s_wait_alu 0xfffe
	v_sub_nc_u32_e64 v4, s2, v4 clamp
	s_delay_alu instid0(VALU_DEP_1)
	v_cmp_lt_u32_e32 vcc_lo, v5, v4
	v_add_lshl_u32 v5, v6, v2, 2
	s_wait_dscnt 0x0
	s_wait_alu 0xfffd
	v_cndmask_b32_e32 v3, 0, v3, vcc_lo
	v_cmp_gt_u32_e32 vcc_lo, 28, v2
	s_delay_alu instid0(VALU_DEP_2) | instskip(SKIP_4) | instid1(VALU_DEP_1)
	v_add_nc_u32_e32 v1, v3, v1
	s_wait_alu 0xfffd
	v_cndmask_b32_e64 v6, 0, 4, vcc_lo
	ds_bpermute_b32 v3, v5, v1
	v_add_nc_u32_e32 v5, 2, v2
	v_cmp_lt_u32_e32 vcc_lo, v5, v4
	v_add_lshl_u32 v5, v6, v2, 2
	s_wait_dscnt 0x0
	s_wait_alu 0xfffd
	v_cndmask_b32_e32 v3, 0, v3, vcc_lo
	v_cmp_gt_u32_e32 vcc_lo, 24, v2
	s_delay_alu instid0(VALU_DEP_2) | instskip(SKIP_4) | instid1(VALU_DEP_1)
	v_add_nc_u32_e32 v1, v1, v3
	s_wait_alu 0xfffd
	v_cndmask_b32_e64 v6, 0, 8, vcc_lo
	ds_bpermute_b32 v3, v5, v1
	v_add_nc_u32_e32 v5, 4, v2
	v_cmp_lt_u32_e32 vcc_lo, v5, v4
	v_add_lshl_u32 v5, v6, v2, 2
	s_wait_dscnt 0x0
	s_wait_alu 0xfffd
	v_dual_cndmask_b32 v3, 0, v3 :: v_dual_add_nc_u32 v6, 8, v2
	s_delay_alu instid0(VALU_DEP_1) | instskip(NEXT) | instid1(VALU_DEP_2)
	v_cmp_lt_u32_e32 vcc_lo, v6, v4
	v_add_nc_u32_e32 v1, v1, v3
	v_lshlrev_b32_e32 v3, 2, v2
	ds_bpermute_b32 v5, v5, v1
	v_or_b32_e32 v6, 64, v3
	s_wait_dscnt 0x0
	s_wait_alu 0xfffd
	v_cndmask_b32_e32 v5, 0, v5, vcc_lo
	s_delay_alu instid0(VALU_DEP_1) | instskip(SKIP_2) | instid1(VALU_DEP_1)
	v_add_nc_u32_e32 v1, v1, v5
	ds_bpermute_b32 v5, v6, v1
	v_add_nc_u32_e32 v6, 16, v2
	v_cmp_lt_u32_e32 vcc_lo, v6, v4
	s_wait_dscnt 0x0
	s_wait_alu 0xfffd
	v_cndmask_b32_e32 v4, 0, v5, vcc_lo
	s_delay_alu instid0(VALU_DEP_1)
	v_add_nc_u32_e32 v1, v1, v4
	v_cmpx_eq_u32_e32 0, v2
; %bb.292:
	v_lshrrev_b32_e32 v4, 3, v0
	s_delay_alu instid0(VALU_DEP_1)
	v_and_b32_e32 v4, 28, v4
	ds_store_b32 v4, v1 offset:256
; %bb.293:
	s_or_b32 exec_lo, exec_lo, s3
	s_delay_alu instid0(SALU_CYCLE_1)
	s_mov_b32 s3, exec_lo
	s_wait_loadcnt_dscnt 0x0
	s_barrier_signal -1
	s_barrier_wait -1
	global_inv scope:SCOPE_SE
	v_cmpx_gt_u32_e32 8, v0
	s_cbranch_execz .LBB250_295
; %bb.294:
	ds_load_b32 v1, v3 offset:256
	v_and_b32_e32 v4, 7, v2
	s_add_co_i32 s2, s2, 31
	s_wait_alu 0xfffe
	s_lshr_b32 s2, s2, 5
	s_delay_alu instid0(VALU_DEP_1) | instskip(SKIP_4) | instid1(VALU_DEP_2)
	v_cmp_ne_u32_e32 vcc_lo, 7, v4
	v_add_nc_u32_e32 v6, 1, v4
	s_wait_alu 0xfffd
	v_add_co_ci_u32_e64 v5, null, 0, v2, vcc_lo
	v_cmp_gt_u32_e32 vcc_lo, 6, v4
	v_lshlrev_b32_e32 v5, 2, v5
	s_wait_alu 0xfffd
	v_cndmask_b32_e64 v7, 0, 2, vcc_lo
	s_wait_alu 0xfffe
	v_cmp_gt_u32_e32 vcc_lo, s2, v6
	s_wait_dscnt 0x0
	ds_bpermute_b32 v5, v5, v1
	v_add_lshl_u32 v2, v7, v2, 2
	s_wait_dscnt 0x0
	s_wait_alu 0xfffd
	v_cndmask_b32_e32 v5, 0, v5, vcc_lo
	s_delay_alu instid0(VALU_DEP_1)
	v_add_nc_u32_e32 v1, v5, v1
	v_add_nc_u32_e32 v5, 2, v4
	ds_bpermute_b32 v2, v2, v1
	v_cmp_gt_u32_e32 vcc_lo, s2, v5
	s_wait_dscnt 0x0
	s_wait_alu 0xfffd
	v_cndmask_b32_e32 v2, 0, v2, vcc_lo
	s_delay_alu instid0(VALU_DEP_1)
	v_add_nc_u32_e32 v1, v1, v2
	v_or_b32_e32 v2, 16, v3
	v_add_nc_u32_e32 v3, 4, v4
	ds_bpermute_b32 v2, v2, v1
	v_cmp_gt_u32_e32 vcc_lo, s2, v3
	s_wait_dscnt 0x0
	s_wait_alu 0xfffd
	v_cndmask_b32_e32 v2, 0, v2, vcc_lo
	s_delay_alu instid0(VALU_DEP_1)
	v_add_nc_u32_e32 v1, v1, v2
.LBB250_295:
	s_wait_alu 0xfffe
	s_or_b32 exec_lo, exec_lo, s3
	v_cmp_eq_u32_e64 s2, 0, v0
	s_and_b32 vcc_lo, exec_lo, s5
	s_wait_alu 0xfffe
	s_cbranch_vccnz .LBB250_24
	s_branch .LBB250_11
.LBB250_296:
	s_mov_b32 s3, -1
                                        ; implicit-def: $vgpr1
.LBB250_297:
	s_delay_alu instid0(SALU_CYCLE_1)
	s_and_b32 vcc_lo, exec_lo, s3
	s_wait_alu 0xfffe
	s_cbranch_vccz .LBB250_367
; %bb.298:
	v_mov_b32_e32 v1, 0
	s_sub_co_i32 s45, s36, s2
	s_delay_alu instid0(SALU_CYCLE_1) | instskip(NEXT) | instid1(VALU_DEP_2)
	v_cmp_gt_u32_e32 vcc_lo, s45, v0
	v_dual_mov_b32 v2, v1 :: v_dual_mov_b32 v3, v1
	v_dual_mov_b32 v4, v1 :: v_dual_mov_b32 v5, v1
	;; [unrolled: 1-line block ×15, first 2 shown]
	v_mov_b32_e32 v32, v1
	s_and_saveexec_b32 s2, vcc_lo
	s_cbranch_execz .LBB250_300
; %bb.299:
	v_dual_mov_b32 v3, v1 :: v_dual_lshlrev_b32 v2, 3, v0
	v_mov_b32_e32 v32, v1
	v_dual_mov_b32 v4, v1 :: v_dual_mov_b32 v5, v1
	global_load_b64 v[33:34], v2, s[42:43]
	v_dual_mov_b32 v6, v1 :: v_dual_mov_b32 v7, v1
	v_dual_mov_b32 v8, v1 :: v_dual_mov_b32 v9, v1
	;; [unrolled: 1-line block ×13, first 2 shown]
	s_wait_loadcnt 0x0
	v_cmp_ne_u64_e32 vcc_lo, 0, v[33:34]
	v_mov_b32_e32 v33, v1
	s_wait_alu 0xfffd
	v_cndmask_b32_e64 v2, 0, 1, vcc_lo
	s_delay_alu instid0(VALU_DEP_1)
	v_mov_b32_e32 v1, v2
	v_mov_b32_e32 v2, v3
	;; [unrolled: 1-line block ×32, first 2 shown]
.LBB250_300:
	s_or_b32 exec_lo, exec_lo, s2
	v_or_b32_e32 v33, 0x100, v0
	s_delay_alu instid0(VALU_DEP_1)
	v_cmp_gt_u32_e32 vcc_lo, s45, v33
	s_and_saveexec_b32 s3, vcc_lo
	s_cbranch_execz .LBB250_302
; %bb.301:
	v_lshlrev_b32_e32 v2, 3, v0
	global_load_b64 v[33:34], v2, s[42:43] offset:2048
	s_wait_loadcnt 0x0
	v_cmp_ne_u64_e64 s2, 0, v[33:34]
	s_delay_alu instid0(VALU_DEP_1)
	v_cndmask_b32_e64 v2, 0, 1, s2
.LBB250_302:
	s_or_b32 exec_lo, exec_lo, s3
	v_or_b32_e32 v33, 0x200, v0
	s_delay_alu instid0(VALU_DEP_1)
	v_cmp_gt_u32_e64 s2, s45, v33
	s_and_saveexec_b32 s4, s2
	s_cbranch_execz .LBB250_304
; %bb.303:
	v_lshlrev_b32_e32 v3, 3, v0
	global_load_b64 v[33:34], v3, s[42:43] offset:4096
	s_wait_loadcnt 0x0
	v_cmp_ne_u64_e64 s3, 0, v[33:34]
	s_wait_alu 0xf1ff
	s_delay_alu instid0(VALU_DEP_1)
	v_cndmask_b32_e64 v3, 0, 1, s3
.LBB250_304:
	s_or_b32 exec_lo, exec_lo, s4
	v_or_b32_e32 v33, 0x300, v0
	s_delay_alu instid0(VALU_DEP_1)
	v_cmp_gt_u32_e64 s3, s45, v33
	s_and_saveexec_b32 s5, s3
	s_cbranch_execz .LBB250_306
; %bb.305:
	v_lshlrev_b32_e32 v4, 3, v0
	global_load_b64 v[33:34], v4, s[42:43] offset:6144
	s_wait_loadcnt 0x0
	v_cmp_ne_u64_e64 s4, 0, v[33:34]
	s_delay_alu instid0(VALU_DEP_1)
	v_cndmask_b32_e64 v4, 0, 1, s4
.LBB250_306:
	s_or_b32 exec_lo, exec_lo, s5
	v_or_b32_e32 v33, 0x400, v0
	s_delay_alu instid0(VALU_DEP_1)
	v_cmp_gt_u32_e64 s4, s45, v33
	s_and_saveexec_b32 s6, s4
	s_cbranch_execz .LBB250_308
; %bb.307:
	v_lshlrev_b32_e32 v5, 3, v0
	global_load_b64 v[33:34], v5, s[42:43] offset:8192
	s_wait_loadcnt 0x0
	v_cmp_ne_u64_e64 s5, 0, v[33:34]
	s_wait_alu 0xf1ff
	s_delay_alu instid0(VALU_DEP_1)
	v_cndmask_b32_e64 v5, 0, 1, s5
.LBB250_308:
	s_or_b32 exec_lo, exec_lo, s6
	v_or_b32_e32 v33, 0x500, v0
	s_delay_alu instid0(VALU_DEP_1)
	v_cmp_gt_u32_e64 s5, s45, v33
	s_and_saveexec_b32 s7, s5
	;; [unrolled: 29-line block ×15, first 2 shown]
	s_cbranch_execz .LBB250_362
; %bb.361:
	v_lshlrev_b32_e32 v32, 3, v0
	global_load_b64 v[32:33], v32, s[42:43] offset:63488
	s_wait_loadcnt 0x0
	v_cmp_ne_u64_e64 s33, 0, v[32:33]
	s_delay_alu instid0(VALU_DEP_1)
	v_cndmask_b32_e64 v32, 0, 1, s33
.LBB250_362:
	s_or_b32 exec_lo, exec_lo, s46
	v_cndmask_b32_e32 v2, 0, v2, vcc_lo
	v_cndmask_b32_e64 v3, 0, v3, s2
	v_cndmask_b32_e64 v4, 0, v4, s3
	s_min_u32 s2, s45, 0x100
	s_mov_b32 s3, exec_lo
	v_add_nc_u32_e32 v1, v2, v1
	v_cndmask_b32_e64 v2, 0, v5, s4
	v_cndmask_b32_e64 v5, 0, v6, s5
	;; [unrolled: 1-line block ×3, first 2 shown]
	s_delay_alu instid0(VALU_DEP_4) | instskip(SKIP_3) | instid1(VALU_DEP_4)
	v_add3_u32 v1, v1, v3, v4
	v_cndmask_b32_e64 v3, 0, v7, s6
	v_cndmask_b32_e64 v4, 0, v8, s7
	v_cndmask_b32_e64 v7, 0, v31, s30
	v_add3_u32 v1, v1, v2, v5
	v_cndmask_b32_e64 v2, 0, v9, s8
	v_cndmask_b32_e64 v5, 0, v10, s9
	s_delay_alu instid0(VALU_DEP_3) | instskip(SKIP_2) | instid1(VALU_DEP_3)
	v_add3_u32 v1, v1, v3, v4
	v_cndmask_b32_e64 v3, 0, v11, s10
	v_cndmask_b32_e64 v4, 0, v12, s11
	v_add3_u32 v1, v1, v2, v5
	v_cndmask_b32_e64 v2, 0, v13, s12
	v_cndmask_b32_e64 v5, 0, v14, s13
	s_delay_alu instid0(VALU_DEP_3) | instskip(SKIP_2) | instid1(VALU_DEP_3)
	v_add3_u32 v1, v1, v3, v4
	v_cndmask_b32_e64 v3, 0, v15, s14
	v_cndmask_b32_e64 v4, 0, v16, s15
	;; [unrolled: 7-line block ×5, first 2 shown]
	v_add3_u32 v1, v1, v2, v5
	v_mbcnt_lo_u32_b32 v2, -1, 0
	v_cndmask_b32_e64 v5, 0, v29, s28
	s_delay_alu instid0(VALU_DEP_3) | instskip(NEXT) | instid1(VALU_DEP_3)
	v_add3_u32 v1, v1, v3, v4
	v_cmp_ne_u32_e32 vcc_lo, 31, v2
	v_cndmask_b32_e64 v3, 0, v32, s31
	s_delay_alu instid0(VALU_DEP_3)
	v_add3_u32 v1, v1, v5, v6
	s_wait_alu 0xfffd
	v_add_co_ci_u32_e64 v4, null, 0, v2, vcc_lo
	v_add_nc_u32_e32 v5, 1, v2
	v_cmp_gt_u32_e32 vcc_lo, 30, v2
	v_add3_u32 v1, v1, v7, v3
	s_delay_alu instid0(VALU_DEP_4)
	v_lshlrev_b32_e32 v4, 2, v4
	s_wait_alu 0xfffd
	v_cndmask_b32_e64 v6, 0, 2, vcc_lo
	ds_bpermute_b32 v3, v4, v1
	v_and_b32_e32 v4, 0xe0, v0
	s_wait_alu 0xfffe
	s_delay_alu instid0(VALU_DEP_1) | instskip(NEXT) | instid1(VALU_DEP_1)
	v_sub_nc_u32_e64 v4, s2, v4 clamp
	v_cmp_lt_u32_e32 vcc_lo, v5, v4
	v_add_lshl_u32 v5, v6, v2, 2
	s_wait_dscnt 0x0
	s_wait_alu 0xfffd
	v_cndmask_b32_e32 v3, 0, v3, vcc_lo
	v_cmp_gt_u32_e32 vcc_lo, 28, v2
	s_delay_alu instid0(VALU_DEP_2) | instskip(SKIP_4) | instid1(VALU_DEP_1)
	v_add_nc_u32_e32 v1, v1, v3
	s_wait_alu 0xfffd
	v_cndmask_b32_e64 v6, 0, 4, vcc_lo
	ds_bpermute_b32 v3, v5, v1
	v_add_nc_u32_e32 v5, 2, v2
	v_cmp_lt_u32_e32 vcc_lo, v5, v4
	v_add_lshl_u32 v5, v6, v2, 2
	s_wait_dscnt 0x0
	s_wait_alu 0xfffd
	v_cndmask_b32_e32 v3, 0, v3, vcc_lo
	v_cmp_gt_u32_e32 vcc_lo, 24, v2
	s_delay_alu instid0(VALU_DEP_2) | instskip(SKIP_4) | instid1(VALU_DEP_1)
	v_add_nc_u32_e32 v1, v1, v3
	s_wait_alu 0xfffd
	v_cndmask_b32_e64 v6, 0, 8, vcc_lo
	ds_bpermute_b32 v3, v5, v1
	v_add_nc_u32_e32 v5, 4, v2
	v_cmp_lt_u32_e32 vcc_lo, v5, v4
	v_add_lshl_u32 v5, v6, v2, 2
	s_wait_dscnt 0x0
	s_wait_alu 0xfffd
	v_cndmask_b32_e32 v3, 0, v3, vcc_lo
	s_delay_alu instid0(VALU_DEP_1) | instskip(SKIP_3) | instid1(VALU_DEP_1)
	v_add_nc_u32_e32 v1, v1, v3
	v_lshlrev_b32_e32 v3, 2, v2
	ds_bpermute_b32 v5, v5, v1
	v_add_nc_u32_e32 v6, 8, v2
	v_cmp_lt_u32_e32 vcc_lo, v6, v4
	v_or_b32_e32 v6, 64, v3
	s_wait_dscnt 0x0
	s_wait_alu 0xfffd
	v_cndmask_b32_e32 v5, 0, v5, vcc_lo
	s_delay_alu instid0(VALU_DEP_1) | instskip(SKIP_2) | instid1(VALU_DEP_1)
	v_add_nc_u32_e32 v1, v1, v5
	ds_bpermute_b32 v5, v6, v1
	v_add_nc_u32_e32 v6, 16, v2
	v_cmp_lt_u32_e32 vcc_lo, v6, v4
	s_wait_dscnt 0x0
	s_wait_alu 0xfffd
	v_cndmask_b32_e32 v4, 0, v5, vcc_lo
	s_delay_alu instid0(VALU_DEP_1)
	v_add_nc_u32_e32 v1, v1, v4
	v_cmpx_eq_u32_e32 0, v2
; %bb.363:
	v_lshrrev_b32_e32 v4, 3, v0
	s_delay_alu instid0(VALU_DEP_1)
	v_and_b32_e32 v4, 28, v4
	ds_store_b32 v4, v1 offset:256
; %bb.364:
	s_or_b32 exec_lo, exec_lo, s3
	s_delay_alu instid0(SALU_CYCLE_1)
	s_mov_b32 s3, exec_lo
	s_wait_loadcnt_dscnt 0x0
	s_barrier_signal -1
	s_barrier_wait -1
	global_inv scope:SCOPE_SE
	v_cmpx_gt_u32_e32 8, v0
	s_cbranch_execz .LBB250_366
; %bb.365:
	ds_load_b32 v1, v3 offset:256
	v_and_b32_e32 v4, 7, v2
	s_add_co_i32 s2, s2, 31
	s_wait_alu 0xfffe
	s_lshr_b32 s2, s2, 5
	s_delay_alu instid0(VALU_DEP_1) | instskip(SKIP_4) | instid1(VALU_DEP_2)
	v_cmp_ne_u32_e32 vcc_lo, 7, v4
	v_add_nc_u32_e32 v6, 1, v4
	s_wait_alu 0xfffd
	v_add_co_ci_u32_e64 v5, null, 0, v2, vcc_lo
	v_cmp_gt_u32_e32 vcc_lo, 6, v4
	v_lshlrev_b32_e32 v5, 2, v5
	s_wait_alu 0xfffd
	v_cndmask_b32_e64 v7, 0, 2, vcc_lo
	s_wait_alu 0xfffe
	v_cmp_gt_u32_e32 vcc_lo, s2, v6
	s_wait_dscnt 0x0
	ds_bpermute_b32 v5, v5, v1
	v_add_lshl_u32 v2, v7, v2, 2
	s_wait_dscnt 0x0
	s_wait_alu 0xfffd
	v_cndmask_b32_e32 v5, 0, v5, vcc_lo
	s_delay_alu instid0(VALU_DEP_1)
	v_add_nc_u32_e32 v1, v5, v1
	v_add_nc_u32_e32 v5, 2, v4
	ds_bpermute_b32 v2, v2, v1
	v_cmp_gt_u32_e32 vcc_lo, s2, v5
	s_wait_dscnt 0x0
	s_wait_alu 0xfffd
	v_cndmask_b32_e32 v2, 0, v2, vcc_lo
	s_delay_alu instid0(VALU_DEP_1)
	v_add_nc_u32_e32 v1, v1, v2
	v_or_b32_e32 v2, 16, v3
	v_add_nc_u32_e32 v3, 4, v4
	ds_bpermute_b32 v2, v2, v1
	v_cmp_gt_u32_e32 vcc_lo, s2, v3
	s_wait_dscnt 0x0
	s_wait_alu 0xfffd
	v_cndmask_b32_e32 v2, 0, v2, vcc_lo
	s_delay_alu instid0(VALU_DEP_1)
	v_add_nc_u32_e32 v1, v1, v2
.LBB250_366:
	s_wait_alu 0xfffe
	s_or_b32 exec_lo, exec_lo, s3
.LBB250_367:
	v_cmp_eq_u32_e64 s2, 0, v0
	s_branch .LBB250_512
.LBB250_368:
	s_cmp_eq_u32 s44, 16
	s_cbranch_scc0 .LBB250_375
; %bb.369:
	s_mov_b32 s35, 0
	s_lshl_b32 s2, s34, 12
	s_mov_b32 s3, s35
	s_lshr_b64 s[4:5], s[36:37], 12
	s_lshl_b64 s[6:7], s[2:3], 3
	s_cmp_lg_u64 s[4:5], s[34:35]
	s_add_nc_u64 s[16:17], s[40:41], s[6:7]
	s_cbranch_scc0 .LBB250_533
; %bb.370:
	v_lshlrev_b32_e32 v31, 3, v0
	s_mov_b32 s3, exec_lo
	s_clause 0xf
	global_load_b64 v[1:2], v31, s[16:17]
	global_load_b64 v[3:4], v31, s[16:17] offset:4096
	global_load_b64 v[5:6], v31, s[16:17] offset:2048
	;; [unrolled: 1-line block ×15, first 2 shown]
	s_wait_loadcnt 0xf
	v_cmp_ne_u64_e32 vcc_lo, 0, v[1:2]
	v_cndmask_b32_e64 v1, 0, 1, vcc_lo
	s_wait_loadcnt 0xe
	v_cmp_ne_u64_e32 vcc_lo, 0, v[3:4]
	s_wait_alu 0xfffd
	v_cndmask_b32_e64 v2, 0, 1, vcc_lo
	s_wait_loadcnt 0xd
	v_cmp_ne_u64_e32 vcc_lo, 0, v[5:6]
	s_wait_alu 0xfffd
	v_add_co_ci_u32_e64 v1, null, 0, v1, vcc_lo
	s_wait_loadcnt 0xc
	v_cmp_ne_u64_e32 vcc_lo, 0, v[7:8]
	s_wait_alu 0xfffd
	v_cndmask_b32_e64 v3, 0, 1, vcc_lo
	s_wait_loadcnt 0xb
	v_cmp_ne_u64_e32 vcc_lo, 0, v[9:10]
	s_wait_alu 0xfffd
	v_add_co_ci_u32_e64 v1, null, v1, v2, vcc_lo
	;; [unrolled: 8-line block ×7, first 2 shown]
	s_wait_loadcnt 0x0
	v_cmp_ne_u64_e32 vcc_lo, 0, v[31:32]
	s_wait_alu 0xfffd
	s_delay_alu instid0(VALU_DEP_2) | instskip(NEXT) | instid1(VALU_DEP_1)
	v_add_co_ci_u32_e64 v1, null, v1, v2, vcc_lo
	v_mov_b32_dpp v2, v1 quad_perm:[1,0,3,2] row_mask:0xf bank_mask:0xf
	s_delay_alu instid0(VALU_DEP_1) | instskip(NEXT) | instid1(VALU_DEP_1)
	v_add_nc_u32_e32 v1, v1, v2
	v_mov_b32_dpp v2, v1 quad_perm:[2,3,0,1] row_mask:0xf bank_mask:0xf
	s_delay_alu instid0(VALU_DEP_1) | instskip(NEXT) | instid1(VALU_DEP_1)
	v_add_nc_u32_e32 v1, v1, v2
	v_mov_b32_dpp v2, v1 row_ror:4 row_mask:0xf bank_mask:0xf
	s_delay_alu instid0(VALU_DEP_1) | instskip(NEXT) | instid1(VALU_DEP_1)
	v_add_nc_u32_e32 v1, v1, v2
	v_mov_b32_dpp v2, v1 row_ror:8 row_mask:0xf bank_mask:0xf
	s_delay_alu instid0(VALU_DEP_1)
	v_add_nc_u32_e32 v1, v1, v2
	ds_swizzle_b32 v2, v1 offset:swizzle(BROADCAST,32,15)
	s_wait_dscnt 0x0
	v_dual_mov_b32 v2, 0 :: v_dual_add_nc_u32 v1, v1, v2
	ds_bpermute_b32 v1, v2, v1 offset:124
	v_mbcnt_lo_u32_b32 v2, -1, 0
	s_delay_alu instid0(VALU_DEP_1)
	v_cmpx_eq_u32_e32 0, v2
	s_cbranch_execz .LBB250_372
; %bb.371:
	v_lshrrev_b32_e32 v3, 3, v0
	s_delay_alu instid0(VALU_DEP_1)
	v_and_b32_e32 v3, 28, v3
	s_wait_dscnt 0x0
	ds_store_b32 v3, v1 offset:32
.LBB250_372:
	s_or_b32 exec_lo, exec_lo, s3
	s_delay_alu instid0(SALU_CYCLE_1)
	s_mov_b32 s3, exec_lo
	s_wait_dscnt 0x0
	s_barrier_signal -1
	s_barrier_wait -1
	global_inv scope:SCOPE_SE
	v_cmpx_gt_u32_e32 32, v0
	s_cbranch_execz .LBB250_374
; %bb.373:
	v_and_b32_e32 v1, 7, v2
	s_delay_alu instid0(VALU_DEP_1)
	v_lshlrev_b32_e32 v3, 2, v1
	v_cmp_ne_u32_e32 vcc_lo, 7, v1
	ds_load_b32 v3, v3 offset:32
	s_wait_alu 0xfffd
	v_add_co_ci_u32_e64 v4, null, 0, v2, vcc_lo
	v_cmp_gt_u32_e32 vcc_lo, 6, v1
	s_delay_alu instid0(VALU_DEP_2) | instskip(SKIP_2) | instid1(VALU_DEP_1)
	v_lshlrev_b32_e32 v4, 2, v4
	s_wait_alu 0xfffd
	v_cndmask_b32_e64 v1, 0, 2, vcc_lo
	v_add_lshl_u32 v1, v1, v2, 2
	v_lshlrev_b32_e32 v2, 2, v2
	s_delay_alu instid0(VALU_DEP_1)
	v_or_b32_e32 v2, 16, v2
	s_wait_dscnt 0x0
	ds_bpermute_b32 v4, v4, v3
	s_wait_dscnt 0x0
	v_add_nc_u32_e32 v3, v4, v3
	ds_bpermute_b32 v1, v1, v3
	s_wait_dscnt 0x0
	v_add_nc_u32_e32 v1, v1, v3
	ds_bpermute_b32 v2, v2, v1
	s_wait_dscnt 0x0
	v_add_nc_u32_e32 v1, v2, v1
.LBB250_374:
	s_or_b32 exec_lo, exec_lo, s3
	s_mov_b32 s3, 0
	s_branch .LBB250_534
.LBB250_375:
                                        ; implicit-def: $vgpr1
	s_branch .LBB250_623
.LBB250_376:
	s_mov_b32 s5, -1
                                        ; implicit-def: $vgpr1
.LBB250_377:
	s_wait_alu 0xfffe
	s_and_b32 vcc_lo, exec_lo, s5
	s_wait_alu 0xfffe
	s_cbranch_vccz .LBB250_511
; %bb.378:
	s_sub_co_i32 s4, s36, s4
	s_mov_b32 s5, exec_lo
                                        ; implicit-def: $vgpr1
	s_wait_alu 0xfffe
	v_cmpx_gt_u32_e64 s4, v0
	s_cbranch_execz .LBB250_380
; %bb.379:
	v_lshlrev_b32_e32 v1, 3, v0
	global_load_b64 v[1:2], v1, s[2:3]
	s_wait_loadcnt 0x0
	v_cmp_ne_u64_e32 vcc_lo, 0, v[1:2]
	s_wait_alu 0xfffd
	v_cndmask_b32_e64 v1, 0, 1, vcc_lo
.LBB250_380:
	s_or_b32 exec_lo, exec_lo, s5
	v_or_b32_e32 v3, 0x100, v0
	v_mov_b32_e32 v2, 0
	s_delay_alu instid0(VALU_DEP_2)
	v_cmp_gt_u32_e32 vcc_lo, s4, v3
	v_mov_b32_e32 v3, 0
	s_and_saveexec_b32 s5, vcc_lo
	s_cbranch_execz .LBB250_382
; %bb.381:
	v_lshlrev_b32_e32 v3, 3, v0
	global_load_b64 v[3:4], v3, s[2:3] offset:2048
	s_wait_loadcnt 0x0
	v_cmp_ne_u64_e32 vcc_lo, 0, v[3:4]
	s_wait_alu 0xfffd
	v_cndmask_b32_e64 v3, 0, 1, vcc_lo
.LBB250_382:
	s_wait_alu 0xfffe
	s_or_b32 exec_lo, exec_lo, s5
	v_or_b32_e32 v4, 0x200, v0
	s_mov_b32 s5, exec_lo
	s_delay_alu instid0(VALU_DEP_1)
	v_cmpx_gt_u32_e64 s4, v4
	s_cbranch_execz .LBB250_384
; %bb.383:
	v_lshlrev_b32_e32 v2, 3, v0
	global_load_b64 v[4:5], v2, s[2:3] offset:4096
	s_wait_loadcnt 0x0
	v_cmp_ne_u64_e32 vcc_lo, 0, v[4:5]
	s_wait_alu 0xfffd
	v_cndmask_b32_e64 v2, 0, 1, vcc_lo
.LBB250_384:
	s_wait_alu 0xfffe
	s_or_b32 exec_lo, exec_lo, s5
	v_or_b32_e32 v5, 0x300, v0
	v_mov_b32_e32 v4, 0
	s_delay_alu instid0(VALU_DEP_2)
	v_cmp_gt_u32_e32 vcc_lo, s4, v5
	v_mov_b32_e32 v5, 0
	s_and_saveexec_b32 s5, vcc_lo
	s_cbranch_execz .LBB250_386
; %bb.385:
	v_lshlrev_b32_e32 v5, 3, v0
	global_load_b64 v[5:6], v5, s[2:3] offset:6144
	s_wait_loadcnt 0x0
	v_cmp_ne_u64_e32 vcc_lo, 0, v[5:6]
	s_wait_alu 0xfffd
	v_cndmask_b32_e64 v5, 0, 1, vcc_lo
.LBB250_386:
	s_wait_alu 0xfffe
	s_or_b32 exec_lo, exec_lo, s5
	v_or_b32_e32 v6, 0x400, v0
	s_mov_b32 s5, exec_lo
	s_delay_alu instid0(VALU_DEP_1)
	v_cmpx_gt_u32_e64 s4, v6
	s_cbranch_execz .LBB250_388
; %bb.387:
	v_lshlrev_b32_e32 v4, 3, v0
	global_load_b64 v[6:7], v4, s[2:3] offset:8192
	s_wait_loadcnt 0x0
	v_cmp_ne_u64_e32 vcc_lo, 0, v[6:7]
	s_wait_alu 0xfffd
	v_cndmask_b32_e64 v4, 0, 1, vcc_lo
.LBB250_388:
	s_wait_alu 0xfffe
	;; [unrolled: 32-line block ×31, first 2 shown]
	s_or_b32 exec_lo, exec_lo, s5
	v_or_b32_e32 v64, 0x3f00, v0
	s_delay_alu instid0(VALU_DEP_1)
	v_cmp_gt_u32_e32 vcc_lo, s4, v64
	v_mov_b32_e32 v64, 0
	s_and_saveexec_b32 s5, vcc_lo
	s_cbranch_execz .LBB250_506
; %bb.505:
	v_lshlrev_b32_e32 v64, 3, v0
	global_load_b64 v[64:65], v64, s[2:3] offset:129024
	s_wait_loadcnt 0x0
	v_cmp_ne_u64_e32 vcc_lo, 0, v[64:65]
	s_wait_alu 0xfffd
	v_cndmask_b32_e64 v64, 0, 1, vcc_lo
.LBB250_506:
	s_wait_alu 0xfffe
	s_or_b32 exec_lo, exec_lo, s5
	v_add_nc_u32_e32 v1, v3, v1
	s_min_u32 s2, s4, 0x100
	s_mov_b32 s3, exec_lo
	s_delay_alu instid0(VALU_DEP_1) | instskip(SKIP_1) | instid1(VALU_DEP_2)
	v_add3_u32 v1, v1, v2, v5
	v_mbcnt_lo_u32_b32 v2, -1, 0
	v_add3_u32 v1, v1, v4, v7
	s_delay_alu instid0(VALU_DEP_2) | instskip(SKIP_1) | instid1(VALU_DEP_3)
	v_cmp_ne_u32_e32 vcc_lo, 31, v2
	v_add_nc_u32_e32 v5, 1, v2
	v_add3_u32 v1, v1, v6, v9
	s_wait_alu 0xfffd
	v_add_co_ci_u32_e64 v3, null, 0, v2, vcc_lo
	v_cmp_gt_u32_e32 vcc_lo, 30, v2
	s_delay_alu instid0(VALU_DEP_3) | instskip(NEXT) | instid1(VALU_DEP_3)
	v_add3_u32 v1, v1, v8, v11
	v_lshlrev_b32_e32 v3, 2, v3
	s_wait_alu 0xfffd
	v_cndmask_b32_e64 v6, 0, 2, vcc_lo
	s_delay_alu instid0(VALU_DEP_3) | instskip(NEXT) | instid1(VALU_DEP_1)
	v_add3_u32 v1, v1, v10, v13
	v_add3_u32 v1, v1, v12, v15
	s_delay_alu instid0(VALU_DEP_1) | instskip(NEXT) | instid1(VALU_DEP_1)
	v_add3_u32 v1, v1, v14, v17
	v_add3_u32 v1, v1, v16, v19
	s_delay_alu instid0(VALU_DEP_1) | instskip(NEXT) | instid1(VALU_DEP_1)
	v_add3_u32 v1, v1, v18, v21
	v_add3_u32 v1, v1, v20, v23
	s_delay_alu instid0(VALU_DEP_1) | instskip(NEXT) | instid1(VALU_DEP_1)
	v_add3_u32 v1, v1, v22, v25
	v_add3_u32 v1, v1, v24, v27
	s_delay_alu instid0(VALU_DEP_1) | instskip(NEXT) | instid1(VALU_DEP_1)
	v_add3_u32 v1, v1, v26, v29
	v_add3_u32 v1, v1, v28, v31
	s_delay_alu instid0(VALU_DEP_1) | instskip(NEXT) | instid1(VALU_DEP_1)
	v_add3_u32 v1, v1, v30, v33
	v_add3_u32 v1, v1, v32, v35
	s_delay_alu instid0(VALU_DEP_1) | instskip(NEXT) | instid1(VALU_DEP_1)
	v_add3_u32 v1, v1, v34, v37
	v_add3_u32 v1, v1, v36, v39
	s_delay_alu instid0(VALU_DEP_1) | instskip(NEXT) | instid1(VALU_DEP_1)
	v_add3_u32 v1, v1, v38, v41
	v_add3_u32 v1, v1, v40, v43
	s_delay_alu instid0(VALU_DEP_1) | instskip(NEXT) | instid1(VALU_DEP_1)
	v_add3_u32 v1, v1, v42, v45
	v_add3_u32 v1, v1, v44, v47
	s_delay_alu instid0(VALU_DEP_1) | instskip(NEXT) | instid1(VALU_DEP_1)
	v_add3_u32 v1, v1, v46, v49
	v_add3_u32 v1, v1, v48, v51
	s_delay_alu instid0(VALU_DEP_1) | instskip(NEXT) | instid1(VALU_DEP_1)
	v_add3_u32 v1, v1, v50, v53
	v_add3_u32 v1, v1, v52, v55
	s_delay_alu instid0(VALU_DEP_1) | instskip(NEXT) | instid1(VALU_DEP_1)
	v_add3_u32 v1, v1, v54, v57
	v_add3_u32 v1, v1, v56, v59
	s_delay_alu instid0(VALU_DEP_1) | instskip(NEXT) | instid1(VALU_DEP_1)
	v_add3_u32 v1, v1, v58, v61
	v_add3_u32 v1, v1, v60, v63
	s_delay_alu instid0(VALU_DEP_1) | instskip(SKIP_3) | instid1(VALU_DEP_1)
	v_add3_u32 v1, v1, v62, v64
	ds_bpermute_b32 v3, v3, v1
	v_and_b32_e32 v4, 0xe0, v0
	s_wait_alu 0xfffe
	v_sub_nc_u32_e64 v4, s2, v4 clamp
	s_delay_alu instid0(VALU_DEP_1)
	v_cmp_lt_u32_e32 vcc_lo, v5, v4
	v_add_lshl_u32 v5, v6, v2, 2
	s_wait_dscnt 0x0
	s_wait_alu 0xfffd
	v_cndmask_b32_e32 v3, 0, v3, vcc_lo
	v_cmp_gt_u32_e32 vcc_lo, 28, v2
	s_delay_alu instid0(VALU_DEP_2) | instskip(SKIP_4) | instid1(VALU_DEP_1)
	v_add_nc_u32_e32 v1, v3, v1
	s_wait_alu 0xfffd
	v_cndmask_b32_e64 v6, 0, 4, vcc_lo
	ds_bpermute_b32 v3, v5, v1
	v_add_nc_u32_e32 v5, 2, v2
	v_cmp_lt_u32_e32 vcc_lo, v5, v4
	v_add_lshl_u32 v5, v6, v2, 2
	s_wait_dscnt 0x0
	s_wait_alu 0xfffd
	v_cndmask_b32_e32 v3, 0, v3, vcc_lo
	v_cmp_gt_u32_e32 vcc_lo, 24, v2
	s_delay_alu instid0(VALU_DEP_2) | instskip(SKIP_4) | instid1(VALU_DEP_1)
	v_add_nc_u32_e32 v1, v1, v3
	s_wait_alu 0xfffd
	v_cndmask_b32_e64 v6, 0, 8, vcc_lo
	ds_bpermute_b32 v3, v5, v1
	v_add_nc_u32_e32 v5, 4, v2
	v_cmp_lt_u32_e32 vcc_lo, v5, v4
	v_add_lshl_u32 v5, v6, v2, 2
	s_wait_dscnt 0x0
	s_wait_alu 0xfffd
	v_dual_cndmask_b32 v3, 0, v3 :: v_dual_add_nc_u32 v6, 8, v2
	s_delay_alu instid0(VALU_DEP_1) | instskip(NEXT) | instid1(VALU_DEP_2)
	v_cmp_lt_u32_e32 vcc_lo, v6, v4
	v_add_nc_u32_e32 v1, v1, v3
	v_lshlrev_b32_e32 v3, 2, v2
	ds_bpermute_b32 v5, v5, v1
	v_or_b32_e32 v6, 64, v3
	s_wait_dscnt 0x0
	s_wait_alu 0xfffd
	v_cndmask_b32_e32 v5, 0, v5, vcc_lo
	s_delay_alu instid0(VALU_DEP_1) | instskip(SKIP_2) | instid1(VALU_DEP_1)
	v_add_nc_u32_e32 v1, v1, v5
	ds_bpermute_b32 v5, v6, v1
	v_add_nc_u32_e32 v6, 16, v2
	v_cmp_lt_u32_e32 vcc_lo, v6, v4
	s_wait_dscnt 0x0
	s_wait_alu 0xfffd
	v_cndmask_b32_e32 v4, 0, v5, vcc_lo
	s_delay_alu instid0(VALU_DEP_1)
	v_add_nc_u32_e32 v1, v1, v4
	v_cmpx_eq_u32_e32 0, v2
; %bb.507:
	v_lshrrev_b32_e32 v4, 3, v0
	s_delay_alu instid0(VALU_DEP_1)
	v_and_b32_e32 v4, 28, v4
	ds_store_b32 v4, v1 offset:256
; %bb.508:
	s_or_b32 exec_lo, exec_lo, s3
	s_delay_alu instid0(SALU_CYCLE_1)
	s_mov_b32 s3, exec_lo
	s_wait_loadcnt_dscnt 0x0
	s_barrier_signal -1
	s_barrier_wait -1
	global_inv scope:SCOPE_SE
	v_cmpx_gt_u32_e32 8, v0
	s_cbranch_execz .LBB250_510
; %bb.509:
	ds_load_b32 v1, v3 offset:256
	v_and_b32_e32 v4, 7, v2
	s_add_co_i32 s2, s2, 31
	s_wait_alu 0xfffe
	s_lshr_b32 s2, s2, 5
	s_delay_alu instid0(VALU_DEP_1) | instskip(SKIP_4) | instid1(VALU_DEP_2)
	v_cmp_ne_u32_e32 vcc_lo, 7, v4
	v_add_nc_u32_e32 v6, 1, v4
	s_wait_alu 0xfffd
	v_add_co_ci_u32_e64 v5, null, 0, v2, vcc_lo
	v_cmp_gt_u32_e32 vcc_lo, 6, v4
	v_lshlrev_b32_e32 v5, 2, v5
	s_wait_alu 0xfffd
	v_cndmask_b32_e64 v7, 0, 2, vcc_lo
	s_wait_alu 0xfffe
	v_cmp_gt_u32_e32 vcc_lo, s2, v6
	s_wait_dscnt 0x0
	ds_bpermute_b32 v5, v5, v1
	v_add_lshl_u32 v2, v7, v2, 2
	s_wait_dscnt 0x0
	s_wait_alu 0xfffd
	v_cndmask_b32_e32 v5, 0, v5, vcc_lo
	s_delay_alu instid0(VALU_DEP_1)
	v_add_nc_u32_e32 v1, v5, v1
	v_add_nc_u32_e32 v5, 2, v4
	ds_bpermute_b32 v2, v2, v1
	v_cmp_gt_u32_e32 vcc_lo, s2, v5
	s_wait_dscnt 0x0
	s_wait_alu 0xfffd
	v_cndmask_b32_e32 v2, 0, v2, vcc_lo
	s_delay_alu instid0(VALU_DEP_1)
	v_add_nc_u32_e32 v1, v1, v2
	v_or_b32_e32 v2, 16, v3
	v_add_nc_u32_e32 v3, 4, v4
	ds_bpermute_b32 v2, v2, v1
	v_cmp_gt_u32_e32 vcc_lo, s2, v3
	s_wait_dscnt 0x0
	s_wait_alu 0xfffd
	v_cndmask_b32_e32 v2, 0, v2, vcc_lo
	s_delay_alu instid0(VALU_DEP_1)
	v_add_nc_u32_e32 v1, v1, v2
.LBB250_510:
	s_wait_alu 0xfffe
	s_or_b32 exec_lo, exec_lo, s3
.LBB250_511:
	v_cmp_eq_u32_e64 s2, 0, v0
.LBB250_512:
	s_branch .LBB250_623
.LBB250_513:
	s_cmp_gt_i32 s44, 3
	s_cbranch_scc0 .LBB250_522
; %bb.514:
	s_cmp_gt_i32 s44, 7
	s_cbranch_scc0 .LBB250_523
; %bb.515:
	s_cmp_eq_u32 s44, 8
	s_cbranch_scc0 .LBB250_531
; %bb.516:
	s_mov_b32 s35, 0
	s_lshl_b32 s2, s34, 11
	s_mov_b32 s3, s35
	s_lshr_b64 s[4:5], s[36:37], 11
	s_lshl_b64 s[6:7], s[2:3], 3
	s_cmp_lg_u64 s[4:5], s[34:35]
	s_add_nc_u64 s[8:9], s[40:41], s[6:7]
	s_cbranch_scc0 .LBB250_573
; %bb.517:
	v_lshlrev_b32_e32 v15, 3, v0
	s_mov_b32 s3, exec_lo
	s_clause 0x7
	global_load_b64 v[1:2], v15, s[8:9]
	global_load_b64 v[3:4], v15, s[8:9] offset:4096
	global_load_b64 v[5:6], v15, s[8:9] offset:2048
	global_load_b64 v[7:8], v15, s[8:9] offset:8192
	global_load_b64 v[9:10], v15, s[8:9] offset:6144
	global_load_b64 v[11:12], v15, s[8:9] offset:12288
	global_load_b64 v[13:14], v15, s[8:9] offset:10240
	global_load_b64 v[15:16], v15, s[8:9] offset:14336
	s_wait_loadcnt 0x7
	v_cmp_ne_u64_e32 vcc_lo, 0, v[1:2]
	v_cndmask_b32_e64 v1, 0, 1, vcc_lo
	s_wait_loadcnt 0x6
	v_cmp_ne_u64_e32 vcc_lo, 0, v[3:4]
	s_wait_alu 0xfffd
	v_cndmask_b32_e64 v2, 0, 1, vcc_lo
	s_wait_loadcnt 0x5
	v_cmp_ne_u64_e32 vcc_lo, 0, v[5:6]
	s_wait_alu 0xfffd
	v_add_co_ci_u32_e64 v1, null, 0, v1, vcc_lo
	s_wait_loadcnt 0x4
	v_cmp_ne_u64_e32 vcc_lo, 0, v[7:8]
	s_wait_alu 0xfffd
	v_cndmask_b32_e64 v3, 0, 1, vcc_lo
	s_wait_loadcnt 0x3
	v_cmp_ne_u64_e32 vcc_lo, 0, v[9:10]
	s_wait_alu 0xfffd
	v_add_co_ci_u32_e64 v1, null, v1, v2, vcc_lo
	;; [unrolled: 8-line block ×3, first 2 shown]
	s_wait_loadcnt 0x0
	v_cmp_ne_u64_e32 vcc_lo, 0, v[15:16]
	s_wait_alu 0xfffd
	s_delay_alu instid0(VALU_DEP_2) | instskip(NEXT) | instid1(VALU_DEP_1)
	v_add_co_ci_u32_e64 v1, null, v1, v2, vcc_lo
	v_mov_b32_dpp v2, v1 quad_perm:[1,0,3,2] row_mask:0xf bank_mask:0xf
	s_delay_alu instid0(VALU_DEP_1) | instskip(NEXT) | instid1(VALU_DEP_1)
	v_add_nc_u32_e32 v1, v1, v2
	v_mov_b32_dpp v2, v1 quad_perm:[2,3,0,1] row_mask:0xf bank_mask:0xf
	s_delay_alu instid0(VALU_DEP_1) | instskip(NEXT) | instid1(VALU_DEP_1)
	v_add_nc_u32_e32 v1, v1, v2
	v_mov_b32_dpp v2, v1 row_ror:4 row_mask:0xf bank_mask:0xf
	s_delay_alu instid0(VALU_DEP_1) | instskip(NEXT) | instid1(VALU_DEP_1)
	v_add_nc_u32_e32 v1, v1, v2
	v_mov_b32_dpp v2, v1 row_ror:8 row_mask:0xf bank_mask:0xf
	s_delay_alu instid0(VALU_DEP_1)
	v_add_nc_u32_e32 v1, v1, v2
	ds_swizzle_b32 v2, v1 offset:swizzle(BROADCAST,32,15)
	s_wait_dscnt 0x0
	v_dual_mov_b32 v2, 0 :: v_dual_add_nc_u32 v1, v1, v2
	ds_bpermute_b32 v1, v2, v1 offset:124
	v_mbcnt_lo_u32_b32 v2, -1, 0
	s_delay_alu instid0(VALU_DEP_1)
	v_cmpx_eq_u32_e32 0, v2
	s_cbranch_execz .LBB250_519
; %bb.518:
	v_lshrrev_b32_e32 v3, 3, v0
	s_delay_alu instid0(VALU_DEP_1)
	v_and_b32_e32 v3, 28, v3
	s_wait_dscnt 0x0
	ds_store_b32 v3, v1 offset:224
.LBB250_519:
	s_or_b32 exec_lo, exec_lo, s3
	s_delay_alu instid0(SALU_CYCLE_1)
	s_mov_b32 s3, exec_lo
	s_wait_dscnt 0x0
	s_barrier_signal -1
	s_barrier_wait -1
	global_inv scope:SCOPE_SE
	v_cmpx_gt_u32_e32 32, v0
	s_cbranch_execz .LBB250_521
; %bb.520:
	v_lshl_or_b32 v1, v2, 2, 0xe0
	v_and_b32_e32 v3, 7, v2
	ds_load_b32 v1, v1
	v_cmp_ne_u32_e32 vcc_lo, 7, v3
	s_wait_alu 0xfffd
	v_add_co_ci_u32_e64 v4, null, 0, v2, vcc_lo
	v_cmp_gt_u32_e32 vcc_lo, 6, v3
	s_delay_alu instid0(VALU_DEP_2) | instskip(SKIP_2) | instid1(VALU_DEP_1)
	v_lshlrev_b32_e32 v4, 2, v4
	s_wait_alu 0xfffd
	v_cndmask_b32_e64 v3, 0, 2, vcc_lo
	v_add_lshl_u32 v3, v3, v2, 2
	v_lshlrev_b32_e32 v2, 2, v2
	s_wait_dscnt 0x0
	ds_bpermute_b32 v4, v4, v1
	v_or_b32_e32 v2, 16, v2
	s_wait_dscnt 0x0
	v_add_nc_u32_e32 v1, v4, v1
	ds_bpermute_b32 v3, v3, v1
	s_wait_dscnt 0x0
	v_add_nc_u32_e32 v1, v3, v1
	ds_bpermute_b32 v2, v2, v1
	s_wait_dscnt 0x0
	v_add_nc_u32_e32 v1, v2, v1
.LBB250_521:
	s_or_b32 exec_lo, exec_lo, s3
	s_mov_b32 s3, 0
	s_branch .LBB250_574
.LBB250_522:
                                        ; implicit-def: $vgpr1
	s_cbranch_execnz .LBB250_614
	s_branch .LBB250_623
.LBB250_523:
                                        ; implicit-def: $vgpr1
	s_cbranch_execz .LBB250_597
; %bb.524:
	s_cmp_eq_u32 s44, 4
	s_cbranch_scc0 .LBB250_532
; %bb.525:
	s_mov_b32 s35, 0
	s_lshl_b32 s2, s34, 10
	s_mov_b32 s3, s35
	s_lshr_b64 s[4:5], s[36:37], 10
	s_lshl_b64 s[6:7], s[2:3], 3
	s_cmp_lg_u64 s[4:5], s[34:35]
	s_add_nc_u64 s[4:5], s[40:41], s[6:7]
	s_cbranch_scc0 .LBB250_598
; %bb.526:
	v_lshlrev_b32_e32 v7, 3, v0
	s_mov_b32 s3, exec_lo
	s_clause 0x3
	global_load_b64 v[1:2], v7, s[4:5]
	global_load_b64 v[3:4], v7, s[4:5] offset:4096
	global_load_b64 v[5:6], v7, s[4:5] offset:2048
	;; [unrolled: 1-line block ×3, first 2 shown]
	s_wait_loadcnt 0x3
	v_cmp_ne_u64_e32 vcc_lo, 0, v[1:2]
	v_cndmask_b32_e64 v1, 0, 1, vcc_lo
	s_wait_loadcnt 0x2
	v_cmp_ne_u64_e32 vcc_lo, 0, v[3:4]
	s_wait_alu 0xfffd
	v_cndmask_b32_e64 v2, 0, 1, vcc_lo
	s_wait_loadcnt 0x1
	v_cmp_ne_u64_e32 vcc_lo, 0, v[5:6]
	s_wait_alu 0xfffd
	v_add_co_ci_u32_e64 v1, null, 0, v1, vcc_lo
	s_wait_loadcnt 0x0
	v_cmp_ne_u64_e32 vcc_lo, 0, v[7:8]
	s_wait_alu 0xfffd
	s_delay_alu instid0(VALU_DEP_2) | instskip(NEXT) | instid1(VALU_DEP_1)
	v_add_co_ci_u32_e64 v1, null, v1, v2, vcc_lo
	v_mov_b32_dpp v2, v1 quad_perm:[1,0,3,2] row_mask:0xf bank_mask:0xf
	s_delay_alu instid0(VALU_DEP_1) | instskip(NEXT) | instid1(VALU_DEP_1)
	v_add_nc_u32_e32 v1, v1, v2
	v_mov_b32_dpp v2, v1 quad_perm:[2,3,0,1] row_mask:0xf bank_mask:0xf
	s_delay_alu instid0(VALU_DEP_1) | instskip(NEXT) | instid1(VALU_DEP_1)
	v_add_nc_u32_e32 v1, v1, v2
	v_mov_b32_dpp v2, v1 row_ror:4 row_mask:0xf bank_mask:0xf
	s_delay_alu instid0(VALU_DEP_1) | instskip(NEXT) | instid1(VALU_DEP_1)
	v_add_nc_u32_e32 v1, v1, v2
	v_mov_b32_dpp v2, v1 row_ror:8 row_mask:0xf bank_mask:0xf
	s_delay_alu instid0(VALU_DEP_1)
	v_add_nc_u32_e32 v1, v1, v2
	ds_swizzle_b32 v2, v1 offset:swizzle(BROADCAST,32,15)
	s_wait_dscnt 0x0
	v_dual_mov_b32 v2, 0 :: v_dual_add_nc_u32 v1, v1, v2
	ds_bpermute_b32 v1, v2, v1 offset:124
	v_mbcnt_lo_u32_b32 v2, -1, 0
	s_delay_alu instid0(VALU_DEP_1)
	v_cmpx_eq_u32_e32 0, v2
	s_cbranch_execz .LBB250_528
; %bb.527:
	v_lshrrev_b32_e32 v3, 3, v0
	s_delay_alu instid0(VALU_DEP_1)
	v_and_b32_e32 v3, 28, v3
	s_wait_dscnt 0x0
	ds_store_b32 v3, v1 offset:160
.LBB250_528:
	s_or_b32 exec_lo, exec_lo, s3
	s_delay_alu instid0(SALU_CYCLE_1)
	s_mov_b32 s3, exec_lo
	s_wait_dscnt 0x0
	s_barrier_signal -1
	s_barrier_wait -1
	global_inv scope:SCOPE_SE
	v_cmpx_gt_u32_e32 32, v0
	s_cbranch_execz .LBB250_530
; %bb.529:
	v_and_b32_e32 v1, 7, v2
	s_delay_alu instid0(VALU_DEP_1)
	v_lshlrev_b32_e32 v3, 2, v1
	v_cmp_ne_u32_e32 vcc_lo, 7, v1
	ds_load_b32 v3, v3 offset:160
	s_wait_alu 0xfffd
	v_add_co_ci_u32_e64 v4, null, 0, v2, vcc_lo
	v_cmp_gt_u32_e32 vcc_lo, 6, v1
	s_delay_alu instid0(VALU_DEP_2) | instskip(SKIP_2) | instid1(VALU_DEP_1)
	v_lshlrev_b32_e32 v4, 2, v4
	s_wait_alu 0xfffd
	v_cndmask_b32_e64 v1, 0, 2, vcc_lo
	v_add_lshl_u32 v1, v1, v2, 2
	v_lshlrev_b32_e32 v2, 2, v2
	s_delay_alu instid0(VALU_DEP_1)
	v_or_b32_e32 v2, 16, v2
	s_wait_dscnt 0x0
	ds_bpermute_b32 v4, v4, v3
	s_wait_dscnt 0x0
	v_add_nc_u32_e32 v3, v4, v3
	ds_bpermute_b32 v1, v1, v3
	s_wait_dscnt 0x0
	v_add_nc_u32_e32 v1, v1, v3
	ds_bpermute_b32 v2, v2, v1
	s_wait_dscnt 0x0
	v_add_nc_u32_e32 v1, v2, v1
.LBB250_530:
	s_or_b32 exec_lo, exec_lo, s3
	s_mov_b32 s3, 0
	s_branch .LBB250_599
.LBB250_531:
                                        ; implicit-def: $vgpr1
	s_branch .LBB250_597
.LBB250_532:
                                        ; implicit-def: $vgpr1
	s_branch .LBB250_623
.LBB250_533:
	s_mov_b32 s3, -1
                                        ; implicit-def: $vgpr1
.LBB250_534:
	s_delay_alu instid0(SALU_CYCLE_1)
	s_and_b32 vcc_lo, exec_lo, s3
	s_wait_alu 0xfffe
	s_cbranch_vccz .LBB250_572
; %bb.535:
	v_mov_b32_e32 v1, 0
	s_sub_co_i32 s18, s36, s2
	s_mov_b32 s2, exec_lo
	s_delay_alu instid0(VALU_DEP_1)
	v_dual_mov_b32 v2, v1 :: v_dual_mov_b32 v3, v1
	v_dual_mov_b32 v4, v1 :: v_dual_mov_b32 v5, v1
	;; [unrolled: 1-line block ×7, first 2 shown]
	v_mov_b32_e32 v16, v1
	v_cmpx_gt_u32_e64 s18, v0
	s_cbranch_execz .LBB250_537
; %bb.536:
	v_dual_mov_b32 v3, v1 :: v_dual_lshlrev_b32 v2, 3, v0
	v_dual_mov_b32 v16, v1 :: v_dual_mov_b32 v17, v1
	v_dual_mov_b32 v4, v1 :: v_dual_mov_b32 v5, v1
	global_load_b64 v[13:14], v2, s[16:17]
	v_dual_mov_b32 v6, v1 :: v_dual_mov_b32 v7, v1
	v_dual_mov_b32 v8, v1 :: v_dual_mov_b32 v9, v1
	;; [unrolled: 1-line block ×4, first 2 shown]
	s_wait_loadcnt 0x0
	v_cmp_ne_u64_e32 vcc_lo, 0, v[13:14]
	v_dual_mov_b32 v13, v1 :: v_dual_mov_b32 v14, v1
	s_wait_alu 0xfffd
	v_cndmask_b32_e64 v2, 0, 1, vcc_lo
	s_delay_alu instid0(VALU_DEP_1) | instskip(NEXT) | instid1(VALU_DEP_1)
	v_and_b32_e32 v2, 0xffff, v2
	v_mov_b32_e32 v1, v2
	v_mov_b32_e32 v2, v3
	;; [unrolled: 1-line block ×16, first 2 shown]
.LBB250_537:
	s_or_b32 exec_lo, exec_lo, s2
	v_or_b32_e32 v17, 0x100, v0
	s_delay_alu instid0(VALU_DEP_1)
	v_cmp_gt_u32_e32 vcc_lo, s18, v17
	s_and_saveexec_b32 s3, vcc_lo
	s_cbranch_execz .LBB250_539
; %bb.538:
	v_lshlrev_b32_e32 v2, 3, v0
	global_load_b64 v[17:18], v2, s[16:17] offset:2048
	s_wait_loadcnt 0x0
	v_cmp_ne_u64_e64 s2, 0, v[17:18]
	s_delay_alu instid0(VALU_DEP_1)
	v_cndmask_b32_e64 v2, 0, 1, s2
.LBB250_539:
	s_or_b32 exec_lo, exec_lo, s3
	v_or_b32_e32 v17, 0x200, v0
	s_delay_alu instid0(VALU_DEP_1)
	v_cmp_gt_u32_e64 s2, s18, v17
	s_and_saveexec_b32 s4, s2
	s_cbranch_execz .LBB250_541
; %bb.540:
	v_lshlrev_b32_e32 v3, 3, v0
	global_load_b64 v[17:18], v3, s[16:17] offset:4096
	s_wait_loadcnt 0x0
	v_cmp_ne_u64_e64 s3, 0, v[17:18]
	s_wait_alu 0xf1ff
	s_delay_alu instid0(VALU_DEP_1)
	v_cndmask_b32_e64 v3, 0, 1, s3
.LBB250_541:
	s_or_b32 exec_lo, exec_lo, s4
	v_or_b32_e32 v17, 0x300, v0
	s_delay_alu instid0(VALU_DEP_1)
	v_cmp_gt_u32_e64 s3, s18, v17
	s_and_saveexec_b32 s5, s3
	s_cbranch_execz .LBB250_543
; %bb.542:
	v_lshlrev_b32_e32 v4, 3, v0
	global_load_b64 v[17:18], v4, s[16:17] offset:6144
	s_wait_loadcnt 0x0
	v_cmp_ne_u64_e64 s4, 0, v[17:18]
	s_delay_alu instid0(VALU_DEP_1)
	v_cndmask_b32_e64 v4, 0, 1, s4
.LBB250_543:
	s_or_b32 exec_lo, exec_lo, s5
	v_or_b32_e32 v17, 0x400, v0
	s_delay_alu instid0(VALU_DEP_1)
	v_cmp_gt_u32_e64 s4, s18, v17
	s_and_saveexec_b32 s6, s4
	s_cbranch_execz .LBB250_545
; %bb.544:
	v_lshlrev_b32_e32 v5, 3, v0
	global_load_b64 v[17:18], v5, s[16:17] offset:8192
	s_wait_loadcnt 0x0
	v_cmp_ne_u64_e64 s5, 0, v[17:18]
	s_wait_alu 0xf1ff
	s_delay_alu instid0(VALU_DEP_1)
	v_cndmask_b32_e64 v5, 0, 1, s5
.LBB250_545:
	s_or_b32 exec_lo, exec_lo, s6
	v_or_b32_e32 v17, 0x500, v0
	s_delay_alu instid0(VALU_DEP_1)
	v_cmp_gt_u32_e64 s5, s18, v17
	s_and_saveexec_b32 s7, s5
	s_cbranch_execz .LBB250_547
; %bb.546:
	v_lshlrev_b32_e32 v6, 3, v0
	global_load_b64 v[17:18], v6, s[16:17] offset:10240
	s_wait_loadcnt 0x0
	v_cmp_ne_u64_e64 s6, 0, v[17:18]
	s_delay_alu instid0(VALU_DEP_1)
	v_cndmask_b32_e64 v6, 0, 1, s6
.LBB250_547:
	s_or_b32 exec_lo, exec_lo, s7
	v_or_b32_e32 v17, 0x600, v0
	s_delay_alu instid0(VALU_DEP_1)
	v_cmp_gt_u32_e64 s6, s18, v17
	s_and_saveexec_b32 s8, s6
	s_cbranch_execz .LBB250_549
; %bb.548:
	v_lshlrev_b32_e32 v7, 3, v0
	global_load_b64 v[17:18], v7, s[16:17] offset:12288
	s_wait_loadcnt 0x0
	v_cmp_ne_u64_e64 s7, 0, v[17:18]
	s_wait_alu 0xf1ff
	s_delay_alu instid0(VALU_DEP_1)
	v_cndmask_b32_e64 v7, 0, 1, s7
.LBB250_549:
	s_or_b32 exec_lo, exec_lo, s8
	v_or_b32_e32 v17, 0x700, v0
	s_delay_alu instid0(VALU_DEP_1)
	v_cmp_gt_u32_e64 s7, s18, v17
	s_and_saveexec_b32 s9, s7
	s_cbranch_execz .LBB250_551
; %bb.550:
	v_lshlrev_b32_e32 v8, 3, v0
	global_load_b64 v[17:18], v8, s[16:17] offset:14336
	s_wait_loadcnt 0x0
	v_cmp_ne_u64_e64 s8, 0, v[17:18]
	s_delay_alu instid0(VALU_DEP_1)
	v_cndmask_b32_e64 v8, 0, 1, s8
.LBB250_551:
	s_or_b32 exec_lo, exec_lo, s9
	v_or_b32_e32 v17, 0x800, v0
	s_delay_alu instid0(VALU_DEP_1)
	v_cmp_gt_u32_e64 s8, s18, v17
	s_and_saveexec_b32 s10, s8
	s_cbranch_execz .LBB250_553
; %bb.552:
	v_lshlrev_b32_e32 v9, 3, v0
	global_load_b64 v[17:18], v9, s[16:17] offset:16384
	s_wait_loadcnt 0x0
	v_cmp_ne_u64_e64 s9, 0, v[17:18]
	s_wait_alu 0xf1ff
	s_delay_alu instid0(VALU_DEP_1)
	v_cndmask_b32_e64 v9, 0, 1, s9
.LBB250_553:
	s_or_b32 exec_lo, exec_lo, s10
	v_or_b32_e32 v17, 0x900, v0
	s_delay_alu instid0(VALU_DEP_1)
	v_cmp_gt_u32_e64 s9, s18, v17
	s_and_saveexec_b32 s11, s9
	s_cbranch_execz .LBB250_555
; %bb.554:
	v_lshlrev_b32_e32 v10, 3, v0
	global_load_b64 v[17:18], v10, s[16:17] offset:18432
	s_wait_loadcnt 0x0
	v_cmp_ne_u64_e64 s10, 0, v[17:18]
	s_delay_alu instid0(VALU_DEP_1)
	v_cndmask_b32_e64 v10, 0, 1, s10
.LBB250_555:
	s_or_b32 exec_lo, exec_lo, s11
	v_or_b32_e32 v17, 0xa00, v0
	s_delay_alu instid0(VALU_DEP_1)
	v_cmp_gt_u32_e64 s10, s18, v17
	s_and_saveexec_b32 s12, s10
	s_cbranch_execz .LBB250_557
; %bb.556:
	v_lshlrev_b32_e32 v11, 3, v0
	global_load_b64 v[17:18], v11, s[16:17] offset:20480
	s_wait_loadcnt 0x0
	v_cmp_ne_u64_e64 s11, 0, v[17:18]
	s_wait_alu 0xf1ff
	s_delay_alu instid0(VALU_DEP_1)
	v_cndmask_b32_e64 v11, 0, 1, s11
.LBB250_557:
	s_or_b32 exec_lo, exec_lo, s12
	v_or_b32_e32 v17, 0xb00, v0
	s_delay_alu instid0(VALU_DEP_1)
	v_cmp_gt_u32_e64 s11, s18, v17
	s_and_saveexec_b32 s13, s11
	s_cbranch_execz .LBB250_559
; %bb.558:
	v_lshlrev_b32_e32 v12, 3, v0
	global_load_b64 v[17:18], v12, s[16:17] offset:22528
	s_wait_loadcnt 0x0
	v_cmp_ne_u64_e64 s12, 0, v[17:18]
	s_delay_alu instid0(VALU_DEP_1)
	v_cndmask_b32_e64 v12, 0, 1, s12
.LBB250_559:
	s_or_b32 exec_lo, exec_lo, s13
	v_or_b32_e32 v17, 0xc00, v0
	s_delay_alu instid0(VALU_DEP_1)
	v_cmp_gt_u32_e64 s12, s18, v17
	s_and_saveexec_b32 s14, s12
	s_cbranch_execz .LBB250_561
; %bb.560:
	v_lshlrev_b32_e32 v13, 3, v0
	global_load_b64 v[17:18], v13, s[16:17] offset:24576
	s_wait_loadcnt 0x0
	v_cmp_ne_u64_e64 s13, 0, v[17:18]
	s_wait_alu 0xf1ff
	s_delay_alu instid0(VALU_DEP_1)
	v_cndmask_b32_e64 v13, 0, 1, s13
.LBB250_561:
	s_or_b32 exec_lo, exec_lo, s14
	v_or_b32_e32 v17, 0xd00, v0
	s_delay_alu instid0(VALU_DEP_1)
	v_cmp_gt_u32_e64 s13, s18, v17
	s_and_saveexec_b32 s15, s13
	s_cbranch_execz .LBB250_563
; %bb.562:
	v_lshlrev_b32_e32 v14, 3, v0
	global_load_b64 v[17:18], v14, s[16:17] offset:26624
	s_wait_loadcnt 0x0
	v_cmp_ne_u64_e64 s14, 0, v[17:18]
	s_delay_alu instid0(VALU_DEP_1)
	v_cndmask_b32_e64 v14, 0, 1, s14
.LBB250_563:
	s_or_b32 exec_lo, exec_lo, s15
	v_or_b32_e32 v17, 0xe00, v0
	s_delay_alu instid0(VALU_DEP_1)
	v_cmp_gt_u32_e64 s14, s18, v17
	s_and_saveexec_b32 s19, s14
	s_cbranch_execz .LBB250_565
; %bb.564:
	v_lshlrev_b32_e32 v15, 3, v0
	global_load_b64 v[17:18], v15, s[16:17] offset:28672
	s_wait_loadcnt 0x0
	v_cmp_ne_u64_e64 s15, 0, v[17:18]
	s_wait_alu 0xf1ff
	s_delay_alu instid0(VALU_DEP_1)
	v_cndmask_b32_e64 v15, 0, 1, s15
.LBB250_565:
	s_wait_alu 0xfffe
	s_or_b32 exec_lo, exec_lo, s19
	v_or_b32_e32 v17, 0xf00, v0
	s_delay_alu instid0(VALU_DEP_1)
	v_cmp_gt_u32_e64 s15, s18, v17
	s_and_saveexec_b32 s19, s15
	s_cbranch_execz .LBB250_567
; %bb.566:
	v_lshlrev_b32_e32 v16, 3, v0
	global_load_b64 v[16:17], v16, s[16:17] offset:30720
	s_wait_loadcnt 0x0
	v_cmp_ne_u64_e64 s16, 0, v[16:17]
	s_delay_alu instid0(VALU_DEP_1)
	v_cndmask_b32_e64 v16, 0, 1, s16
.LBB250_567:
	s_wait_alu 0xfffe
	s_or_b32 exec_lo, exec_lo, s19
	v_cndmask_b32_e32 v2, 0, v2, vcc_lo
	v_cndmask_b32_e64 v3, 0, v3, s2
	v_cndmask_b32_e64 v4, 0, v4, s3
	s_min_u32 s2, s18, 0x100
	s_mov_b32 s3, exec_lo
	v_add_nc_u32_e32 v1, v2, v1
	v_cndmask_b32_e64 v2, 0, v5, s4
	v_cndmask_b32_e64 v5, 0, v6, s5
	;; [unrolled: 1-line block ×3, first 2 shown]
	s_delay_alu instid0(VALU_DEP_4) | instskip(SKIP_3) | instid1(VALU_DEP_4)
	v_add3_u32 v1, v1, v3, v4
	v_cndmask_b32_e64 v3, 0, v7, s6
	v_cndmask_b32_e64 v4, 0, v8, s7
	;; [unrolled: 1-line block ×3, first 2 shown]
	v_add3_u32 v1, v1, v2, v5
	v_cndmask_b32_e64 v2, 0, v9, s8
	v_cndmask_b32_e64 v5, 0, v10, s9
	s_delay_alu instid0(VALU_DEP_3) | instskip(SKIP_2) | instid1(VALU_DEP_3)
	v_add3_u32 v1, v1, v3, v4
	v_cndmask_b32_e64 v3, 0, v11, s10
	v_cndmask_b32_e64 v4, 0, v12, s11
	v_add3_u32 v1, v1, v2, v5
	v_mbcnt_lo_u32_b32 v2, -1, 0
	v_cndmask_b32_e64 v5, 0, v13, s12
	s_delay_alu instid0(VALU_DEP_3) | instskip(NEXT) | instid1(VALU_DEP_3)
	v_add3_u32 v1, v1, v3, v4
	v_cmp_ne_u32_e32 vcc_lo, 31, v2
	v_cndmask_b32_e64 v3, 0, v16, s15
	s_delay_alu instid0(VALU_DEP_3)
	v_add3_u32 v1, v1, v5, v6
	s_wait_alu 0xfffd
	v_add_co_ci_u32_e64 v4, null, 0, v2, vcc_lo
	v_add_nc_u32_e32 v5, 1, v2
	v_cmp_gt_u32_e32 vcc_lo, 30, v2
	v_add3_u32 v1, v1, v7, v3
	s_delay_alu instid0(VALU_DEP_4)
	v_lshlrev_b32_e32 v4, 2, v4
	s_wait_alu 0xfffd
	v_cndmask_b32_e64 v6, 0, 2, vcc_lo
	ds_bpermute_b32 v3, v4, v1
	v_and_b32_e32 v4, 0xe0, v0
	s_wait_alu 0xfffe
	s_delay_alu instid0(VALU_DEP_1) | instskip(NEXT) | instid1(VALU_DEP_1)
	v_sub_nc_u32_e64 v4, s2, v4 clamp
	v_cmp_lt_u32_e32 vcc_lo, v5, v4
	v_add_lshl_u32 v5, v6, v2, 2
	s_wait_dscnt 0x0
	s_wait_alu 0xfffd
	v_cndmask_b32_e32 v3, 0, v3, vcc_lo
	v_cmp_gt_u32_e32 vcc_lo, 28, v2
	s_delay_alu instid0(VALU_DEP_2) | instskip(SKIP_4) | instid1(VALU_DEP_1)
	v_add_nc_u32_e32 v1, v1, v3
	s_wait_alu 0xfffd
	v_cndmask_b32_e64 v6, 0, 4, vcc_lo
	ds_bpermute_b32 v3, v5, v1
	v_add_nc_u32_e32 v5, 2, v2
	v_cmp_lt_u32_e32 vcc_lo, v5, v4
	v_add_lshl_u32 v5, v6, v2, 2
	s_wait_dscnt 0x0
	s_wait_alu 0xfffd
	v_cndmask_b32_e32 v3, 0, v3, vcc_lo
	v_cmp_gt_u32_e32 vcc_lo, 24, v2
	s_delay_alu instid0(VALU_DEP_2) | instskip(SKIP_4) | instid1(VALU_DEP_1)
	v_add_nc_u32_e32 v1, v1, v3
	s_wait_alu 0xfffd
	v_cndmask_b32_e64 v6, 0, 8, vcc_lo
	ds_bpermute_b32 v3, v5, v1
	v_add_nc_u32_e32 v5, 4, v2
	v_cmp_lt_u32_e32 vcc_lo, v5, v4
	v_add_lshl_u32 v5, v6, v2, 2
	s_wait_dscnt 0x0
	s_wait_alu 0xfffd
	v_cndmask_b32_e32 v3, 0, v3, vcc_lo
	s_delay_alu instid0(VALU_DEP_1) | instskip(SKIP_3) | instid1(VALU_DEP_1)
	v_add_nc_u32_e32 v1, v1, v3
	v_lshlrev_b32_e32 v3, 2, v2
	ds_bpermute_b32 v5, v5, v1
	v_add_nc_u32_e32 v6, 8, v2
	v_cmp_lt_u32_e32 vcc_lo, v6, v4
	v_or_b32_e32 v6, 64, v3
	s_wait_dscnt 0x0
	s_wait_alu 0xfffd
	v_cndmask_b32_e32 v5, 0, v5, vcc_lo
	s_delay_alu instid0(VALU_DEP_1) | instskip(SKIP_2) | instid1(VALU_DEP_1)
	v_add_nc_u32_e32 v1, v1, v5
	ds_bpermute_b32 v5, v6, v1
	v_add_nc_u32_e32 v6, 16, v2
	v_cmp_lt_u32_e32 vcc_lo, v6, v4
	s_wait_dscnt 0x0
	s_wait_alu 0xfffd
	v_cndmask_b32_e32 v4, 0, v5, vcc_lo
	s_delay_alu instid0(VALU_DEP_1)
	v_add_nc_u32_e32 v1, v1, v4
	v_cmpx_eq_u32_e32 0, v2
; %bb.568:
	v_lshrrev_b32_e32 v4, 3, v0
	s_delay_alu instid0(VALU_DEP_1)
	v_and_b32_e32 v4, 28, v4
	ds_store_b32 v4, v1 offset:256
; %bb.569:
	s_or_b32 exec_lo, exec_lo, s3
	s_delay_alu instid0(SALU_CYCLE_1)
	s_mov_b32 s3, exec_lo
	s_wait_loadcnt_dscnt 0x0
	s_barrier_signal -1
	s_barrier_wait -1
	global_inv scope:SCOPE_SE
	v_cmpx_gt_u32_e32 8, v0
	s_cbranch_execz .LBB250_571
; %bb.570:
	ds_load_b32 v1, v3 offset:256
	v_and_b32_e32 v4, 7, v2
	s_add_co_i32 s2, s2, 31
	s_wait_alu 0xfffe
	s_lshr_b32 s2, s2, 5
	s_delay_alu instid0(VALU_DEP_1) | instskip(SKIP_4) | instid1(VALU_DEP_2)
	v_cmp_ne_u32_e32 vcc_lo, 7, v4
	v_add_nc_u32_e32 v6, 1, v4
	s_wait_alu 0xfffd
	v_add_co_ci_u32_e64 v5, null, 0, v2, vcc_lo
	v_cmp_gt_u32_e32 vcc_lo, 6, v4
	v_lshlrev_b32_e32 v5, 2, v5
	s_wait_alu 0xfffd
	v_cndmask_b32_e64 v7, 0, 2, vcc_lo
	s_wait_alu 0xfffe
	v_cmp_gt_u32_e32 vcc_lo, s2, v6
	s_wait_dscnt 0x0
	ds_bpermute_b32 v5, v5, v1
	v_add_lshl_u32 v2, v7, v2, 2
	s_wait_dscnt 0x0
	s_wait_alu 0xfffd
	v_cndmask_b32_e32 v5, 0, v5, vcc_lo
	s_delay_alu instid0(VALU_DEP_1)
	v_add_nc_u32_e32 v1, v5, v1
	v_add_nc_u32_e32 v5, 2, v4
	ds_bpermute_b32 v2, v2, v1
	v_cmp_gt_u32_e32 vcc_lo, s2, v5
	s_wait_dscnt 0x0
	s_wait_alu 0xfffd
	v_cndmask_b32_e32 v2, 0, v2, vcc_lo
	s_delay_alu instid0(VALU_DEP_1)
	v_add_nc_u32_e32 v1, v1, v2
	v_or_b32_e32 v2, 16, v3
	v_add_nc_u32_e32 v3, 4, v4
	ds_bpermute_b32 v2, v2, v1
	v_cmp_gt_u32_e32 vcc_lo, s2, v3
	s_wait_dscnt 0x0
	s_wait_alu 0xfffd
	v_cndmask_b32_e32 v2, 0, v2, vcc_lo
	s_delay_alu instid0(VALU_DEP_1)
	v_add_nc_u32_e32 v1, v1, v2
.LBB250_571:
	s_wait_alu 0xfffe
	s_or_b32 exec_lo, exec_lo, s3
.LBB250_572:
	v_cmp_eq_u32_e64 s2, 0, v0
	s_branch .LBB250_623
.LBB250_573:
	s_mov_b32 s3, -1
                                        ; implicit-def: $vgpr1
.LBB250_574:
	s_delay_alu instid0(SALU_CYCLE_1)
	s_and_b32 vcc_lo, exec_lo, s3
	s_wait_alu 0xfffe
	s_cbranch_vccz .LBB250_596
; %bb.575:
	v_mov_b32_e32 v1, 0
	s_sub_co_i32 s10, s36, s2
	s_mov_b32 s2, exec_lo
	s_delay_alu instid0(VALU_DEP_1)
	v_dual_mov_b32 v2, v1 :: v_dual_mov_b32 v3, v1
	v_dual_mov_b32 v4, v1 :: v_dual_mov_b32 v5, v1
	;; [unrolled: 1-line block ×3, first 2 shown]
	v_mov_b32_e32 v8, v1
	v_cmpx_gt_u32_e64 s10, v0
	s_cbranch_execz .LBB250_577
; %bb.576:
	v_dual_mov_b32 v3, v1 :: v_dual_lshlrev_b32 v2, 3, v0
	v_dual_mov_b32 v8, v1 :: v_dual_mov_b32 v9, v1
	v_mov_b32_e32 v4, v1
	global_load_b64 v[5:6], v2, s[8:9]
	v_mov_b32_e32 v7, v1
	s_wait_loadcnt 0x0
	v_cmp_ne_u64_e32 vcc_lo, 0, v[5:6]
	v_dual_mov_b32 v5, v1 :: v_dual_mov_b32 v6, v1
	s_wait_alu 0xfffd
	v_cndmask_b32_e64 v2, 0, 1, vcc_lo
	s_delay_alu instid0(VALU_DEP_1) | instskip(NEXT) | instid1(VALU_DEP_1)
	v_and_b32_e32 v2, 0xffff, v2
	v_mov_b32_e32 v1, v2
	v_mov_b32_e32 v2, v3
	;; [unrolled: 1-line block ×8, first 2 shown]
.LBB250_577:
	s_or_b32 exec_lo, exec_lo, s2
	v_or_b32_e32 v9, 0x100, v0
	s_delay_alu instid0(VALU_DEP_1)
	v_cmp_gt_u32_e32 vcc_lo, s10, v9
	s_and_saveexec_b32 s3, vcc_lo
	s_cbranch_execz .LBB250_579
; %bb.578:
	v_lshlrev_b32_e32 v2, 3, v0
	global_load_b64 v[9:10], v2, s[8:9] offset:2048
	s_wait_loadcnt 0x0
	v_cmp_ne_u64_e64 s2, 0, v[9:10]
	s_delay_alu instid0(VALU_DEP_1)
	v_cndmask_b32_e64 v2, 0, 1, s2
.LBB250_579:
	s_or_b32 exec_lo, exec_lo, s3
	v_or_b32_e32 v9, 0x200, v0
	s_delay_alu instid0(VALU_DEP_1)
	v_cmp_gt_u32_e64 s2, s10, v9
	s_and_saveexec_b32 s4, s2
	s_cbranch_execz .LBB250_581
; %bb.580:
	v_lshlrev_b32_e32 v3, 3, v0
	global_load_b64 v[9:10], v3, s[8:9] offset:4096
	s_wait_loadcnt 0x0
	v_cmp_ne_u64_e64 s3, 0, v[9:10]
	s_wait_alu 0xf1ff
	s_delay_alu instid0(VALU_DEP_1)
	v_cndmask_b32_e64 v3, 0, 1, s3
.LBB250_581:
	s_or_b32 exec_lo, exec_lo, s4
	v_or_b32_e32 v9, 0x300, v0
	s_delay_alu instid0(VALU_DEP_1)
	v_cmp_gt_u32_e64 s3, s10, v9
	s_and_saveexec_b32 s5, s3
	s_cbranch_execz .LBB250_583
; %bb.582:
	v_lshlrev_b32_e32 v4, 3, v0
	global_load_b64 v[9:10], v4, s[8:9] offset:6144
	s_wait_loadcnt 0x0
	v_cmp_ne_u64_e64 s4, 0, v[9:10]
	s_delay_alu instid0(VALU_DEP_1)
	v_cndmask_b32_e64 v4, 0, 1, s4
.LBB250_583:
	s_or_b32 exec_lo, exec_lo, s5
	v_or_b32_e32 v9, 0x400, v0
	s_delay_alu instid0(VALU_DEP_1)
	v_cmp_gt_u32_e64 s4, s10, v9
	s_and_saveexec_b32 s6, s4
	s_cbranch_execz .LBB250_585
; %bb.584:
	v_lshlrev_b32_e32 v5, 3, v0
	global_load_b64 v[9:10], v5, s[8:9] offset:8192
	s_wait_loadcnt 0x0
	v_cmp_ne_u64_e64 s5, 0, v[9:10]
	s_wait_alu 0xf1ff
	s_delay_alu instid0(VALU_DEP_1)
	v_cndmask_b32_e64 v5, 0, 1, s5
.LBB250_585:
	s_or_b32 exec_lo, exec_lo, s6
	v_or_b32_e32 v9, 0x500, v0
	s_delay_alu instid0(VALU_DEP_1)
	v_cmp_gt_u32_e64 s5, s10, v9
	s_and_saveexec_b32 s7, s5
	s_cbranch_execz .LBB250_587
; %bb.586:
	v_lshlrev_b32_e32 v6, 3, v0
	global_load_b64 v[9:10], v6, s[8:9] offset:10240
	s_wait_loadcnt 0x0
	v_cmp_ne_u64_e64 s6, 0, v[9:10]
	s_delay_alu instid0(VALU_DEP_1)
	v_cndmask_b32_e64 v6, 0, 1, s6
.LBB250_587:
	s_or_b32 exec_lo, exec_lo, s7
	v_or_b32_e32 v9, 0x600, v0
	s_delay_alu instid0(VALU_DEP_1)
	v_cmp_gt_u32_e64 s6, s10, v9
	s_and_saveexec_b32 s11, s6
	s_cbranch_execz .LBB250_589
; %bb.588:
	v_lshlrev_b32_e32 v7, 3, v0
	global_load_b64 v[9:10], v7, s[8:9] offset:12288
	s_wait_loadcnt 0x0
	v_cmp_ne_u64_e64 s7, 0, v[9:10]
	s_wait_alu 0xf1ff
	s_delay_alu instid0(VALU_DEP_1)
	v_cndmask_b32_e64 v7, 0, 1, s7
.LBB250_589:
	s_wait_alu 0xfffe
	s_or_b32 exec_lo, exec_lo, s11
	v_or_b32_e32 v9, 0x700, v0
	s_delay_alu instid0(VALU_DEP_1)
	v_cmp_gt_u32_e64 s7, s10, v9
	s_and_saveexec_b32 s11, s7
	s_cbranch_execz .LBB250_591
; %bb.590:
	v_lshlrev_b32_e32 v8, 3, v0
	global_load_b64 v[8:9], v8, s[8:9] offset:14336
	s_wait_loadcnt 0x0
	v_cmp_ne_u64_e64 s8, 0, v[8:9]
	s_delay_alu instid0(VALU_DEP_1)
	v_cndmask_b32_e64 v8, 0, 1, s8
.LBB250_591:
	s_wait_alu 0xfffe
	s_or_b32 exec_lo, exec_lo, s11
	v_cndmask_b32_e32 v2, 0, v2, vcc_lo
	v_cndmask_b32_e64 v3, 0, v3, s2
	v_cndmask_b32_e64 v4, 0, v4, s3
	;; [unrolled: 1-line block ×4, first 2 shown]
	v_add_nc_u32_e32 v1, v2, v1
	v_mbcnt_lo_u32_b32 v2, -1, 0
	v_cndmask_b32_e64 v7, 0, v7, s6
	s_min_u32 s2, s10, 0x100
	s_mov_b32 s3, exec_lo
	v_add3_u32 v1, v1, v3, v4
	v_cmp_ne_u32_e32 vcc_lo, 31, v2
	v_cndmask_b32_e64 v3, 0, v8, s7
	s_delay_alu instid0(VALU_DEP_3)
	v_add3_u32 v1, v1, v5, v6
	s_wait_alu 0xfffd
	v_add_co_ci_u32_e64 v4, null, 0, v2, vcc_lo
	v_add_nc_u32_e32 v5, 1, v2
	v_cmp_gt_u32_e32 vcc_lo, 30, v2
	v_add3_u32 v1, v1, v7, v3
	s_delay_alu instid0(VALU_DEP_4)
	v_lshlrev_b32_e32 v4, 2, v4
	s_wait_alu 0xfffd
	v_cndmask_b32_e64 v6, 0, 2, vcc_lo
	ds_bpermute_b32 v3, v4, v1
	v_and_b32_e32 v4, 0xe0, v0
	s_wait_alu 0xfffe
	s_delay_alu instid0(VALU_DEP_1) | instskip(NEXT) | instid1(VALU_DEP_1)
	v_sub_nc_u32_e64 v4, s2, v4 clamp
	v_cmp_lt_u32_e32 vcc_lo, v5, v4
	v_add_lshl_u32 v5, v6, v2, 2
	s_wait_dscnt 0x0
	s_wait_alu 0xfffd
	v_cndmask_b32_e32 v3, 0, v3, vcc_lo
	v_cmp_gt_u32_e32 vcc_lo, 28, v2
	s_delay_alu instid0(VALU_DEP_2) | instskip(SKIP_4) | instid1(VALU_DEP_1)
	v_add_nc_u32_e32 v1, v1, v3
	s_wait_alu 0xfffd
	v_cndmask_b32_e64 v6, 0, 4, vcc_lo
	ds_bpermute_b32 v3, v5, v1
	v_add_nc_u32_e32 v5, 2, v2
	v_cmp_lt_u32_e32 vcc_lo, v5, v4
	v_add_lshl_u32 v5, v6, v2, 2
	s_wait_dscnt 0x0
	s_wait_alu 0xfffd
	v_cndmask_b32_e32 v3, 0, v3, vcc_lo
	v_cmp_gt_u32_e32 vcc_lo, 24, v2
	s_delay_alu instid0(VALU_DEP_2) | instskip(SKIP_4) | instid1(VALU_DEP_1)
	v_add_nc_u32_e32 v1, v1, v3
	s_wait_alu 0xfffd
	v_cndmask_b32_e64 v6, 0, 8, vcc_lo
	ds_bpermute_b32 v3, v5, v1
	v_add_nc_u32_e32 v5, 4, v2
	v_cmp_lt_u32_e32 vcc_lo, v5, v4
	v_add_lshl_u32 v5, v6, v2, 2
	s_wait_dscnt 0x0
	s_wait_alu 0xfffd
	v_cndmask_b32_e32 v3, 0, v3, vcc_lo
	s_delay_alu instid0(VALU_DEP_1) | instskip(SKIP_3) | instid1(VALU_DEP_1)
	v_add_nc_u32_e32 v1, v1, v3
	v_lshlrev_b32_e32 v3, 2, v2
	ds_bpermute_b32 v5, v5, v1
	v_add_nc_u32_e32 v6, 8, v2
	v_cmp_lt_u32_e32 vcc_lo, v6, v4
	v_or_b32_e32 v6, 64, v3
	s_wait_dscnt 0x0
	s_wait_alu 0xfffd
	v_cndmask_b32_e32 v5, 0, v5, vcc_lo
	s_delay_alu instid0(VALU_DEP_1) | instskip(SKIP_2) | instid1(VALU_DEP_1)
	v_add_nc_u32_e32 v1, v1, v5
	ds_bpermute_b32 v5, v6, v1
	v_add_nc_u32_e32 v6, 16, v2
	v_cmp_lt_u32_e32 vcc_lo, v6, v4
	s_wait_dscnt 0x0
	s_wait_alu 0xfffd
	v_cndmask_b32_e32 v4, 0, v5, vcc_lo
	s_delay_alu instid0(VALU_DEP_1)
	v_add_nc_u32_e32 v1, v1, v4
	v_cmpx_eq_u32_e32 0, v2
; %bb.592:
	v_lshrrev_b32_e32 v4, 3, v0
	s_delay_alu instid0(VALU_DEP_1)
	v_and_b32_e32 v4, 28, v4
	ds_store_b32 v4, v1 offset:256
; %bb.593:
	s_or_b32 exec_lo, exec_lo, s3
	s_delay_alu instid0(SALU_CYCLE_1)
	s_mov_b32 s3, exec_lo
	s_wait_loadcnt_dscnt 0x0
	s_barrier_signal -1
	s_barrier_wait -1
	global_inv scope:SCOPE_SE
	v_cmpx_gt_u32_e32 8, v0
	s_cbranch_execz .LBB250_595
; %bb.594:
	ds_load_b32 v1, v3 offset:256
	v_and_b32_e32 v4, 7, v2
	s_add_co_i32 s2, s2, 31
	s_wait_alu 0xfffe
	s_lshr_b32 s2, s2, 5
	s_delay_alu instid0(VALU_DEP_1) | instskip(SKIP_4) | instid1(VALU_DEP_2)
	v_cmp_ne_u32_e32 vcc_lo, 7, v4
	v_add_nc_u32_e32 v6, 1, v4
	s_wait_alu 0xfffd
	v_add_co_ci_u32_e64 v5, null, 0, v2, vcc_lo
	v_cmp_gt_u32_e32 vcc_lo, 6, v4
	v_lshlrev_b32_e32 v5, 2, v5
	s_wait_alu 0xfffd
	v_cndmask_b32_e64 v7, 0, 2, vcc_lo
	s_wait_alu 0xfffe
	v_cmp_gt_u32_e32 vcc_lo, s2, v6
	s_wait_dscnt 0x0
	ds_bpermute_b32 v5, v5, v1
	v_add_lshl_u32 v2, v7, v2, 2
	s_wait_dscnt 0x0
	s_wait_alu 0xfffd
	v_cndmask_b32_e32 v5, 0, v5, vcc_lo
	s_delay_alu instid0(VALU_DEP_1)
	v_add_nc_u32_e32 v1, v5, v1
	v_add_nc_u32_e32 v5, 2, v4
	ds_bpermute_b32 v2, v2, v1
	v_cmp_gt_u32_e32 vcc_lo, s2, v5
	s_wait_dscnt 0x0
	s_wait_alu 0xfffd
	v_cndmask_b32_e32 v2, 0, v2, vcc_lo
	s_delay_alu instid0(VALU_DEP_1)
	v_add_nc_u32_e32 v1, v1, v2
	v_or_b32_e32 v2, 16, v3
	v_add_nc_u32_e32 v3, 4, v4
	ds_bpermute_b32 v2, v2, v1
	v_cmp_gt_u32_e32 vcc_lo, s2, v3
	s_wait_dscnt 0x0
	s_wait_alu 0xfffd
	v_cndmask_b32_e32 v2, 0, v2, vcc_lo
	s_delay_alu instid0(VALU_DEP_1)
	v_add_nc_u32_e32 v1, v1, v2
.LBB250_595:
	s_wait_alu 0xfffe
	s_or_b32 exec_lo, exec_lo, s3
.LBB250_596:
	v_cmp_eq_u32_e64 s2, 0, v0
.LBB250_597:
	s_branch .LBB250_623
.LBB250_598:
	s_mov_b32 s3, -1
                                        ; implicit-def: $vgpr1
.LBB250_599:
	s_delay_alu instid0(SALU_CYCLE_1)
	s_and_b32 vcc_lo, exec_lo, s3
	s_wait_alu 0xfffe
	s_cbranch_vccz .LBB250_613
; %bb.600:
	v_mov_b32_e32 v1, 0
	s_sub_co_i32 s6, s36, s2
	s_mov_b32 s2, exec_lo
	s_delay_alu instid0(VALU_DEP_1)
	v_dual_mov_b32 v2, v1 :: v_dual_mov_b32 v3, v1
	v_mov_b32_e32 v4, v1
	v_cmpx_gt_u32_e64 s6, v0
	s_cbranch_execz .LBB250_602
; %bb.601:
	v_lshlrev_b32_e32 v2, 3, v0
	v_dual_mov_b32 v4, v1 :: v_dual_mov_b32 v5, v1
	global_load_b64 v[2:3], v2, s[4:5]
	s_wait_loadcnt 0x0
	v_cmp_ne_u64_e32 vcc_lo, 0, v[2:3]
	v_mov_b32_e32 v3, v1
	s_wait_alu 0xfffd
	v_cndmask_b32_e64 v2, 0, 1, vcc_lo
	s_delay_alu instid0(VALU_DEP_1) | instskip(NEXT) | instid1(VALU_DEP_1)
	v_and_b32_e32 v2, 0xffff, v2
	v_mov_b32_e32 v1, v2
	v_mov_b32_e32 v2, v3
	;; [unrolled: 1-line block ×4, first 2 shown]
.LBB250_602:
	s_or_b32 exec_lo, exec_lo, s2
	v_or_b32_e32 v5, 0x100, v0
	s_delay_alu instid0(VALU_DEP_1)
	v_cmp_gt_u32_e32 vcc_lo, s6, v5
	s_and_saveexec_b32 s3, vcc_lo
	s_cbranch_execz .LBB250_604
; %bb.603:
	v_lshlrev_b32_e32 v2, 3, v0
	global_load_b64 v[5:6], v2, s[4:5] offset:2048
	s_wait_loadcnt 0x0
	v_cmp_ne_u64_e64 s2, 0, v[5:6]
	s_delay_alu instid0(VALU_DEP_1)
	v_cndmask_b32_e64 v2, 0, 1, s2
.LBB250_604:
	s_or_b32 exec_lo, exec_lo, s3
	v_or_b32_e32 v5, 0x200, v0
	s_delay_alu instid0(VALU_DEP_1)
	v_cmp_gt_u32_e64 s2, s6, v5
	s_and_saveexec_b32 s7, s2
	s_cbranch_execz .LBB250_606
; %bb.605:
	v_lshlrev_b32_e32 v3, 3, v0
	global_load_b64 v[5:6], v3, s[4:5] offset:4096
	s_wait_loadcnt 0x0
	v_cmp_ne_u64_e64 s3, 0, v[5:6]
	s_wait_alu 0xf1ff
	s_delay_alu instid0(VALU_DEP_1)
	v_cndmask_b32_e64 v3, 0, 1, s3
.LBB250_606:
	s_wait_alu 0xfffe
	s_or_b32 exec_lo, exec_lo, s7
	v_or_b32_e32 v5, 0x300, v0
	s_delay_alu instid0(VALU_DEP_1)
	v_cmp_gt_u32_e64 s3, s6, v5
	s_and_saveexec_b32 s7, s3
	s_cbranch_execz .LBB250_608
; %bb.607:
	v_lshlrev_b32_e32 v4, 3, v0
	global_load_b64 v[4:5], v4, s[4:5] offset:6144
	s_wait_loadcnt 0x0
	v_cmp_ne_u64_e64 s4, 0, v[4:5]
	s_delay_alu instid0(VALU_DEP_1)
	v_cndmask_b32_e64 v4, 0, 1, s4
.LBB250_608:
	s_wait_alu 0xfffe
	s_or_b32 exec_lo, exec_lo, s7
	v_cndmask_b32_e32 v5, 0, v2, vcc_lo
	v_mbcnt_lo_u32_b32 v2, -1, 0
	v_cndmask_b32_e64 v3, 0, v3, s2
	v_cndmask_b32_e64 v4, 0, v4, s3
	s_min_u32 s2, s6, 0x100
	v_add_nc_u32_e32 v1, v5, v1
	v_cmp_ne_u32_e32 vcc_lo, 31, v2
	s_mov_b32 s3, exec_lo
	s_delay_alu instid0(VALU_DEP_2) | instskip(SKIP_4) | instid1(VALU_DEP_3)
	v_add3_u32 v1, v1, v3, v4
	s_wait_alu 0xfffd
	v_add_co_ci_u32_e64 v5, null, 0, v2, vcc_lo
	v_and_b32_e32 v4, 0xe0, v0
	v_cmp_gt_u32_e32 vcc_lo, 30, v2
	v_lshlrev_b32_e32 v3, 2, v5
	v_add_nc_u32_e32 v5, 1, v2
	s_wait_alu 0xfffe
	v_sub_nc_u32_e64 v4, s2, v4 clamp
	s_wait_alu 0xfffd
	v_cndmask_b32_e64 v6, 0, 2, vcc_lo
	ds_bpermute_b32 v3, v3, v1
	v_cmp_lt_u32_e32 vcc_lo, v5, v4
	v_add_lshl_u32 v5, v6, v2, 2
	s_wait_dscnt 0x0
	s_wait_alu 0xfffd
	v_cndmask_b32_e32 v3, 0, v3, vcc_lo
	v_cmp_gt_u32_e32 vcc_lo, 28, v2
	s_delay_alu instid0(VALU_DEP_2) | instskip(SKIP_4) | instid1(VALU_DEP_1)
	v_add_nc_u32_e32 v1, v3, v1
	s_wait_alu 0xfffd
	v_cndmask_b32_e64 v6, 0, 4, vcc_lo
	ds_bpermute_b32 v3, v5, v1
	v_add_nc_u32_e32 v5, 2, v2
	v_cmp_lt_u32_e32 vcc_lo, v5, v4
	v_add_lshl_u32 v5, v6, v2, 2
	s_wait_dscnt 0x0
	s_wait_alu 0xfffd
	v_cndmask_b32_e32 v3, 0, v3, vcc_lo
	v_cmp_gt_u32_e32 vcc_lo, 24, v2
	s_delay_alu instid0(VALU_DEP_2) | instskip(SKIP_4) | instid1(VALU_DEP_1)
	v_add_nc_u32_e32 v1, v1, v3
	s_wait_alu 0xfffd
	v_cndmask_b32_e64 v6, 0, 8, vcc_lo
	ds_bpermute_b32 v3, v5, v1
	v_add_nc_u32_e32 v5, 4, v2
	v_cmp_lt_u32_e32 vcc_lo, v5, v4
	v_add_lshl_u32 v5, v6, v2, 2
	s_wait_dscnt 0x0
	s_wait_alu 0xfffd
	v_dual_cndmask_b32 v3, 0, v3 :: v_dual_add_nc_u32 v6, 8, v2
	s_delay_alu instid0(VALU_DEP_1) | instskip(NEXT) | instid1(VALU_DEP_2)
	v_cmp_lt_u32_e32 vcc_lo, v6, v4
	v_add_nc_u32_e32 v1, v1, v3
	v_lshlrev_b32_e32 v3, 2, v2
	ds_bpermute_b32 v5, v5, v1
	v_or_b32_e32 v6, 64, v3
	s_wait_dscnt 0x0
	s_wait_alu 0xfffd
	v_cndmask_b32_e32 v5, 0, v5, vcc_lo
	s_delay_alu instid0(VALU_DEP_1) | instskip(SKIP_2) | instid1(VALU_DEP_1)
	v_add_nc_u32_e32 v1, v1, v5
	ds_bpermute_b32 v5, v6, v1
	v_add_nc_u32_e32 v6, 16, v2
	v_cmp_lt_u32_e32 vcc_lo, v6, v4
	s_wait_dscnt 0x0
	s_wait_alu 0xfffd
	v_cndmask_b32_e32 v4, 0, v5, vcc_lo
	s_delay_alu instid0(VALU_DEP_1)
	v_add_nc_u32_e32 v1, v1, v4
	v_cmpx_eq_u32_e32 0, v2
; %bb.609:
	v_lshrrev_b32_e32 v4, 3, v0
	s_delay_alu instid0(VALU_DEP_1)
	v_and_b32_e32 v4, 28, v4
	ds_store_b32 v4, v1 offset:256
; %bb.610:
	s_or_b32 exec_lo, exec_lo, s3
	s_delay_alu instid0(SALU_CYCLE_1)
	s_mov_b32 s3, exec_lo
	s_wait_loadcnt_dscnt 0x0
	s_barrier_signal -1
	s_barrier_wait -1
	global_inv scope:SCOPE_SE
	v_cmpx_gt_u32_e32 8, v0
	s_cbranch_execz .LBB250_612
; %bb.611:
	ds_load_b32 v1, v3 offset:256
	v_and_b32_e32 v4, 7, v2
	s_add_co_i32 s2, s2, 31
	s_wait_alu 0xfffe
	s_lshr_b32 s2, s2, 5
	s_delay_alu instid0(VALU_DEP_1) | instskip(SKIP_4) | instid1(VALU_DEP_2)
	v_cmp_ne_u32_e32 vcc_lo, 7, v4
	v_add_nc_u32_e32 v6, 1, v4
	s_wait_alu 0xfffd
	v_add_co_ci_u32_e64 v5, null, 0, v2, vcc_lo
	v_cmp_gt_u32_e32 vcc_lo, 6, v4
	v_lshlrev_b32_e32 v5, 2, v5
	s_wait_alu 0xfffd
	v_cndmask_b32_e64 v7, 0, 2, vcc_lo
	s_wait_alu 0xfffe
	v_cmp_gt_u32_e32 vcc_lo, s2, v6
	s_wait_dscnt 0x0
	ds_bpermute_b32 v5, v5, v1
	v_add_lshl_u32 v2, v7, v2, 2
	s_wait_dscnt 0x0
	s_wait_alu 0xfffd
	v_cndmask_b32_e32 v5, 0, v5, vcc_lo
	s_delay_alu instid0(VALU_DEP_1)
	v_add_nc_u32_e32 v1, v5, v1
	v_add_nc_u32_e32 v5, 2, v4
	ds_bpermute_b32 v2, v2, v1
	v_cmp_gt_u32_e32 vcc_lo, s2, v5
	s_wait_dscnt 0x0
	s_wait_alu 0xfffd
	v_cndmask_b32_e32 v2, 0, v2, vcc_lo
	s_delay_alu instid0(VALU_DEP_1)
	v_add_nc_u32_e32 v1, v1, v2
	v_or_b32_e32 v2, 16, v3
	v_add_nc_u32_e32 v3, 4, v4
	ds_bpermute_b32 v2, v2, v1
	v_cmp_gt_u32_e32 vcc_lo, s2, v3
	s_wait_dscnt 0x0
	s_wait_alu 0xfffd
	v_cndmask_b32_e32 v2, 0, v2, vcc_lo
	s_delay_alu instid0(VALU_DEP_1)
	v_add_nc_u32_e32 v1, v1, v2
.LBB250_612:
	s_wait_alu 0xfffe
	s_or_b32 exec_lo, exec_lo, s3
.LBB250_613:
	v_cmp_eq_u32_e64 s2, 0, v0
	s_branch .LBB250_623
.LBB250_614:
	s_cmp_gt_i32 s44, 1
	s_cbranch_scc0 .LBB250_622
; %bb.615:
	s_cmp_eq_u32 s44, 2
	s_cbranch_scc0 .LBB250_626
; %bb.616:
	s_mov_b32 s35, 0
	s_lshl_b32 s4, s34, 9
	s_mov_b32 s5, s35
	s_lshr_b64 s[2:3], s[36:37], 9
	s_lshl_b64 s[6:7], s[4:5], 3
	s_cmp_lg_u64 s[2:3], s[34:35]
	s_add_nc_u64 s[2:3], s[40:41], s[6:7]
	s_cbranch_scc0 .LBB250_627
; %bb.617:
	v_lshlrev_b32_e32 v3, 3, v0
	s_mov_b32 s5, exec_lo
	s_clause 0x1
	global_load_b64 v[1:2], v3, s[2:3]
	global_load_b64 v[3:4], v3, s[2:3] offset:2048
	s_wait_loadcnt 0x1
	v_cmp_ne_u64_e32 vcc_lo, 0, v[1:2]
	v_cndmask_b32_e64 v1, 0, 1, vcc_lo
	s_wait_loadcnt 0x0
	v_cmp_ne_u64_e32 vcc_lo, 0, v[3:4]
	s_wait_alu 0xfffd
	s_delay_alu instid0(VALU_DEP_2) | instskip(NEXT) | instid1(VALU_DEP_1)
	v_add_co_ci_u32_e64 v2, null, 0, v1, vcc_lo
	v_mov_b32_dpp v2, v2 quad_perm:[1,0,3,2] row_mask:0xf bank_mask:0xf
	s_delay_alu instid0(VALU_DEP_1) | instskip(NEXT) | instid1(VALU_DEP_1)
	v_add_co_ci_u32_e64 v1, null, v2, v1, vcc_lo
	v_mov_b32_dpp v2, v1 quad_perm:[2,3,0,1] row_mask:0xf bank_mask:0xf
	s_delay_alu instid0(VALU_DEP_1) | instskip(NEXT) | instid1(VALU_DEP_1)
	v_add_nc_u32_e32 v1, v1, v2
	v_mov_b32_dpp v2, v1 row_ror:4 row_mask:0xf bank_mask:0xf
	s_delay_alu instid0(VALU_DEP_1) | instskip(NEXT) | instid1(VALU_DEP_1)
	v_add_nc_u32_e32 v1, v1, v2
	v_mov_b32_dpp v2, v1 row_ror:8 row_mask:0xf bank_mask:0xf
	s_delay_alu instid0(VALU_DEP_1)
	v_add_nc_u32_e32 v1, v1, v2
	ds_swizzle_b32 v2, v1 offset:swizzle(BROADCAST,32,15)
	s_wait_dscnt 0x0
	v_dual_mov_b32 v2, 0 :: v_dual_add_nc_u32 v1, v1, v2
	ds_bpermute_b32 v1, v2, v1 offset:124
	v_mbcnt_lo_u32_b32 v2, -1, 0
	s_delay_alu instid0(VALU_DEP_1)
	v_cmpx_eq_u32_e32 0, v2
	s_cbranch_execz .LBB250_619
; %bb.618:
	v_lshrrev_b32_e32 v3, 3, v0
	s_delay_alu instid0(VALU_DEP_1)
	v_and_b32_e32 v3, 28, v3
	s_wait_dscnt 0x0
	ds_store_b32 v3, v1 offset:96
.LBB250_619:
	s_or_b32 exec_lo, exec_lo, s5
	s_delay_alu instid0(SALU_CYCLE_1)
	s_mov_b32 s5, exec_lo
	s_wait_dscnt 0x0
	s_barrier_signal -1
	s_barrier_wait -1
	global_inv scope:SCOPE_SE
	v_cmpx_gt_u32_e32 32, v0
	s_cbranch_execz .LBB250_621
; %bb.620:
	v_lshl_or_b32 v1, v2, 2, 0x60
	v_and_b32_e32 v3, 7, v2
	ds_load_b32 v1, v1
	v_cmp_ne_u32_e32 vcc_lo, 7, v3
	s_wait_alu 0xfffd
	v_add_co_ci_u32_e64 v4, null, 0, v2, vcc_lo
	v_cmp_gt_u32_e32 vcc_lo, 6, v3
	s_delay_alu instid0(VALU_DEP_2) | instskip(SKIP_2) | instid1(VALU_DEP_1)
	v_lshlrev_b32_e32 v4, 2, v4
	s_wait_alu 0xfffd
	v_cndmask_b32_e64 v3, 0, 2, vcc_lo
	v_add_lshl_u32 v3, v3, v2, 2
	v_lshlrev_b32_e32 v2, 2, v2
	s_wait_dscnt 0x0
	ds_bpermute_b32 v4, v4, v1
	v_or_b32_e32 v2, 16, v2
	s_wait_dscnt 0x0
	v_add_nc_u32_e32 v1, v4, v1
	ds_bpermute_b32 v3, v3, v1
	s_wait_dscnt 0x0
	v_add_nc_u32_e32 v1, v3, v1
	ds_bpermute_b32 v2, v2, v1
	s_wait_dscnt 0x0
	v_add_nc_u32_e32 v1, v2, v1
.LBB250_621:
	s_or_b32 exec_lo, exec_lo, s5
	s_mov_b32 s5, 0
	s_branch .LBB250_628
.LBB250_622:
                                        ; implicit-def: $vgpr1
	s_cbranch_execnz .LBB250_639
.LBB250_623:
	s_delay_alu instid0(VALU_DEP_1)
	s_and_saveexec_b32 s3, s2
	s_cbranch_execz .LBB250_625
.LBB250_624:
	s_load_b32 s2, s[0:1], 0x28
	s_lshl_b64 s[0:1], s[34:35], 2
	s_cmp_lg_u64 s[36:37], 0
	s_add_nc_u64 s[0:1], s[38:39], s[0:1]
	s_cselect_b32 vcc_lo, -1, 0
	s_wait_alu 0xfffe
	v_dual_cndmask_b32 v0, 0, v1 :: v_dual_mov_b32 v1, 0
	s_wait_kmcnt 0x0
	s_delay_alu instid0(VALU_DEP_1)
	v_add_nc_u32_e32 v0, s2, v0
	global_store_b32 v1, v0, s[0:1]
.LBB250_625:
	s_nop 0
	s_sendmsg sendmsg(MSG_DEALLOC_VGPRS)
	s_endpgm
.LBB250_626:
                                        ; implicit-def: $vgpr1
	s_branch .LBB250_623
.LBB250_627:
	s_mov_b32 s5, -1
                                        ; implicit-def: $vgpr1
.LBB250_628:
	s_delay_alu instid0(SALU_CYCLE_1)
	s_and_b32 vcc_lo, exec_lo, s5
	s_wait_alu 0xfffe
	s_cbranch_vccz .LBB250_638
; %bb.629:
	v_mov_b32_e32 v1, 0
	s_sub_co_i32 s4, s36, s4
	s_mov_b32 s5, exec_lo
	s_delay_alu instid0(VALU_DEP_1)
	v_mov_b32_e32 v2, v1
	v_cmpx_gt_u32_e64 s4, v0
	s_cbranch_execz .LBB250_631
; %bb.630:
	v_lshlrev_b32_e32 v2, 3, v0
	global_load_b64 v[2:3], v2, s[2:3]
	s_wait_loadcnt 0x0
	v_cmp_ne_u64_e32 vcc_lo, 0, v[2:3]
	v_mov_b32_e32 v3, v1
	s_wait_alu 0xfffd
	v_cndmask_b32_e64 v2, 0, 1, vcc_lo
	s_delay_alu instid0(VALU_DEP_1) | instskip(NEXT) | instid1(VALU_DEP_1)
	v_and_b32_e32 v2, 0xffff, v2
	v_mov_b32_e32 v1, v2
	v_mov_b32_e32 v2, v3
.LBB250_631:
	s_or_b32 exec_lo, exec_lo, s5
	v_or_b32_e32 v3, 0x100, v0
	s_delay_alu instid0(VALU_DEP_1)
	v_cmp_gt_u32_e32 vcc_lo, s4, v3
	s_and_saveexec_b32 s5, vcc_lo
	s_cbranch_execz .LBB250_633
; %bb.632:
	v_lshlrev_b32_e32 v2, 3, v0
	global_load_b64 v[2:3], v2, s[2:3] offset:2048
	s_wait_loadcnt 0x0
	v_cmp_ne_u64_e64 s2, 0, v[2:3]
	s_delay_alu instid0(VALU_DEP_1)
	v_cndmask_b32_e64 v2, 0, 1, s2
.LBB250_633:
	s_wait_alu 0xfffe
	s_or_b32 exec_lo, exec_lo, s5
	v_mbcnt_lo_u32_b32 v3, -1, 0
	s_delay_alu instid0(VALU_DEP_2) | instskip(SKIP_2) | instid1(VALU_DEP_2)
	v_cndmask_b32_e32 v2, 0, v2, vcc_lo
	s_min_u32 s2, s4, 0x100
	s_mov_b32 s3, exec_lo
	v_cmp_ne_u32_e32 vcc_lo, 31, v3
	v_add_nc_u32_e32 v5, 1, v3
	v_add_nc_u32_e32 v1, v2, v1
	s_wait_alu 0xfffd
	v_add_co_ci_u32_e64 v4, null, 0, v3, vcc_lo
	v_cmp_gt_u32_e32 vcc_lo, 30, v3
	s_delay_alu instid0(VALU_DEP_2)
	v_lshlrev_b32_e32 v2, 2, v4
	v_and_b32_e32 v4, 0xe0, v0
	s_wait_alu 0xfffd
	v_cndmask_b32_e64 v6, 0, 2, vcc_lo
	ds_bpermute_b32 v2, v2, v1
	s_wait_alu 0xfffe
	v_sub_nc_u32_e64 v4, s2, v4 clamp
	s_delay_alu instid0(VALU_DEP_1)
	v_cmp_lt_u32_e32 vcc_lo, v5, v4
	v_add_lshl_u32 v5, v6, v3, 2
	s_wait_dscnt 0x0
	s_wait_alu 0xfffd
	v_cndmask_b32_e32 v2, 0, v2, vcc_lo
	v_cmp_gt_u32_e32 vcc_lo, 28, v3
	s_delay_alu instid0(VALU_DEP_2) | instskip(SKIP_4) | instid1(VALU_DEP_1)
	v_add_nc_u32_e32 v1, v2, v1
	s_wait_alu 0xfffd
	v_cndmask_b32_e64 v6, 0, 4, vcc_lo
	ds_bpermute_b32 v2, v5, v1
	v_add_nc_u32_e32 v5, 2, v3
	v_cmp_lt_u32_e32 vcc_lo, v5, v4
	v_add_lshl_u32 v5, v6, v3, 2
	s_wait_dscnt 0x0
	s_wait_alu 0xfffd
	v_cndmask_b32_e32 v2, 0, v2, vcc_lo
	v_cmp_gt_u32_e32 vcc_lo, 24, v3
	s_delay_alu instid0(VALU_DEP_2) | instskip(SKIP_4) | instid1(VALU_DEP_1)
	v_add_nc_u32_e32 v1, v1, v2
	s_wait_alu 0xfffd
	v_cndmask_b32_e64 v6, 0, 8, vcc_lo
	ds_bpermute_b32 v2, v5, v1
	v_add_nc_u32_e32 v5, 4, v3
	v_cmp_lt_u32_e32 vcc_lo, v5, v4
	v_add_lshl_u32 v5, v6, v3, 2
	v_add_nc_u32_e32 v6, 8, v3
	s_wait_dscnt 0x0
	s_wait_alu 0xfffd
	v_cndmask_b32_e32 v2, 0, v2, vcc_lo
	s_delay_alu instid0(VALU_DEP_2) | instskip(NEXT) | instid1(VALU_DEP_2)
	v_cmp_lt_u32_e32 vcc_lo, v6, v4
	v_add_nc_u32_e32 v1, v1, v2
	v_lshlrev_b32_e32 v2, 2, v3
	ds_bpermute_b32 v5, v5, v1
	v_or_b32_e32 v6, 64, v2
	s_wait_dscnt 0x0
	s_wait_alu 0xfffd
	v_cndmask_b32_e32 v5, 0, v5, vcc_lo
	s_delay_alu instid0(VALU_DEP_1) | instskip(SKIP_2) | instid1(VALU_DEP_1)
	v_add_nc_u32_e32 v1, v1, v5
	ds_bpermute_b32 v5, v6, v1
	v_add_nc_u32_e32 v6, 16, v3
	v_cmp_lt_u32_e32 vcc_lo, v6, v4
	s_wait_dscnt 0x0
	s_wait_alu 0xfffd
	v_cndmask_b32_e32 v4, 0, v5, vcc_lo
	s_delay_alu instid0(VALU_DEP_1)
	v_add_nc_u32_e32 v1, v1, v4
	v_cmpx_eq_u32_e32 0, v3
; %bb.634:
	v_lshrrev_b32_e32 v4, 3, v0
	s_delay_alu instid0(VALU_DEP_1)
	v_and_b32_e32 v4, 28, v4
	ds_store_b32 v4, v1 offset:256
; %bb.635:
	s_or_b32 exec_lo, exec_lo, s3
	s_delay_alu instid0(SALU_CYCLE_1)
	s_mov_b32 s3, exec_lo
	s_wait_loadcnt_dscnt 0x0
	s_barrier_signal -1
	s_barrier_wait -1
	global_inv scope:SCOPE_SE
	v_cmpx_gt_u32_e32 8, v0
	s_cbranch_execz .LBB250_637
; %bb.636:
	ds_load_b32 v1, v2 offset:256
	v_and_b32_e32 v4, 7, v3
	s_add_co_i32 s2, s2, 31
	v_or_b32_e32 v2, 16, v2
	s_wait_alu 0xfffe
	s_lshr_b32 s2, s2, 5
	v_cmp_ne_u32_e32 vcc_lo, 7, v4
	v_add_nc_u32_e32 v6, 1, v4
	s_wait_alu 0xfffd
	v_add_co_ci_u32_e64 v5, null, 0, v3, vcc_lo
	v_cmp_gt_u32_e32 vcc_lo, 6, v4
	s_delay_alu instid0(VALU_DEP_2)
	v_lshlrev_b32_e32 v5, 2, v5
	s_wait_alu 0xfffd
	v_cndmask_b32_e64 v7, 0, 2, vcc_lo
	s_wait_alu 0xfffe
	v_cmp_gt_u32_e32 vcc_lo, s2, v6
	s_wait_dscnt 0x0
	ds_bpermute_b32 v5, v5, v1
	v_add_lshl_u32 v3, v7, v3, 2
	s_wait_dscnt 0x0
	s_wait_alu 0xfffd
	v_cndmask_b32_e32 v5, 0, v5, vcc_lo
	s_delay_alu instid0(VALU_DEP_1)
	v_add_nc_u32_e32 v1, v5, v1
	v_add_nc_u32_e32 v5, 2, v4
	ds_bpermute_b32 v3, v3, v1
	v_cmp_gt_u32_e32 vcc_lo, s2, v5
	s_wait_dscnt 0x0
	s_wait_alu 0xfffd
	v_cndmask_b32_e32 v3, 0, v3, vcc_lo
	s_delay_alu instid0(VALU_DEP_1)
	v_add_nc_u32_e32 v1, v1, v3
	v_add_nc_u32_e32 v3, 4, v4
	ds_bpermute_b32 v2, v2, v1
	v_cmp_gt_u32_e32 vcc_lo, s2, v3
	s_wait_dscnt 0x0
	s_wait_alu 0xfffd
	v_cndmask_b32_e32 v2, 0, v2, vcc_lo
	s_delay_alu instid0(VALU_DEP_1)
	v_add_nc_u32_e32 v1, v1, v2
.LBB250_637:
	s_wait_alu 0xfffe
	s_or_b32 exec_lo, exec_lo, s3
.LBB250_638:
	v_cmp_eq_u32_e64 s2, 0, v0
	s_branch .LBB250_623
.LBB250_639:
	s_cmp_eq_u32 s44, 1
	s_cbranch_scc0 .LBB250_647
; %bb.640:
	s_mov_b32 s3, 0
	v_mbcnt_lo_u32_b32 v2, -1, 0
	s_lshr_b64 s[4:5], s[36:37], 8
	s_mov_b32 s35, s3
	s_lshl_b32 s2, s34, 8
	s_cmp_lg_u64 s[4:5], s[34:35]
	s_cbranch_scc0 .LBB250_648
; %bb.641:
	v_lshlrev_b32_e32 v1, 3, v0
	s_lshl_b64 s[4:5], s[2:3], 3
	s_delay_alu instid0(SALU_CYCLE_1)
	s_add_nc_u64 s[4:5], s[40:41], s[4:5]
	global_load_b64 v[3:4], v1, s[4:5]
	s_mov_b32 s4, exec_lo
	s_wait_loadcnt 0x0
	v_cmp_ne_u64_e32 vcc_lo, 0, v[3:4]
	v_cndmask_b32_e64 v1, 0, 1, vcc_lo
	s_delay_alu instid0(VALU_DEP_1) | instskip(NEXT) | instid1(VALU_DEP_1)
	v_mov_b32_dpp v1, v1 quad_perm:[1,0,3,2] row_mask:0xf bank_mask:0xf
	v_add_co_ci_u32_e64 v3, null, 0, v1, vcc_lo
	s_delay_alu instid0(VALU_DEP_1) | instskip(NEXT) | instid1(VALU_DEP_1)
	v_mov_b32_dpp v3, v3 quad_perm:[2,3,0,1] row_mask:0xf bank_mask:0xf
	v_add_co_ci_u32_e64 v1, null, v3, v1, vcc_lo
	s_delay_alu instid0(VALU_DEP_1) | instskip(NEXT) | instid1(VALU_DEP_1)
	v_mov_b32_dpp v3, v1 row_ror:4 row_mask:0xf bank_mask:0xf
	v_add_nc_u32_e32 v1, v1, v3
	s_delay_alu instid0(VALU_DEP_1) | instskip(NEXT) | instid1(VALU_DEP_1)
	v_mov_b32_dpp v3, v1 row_ror:8 row_mask:0xf bank_mask:0xf
	v_add_nc_u32_e32 v1, v1, v3
	ds_swizzle_b32 v3, v1 offset:swizzle(BROADCAST,32,15)
	s_wait_dscnt 0x0
	v_add_nc_u32_e32 v1, v1, v3
	v_mov_b32_e32 v3, 0
	ds_bpermute_b32 v1, v3, v1 offset:124
	v_cmpx_eq_u32_e32 0, v2
	s_cbranch_execz .LBB250_643
; %bb.642:
	v_lshrrev_b32_e32 v3, 3, v0
	s_delay_alu instid0(VALU_DEP_1)
	v_and_b32_e32 v3, 28, v3
	s_wait_dscnt 0x0
	ds_store_b32 v3, v1 offset:64
.LBB250_643:
	s_or_b32 exec_lo, exec_lo, s4
	s_delay_alu instid0(SALU_CYCLE_1)
	s_mov_b32 s4, exec_lo
	s_wait_dscnt 0x0
	s_barrier_signal -1
	s_barrier_wait -1
	global_inv scope:SCOPE_SE
	v_cmpx_gt_u32_e32 32, v0
	s_cbranch_execz .LBB250_645
; %bb.644:
	v_and_b32_e32 v1, 7, v2
	s_delay_alu instid0(VALU_DEP_1)
	v_lshlrev_b32_e32 v3, 2, v1
	v_cmp_ne_u32_e32 vcc_lo, 7, v1
	ds_load_b32 v3, v3 offset:64
	s_wait_alu 0xfffd
	v_add_co_ci_u32_e64 v4, null, 0, v2, vcc_lo
	v_cmp_gt_u32_e32 vcc_lo, 6, v1
	s_delay_alu instid0(VALU_DEP_2) | instskip(SKIP_2) | instid1(VALU_DEP_1)
	v_lshlrev_b32_e32 v4, 2, v4
	s_wait_alu 0xfffd
	v_cndmask_b32_e64 v1, 0, 2, vcc_lo
	v_add_lshl_u32 v1, v1, v2, 2
	s_wait_dscnt 0x0
	ds_bpermute_b32 v4, v4, v3
	s_wait_dscnt 0x0
	v_add_nc_u32_e32 v3, v4, v3
	v_lshlrev_b32_e32 v4, 2, v2
	ds_bpermute_b32 v1, v1, v3
	s_wait_dscnt 0x0
	v_add_nc_u32_e32 v1, v1, v3
	v_or_b32_e32 v3, 16, v4
	ds_bpermute_b32 v3, v3, v1
	s_wait_dscnt 0x0
	v_add_nc_u32_e32 v1, v3, v1
.LBB250_645:
	s_or_b32 exec_lo, exec_lo, s4
.LBB250_646:
	v_cmp_eq_u32_e64 s2, 0, v0
	s_and_saveexec_b32 s3, s2
	s_cbranch_execnz .LBB250_624
	s_branch .LBB250_625
.LBB250_647:
                                        ; implicit-def: $vgpr1
                                        ; implicit-def: $sgpr34_sgpr35
	s_and_saveexec_b32 s3, s2
	s_cbranch_execz .LBB250_625
	s_branch .LBB250_624
.LBB250_648:
                                        ; implicit-def: $vgpr1
	s_cbranch_execz .LBB250_646
; %bb.649:
	s_sub_co_i32 s4, s36, s2
	s_mov_b32 s5, exec_lo
                                        ; implicit-def: $vgpr1
	v_cmpx_gt_u32_e64 s4, v0
	s_cbranch_execz .LBB250_651
; %bb.650:
	v_lshlrev_b32_e32 v1, 3, v0
	s_lshl_b64 s[2:3], s[2:3], 3
	s_delay_alu instid0(SALU_CYCLE_1)
	s_add_nc_u64 s[2:3], s[40:41], s[2:3]
	global_load_b64 v[3:4], v1, s[2:3]
	s_wait_loadcnt 0x0
	v_cmp_ne_u64_e32 vcc_lo, 0, v[3:4]
	v_cndmask_b32_e64 v1, 0, 1, vcc_lo
.LBB250_651:
	s_or_b32 exec_lo, exec_lo, s5
	v_cmp_ne_u32_e32 vcc_lo, 31, v2
	s_min_u32 s2, s4, 0x100
	v_add_nc_u32_e32 v5, 1, v2
	s_mov_b32 s3, exec_lo
	s_wait_alu 0xfffd
	v_add_co_ci_u32_e64 v3, null, 0, v2, vcc_lo
	v_cmp_gt_u32_e32 vcc_lo, 30, v2
	s_delay_alu instid0(VALU_DEP_2) | instskip(SKIP_4) | instid1(VALU_DEP_1)
	v_lshlrev_b32_e32 v3, 2, v3
	s_wait_alu 0xfffd
	v_cndmask_b32_e64 v6, 0, 2, vcc_lo
	ds_bpermute_b32 v3, v3, v1
	v_and_b32_e32 v4, 0xe0, v0
	v_sub_nc_u32_e64 v4, s2, v4 clamp
	s_delay_alu instid0(VALU_DEP_1)
	v_cmp_lt_u32_e32 vcc_lo, v5, v4
	v_add_lshl_u32 v5, v6, v2, 2
	s_wait_dscnt 0x0
	s_wait_alu 0xfffd
	v_cndmask_b32_e32 v3, 0, v3, vcc_lo
	v_cmp_gt_u32_e32 vcc_lo, 28, v2
	s_delay_alu instid0(VALU_DEP_2) | instskip(SKIP_4) | instid1(VALU_DEP_1)
	v_add_nc_u32_e32 v1, v3, v1
	s_wait_alu 0xfffd
	v_cndmask_b32_e64 v6, 0, 4, vcc_lo
	ds_bpermute_b32 v3, v5, v1
	v_add_nc_u32_e32 v5, 2, v2
	v_cmp_lt_u32_e32 vcc_lo, v5, v4
	v_add_lshl_u32 v5, v6, v2, 2
	s_wait_dscnt 0x0
	s_wait_alu 0xfffd
	v_cndmask_b32_e32 v3, 0, v3, vcc_lo
	v_cmp_gt_u32_e32 vcc_lo, 24, v2
	s_delay_alu instid0(VALU_DEP_2) | instskip(SKIP_4) | instid1(VALU_DEP_1)
	v_add_nc_u32_e32 v1, v1, v3
	s_wait_alu 0xfffd
	v_cndmask_b32_e64 v6, 0, 8, vcc_lo
	ds_bpermute_b32 v3, v5, v1
	v_add_nc_u32_e32 v5, 4, v2
	v_cmp_lt_u32_e32 vcc_lo, v5, v4
	v_add_lshl_u32 v5, v6, v2, 2
	s_wait_dscnt 0x0
	s_wait_alu 0xfffd
	v_dual_cndmask_b32 v3, 0, v3 :: v_dual_add_nc_u32 v6, 8, v2
	s_delay_alu instid0(VALU_DEP_1) | instskip(NEXT) | instid1(VALU_DEP_2)
	v_cmp_lt_u32_e32 vcc_lo, v6, v4
	v_add_nc_u32_e32 v1, v1, v3
	v_lshlrev_b32_e32 v3, 2, v2
	ds_bpermute_b32 v5, v5, v1
	v_or_b32_e32 v6, 64, v3
	s_wait_dscnt 0x0
	s_wait_alu 0xfffd
	v_cndmask_b32_e32 v5, 0, v5, vcc_lo
	s_delay_alu instid0(VALU_DEP_1) | instskip(SKIP_2) | instid1(VALU_DEP_1)
	v_add_nc_u32_e32 v1, v1, v5
	ds_bpermute_b32 v5, v6, v1
	v_add_nc_u32_e32 v6, 16, v2
	v_cmp_lt_u32_e32 vcc_lo, v6, v4
	s_wait_dscnt 0x0
	s_wait_alu 0xfffd
	v_cndmask_b32_e32 v4, 0, v5, vcc_lo
	s_delay_alu instid0(VALU_DEP_1)
	v_add_nc_u32_e32 v1, v1, v4
	v_cmpx_eq_u32_e32 0, v2
; %bb.652:
	v_lshrrev_b32_e32 v4, 3, v0
	s_delay_alu instid0(VALU_DEP_1)
	v_and_b32_e32 v4, 28, v4
	ds_store_b32 v4, v1 offset:256
; %bb.653:
	s_or_b32 exec_lo, exec_lo, s3
	s_delay_alu instid0(SALU_CYCLE_1)
	s_mov_b32 s3, exec_lo
	s_wait_loadcnt_dscnt 0x0
	s_barrier_signal -1
	s_barrier_wait -1
	global_inv scope:SCOPE_SE
	v_cmpx_gt_u32_e32 8, v0
	s_cbranch_execz .LBB250_655
; %bb.654:
	ds_load_b32 v1, v3 offset:256
	v_and_b32_e32 v4, 7, v2
	s_add_co_i32 s2, s2, 31
	s_wait_alu 0xfffe
	s_lshr_b32 s2, s2, 5
	s_delay_alu instid0(VALU_DEP_1) | instskip(SKIP_4) | instid1(VALU_DEP_2)
	v_cmp_ne_u32_e32 vcc_lo, 7, v4
	v_add_nc_u32_e32 v6, 1, v4
	s_wait_alu 0xfffd
	v_add_co_ci_u32_e64 v5, null, 0, v2, vcc_lo
	v_cmp_gt_u32_e32 vcc_lo, 6, v4
	v_lshlrev_b32_e32 v5, 2, v5
	s_wait_alu 0xfffd
	v_cndmask_b32_e64 v7, 0, 2, vcc_lo
	s_wait_alu 0xfffe
	v_cmp_gt_u32_e32 vcc_lo, s2, v6
	s_wait_dscnt 0x0
	ds_bpermute_b32 v5, v5, v1
	v_add_lshl_u32 v2, v7, v2, 2
	s_wait_dscnt 0x0
	s_wait_alu 0xfffd
	v_cndmask_b32_e32 v5, 0, v5, vcc_lo
	s_delay_alu instid0(VALU_DEP_1)
	v_add_nc_u32_e32 v1, v5, v1
	v_add_nc_u32_e32 v5, 2, v4
	ds_bpermute_b32 v2, v2, v1
	v_cmp_gt_u32_e32 vcc_lo, s2, v5
	s_wait_dscnt 0x0
	s_wait_alu 0xfffd
	v_cndmask_b32_e32 v2, 0, v2, vcc_lo
	s_delay_alu instid0(VALU_DEP_1)
	v_add_nc_u32_e32 v1, v1, v2
	v_or_b32_e32 v2, 16, v3
	v_add_nc_u32_e32 v3, 4, v4
	ds_bpermute_b32 v2, v2, v1
	v_cmp_gt_u32_e32 vcc_lo, s2, v3
	s_wait_dscnt 0x0
	s_wait_alu 0xfffd
	v_cndmask_b32_e32 v2, 0, v2, vcc_lo
	s_delay_alu instid0(VALU_DEP_1)
	v_add_nc_u32_e32 v1, v1, v2
.LBB250_655:
	s_wait_alu 0xfffe
	s_or_b32 exec_lo, exec_lo, s3
	v_cmp_eq_u32_e64 s2, 0, v0
	s_and_saveexec_b32 s3, s2
	s_cbranch_execnz .LBB250_624
	s_branch .LBB250_625
	.section	.rodata,"a",@progbits
	.p2align	6, 0x0
	.amdhsa_kernel _ZN7rocprim17ROCPRIM_400000_NS6detail17trampoline_kernelINS0_14default_configENS1_22reduce_config_selectorIbEEZNS1_11reduce_implILb1ES3_N6hipcub16HIPCUB_304000_NS22TransformInputIteratorIbN2at6native12_GLOBAL__N_19NonZeroOpIlEEPKllEEPiiNS8_6detail34convert_binary_result_type_wrapperINS8_3SumESH_iEEEE10hipError_tPvRmT1_T2_T3_mT4_P12ihipStream_tbEUlT_E1_NS1_11comp_targetILNS1_3genE10ELNS1_11target_archE1201ELNS1_3gpuE5ELNS1_3repE0EEENS1_30default_config_static_selectorELNS0_4arch9wavefront6targetE0EEEvSQ_
		.amdhsa_group_segment_fixed_size 288
		.amdhsa_private_segment_fixed_size 0
		.amdhsa_kernarg_size 48
		.amdhsa_user_sgpr_count 2
		.amdhsa_user_sgpr_dispatch_ptr 0
		.amdhsa_user_sgpr_queue_ptr 0
		.amdhsa_user_sgpr_kernarg_segment_ptr 1
		.amdhsa_user_sgpr_dispatch_id 0
		.amdhsa_user_sgpr_private_segment_size 0
		.amdhsa_wavefront_size32 1
		.amdhsa_uses_dynamic_stack 0
		.amdhsa_enable_private_segment 0
		.amdhsa_system_sgpr_workgroup_id_x 1
		.amdhsa_system_sgpr_workgroup_id_y 0
		.amdhsa_system_sgpr_workgroup_id_z 0
		.amdhsa_system_sgpr_workgroup_info 0
		.amdhsa_system_vgpr_workitem_id 0
		.amdhsa_next_free_vgpr 141
		.amdhsa_next_free_sgpr 47
		.amdhsa_reserve_vcc 1
		.amdhsa_float_round_mode_32 0
		.amdhsa_float_round_mode_16_64 0
		.amdhsa_float_denorm_mode_32 3
		.amdhsa_float_denorm_mode_16_64 3
		.amdhsa_fp16_overflow 0
		.amdhsa_workgroup_processor_mode 1
		.amdhsa_memory_ordered 1
		.amdhsa_forward_progress 1
		.amdhsa_inst_pref_size 255
		.amdhsa_round_robin_scheduling 0
		.amdhsa_exception_fp_ieee_invalid_op 0
		.amdhsa_exception_fp_denorm_src 0
		.amdhsa_exception_fp_ieee_div_zero 0
		.amdhsa_exception_fp_ieee_overflow 0
		.amdhsa_exception_fp_ieee_underflow 0
		.amdhsa_exception_fp_ieee_inexact 0
		.amdhsa_exception_int_div_zero 0
	.end_amdhsa_kernel
	.section	.text._ZN7rocprim17ROCPRIM_400000_NS6detail17trampoline_kernelINS0_14default_configENS1_22reduce_config_selectorIbEEZNS1_11reduce_implILb1ES3_N6hipcub16HIPCUB_304000_NS22TransformInputIteratorIbN2at6native12_GLOBAL__N_19NonZeroOpIlEEPKllEEPiiNS8_6detail34convert_binary_result_type_wrapperINS8_3SumESH_iEEEE10hipError_tPvRmT1_T2_T3_mT4_P12ihipStream_tbEUlT_E1_NS1_11comp_targetILNS1_3genE10ELNS1_11target_archE1201ELNS1_3gpuE5ELNS1_3repE0EEENS1_30default_config_static_selectorELNS0_4arch9wavefront6targetE0EEEvSQ_,"axG",@progbits,_ZN7rocprim17ROCPRIM_400000_NS6detail17trampoline_kernelINS0_14default_configENS1_22reduce_config_selectorIbEEZNS1_11reduce_implILb1ES3_N6hipcub16HIPCUB_304000_NS22TransformInputIteratorIbN2at6native12_GLOBAL__N_19NonZeroOpIlEEPKllEEPiiNS8_6detail34convert_binary_result_type_wrapperINS8_3SumESH_iEEEE10hipError_tPvRmT1_T2_T3_mT4_P12ihipStream_tbEUlT_E1_NS1_11comp_targetILNS1_3genE10ELNS1_11target_archE1201ELNS1_3gpuE5ELNS1_3repE0EEENS1_30default_config_static_selectorELNS0_4arch9wavefront6targetE0EEEvSQ_,comdat
.Lfunc_end250:
	.size	_ZN7rocprim17ROCPRIM_400000_NS6detail17trampoline_kernelINS0_14default_configENS1_22reduce_config_selectorIbEEZNS1_11reduce_implILb1ES3_N6hipcub16HIPCUB_304000_NS22TransformInputIteratorIbN2at6native12_GLOBAL__N_19NonZeroOpIlEEPKllEEPiiNS8_6detail34convert_binary_result_type_wrapperINS8_3SumESH_iEEEE10hipError_tPvRmT1_T2_T3_mT4_P12ihipStream_tbEUlT_E1_NS1_11comp_targetILNS1_3genE10ELNS1_11target_archE1201ELNS1_3gpuE5ELNS1_3repE0EEENS1_30default_config_static_selectorELNS0_4arch9wavefront6targetE0EEEvSQ_, .Lfunc_end250-_ZN7rocprim17ROCPRIM_400000_NS6detail17trampoline_kernelINS0_14default_configENS1_22reduce_config_selectorIbEEZNS1_11reduce_implILb1ES3_N6hipcub16HIPCUB_304000_NS22TransformInputIteratorIbN2at6native12_GLOBAL__N_19NonZeroOpIlEEPKllEEPiiNS8_6detail34convert_binary_result_type_wrapperINS8_3SumESH_iEEEE10hipError_tPvRmT1_T2_T3_mT4_P12ihipStream_tbEUlT_E1_NS1_11comp_targetILNS1_3genE10ELNS1_11target_archE1201ELNS1_3gpuE5ELNS1_3repE0EEENS1_30default_config_static_selectorELNS0_4arch9wavefront6targetE0EEEvSQ_
                                        ; -- End function
	.set _ZN7rocprim17ROCPRIM_400000_NS6detail17trampoline_kernelINS0_14default_configENS1_22reduce_config_selectorIbEEZNS1_11reduce_implILb1ES3_N6hipcub16HIPCUB_304000_NS22TransformInputIteratorIbN2at6native12_GLOBAL__N_19NonZeroOpIlEEPKllEEPiiNS8_6detail34convert_binary_result_type_wrapperINS8_3SumESH_iEEEE10hipError_tPvRmT1_T2_T3_mT4_P12ihipStream_tbEUlT_E1_NS1_11comp_targetILNS1_3genE10ELNS1_11target_archE1201ELNS1_3gpuE5ELNS1_3repE0EEENS1_30default_config_static_selectorELNS0_4arch9wavefront6targetE0EEEvSQ_.num_vgpr, 141
	.set _ZN7rocprim17ROCPRIM_400000_NS6detail17trampoline_kernelINS0_14default_configENS1_22reduce_config_selectorIbEEZNS1_11reduce_implILb1ES3_N6hipcub16HIPCUB_304000_NS22TransformInputIteratorIbN2at6native12_GLOBAL__N_19NonZeroOpIlEEPKllEEPiiNS8_6detail34convert_binary_result_type_wrapperINS8_3SumESH_iEEEE10hipError_tPvRmT1_T2_T3_mT4_P12ihipStream_tbEUlT_E1_NS1_11comp_targetILNS1_3genE10ELNS1_11target_archE1201ELNS1_3gpuE5ELNS1_3repE0EEENS1_30default_config_static_selectorELNS0_4arch9wavefront6targetE0EEEvSQ_.num_agpr, 0
	.set _ZN7rocprim17ROCPRIM_400000_NS6detail17trampoline_kernelINS0_14default_configENS1_22reduce_config_selectorIbEEZNS1_11reduce_implILb1ES3_N6hipcub16HIPCUB_304000_NS22TransformInputIteratorIbN2at6native12_GLOBAL__N_19NonZeroOpIlEEPKllEEPiiNS8_6detail34convert_binary_result_type_wrapperINS8_3SumESH_iEEEE10hipError_tPvRmT1_T2_T3_mT4_P12ihipStream_tbEUlT_E1_NS1_11comp_targetILNS1_3genE10ELNS1_11target_archE1201ELNS1_3gpuE5ELNS1_3repE0EEENS1_30default_config_static_selectorELNS0_4arch9wavefront6targetE0EEEvSQ_.numbered_sgpr, 47
	.set _ZN7rocprim17ROCPRIM_400000_NS6detail17trampoline_kernelINS0_14default_configENS1_22reduce_config_selectorIbEEZNS1_11reduce_implILb1ES3_N6hipcub16HIPCUB_304000_NS22TransformInputIteratorIbN2at6native12_GLOBAL__N_19NonZeroOpIlEEPKllEEPiiNS8_6detail34convert_binary_result_type_wrapperINS8_3SumESH_iEEEE10hipError_tPvRmT1_T2_T3_mT4_P12ihipStream_tbEUlT_E1_NS1_11comp_targetILNS1_3genE10ELNS1_11target_archE1201ELNS1_3gpuE5ELNS1_3repE0EEENS1_30default_config_static_selectorELNS0_4arch9wavefront6targetE0EEEvSQ_.num_named_barrier, 0
	.set _ZN7rocprim17ROCPRIM_400000_NS6detail17trampoline_kernelINS0_14default_configENS1_22reduce_config_selectorIbEEZNS1_11reduce_implILb1ES3_N6hipcub16HIPCUB_304000_NS22TransformInputIteratorIbN2at6native12_GLOBAL__N_19NonZeroOpIlEEPKllEEPiiNS8_6detail34convert_binary_result_type_wrapperINS8_3SumESH_iEEEE10hipError_tPvRmT1_T2_T3_mT4_P12ihipStream_tbEUlT_E1_NS1_11comp_targetILNS1_3genE10ELNS1_11target_archE1201ELNS1_3gpuE5ELNS1_3repE0EEENS1_30default_config_static_selectorELNS0_4arch9wavefront6targetE0EEEvSQ_.private_seg_size, 0
	.set _ZN7rocprim17ROCPRIM_400000_NS6detail17trampoline_kernelINS0_14default_configENS1_22reduce_config_selectorIbEEZNS1_11reduce_implILb1ES3_N6hipcub16HIPCUB_304000_NS22TransformInputIteratorIbN2at6native12_GLOBAL__N_19NonZeroOpIlEEPKllEEPiiNS8_6detail34convert_binary_result_type_wrapperINS8_3SumESH_iEEEE10hipError_tPvRmT1_T2_T3_mT4_P12ihipStream_tbEUlT_E1_NS1_11comp_targetILNS1_3genE10ELNS1_11target_archE1201ELNS1_3gpuE5ELNS1_3repE0EEENS1_30default_config_static_selectorELNS0_4arch9wavefront6targetE0EEEvSQ_.uses_vcc, 1
	.set _ZN7rocprim17ROCPRIM_400000_NS6detail17trampoline_kernelINS0_14default_configENS1_22reduce_config_selectorIbEEZNS1_11reduce_implILb1ES3_N6hipcub16HIPCUB_304000_NS22TransformInputIteratorIbN2at6native12_GLOBAL__N_19NonZeroOpIlEEPKllEEPiiNS8_6detail34convert_binary_result_type_wrapperINS8_3SumESH_iEEEE10hipError_tPvRmT1_T2_T3_mT4_P12ihipStream_tbEUlT_E1_NS1_11comp_targetILNS1_3genE10ELNS1_11target_archE1201ELNS1_3gpuE5ELNS1_3repE0EEENS1_30default_config_static_selectorELNS0_4arch9wavefront6targetE0EEEvSQ_.uses_flat_scratch, 0
	.set _ZN7rocprim17ROCPRIM_400000_NS6detail17trampoline_kernelINS0_14default_configENS1_22reduce_config_selectorIbEEZNS1_11reduce_implILb1ES3_N6hipcub16HIPCUB_304000_NS22TransformInputIteratorIbN2at6native12_GLOBAL__N_19NonZeroOpIlEEPKllEEPiiNS8_6detail34convert_binary_result_type_wrapperINS8_3SumESH_iEEEE10hipError_tPvRmT1_T2_T3_mT4_P12ihipStream_tbEUlT_E1_NS1_11comp_targetILNS1_3genE10ELNS1_11target_archE1201ELNS1_3gpuE5ELNS1_3repE0EEENS1_30default_config_static_selectorELNS0_4arch9wavefront6targetE0EEEvSQ_.has_dyn_sized_stack, 0
	.set _ZN7rocprim17ROCPRIM_400000_NS6detail17trampoline_kernelINS0_14default_configENS1_22reduce_config_selectorIbEEZNS1_11reduce_implILb1ES3_N6hipcub16HIPCUB_304000_NS22TransformInputIteratorIbN2at6native12_GLOBAL__N_19NonZeroOpIlEEPKllEEPiiNS8_6detail34convert_binary_result_type_wrapperINS8_3SumESH_iEEEE10hipError_tPvRmT1_T2_T3_mT4_P12ihipStream_tbEUlT_E1_NS1_11comp_targetILNS1_3genE10ELNS1_11target_archE1201ELNS1_3gpuE5ELNS1_3repE0EEENS1_30default_config_static_selectorELNS0_4arch9wavefront6targetE0EEEvSQ_.has_recursion, 0
	.set _ZN7rocprim17ROCPRIM_400000_NS6detail17trampoline_kernelINS0_14default_configENS1_22reduce_config_selectorIbEEZNS1_11reduce_implILb1ES3_N6hipcub16HIPCUB_304000_NS22TransformInputIteratorIbN2at6native12_GLOBAL__N_19NonZeroOpIlEEPKllEEPiiNS8_6detail34convert_binary_result_type_wrapperINS8_3SumESH_iEEEE10hipError_tPvRmT1_T2_T3_mT4_P12ihipStream_tbEUlT_E1_NS1_11comp_targetILNS1_3genE10ELNS1_11target_archE1201ELNS1_3gpuE5ELNS1_3repE0EEENS1_30default_config_static_selectorELNS0_4arch9wavefront6targetE0EEEvSQ_.has_indirect_call, 0
	.section	.AMDGPU.csdata,"",@progbits
; Kernel info:
; codeLenInByte = 37580
; TotalNumSgprs: 49
; NumVgprs: 141
; ScratchSize: 0
; MemoryBound: 0
; FloatMode: 240
; IeeeMode: 1
; LDSByteSize: 288 bytes/workgroup (compile time only)
; SGPRBlocks: 0
; VGPRBlocks: 17
; NumSGPRsForWavesPerEU: 49
; NumVGPRsForWavesPerEU: 141
; Occupancy: 10
; WaveLimiterHint : 1
; COMPUTE_PGM_RSRC2:SCRATCH_EN: 0
; COMPUTE_PGM_RSRC2:USER_SGPR: 2
; COMPUTE_PGM_RSRC2:TRAP_HANDLER: 0
; COMPUTE_PGM_RSRC2:TGID_X_EN: 1
; COMPUTE_PGM_RSRC2:TGID_Y_EN: 0
; COMPUTE_PGM_RSRC2:TGID_Z_EN: 0
; COMPUTE_PGM_RSRC2:TIDIG_COMP_CNT: 0
	.section	.text._ZN7rocprim17ROCPRIM_400000_NS6detail17trampoline_kernelINS0_14default_configENS1_22reduce_config_selectorIbEEZNS1_11reduce_implILb1ES3_N6hipcub16HIPCUB_304000_NS22TransformInputIteratorIbN2at6native12_GLOBAL__N_19NonZeroOpIlEEPKllEEPiiNS8_6detail34convert_binary_result_type_wrapperINS8_3SumESH_iEEEE10hipError_tPvRmT1_T2_T3_mT4_P12ihipStream_tbEUlT_E1_NS1_11comp_targetILNS1_3genE10ELNS1_11target_archE1200ELNS1_3gpuE4ELNS1_3repE0EEENS1_30default_config_static_selectorELNS0_4arch9wavefront6targetE0EEEvSQ_,"axG",@progbits,_ZN7rocprim17ROCPRIM_400000_NS6detail17trampoline_kernelINS0_14default_configENS1_22reduce_config_selectorIbEEZNS1_11reduce_implILb1ES3_N6hipcub16HIPCUB_304000_NS22TransformInputIteratorIbN2at6native12_GLOBAL__N_19NonZeroOpIlEEPKllEEPiiNS8_6detail34convert_binary_result_type_wrapperINS8_3SumESH_iEEEE10hipError_tPvRmT1_T2_T3_mT4_P12ihipStream_tbEUlT_E1_NS1_11comp_targetILNS1_3genE10ELNS1_11target_archE1200ELNS1_3gpuE4ELNS1_3repE0EEENS1_30default_config_static_selectorELNS0_4arch9wavefront6targetE0EEEvSQ_,comdat
	.globl	_ZN7rocprim17ROCPRIM_400000_NS6detail17trampoline_kernelINS0_14default_configENS1_22reduce_config_selectorIbEEZNS1_11reduce_implILb1ES3_N6hipcub16HIPCUB_304000_NS22TransformInputIteratorIbN2at6native12_GLOBAL__N_19NonZeroOpIlEEPKllEEPiiNS8_6detail34convert_binary_result_type_wrapperINS8_3SumESH_iEEEE10hipError_tPvRmT1_T2_T3_mT4_P12ihipStream_tbEUlT_E1_NS1_11comp_targetILNS1_3genE10ELNS1_11target_archE1200ELNS1_3gpuE4ELNS1_3repE0EEENS1_30default_config_static_selectorELNS0_4arch9wavefront6targetE0EEEvSQ_ ; -- Begin function _ZN7rocprim17ROCPRIM_400000_NS6detail17trampoline_kernelINS0_14default_configENS1_22reduce_config_selectorIbEEZNS1_11reduce_implILb1ES3_N6hipcub16HIPCUB_304000_NS22TransformInputIteratorIbN2at6native12_GLOBAL__N_19NonZeroOpIlEEPKllEEPiiNS8_6detail34convert_binary_result_type_wrapperINS8_3SumESH_iEEEE10hipError_tPvRmT1_T2_T3_mT4_P12ihipStream_tbEUlT_E1_NS1_11comp_targetILNS1_3genE10ELNS1_11target_archE1200ELNS1_3gpuE4ELNS1_3repE0EEENS1_30default_config_static_selectorELNS0_4arch9wavefront6targetE0EEEvSQ_
	.p2align	8
	.type	_ZN7rocprim17ROCPRIM_400000_NS6detail17trampoline_kernelINS0_14default_configENS1_22reduce_config_selectorIbEEZNS1_11reduce_implILb1ES3_N6hipcub16HIPCUB_304000_NS22TransformInputIteratorIbN2at6native12_GLOBAL__N_19NonZeroOpIlEEPKllEEPiiNS8_6detail34convert_binary_result_type_wrapperINS8_3SumESH_iEEEE10hipError_tPvRmT1_T2_T3_mT4_P12ihipStream_tbEUlT_E1_NS1_11comp_targetILNS1_3genE10ELNS1_11target_archE1200ELNS1_3gpuE4ELNS1_3repE0EEENS1_30default_config_static_selectorELNS0_4arch9wavefront6targetE0EEEvSQ_,@function
_ZN7rocprim17ROCPRIM_400000_NS6detail17trampoline_kernelINS0_14default_configENS1_22reduce_config_selectorIbEEZNS1_11reduce_implILb1ES3_N6hipcub16HIPCUB_304000_NS22TransformInputIteratorIbN2at6native12_GLOBAL__N_19NonZeroOpIlEEPKllEEPiiNS8_6detail34convert_binary_result_type_wrapperINS8_3SumESH_iEEEE10hipError_tPvRmT1_T2_T3_mT4_P12ihipStream_tbEUlT_E1_NS1_11comp_targetILNS1_3genE10ELNS1_11target_archE1200ELNS1_3gpuE4ELNS1_3repE0EEENS1_30default_config_static_selectorELNS0_4arch9wavefront6targetE0EEEvSQ_: ; @_ZN7rocprim17ROCPRIM_400000_NS6detail17trampoline_kernelINS0_14default_configENS1_22reduce_config_selectorIbEEZNS1_11reduce_implILb1ES3_N6hipcub16HIPCUB_304000_NS22TransformInputIteratorIbN2at6native12_GLOBAL__N_19NonZeroOpIlEEPKllEEPiiNS8_6detail34convert_binary_result_type_wrapperINS8_3SumESH_iEEEE10hipError_tPvRmT1_T2_T3_mT4_P12ihipStream_tbEUlT_E1_NS1_11comp_targetILNS1_3genE10ELNS1_11target_archE1200ELNS1_3gpuE4ELNS1_3repE0EEENS1_30default_config_static_selectorELNS0_4arch9wavefront6targetE0EEEvSQ_
; %bb.0:
	.section	.rodata,"a",@progbits
	.p2align	6, 0x0
	.amdhsa_kernel _ZN7rocprim17ROCPRIM_400000_NS6detail17trampoline_kernelINS0_14default_configENS1_22reduce_config_selectorIbEEZNS1_11reduce_implILb1ES3_N6hipcub16HIPCUB_304000_NS22TransformInputIteratorIbN2at6native12_GLOBAL__N_19NonZeroOpIlEEPKllEEPiiNS8_6detail34convert_binary_result_type_wrapperINS8_3SumESH_iEEEE10hipError_tPvRmT1_T2_T3_mT4_P12ihipStream_tbEUlT_E1_NS1_11comp_targetILNS1_3genE10ELNS1_11target_archE1200ELNS1_3gpuE4ELNS1_3repE0EEENS1_30default_config_static_selectorELNS0_4arch9wavefront6targetE0EEEvSQ_
		.amdhsa_group_segment_fixed_size 0
		.amdhsa_private_segment_fixed_size 0
		.amdhsa_kernarg_size 48
		.amdhsa_user_sgpr_count 2
		.amdhsa_user_sgpr_dispatch_ptr 0
		.amdhsa_user_sgpr_queue_ptr 0
		.amdhsa_user_sgpr_kernarg_segment_ptr 1
		.amdhsa_user_sgpr_dispatch_id 0
		.amdhsa_user_sgpr_private_segment_size 0
		.amdhsa_wavefront_size32 1
		.amdhsa_uses_dynamic_stack 0
		.amdhsa_enable_private_segment 0
		.amdhsa_system_sgpr_workgroup_id_x 1
		.amdhsa_system_sgpr_workgroup_id_y 0
		.amdhsa_system_sgpr_workgroup_id_z 0
		.amdhsa_system_sgpr_workgroup_info 0
		.amdhsa_system_vgpr_workitem_id 0
		.amdhsa_next_free_vgpr 1
		.amdhsa_next_free_sgpr 1
		.amdhsa_reserve_vcc 0
		.amdhsa_float_round_mode_32 0
		.amdhsa_float_round_mode_16_64 0
		.amdhsa_float_denorm_mode_32 3
		.amdhsa_float_denorm_mode_16_64 3
		.amdhsa_fp16_overflow 0
		.amdhsa_workgroup_processor_mode 1
		.amdhsa_memory_ordered 1
		.amdhsa_forward_progress 1
		.amdhsa_inst_pref_size 0
		.amdhsa_round_robin_scheduling 0
		.amdhsa_exception_fp_ieee_invalid_op 0
		.amdhsa_exception_fp_denorm_src 0
		.amdhsa_exception_fp_ieee_div_zero 0
		.amdhsa_exception_fp_ieee_overflow 0
		.amdhsa_exception_fp_ieee_underflow 0
		.amdhsa_exception_fp_ieee_inexact 0
		.amdhsa_exception_int_div_zero 0
	.end_amdhsa_kernel
	.section	.text._ZN7rocprim17ROCPRIM_400000_NS6detail17trampoline_kernelINS0_14default_configENS1_22reduce_config_selectorIbEEZNS1_11reduce_implILb1ES3_N6hipcub16HIPCUB_304000_NS22TransformInputIteratorIbN2at6native12_GLOBAL__N_19NonZeroOpIlEEPKllEEPiiNS8_6detail34convert_binary_result_type_wrapperINS8_3SumESH_iEEEE10hipError_tPvRmT1_T2_T3_mT4_P12ihipStream_tbEUlT_E1_NS1_11comp_targetILNS1_3genE10ELNS1_11target_archE1200ELNS1_3gpuE4ELNS1_3repE0EEENS1_30default_config_static_selectorELNS0_4arch9wavefront6targetE0EEEvSQ_,"axG",@progbits,_ZN7rocprim17ROCPRIM_400000_NS6detail17trampoline_kernelINS0_14default_configENS1_22reduce_config_selectorIbEEZNS1_11reduce_implILb1ES3_N6hipcub16HIPCUB_304000_NS22TransformInputIteratorIbN2at6native12_GLOBAL__N_19NonZeroOpIlEEPKllEEPiiNS8_6detail34convert_binary_result_type_wrapperINS8_3SumESH_iEEEE10hipError_tPvRmT1_T2_T3_mT4_P12ihipStream_tbEUlT_E1_NS1_11comp_targetILNS1_3genE10ELNS1_11target_archE1200ELNS1_3gpuE4ELNS1_3repE0EEENS1_30default_config_static_selectorELNS0_4arch9wavefront6targetE0EEEvSQ_,comdat
.Lfunc_end251:
	.size	_ZN7rocprim17ROCPRIM_400000_NS6detail17trampoline_kernelINS0_14default_configENS1_22reduce_config_selectorIbEEZNS1_11reduce_implILb1ES3_N6hipcub16HIPCUB_304000_NS22TransformInputIteratorIbN2at6native12_GLOBAL__N_19NonZeroOpIlEEPKllEEPiiNS8_6detail34convert_binary_result_type_wrapperINS8_3SumESH_iEEEE10hipError_tPvRmT1_T2_T3_mT4_P12ihipStream_tbEUlT_E1_NS1_11comp_targetILNS1_3genE10ELNS1_11target_archE1200ELNS1_3gpuE4ELNS1_3repE0EEENS1_30default_config_static_selectorELNS0_4arch9wavefront6targetE0EEEvSQ_, .Lfunc_end251-_ZN7rocprim17ROCPRIM_400000_NS6detail17trampoline_kernelINS0_14default_configENS1_22reduce_config_selectorIbEEZNS1_11reduce_implILb1ES3_N6hipcub16HIPCUB_304000_NS22TransformInputIteratorIbN2at6native12_GLOBAL__N_19NonZeroOpIlEEPKllEEPiiNS8_6detail34convert_binary_result_type_wrapperINS8_3SumESH_iEEEE10hipError_tPvRmT1_T2_T3_mT4_P12ihipStream_tbEUlT_E1_NS1_11comp_targetILNS1_3genE10ELNS1_11target_archE1200ELNS1_3gpuE4ELNS1_3repE0EEENS1_30default_config_static_selectorELNS0_4arch9wavefront6targetE0EEEvSQ_
                                        ; -- End function
	.set _ZN7rocprim17ROCPRIM_400000_NS6detail17trampoline_kernelINS0_14default_configENS1_22reduce_config_selectorIbEEZNS1_11reduce_implILb1ES3_N6hipcub16HIPCUB_304000_NS22TransformInputIteratorIbN2at6native12_GLOBAL__N_19NonZeroOpIlEEPKllEEPiiNS8_6detail34convert_binary_result_type_wrapperINS8_3SumESH_iEEEE10hipError_tPvRmT1_T2_T3_mT4_P12ihipStream_tbEUlT_E1_NS1_11comp_targetILNS1_3genE10ELNS1_11target_archE1200ELNS1_3gpuE4ELNS1_3repE0EEENS1_30default_config_static_selectorELNS0_4arch9wavefront6targetE0EEEvSQ_.num_vgpr, 0
	.set _ZN7rocprim17ROCPRIM_400000_NS6detail17trampoline_kernelINS0_14default_configENS1_22reduce_config_selectorIbEEZNS1_11reduce_implILb1ES3_N6hipcub16HIPCUB_304000_NS22TransformInputIteratorIbN2at6native12_GLOBAL__N_19NonZeroOpIlEEPKllEEPiiNS8_6detail34convert_binary_result_type_wrapperINS8_3SumESH_iEEEE10hipError_tPvRmT1_T2_T3_mT4_P12ihipStream_tbEUlT_E1_NS1_11comp_targetILNS1_3genE10ELNS1_11target_archE1200ELNS1_3gpuE4ELNS1_3repE0EEENS1_30default_config_static_selectorELNS0_4arch9wavefront6targetE0EEEvSQ_.num_agpr, 0
	.set _ZN7rocprim17ROCPRIM_400000_NS6detail17trampoline_kernelINS0_14default_configENS1_22reduce_config_selectorIbEEZNS1_11reduce_implILb1ES3_N6hipcub16HIPCUB_304000_NS22TransformInputIteratorIbN2at6native12_GLOBAL__N_19NonZeroOpIlEEPKllEEPiiNS8_6detail34convert_binary_result_type_wrapperINS8_3SumESH_iEEEE10hipError_tPvRmT1_T2_T3_mT4_P12ihipStream_tbEUlT_E1_NS1_11comp_targetILNS1_3genE10ELNS1_11target_archE1200ELNS1_3gpuE4ELNS1_3repE0EEENS1_30default_config_static_selectorELNS0_4arch9wavefront6targetE0EEEvSQ_.numbered_sgpr, 0
	.set _ZN7rocprim17ROCPRIM_400000_NS6detail17trampoline_kernelINS0_14default_configENS1_22reduce_config_selectorIbEEZNS1_11reduce_implILb1ES3_N6hipcub16HIPCUB_304000_NS22TransformInputIteratorIbN2at6native12_GLOBAL__N_19NonZeroOpIlEEPKllEEPiiNS8_6detail34convert_binary_result_type_wrapperINS8_3SumESH_iEEEE10hipError_tPvRmT1_T2_T3_mT4_P12ihipStream_tbEUlT_E1_NS1_11comp_targetILNS1_3genE10ELNS1_11target_archE1200ELNS1_3gpuE4ELNS1_3repE0EEENS1_30default_config_static_selectorELNS0_4arch9wavefront6targetE0EEEvSQ_.num_named_barrier, 0
	.set _ZN7rocprim17ROCPRIM_400000_NS6detail17trampoline_kernelINS0_14default_configENS1_22reduce_config_selectorIbEEZNS1_11reduce_implILb1ES3_N6hipcub16HIPCUB_304000_NS22TransformInputIteratorIbN2at6native12_GLOBAL__N_19NonZeroOpIlEEPKllEEPiiNS8_6detail34convert_binary_result_type_wrapperINS8_3SumESH_iEEEE10hipError_tPvRmT1_T2_T3_mT4_P12ihipStream_tbEUlT_E1_NS1_11comp_targetILNS1_3genE10ELNS1_11target_archE1200ELNS1_3gpuE4ELNS1_3repE0EEENS1_30default_config_static_selectorELNS0_4arch9wavefront6targetE0EEEvSQ_.private_seg_size, 0
	.set _ZN7rocprim17ROCPRIM_400000_NS6detail17trampoline_kernelINS0_14default_configENS1_22reduce_config_selectorIbEEZNS1_11reduce_implILb1ES3_N6hipcub16HIPCUB_304000_NS22TransformInputIteratorIbN2at6native12_GLOBAL__N_19NonZeroOpIlEEPKllEEPiiNS8_6detail34convert_binary_result_type_wrapperINS8_3SumESH_iEEEE10hipError_tPvRmT1_T2_T3_mT4_P12ihipStream_tbEUlT_E1_NS1_11comp_targetILNS1_3genE10ELNS1_11target_archE1200ELNS1_3gpuE4ELNS1_3repE0EEENS1_30default_config_static_selectorELNS0_4arch9wavefront6targetE0EEEvSQ_.uses_vcc, 0
	.set _ZN7rocprim17ROCPRIM_400000_NS6detail17trampoline_kernelINS0_14default_configENS1_22reduce_config_selectorIbEEZNS1_11reduce_implILb1ES3_N6hipcub16HIPCUB_304000_NS22TransformInputIteratorIbN2at6native12_GLOBAL__N_19NonZeroOpIlEEPKllEEPiiNS8_6detail34convert_binary_result_type_wrapperINS8_3SumESH_iEEEE10hipError_tPvRmT1_T2_T3_mT4_P12ihipStream_tbEUlT_E1_NS1_11comp_targetILNS1_3genE10ELNS1_11target_archE1200ELNS1_3gpuE4ELNS1_3repE0EEENS1_30default_config_static_selectorELNS0_4arch9wavefront6targetE0EEEvSQ_.uses_flat_scratch, 0
	.set _ZN7rocprim17ROCPRIM_400000_NS6detail17trampoline_kernelINS0_14default_configENS1_22reduce_config_selectorIbEEZNS1_11reduce_implILb1ES3_N6hipcub16HIPCUB_304000_NS22TransformInputIteratorIbN2at6native12_GLOBAL__N_19NonZeroOpIlEEPKllEEPiiNS8_6detail34convert_binary_result_type_wrapperINS8_3SumESH_iEEEE10hipError_tPvRmT1_T2_T3_mT4_P12ihipStream_tbEUlT_E1_NS1_11comp_targetILNS1_3genE10ELNS1_11target_archE1200ELNS1_3gpuE4ELNS1_3repE0EEENS1_30default_config_static_selectorELNS0_4arch9wavefront6targetE0EEEvSQ_.has_dyn_sized_stack, 0
	.set _ZN7rocprim17ROCPRIM_400000_NS6detail17trampoline_kernelINS0_14default_configENS1_22reduce_config_selectorIbEEZNS1_11reduce_implILb1ES3_N6hipcub16HIPCUB_304000_NS22TransformInputIteratorIbN2at6native12_GLOBAL__N_19NonZeroOpIlEEPKllEEPiiNS8_6detail34convert_binary_result_type_wrapperINS8_3SumESH_iEEEE10hipError_tPvRmT1_T2_T3_mT4_P12ihipStream_tbEUlT_E1_NS1_11comp_targetILNS1_3genE10ELNS1_11target_archE1200ELNS1_3gpuE4ELNS1_3repE0EEENS1_30default_config_static_selectorELNS0_4arch9wavefront6targetE0EEEvSQ_.has_recursion, 0
	.set _ZN7rocprim17ROCPRIM_400000_NS6detail17trampoline_kernelINS0_14default_configENS1_22reduce_config_selectorIbEEZNS1_11reduce_implILb1ES3_N6hipcub16HIPCUB_304000_NS22TransformInputIteratorIbN2at6native12_GLOBAL__N_19NonZeroOpIlEEPKllEEPiiNS8_6detail34convert_binary_result_type_wrapperINS8_3SumESH_iEEEE10hipError_tPvRmT1_T2_T3_mT4_P12ihipStream_tbEUlT_E1_NS1_11comp_targetILNS1_3genE10ELNS1_11target_archE1200ELNS1_3gpuE4ELNS1_3repE0EEENS1_30default_config_static_selectorELNS0_4arch9wavefront6targetE0EEEvSQ_.has_indirect_call, 0
	.section	.AMDGPU.csdata,"",@progbits
; Kernel info:
; codeLenInByte = 0
; TotalNumSgprs: 0
; NumVgprs: 0
; ScratchSize: 0
; MemoryBound: 0
; FloatMode: 240
; IeeeMode: 1
; LDSByteSize: 0 bytes/workgroup (compile time only)
; SGPRBlocks: 0
; VGPRBlocks: 0
; NumSGPRsForWavesPerEU: 1
; NumVGPRsForWavesPerEU: 1
; Occupancy: 16
; WaveLimiterHint : 0
; COMPUTE_PGM_RSRC2:SCRATCH_EN: 0
; COMPUTE_PGM_RSRC2:USER_SGPR: 2
; COMPUTE_PGM_RSRC2:TRAP_HANDLER: 0
; COMPUTE_PGM_RSRC2:TGID_X_EN: 1
; COMPUTE_PGM_RSRC2:TGID_Y_EN: 0
; COMPUTE_PGM_RSRC2:TGID_Z_EN: 0
; COMPUTE_PGM_RSRC2:TIDIG_COMP_CNT: 0
	.section	.text._ZN7rocprim17ROCPRIM_400000_NS6detail17trampoline_kernelINS0_14default_configENS1_22reduce_config_selectorIbEEZNS1_11reduce_implILb1ES3_N6hipcub16HIPCUB_304000_NS22TransformInputIteratorIbN2at6native12_GLOBAL__N_19NonZeroOpIlEEPKllEEPiiNS8_6detail34convert_binary_result_type_wrapperINS8_3SumESH_iEEEE10hipError_tPvRmT1_T2_T3_mT4_P12ihipStream_tbEUlT_E1_NS1_11comp_targetILNS1_3genE9ELNS1_11target_archE1100ELNS1_3gpuE3ELNS1_3repE0EEENS1_30default_config_static_selectorELNS0_4arch9wavefront6targetE0EEEvSQ_,"axG",@progbits,_ZN7rocprim17ROCPRIM_400000_NS6detail17trampoline_kernelINS0_14default_configENS1_22reduce_config_selectorIbEEZNS1_11reduce_implILb1ES3_N6hipcub16HIPCUB_304000_NS22TransformInputIteratorIbN2at6native12_GLOBAL__N_19NonZeroOpIlEEPKllEEPiiNS8_6detail34convert_binary_result_type_wrapperINS8_3SumESH_iEEEE10hipError_tPvRmT1_T2_T3_mT4_P12ihipStream_tbEUlT_E1_NS1_11comp_targetILNS1_3genE9ELNS1_11target_archE1100ELNS1_3gpuE3ELNS1_3repE0EEENS1_30default_config_static_selectorELNS0_4arch9wavefront6targetE0EEEvSQ_,comdat
	.globl	_ZN7rocprim17ROCPRIM_400000_NS6detail17trampoline_kernelINS0_14default_configENS1_22reduce_config_selectorIbEEZNS1_11reduce_implILb1ES3_N6hipcub16HIPCUB_304000_NS22TransformInputIteratorIbN2at6native12_GLOBAL__N_19NonZeroOpIlEEPKllEEPiiNS8_6detail34convert_binary_result_type_wrapperINS8_3SumESH_iEEEE10hipError_tPvRmT1_T2_T3_mT4_P12ihipStream_tbEUlT_E1_NS1_11comp_targetILNS1_3genE9ELNS1_11target_archE1100ELNS1_3gpuE3ELNS1_3repE0EEENS1_30default_config_static_selectorELNS0_4arch9wavefront6targetE0EEEvSQ_ ; -- Begin function _ZN7rocprim17ROCPRIM_400000_NS6detail17trampoline_kernelINS0_14default_configENS1_22reduce_config_selectorIbEEZNS1_11reduce_implILb1ES3_N6hipcub16HIPCUB_304000_NS22TransformInputIteratorIbN2at6native12_GLOBAL__N_19NonZeroOpIlEEPKllEEPiiNS8_6detail34convert_binary_result_type_wrapperINS8_3SumESH_iEEEE10hipError_tPvRmT1_T2_T3_mT4_P12ihipStream_tbEUlT_E1_NS1_11comp_targetILNS1_3genE9ELNS1_11target_archE1100ELNS1_3gpuE3ELNS1_3repE0EEENS1_30default_config_static_selectorELNS0_4arch9wavefront6targetE0EEEvSQ_
	.p2align	8
	.type	_ZN7rocprim17ROCPRIM_400000_NS6detail17trampoline_kernelINS0_14default_configENS1_22reduce_config_selectorIbEEZNS1_11reduce_implILb1ES3_N6hipcub16HIPCUB_304000_NS22TransformInputIteratorIbN2at6native12_GLOBAL__N_19NonZeroOpIlEEPKllEEPiiNS8_6detail34convert_binary_result_type_wrapperINS8_3SumESH_iEEEE10hipError_tPvRmT1_T2_T3_mT4_P12ihipStream_tbEUlT_E1_NS1_11comp_targetILNS1_3genE9ELNS1_11target_archE1100ELNS1_3gpuE3ELNS1_3repE0EEENS1_30default_config_static_selectorELNS0_4arch9wavefront6targetE0EEEvSQ_,@function
_ZN7rocprim17ROCPRIM_400000_NS6detail17trampoline_kernelINS0_14default_configENS1_22reduce_config_selectorIbEEZNS1_11reduce_implILb1ES3_N6hipcub16HIPCUB_304000_NS22TransformInputIteratorIbN2at6native12_GLOBAL__N_19NonZeroOpIlEEPKllEEPiiNS8_6detail34convert_binary_result_type_wrapperINS8_3SumESH_iEEEE10hipError_tPvRmT1_T2_T3_mT4_P12ihipStream_tbEUlT_E1_NS1_11comp_targetILNS1_3genE9ELNS1_11target_archE1100ELNS1_3gpuE3ELNS1_3repE0EEENS1_30default_config_static_selectorELNS0_4arch9wavefront6targetE0EEEvSQ_: ; @_ZN7rocprim17ROCPRIM_400000_NS6detail17trampoline_kernelINS0_14default_configENS1_22reduce_config_selectorIbEEZNS1_11reduce_implILb1ES3_N6hipcub16HIPCUB_304000_NS22TransformInputIteratorIbN2at6native12_GLOBAL__N_19NonZeroOpIlEEPKllEEPiiNS8_6detail34convert_binary_result_type_wrapperINS8_3SumESH_iEEEE10hipError_tPvRmT1_T2_T3_mT4_P12ihipStream_tbEUlT_E1_NS1_11comp_targetILNS1_3genE9ELNS1_11target_archE1100ELNS1_3gpuE3ELNS1_3repE0EEENS1_30default_config_static_selectorELNS0_4arch9wavefront6targetE0EEEvSQ_
; %bb.0:
	.section	.rodata,"a",@progbits
	.p2align	6, 0x0
	.amdhsa_kernel _ZN7rocprim17ROCPRIM_400000_NS6detail17trampoline_kernelINS0_14default_configENS1_22reduce_config_selectorIbEEZNS1_11reduce_implILb1ES3_N6hipcub16HIPCUB_304000_NS22TransformInputIteratorIbN2at6native12_GLOBAL__N_19NonZeroOpIlEEPKllEEPiiNS8_6detail34convert_binary_result_type_wrapperINS8_3SumESH_iEEEE10hipError_tPvRmT1_T2_T3_mT4_P12ihipStream_tbEUlT_E1_NS1_11comp_targetILNS1_3genE9ELNS1_11target_archE1100ELNS1_3gpuE3ELNS1_3repE0EEENS1_30default_config_static_selectorELNS0_4arch9wavefront6targetE0EEEvSQ_
		.amdhsa_group_segment_fixed_size 0
		.amdhsa_private_segment_fixed_size 0
		.amdhsa_kernarg_size 48
		.amdhsa_user_sgpr_count 2
		.amdhsa_user_sgpr_dispatch_ptr 0
		.amdhsa_user_sgpr_queue_ptr 0
		.amdhsa_user_sgpr_kernarg_segment_ptr 1
		.amdhsa_user_sgpr_dispatch_id 0
		.amdhsa_user_sgpr_private_segment_size 0
		.amdhsa_wavefront_size32 1
		.amdhsa_uses_dynamic_stack 0
		.amdhsa_enable_private_segment 0
		.amdhsa_system_sgpr_workgroup_id_x 1
		.amdhsa_system_sgpr_workgroup_id_y 0
		.amdhsa_system_sgpr_workgroup_id_z 0
		.amdhsa_system_sgpr_workgroup_info 0
		.amdhsa_system_vgpr_workitem_id 0
		.amdhsa_next_free_vgpr 1
		.amdhsa_next_free_sgpr 1
		.amdhsa_reserve_vcc 0
		.amdhsa_float_round_mode_32 0
		.amdhsa_float_round_mode_16_64 0
		.amdhsa_float_denorm_mode_32 3
		.amdhsa_float_denorm_mode_16_64 3
		.amdhsa_fp16_overflow 0
		.amdhsa_workgroup_processor_mode 1
		.amdhsa_memory_ordered 1
		.amdhsa_forward_progress 1
		.amdhsa_inst_pref_size 0
		.amdhsa_round_robin_scheduling 0
		.amdhsa_exception_fp_ieee_invalid_op 0
		.amdhsa_exception_fp_denorm_src 0
		.amdhsa_exception_fp_ieee_div_zero 0
		.amdhsa_exception_fp_ieee_overflow 0
		.amdhsa_exception_fp_ieee_underflow 0
		.amdhsa_exception_fp_ieee_inexact 0
		.amdhsa_exception_int_div_zero 0
	.end_amdhsa_kernel
	.section	.text._ZN7rocprim17ROCPRIM_400000_NS6detail17trampoline_kernelINS0_14default_configENS1_22reduce_config_selectorIbEEZNS1_11reduce_implILb1ES3_N6hipcub16HIPCUB_304000_NS22TransformInputIteratorIbN2at6native12_GLOBAL__N_19NonZeroOpIlEEPKllEEPiiNS8_6detail34convert_binary_result_type_wrapperINS8_3SumESH_iEEEE10hipError_tPvRmT1_T2_T3_mT4_P12ihipStream_tbEUlT_E1_NS1_11comp_targetILNS1_3genE9ELNS1_11target_archE1100ELNS1_3gpuE3ELNS1_3repE0EEENS1_30default_config_static_selectorELNS0_4arch9wavefront6targetE0EEEvSQ_,"axG",@progbits,_ZN7rocprim17ROCPRIM_400000_NS6detail17trampoline_kernelINS0_14default_configENS1_22reduce_config_selectorIbEEZNS1_11reduce_implILb1ES3_N6hipcub16HIPCUB_304000_NS22TransformInputIteratorIbN2at6native12_GLOBAL__N_19NonZeroOpIlEEPKllEEPiiNS8_6detail34convert_binary_result_type_wrapperINS8_3SumESH_iEEEE10hipError_tPvRmT1_T2_T3_mT4_P12ihipStream_tbEUlT_E1_NS1_11comp_targetILNS1_3genE9ELNS1_11target_archE1100ELNS1_3gpuE3ELNS1_3repE0EEENS1_30default_config_static_selectorELNS0_4arch9wavefront6targetE0EEEvSQ_,comdat
.Lfunc_end252:
	.size	_ZN7rocprim17ROCPRIM_400000_NS6detail17trampoline_kernelINS0_14default_configENS1_22reduce_config_selectorIbEEZNS1_11reduce_implILb1ES3_N6hipcub16HIPCUB_304000_NS22TransformInputIteratorIbN2at6native12_GLOBAL__N_19NonZeroOpIlEEPKllEEPiiNS8_6detail34convert_binary_result_type_wrapperINS8_3SumESH_iEEEE10hipError_tPvRmT1_T2_T3_mT4_P12ihipStream_tbEUlT_E1_NS1_11comp_targetILNS1_3genE9ELNS1_11target_archE1100ELNS1_3gpuE3ELNS1_3repE0EEENS1_30default_config_static_selectorELNS0_4arch9wavefront6targetE0EEEvSQ_, .Lfunc_end252-_ZN7rocprim17ROCPRIM_400000_NS6detail17trampoline_kernelINS0_14default_configENS1_22reduce_config_selectorIbEEZNS1_11reduce_implILb1ES3_N6hipcub16HIPCUB_304000_NS22TransformInputIteratorIbN2at6native12_GLOBAL__N_19NonZeroOpIlEEPKllEEPiiNS8_6detail34convert_binary_result_type_wrapperINS8_3SumESH_iEEEE10hipError_tPvRmT1_T2_T3_mT4_P12ihipStream_tbEUlT_E1_NS1_11comp_targetILNS1_3genE9ELNS1_11target_archE1100ELNS1_3gpuE3ELNS1_3repE0EEENS1_30default_config_static_selectorELNS0_4arch9wavefront6targetE0EEEvSQ_
                                        ; -- End function
	.set _ZN7rocprim17ROCPRIM_400000_NS6detail17trampoline_kernelINS0_14default_configENS1_22reduce_config_selectorIbEEZNS1_11reduce_implILb1ES3_N6hipcub16HIPCUB_304000_NS22TransformInputIteratorIbN2at6native12_GLOBAL__N_19NonZeroOpIlEEPKllEEPiiNS8_6detail34convert_binary_result_type_wrapperINS8_3SumESH_iEEEE10hipError_tPvRmT1_T2_T3_mT4_P12ihipStream_tbEUlT_E1_NS1_11comp_targetILNS1_3genE9ELNS1_11target_archE1100ELNS1_3gpuE3ELNS1_3repE0EEENS1_30default_config_static_selectorELNS0_4arch9wavefront6targetE0EEEvSQ_.num_vgpr, 0
	.set _ZN7rocprim17ROCPRIM_400000_NS6detail17trampoline_kernelINS0_14default_configENS1_22reduce_config_selectorIbEEZNS1_11reduce_implILb1ES3_N6hipcub16HIPCUB_304000_NS22TransformInputIteratorIbN2at6native12_GLOBAL__N_19NonZeroOpIlEEPKllEEPiiNS8_6detail34convert_binary_result_type_wrapperINS8_3SumESH_iEEEE10hipError_tPvRmT1_T2_T3_mT4_P12ihipStream_tbEUlT_E1_NS1_11comp_targetILNS1_3genE9ELNS1_11target_archE1100ELNS1_3gpuE3ELNS1_3repE0EEENS1_30default_config_static_selectorELNS0_4arch9wavefront6targetE0EEEvSQ_.num_agpr, 0
	.set _ZN7rocprim17ROCPRIM_400000_NS6detail17trampoline_kernelINS0_14default_configENS1_22reduce_config_selectorIbEEZNS1_11reduce_implILb1ES3_N6hipcub16HIPCUB_304000_NS22TransformInputIteratorIbN2at6native12_GLOBAL__N_19NonZeroOpIlEEPKllEEPiiNS8_6detail34convert_binary_result_type_wrapperINS8_3SumESH_iEEEE10hipError_tPvRmT1_T2_T3_mT4_P12ihipStream_tbEUlT_E1_NS1_11comp_targetILNS1_3genE9ELNS1_11target_archE1100ELNS1_3gpuE3ELNS1_3repE0EEENS1_30default_config_static_selectorELNS0_4arch9wavefront6targetE0EEEvSQ_.numbered_sgpr, 0
	.set _ZN7rocprim17ROCPRIM_400000_NS6detail17trampoline_kernelINS0_14default_configENS1_22reduce_config_selectorIbEEZNS1_11reduce_implILb1ES3_N6hipcub16HIPCUB_304000_NS22TransformInputIteratorIbN2at6native12_GLOBAL__N_19NonZeroOpIlEEPKllEEPiiNS8_6detail34convert_binary_result_type_wrapperINS8_3SumESH_iEEEE10hipError_tPvRmT1_T2_T3_mT4_P12ihipStream_tbEUlT_E1_NS1_11comp_targetILNS1_3genE9ELNS1_11target_archE1100ELNS1_3gpuE3ELNS1_3repE0EEENS1_30default_config_static_selectorELNS0_4arch9wavefront6targetE0EEEvSQ_.num_named_barrier, 0
	.set _ZN7rocprim17ROCPRIM_400000_NS6detail17trampoline_kernelINS0_14default_configENS1_22reduce_config_selectorIbEEZNS1_11reduce_implILb1ES3_N6hipcub16HIPCUB_304000_NS22TransformInputIteratorIbN2at6native12_GLOBAL__N_19NonZeroOpIlEEPKllEEPiiNS8_6detail34convert_binary_result_type_wrapperINS8_3SumESH_iEEEE10hipError_tPvRmT1_T2_T3_mT4_P12ihipStream_tbEUlT_E1_NS1_11comp_targetILNS1_3genE9ELNS1_11target_archE1100ELNS1_3gpuE3ELNS1_3repE0EEENS1_30default_config_static_selectorELNS0_4arch9wavefront6targetE0EEEvSQ_.private_seg_size, 0
	.set _ZN7rocprim17ROCPRIM_400000_NS6detail17trampoline_kernelINS0_14default_configENS1_22reduce_config_selectorIbEEZNS1_11reduce_implILb1ES3_N6hipcub16HIPCUB_304000_NS22TransformInputIteratorIbN2at6native12_GLOBAL__N_19NonZeroOpIlEEPKllEEPiiNS8_6detail34convert_binary_result_type_wrapperINS8_3SumESH_iEEEE10hipError_tPvRmT1_T2_T3_mT4_P12ihipStream_tbEUlT_E1_NS1_11comp_targetILNS1_3genE9ELNS1_11target_archE1100ELNS1_3gpuE3ELNS1_3repE0EEENS1_30default_config_static_selectorELNS0_4arch9wavefront6targetE0EEEvSQ_.uses_vcc, 0
	.set _ZN7rocprim17ROCPRIM_400000_NS6detail17trampoline_kernelINS0_14default_configENS1_22reduce_config_selectorIbEEZNS1_11reduce_implILb1ES3_N6hipcub16HIPCUB_304000_NS22TransformInputIteratorIbN2at6native12_GLOBAL__N_19NonZeroOpIlEEPKllEEPiiNS8_6detail34convert_binary_result_type_wrapperINS8_3SumESH_iEEEE10hipError_tPvRmT1_T2_T3_mT4_P12ihipStream_tbEUlT_E1_NS1_11comp_targetILNS1_3genE9ELNS1_11target_archE1100ELNS1_3gpuE3ELNS1_3repE0EEENS1_30default_config_static_selectorELNS0_4arch9wavefront6targetE0EEEvSQ_.uses_flat_scratch, 0
	.set _ZN7rocprim17ROCPRIM_400000_NS6detail17trampoline_kernelINS0_14default_configENS1_22reduce_config_selectorIbEEZNS1_11reduce_implILb1ES3_N6hipcub16HIPCUB_304000_NS22TransformInputIteratorIbN2at6native12_GLOBAL__N_19NonZeroOpIlEEPKllEEPiiNS8_6detail34convert_binary_result_type_wrapperINS8_3SumESH_iEEEE10hipError_tPvRmT1_T2_T3_mT4_P12ihipStream_tbEUlT_E1_NS1_11comp_targetILNS1_3genE9ELNS1_11target_archE1100ELNS1_3gpuE3ELNS1_3repE0EEENS1_30default_config_static_selectorELNS0_4arch9wavefront6targetE0EEEvSQ_.has_dyn_sized_stack, 0
	.set _ZN7rocprim17ROCPRIM_400000_NS6detail17trampoline_kernelINS0_14default_configENS1_22reduce_config_selectorIbEEZNS1_11reduce_implILb1ES3_N6hipcub16HIPCUB_304000_NS22TransformInputIteratorIbN2at6native12_GLOBAL__N_19NonZeroOpIlEEPKllEEPiiNS8_6detail34convert_binary_result_type_wrapperINS8_3SumESH_iEEEE10hipError_tPvRmT1_T2_T3_mT4_P12ihipStream_tbEUlT_E1_NS1_11comp_targetILNS1_3genE9ELNS1_11target_archE1100ELNS1_3gpuE3ELNS1_3repE0EEENS1_30default_config_static_selectorELNS0_4arch9wavefront6targetE0EEEvSQ_.has_recursion, 0
	.set _ZN7rocprim17ROCPRIM_400000_NS6detail17trampoline_kernelINS0_14default_configENS1_22reduce_config_selectorIbEEZNS1_11reduce_implILb1ES3_N6hipcub16HIPCUB_304000_NS22TransformInputIteratorIbN2at6native12_GLOBAL__N_19NonZeroOpIlEEPKllEEPiiNS8_6detail34convert_binary_result_type_wrapperINS8_3SumESH_iEEEE10hipError_tPvRmT1_T2_T3_mT4_P12ihipStream_tbEUlT_E1_NS1_11comp_targetILNS1_3genE9ELNS1_11target_archE1100ELNS1_3gpuE3ELNS1_3repE0EEENS1_30default_config_static_selectorELNS0_4arch9wavefront6targetE0EEEvSQ_.has_indirect_call, 0
	.section	.AMDGPU.csdata,"",@progbits
; Kernel info:
; codeLenInByte = 0
; TotalNumSgprs: 0
; NumVgprs: 0
; ScratchSize: 0
; MemoryBound: 0
; FloatMode: 240
; IeeeMode: 1
; LDSByteSize: 0 bytes/workgroup (compile time only)
; SGPRBlocks: 0
; VGPRBlocks: 0
; NumSGPRsForWavesPerEU: 1
; NumVGPRsForWavesPerEU: 1
; Occupancy: 16
; WaveLimiterHint : 0
; COMPUTE_PGM_RSRC2:SCRATCH_EN: 0
; COMPUTE_PGM_RSRC2:USER_SGPR: 2
; COMPUTE_PGM_RSRC2:TRAP_HANDLER: 0
; COMPUTE_PGM_RSRC2:TGID_X_EN: 1
; COMPUTE_PGM_RSRC2:TGID_Y_EN: 0
; COMPUTE_PGM_RSRC2:TGID_Z_EN: 0
; COMPUTE_PGM_RSRC2:TIDIG_COMP_CNT: 0
	.section	.text._ZN7rocprim17ROCPRIM_400000_NS6detail17trampoline_kernelINS0_14default_configENS1_22reduce_config_selectorIbEEZNS1_11reduce_implILb1ES3_N6hipcub16HIPCUB_304000_NS22TransformInputIteratorIbN2at6native12_GLOBAL__N_19NonZeroOpIlEEPKllEEPiiNS8_6detail34convert_binary_result_type_wrapperINS8_3SumESH_iEEEE10hipError_tPvRmT1_T2_T3_mT4_P12ihipStream_tbEUlT_E1_NS1_11comp_targetILNS1_3genE8ELNS1_11target_archE1030ELNS1_3gpuE2ELNS1_3repE0EEENS1_30default_config_static_selectorELNS0_4arch9wavefront6targetE0EEEvSQ_,"axG",@progbits,_ZN7rocprim17ROCPRIM_400000_NS6detail17trampoline_kernelINS0_14default_configENS1_22reduce_config_selectorIbEEZNS1_11reduce_implILb1ES3_N6hipcub16HIPCUB_304000_NS22TransformInputIteratorIbN2at6native12_GLOBAL__N_19NonZeroOpIlEEPKllEEPiiNS8_6detail34convert_binary_result_type_wrapperINS8_3SumESH_iEEEE10hipError_tPvRmT1_T2_T3_mT4_P12ihipStream_tbEUlT_E1_NS1_11comp_targetILNS1_3genE8ELNS1_11target_archE1030ELNS1_3gpuE2ELNS1_3repE0EEENS1_30default_config_static_selectorELNS0_4arch9wavefront6targetE0EEEvSQ_,comdat
	.globl	_ZN7rocprim17ROCPRIM_400000_NS6detail17trampoline_kernelINS0_14default_configENS1_22reduce_config_selectorIbEEZNS1_11reduce_implILb1ES3_N6hipcub16HIPCUB_304000_NS22TransformInputIteratorIbN2at6native12_GLOBAL__N_19NonZeroOpIlEEPKllEEPiiNS8_6detail34convert_binary_result_type_wrapperINS8_3SumESH_iEEEE10hipError_tPvRmT1_T2_T3_mT4_P12ihipStream_tbEUlT_E1_NS1_11comp_targetILNS1_3genE8ELNS1_11target_archE1030ELNS1_3gpuE2ELNS1_3repE0EEENS1_30default_config_static_selectorELNS0_4arch9wavefront6targetE0EEEvSQ_ ; -- Begin function _ZN7rocprim17ROCPRIM_400000_NS6detail17trampoline_kernelINS0_14default_configENS1_22reduce_config_selectorIbEEZNS1_11reduce_implILb1ES3_N6hipcub16HIPCUB_304000_NS22TransformInputIteratorIbN2at6native12_GLOBAL__N_19NonZeroOpIlEEPKllEEPiiNS8_6detail34convert_binary_result_type_wrapperINS8_3SumESH_iEEEE10hipError_tPvRmT1_T2_T3_mT4_P12ihipStream_tbEUlT_E1_NS1_11comp_targetILNS1_3genE8ELNS1_11target_archE1030ELNS1_3gpuE2ELNS1_3repE0EEENS1_30default_config_static_selectorELNS0_4arch9wavefront6targetE0EEEvSQ_
	.p2align	8
	.type	_ZN7rocprim17ROCPRIM_400000_NS6detail17trampoline_kernelINS0_14default_configENS1_22reduce_config_selectorIbEEZNS1_11reduce_implILb1ES3_N6hipcub16HIPCUB_304000_NS22TransformInputIteratorIbN2at6native12_GLOBAL__N_19NonZeroOpIlEEPKllEEPiiNS8_6detail34convert_binary_result_type_wrapperINS8_3SumESH_iEEEE10hipError_tPvRmT1_T2_T3_mT4_P12ihipStream_tbEUlT_E1_NS1_11comp_targetILNS1_3genE8ELNS1_11target_archE1030ELNS1_3gpuE2ELNS1_3repE0EEENS1_30default_config_static_selectorELNS0_4arch9wavefront6targetE0EEEvSQ_,@function
_ZN7rocprim17ROCPRIM_400000_NS6detail17trampoline_kernelINS0_14default_configENS1_22reduce_config_selectorIbEEZNS1_11reduce_implILb1ES3_N6hipcub16HIPCUB_304000_NS22TransformInputIteratorIbN2at6native12_GLOBAL__N_19NonZeroOpIlEEPKllEEPiiNS8_6detail34convert_binary_result_type_wrapperINS8_3SumESH_iEEEE10hipError_tPvRmT1_T2_T3_mT4_P12ihipStream_tbEUlT_E1_NS1_11comp_targetILNS1_3genE8ELNS1_11target_archE1030ELNS1_3gpuE2ELNS1_3repE0EEENS1_30default_config_static_selectorELNS0_4arch9wavefront6targetE0EEEvSQ_: ; @_ZN7rocprim17ROCPRIM_400000_NS6detail17trampoline_kernelINS0_14default_configENS1_22reduce_config_selectorIbEEZNS1_11reduce_implILb1ES3_N6hipcub16HIPCUB_304000_NS22TransformInputIteratorIbN2at6native12_GLOBAL__N_19NonZeroOpIlEEPKllEEPiiNS8_6detail34convert_binary_result_type_wrapperINS8_3SumESH_iEEEE10hipError_tPvRmT1_T2_T3_mT4_P12ihipStream_tbEUlT_E1_NS1_11comp_targetILNS1_3genE8ELNS1_11target_archE1030ELNS1_3gpuE2ELNS1_3repE0EEENS1_30default_config_static_selectorELNS0_4arch9wavefront6targetE0EEEvSQ_
; %bb.0:
	.section	.rodata,"a",@progbits
	.p2align	6, 0x0
	.amdhsa_kernel _ZN7rocprim17ROCPRIM_400000_NS6detail17trampoline_kernelINS0_14default_configENS1_22reduce_config_selectorIbEEZNS1_11reduce_implILb1ES3_N6hipcub16HIPCUB_304000_NS22TransformInputIteratorIbN2at6native12_GLOBAL__N_19NonZeroOpIlEEPKllEEPiiNS8_6detail34convert_binary_result_type_wrapperINS8_3SumESH_iEEEE10hipError_tPvRmT1_T2_T3_mT4_P12ihipStream_tbEUlT_E1_NS1_11comp_targetILNS1_3genE8ELNS1_11target_archE1030ELNS1_3gpuE2ELNS1_3repE0EEENS1_30default_config_static_selectorELNS0_4arch9wavefront6targetE0EEEvSQ_
		.amdhsa_group_segment_fixed_size 0
		.amdhsa_private_segment_fixed_size 0
		.amdhsa_kernarg_size 48
		.amdhsa_user_sgpr_count 2
		.amdhsa_user_sgpr_dispatch_ptr 0
		.amdhsa_user_sgpr_queue_ptr 0
		.amdhsa_user_sgpr_kernarg_segment_ptr 1
		.amdhsa_user_sgpr_dispatch_id 0
		.amdhsa_user_sgpr_private_segment_size 0
		.amdhsa_wavefront_size32 1
		.amdhsa_uses_dynamic_stack 0
		.amdhsa_enable_private_segment 0
		.amdhsa_system_sgpr_workgroup_id_x 1
		.amdhsa_system_sgpr_workgroup_id_y 0
		.amdhsa_system_sgpr_workgroup_id_z 0
		.amdhsa_system_sgpr_workgroup_info 0
		.amdhsa_system_vgpr_workitem_id 0
		.amdhsa_next_free_vgpr 1
		.amdhsa_next_free_sgpr 1
		.amdhsa_reserve_vcc 0
		.amdhsa_float_round_mode_32 0
		.amdhsa_float_round_mode_16_64 0
		.amdhsa_float_denorm_mode_32 3
		.amdhsa_float_denorm_mode_16_64 3
		.amdhsa_fp16_overflow 0
		.amdhsa_workgroup_processor_mode 1
		.amdhsa_memory_ordered 1
		.amdhsa_forward_progress 1
		.amdhsa_inst_pref_size 0
		.amdhsa_round_robin_scheduling 0
		.amdhsa_exception_fp_ieee_invalid_op 0
		.amdhsa_exception_fp_denorm_src 0
		.amdhsa_exception_fp_ieee_div_zero 0
		.amdhsa_exception_fp_ieee_overflow 0
		.amdhsa_exception_fp_ieee_underflow 0
		.amdhsa_exception_fp_ieee_inexact 0
		.amdhsa_exception_int_div_zero 0
	.end_amdhsa_kernel
	.section	.text._ZN7rocprim17ROCPRIM_400000_NS6detail17trampoline_kernelINS0_14default_configENS1_22reduce_config_selectorIbEEZNS1_11reduce_implILb1ES3_N6hipcub16HIPCUB_304000_NS22TransformInputIteratorIbN2at6native12_GLOBAL__N_19NonZeroOpIlEEPKllEEPiiNS8_6detail34convert_binary_result_type_wrapperINS8_3SumESH_iEEEE10hipError_tPvRmT1_T2_T3_mT4_P12ihipStream_tbEUlT_E1_NS1_11comp_targetILNS1_3genE8ELNS1_11target_archE1030ELNS1_3gpuE2ELNS1_3repE0EEENS1_30default_config_static_selectorELNS0_4arch9wavefront6targetE0EEEvSQ_,"axG",@progbits,_ZN7rocprim17ROCPRIM_400000_NS6detail17trampoline_kernelINS0_14default_configENS1_22reduce_config_selectorIbEEZNS1_11reduce_implILb1ES3_N6hipcub16HIPCUB_304000_NS22TransformInputIteratorIbN2at6native12_GLOBAL__N_19NonZeroOpIlEEPKllEEPiiNS8_6detail34convert_binary_result_type_wrapperINS8_3SumESH_iEEEE10hipError_tPvRmT1_T2_T3_mT4_P12ihipStream_tbEUlT_E1_NS1_11comp_targetILNS1_3genE8ELNS1_11target_archE1030ELNS1_3gpuE2ELNS1_3repE0EEENS1_30default_config_static_selectorELNS0_4arch9wavefront6targetE0EEEvSQ_,comdat
.Lfunc_end253:
	.size	_ZN7rocprim17ROCPRIM_400000_NS6detail17trampoline_kernelINS0_14default_configENS1_22reduce_config_selectorIbEEZNS1_11reduce_implILb1ES3_N6hipcub16HIPCUB_304000_NS22TransformInputIteratorIbN2at6native12_GLOBAL__N_19NonZeroOpIlEEPKllEEPiiNS8_6detail34convert_binary_result_type_wrapperINS8_3SumESH_iEEEE10hipError_tPvRmT1_T2_T3_mT4_P12ihipStream_tbEUlT_E1_NS1_11comp_targetILNS1_3genE8ELNS1_11target_archE1030ELNS1_3gpuE2ELNS1_3repE0EEENS1_30default_config_static_selectorELNS0_4arch9wavefront6targetE0EEEvSQ_, .Lfunc_end253-_ZN7rocprim17ROCPRIM_400000_NS6detail17trampoline_kernelINS0_14default_configENS1_22reduce_config_selectorIbEEZNS1_11reduce_implILb1ES3_N6hipcub16HIPCUB_304000_NS22TransformInputIteratorIbN2at6native12_GLOBAL__N_19NonZeroOpIlEEPKllEEPiiNS8_6detail34convert_binary_result_type_wrapperINS8_3SumESH_iEEEE10hipError_tPvRmT1_T2_T3_mT4_P12ihipStream_tbEUlT_E1_NS1_11comp_targetILNS1_3genE8ELNS1_11target_archE1030ELNS1_3gpuE2ELNS1_3repE0EEENS1_30default_config_static_selectorELNS0_4arch9wavefront6targetE0EEEvSQ_
                                        ; -- End function
	.set _ZN7rocprim17ROCPRIM_400000_NS6detail17trampoline_kernelINS0_14default_configENS1_22reduce_config_selectorIbEEZNS1_11reduce_implILb1ES3_N6hipcub16HIPCUB_304000_NS22TransformInputIteratorIbN2at6native12_GLOBAL__N_19NonZeroOpIlEEPKllEEPiiNS8_6detail34convert_binary_result_type_wrapperINS8_3SumESH_iEEEE10hipError_tPvRmT1_T2_T3_mT4_P12ihipStream_tbEUlT_E1_NS1_11comp_targetILNS1_3genE8ELNS1_11target_archE1030ELNS1_3gpuE2ELNS1_3repE0EEENS1_30default_config_static_selectorELNS0_4arch9wavefront6targetE0EEEvSQ_.num_vgpr, 0
	.set _ZN7rocprim17ROCPRIM_400000_NS6detail17trampoline_kernelINS0_14default_configENS1_22reduce_config_selectorIbEEZNS1_11reduce_implILb1ES3_N6hipcub16HIPCUB_304000_NS22TransformInputIteratorIbN2at6native12_GLOBAL__N_19NonZeroOpIlEEPKllEEPiiNS8_6detail34convert_binary_result_type_wrapperINS8_3SumESH_iEEEE10hipError_tPvRmT1_T2_T3_mT4_P12ihipStream_tbEUlT_E1_NS1_11comp_targetILNS1_3genE8ELNS1_11target_archE1030ELNS1_3gpuE2ELNS1_3repE0EEENS1_30default_config_static_selectorELNS0_4arch9wavefront6targetE0EEEvSQ_.num_agpr, 0
	.set _ZN7rocprim17ROCPRIM_400000_NS6detail17trampoline_kernelINS0_14default_configENS1_22reduce_config_selectorIbEEZNS1_11reduce_implILb1ES3_N6hipcub16HIPCUB_304000_NS22TransformInputIteratorIbN2at6native12_GLOBAL__N_19NonZeroOpIlEEPKllEEPiiNS8_6detail34convert_binary_result_type_wrapperINS8_3SumESH_iEEEE10hipError_tPvRmT1_T2_T3_mT4_P12ihipStream_tbEUlT_E1_NS1_11comp_targetILNS1_3genE8ELNS1_11target_archE1030ELNS1_3gpuE2ELNS1_3repE0EEENS1_30default_config_static_selectorELNS0_4arch9wavefront6targetE0EEEvSQ_.numbered_sgpr, 0
	.set _ZN7rocprim17ROCPRIM_400000_NS6detail17trampoline_kernelINS0_14default_configENS1_22reduce_config_selectorIbEEZNS1_11reduce_implILb1ES3_N6hipcub16HIPCUB_304000_NS22TransformInputIteratorIbN2at6native12_GLOBAL__N_19NonZeroOpIlEEPKllEEPiiNS8_6detail34convert_binary_result_type_wrapperINS8_3SumESH_iEEEE10hipError_tPvRmT1_T2_T3_mT4_P12ihipStream_tbEUlT_E1_NS1_11comp_targetILNS1_3genE8ELNS1_11target_archE1030ELNS1_3gpuE2ELNS1_3repE0EEENS1_30default_config_static_selectorELNS0_4arch9wavefront6targetE0EEEvSQ_.num_named_barrier, 0
	.set _ZN7rocprim17ROCPRIM_400000_NS6detail17trampoline_kernelINS0_14default_configENS1_22reduce_config_selectorIbEEZNS1_11reduce_implILb1ES3_N6hipcub16HIPCUB_304000_NS22TransformInputIteratorIbN2at6native12_GLOBAL__N_19NonZeroOpIlEEPKllEEPiiNS8_6detail34convert_binary_result_type_wrapperINS8_3SumESH_iEEEE10hipError_tPvRmT1_T2_T3_mT4_P12ihipStream_tbEUlT_E1_NS1_11comp_targetILNS1_3genE8ELNS1_11target_archE1030ELNS1_3gpuE2ELNS1_3repE0EEENS1_30default_config_static_selectorELNS0_4arch9wavefront6targetE0EEEvSQ_.private_seg_size, 0
	.set _ZN7rocprim17ROCPRIM_400000_NS6detail17trampoline_kernelINS0_14default_configENS1_22reduce_config_selectorIbEEZNS1_11reduce_implILb1ES3_N6hipcub16HIPCUB_304000_NS22TransformInputIteratorIbN2at6native12_GLOBAL__N_19NonZeroOpIlEEPKllEEPiiNS8_6detail34convert_binary_result_type_wrapperINS8_3SumESH_iEEEE10hipError_tPvRmT1_T2_T3_mT4_P12ihipStream_tbEUlT_E1_NS1_11comp_targetILNS1_3genE8ELNS1_11target_archE1030ELNS1_3gpuE2ELNS1_3repE0EEENS1_30default_config_static_selectorELNS0_4arch9wavefront6targetE0EEEvSQ_.uses_vcc, 0
	.set _ZN7rocprim17ROCPRIM_400000_NS6detail17trampoline_kernelINS0_14default_configENS1_22reduce_config_selectorIbEEZNS1_11reduce_implILb1ES3_N6hipcub16HIPCUB_304000_NS22TransformInputIteratorIbN2at6native12_GLOBAL__N_19NonZeroOpIlEEPKllEEPiiNS8_6detail34convert_binary_result_type_wrapperINS8_3SumESH_iEEEE10hipError_tPvRmT1_T2_T3_mT4_P12ihipStream_tbEUlT_E1_NS1_11comp_targetILNS1_3genE8ELNS1_11target_archE1030ELNS1_3gpuE2ELNS1_3repE0EEENS1_30default_config_static_selectorELNS0_4arch9wavefront6targetE0EEEvSQ_.uses_flat_scratch, 0
	.set _ZN7rocprim17ROCPRIM_400000_NS6detail17trampoline_kernelINS0_14default_configENS1_22reduce_config_selectorIbEEZNS1_11reduce_implILb1ES3_N6hipcub16HIPCUB_304000_NS22TransformInputIteratorIbN2at6native12_GLOBAL__N_19NonZeroOpIlEEPKllEEPiiNS8_6detail34convert_binary_result_type_wrapperINS8_3SumESH_iEEEE10hipError_tPvRmT1_T2_T3_mT4_P12ihipStream_tbEUlT_E1_NS1_11comp_targetILNS1_3genE8ELNS1_11target_archE1030ELNS1_3gpuE2ELNS1_3repE0EEENS1_30default_config_static_selectorELNS0_4arch9wavefront6targetE0EEEvSQ_.has_dyn_sized_stack, 0
	.set _ZN7rocprim17ROCPRIM_400000_NS6detail17trampoline_kernelINS0_14default_configENS1_22reduce_config_selectorIbEEZNS1_11reduce_implILb1ES3_N6hipcub16HIPCUB_304000_NS22TransformInputIteratorIbN2at6native12_GLOBAL__N_19NonZeroOpIlEEPKllEEPiiNS8_6detail34convert_binary_result_type_wrapperINS8_3SumESH_iEEEE10hipError_tPvRmT1_T2_T3_mT4_P12ihipStream_tbEUlT_E1_NS1_11comp_targetILNS1_3genE8ELNS1_11target_archE1030ELNS1_3gpuE2ELNS1_3repE0EEENS1_30default_config_static_selectorELNS0_4arch9wavefront6targetE0EEEvSQ_.has_recursion, 0
	.set _ZN7rocprim17ROCPRIM_400000_NS6detail17trampoline_kernelINS0_14default_configENS1_22reduce_config_selectorIbEEZNS1_11reduce_implILb1ES3_N6hipcub16HIPCUB_304000_NS22TransformInputIteratorIbN2at6native12_GLOBAL__N_19NonZeroOpIlEEPKllEEPiiNS8_6detail34convert_binary_result_type_wrapperINS8_3SumESH_iEEEE10hipError_tPvRmT1_T2_T3_mT4_P12ihipStream_tbEUlT_E1_NS1_11comp_targetILNS1_3genE8ELNS1_11target_archE1030ELNS1_3gpuE2ELNS1_3repE0EEENS1_30default_config_static_selectorELNS0_4arch9wavefront6targetE0EEEvSQ_.has_indirect_call, 0
	.section	.AMDGPU.csdata,"",@progbits
; Kernel info:
; codeLenInByte = 0
; TotalNumSgprs: 0
; NumVgprs: 0
; ScratchSize: 0
; MemoryBound: 0
; FloatMode: 240
; IeeeMode: 1
; LDSByteSize: 0 bytes/workgroup (compile time only)
; SGPRBlocks: 0
; VGPRBlocks: 0
; NumSGPRsForWavesPerEU: 1
; NumVGPRsForWavesPerEU: 1
; Occupancy: 16
; WaveLimiterHint : 0
; COMPUTE_PGM_RSRC2:SCRATCH_EN: 0
; COMPUTE_PGM_RSRC2:USER_SGPR: 2
; COMPUTE_PGM_RSRC2:TRAP_HANDLER: 0
; COMPUTE_PGM_RSRC2:TGID_X_EN: 1
; COMPUTE_PGM_RSRC2:TGID_Y_EN: 0
; COMPUTE_PGM_RSRC2:TGID_Z_EN: 0
; COMPUTE_PGM_RSRC2:TIDIG_COMP_CNT: 0
	.section	.text._ZN7rocprim17ROCPRIM_400000_NS6detail17trampoline_kernelINS0_14default_configENS1_25partition_config_selectorILNS1_17partition_subalgoE5ElNS0_10empty_typeEbEEZZNS1_14partition_implILS5_5ELb0ES3_mN6hipcub16HIPCUB_304000_NS21CountingInputIteratorIllEEPS6_NSA_22TransformInputIteratorIbN2at6native12_GLOBAL__N_19NonZeroOpIlEEPKllEENS0_5tupleIJPlS6_EEENSN_IJSD_SD_EEES6_PiJS6_EEE10hipError_tPvRmT3_T4_T5_T6_T7_T9_mT8_P12ihipStream_tbDpT10_ENKUlT_T0_E_clISt17integral_constantIbLb0EES1B_EEDaS16_S17_EUlS16_E_NS1_11comp_targetILNS1_3genE0ELNS1_11target_archE4294967295ELNS1_3gpuE0ELNS1_3repE0EEENS1_30default_config_static_selectorELNS0_4arch9wavefront6targetE0EEEvT1_,"axG",@progbits,_ZN7rocprim17ROCPRIM_400000_NS6detail17trampoline_kernelINS0_14default_configENS1_25partition_config_selectorILNS1_17partition_subalgoE5ElNS0_10empty_typeEbEEZZNS1_14partition_implILS5_5ELb0ES3_mN6hipcub16HIPCUB_304000_NS21CountingInputIteratorIllEEPS6_NSA_22TransformInputIteratorIbN2at6native12_GLOBAL__N_19NonZeroOpIlEEPKllEENS0_5tupleIJPlS6_EEENSN_IJSD_SD_EEES6_PiJS6_EEE10hipError_tPvRmT3_T4_T5_T6_T7_T9_mT8_P12ihipStream_tbDpT10_ENKUlT_T0_E_clISt17integral_constantIbLb0EES1B_EEDaS16_S17_EUlS16_E_NS1_11comp_targetILNS1_3genE0ELNS1_11target_archE4294967295ELNS1_3gpuE0ELNS1_3repE0EEENS1_30default_config_static_selectorELNS0_4arch9wavefront6targetE0EEEvT1_,comdat
	.globl	_ZN7rocprim17ROCPRIM_400000_NS6detail17trampoline_kernelINS0_14default_configENS1_25partition_config_selectorILNS1_17partition_subalgoE5ElNS0_10empty_typeEbEEZZNS1_14partition_implILS5_5ELb0ES3_mN6hipcub16HIPCUB_304000_NS21CountingInputIteratorIllEEPS6_NSA_22TransformInputIteratorIbN2at6native12_GLOBAL__N_19NonZeroOpIlEEPKllEENS0_5tupleIJPlS6_EEENSN_IJSD_SD_EEES6_PiJS6_EEE10hipError_tPvRmT3_T4_T5_T6_T7_T9_mT8_P12ihipStream_tbDpT10_ENKUlT_T0_E_clISt17integral_constantIbLb0EES1B_EEDaS16_S17_EUlS16_E_NS1_11comp_targetILNS1_3genE0ELNS1_11target_archE4294967295ELNS1_3gpuE0ELNS1_3repE0EEENS1_30default_config_static_selectorELNS0_4arch9wavefront6targetE0EEEvT1_ ; -- Begin function _ZN7rocprim17ROCPRIM_400000_NS6detail17trampoline_kernelINS0_14default_configENS1_25partition_config_selectorILNS1_17partition_subalgoE5ElNS0_10empty_typeEbEEZZNS1_14partition_implILS5_5ELb0ES3_mN6hipcub16HIPCUB_304000_NS21CountingInputIteratorIllEEPS6_NSA_22TransformInputIteratorIbN2at6native12_GLOBAL__N_19NonZeroOpIlEEPKllEENS0_5tupleIJPlS6_EEENSN_IJSD_SD_EEES6_PiJS6_EEE10hipError_tPvRmT3_T4_T5_T6_T7_T9_mT8_P12ihipStream_tbDpT10_ENKUlT_T0_E_clISt17integral_constantIbLb0EES1B_EEDaS16_S17_EUlS16_E_NS1_11comp_targetILNS1_3genE0ELNS1_11target_archE4294967295ELNS1_3gpuE0ELNS1_3repE0EEENS1_30default_config_static_selectorELNS0_4arch9wavefront6targetE0EEEvT1_
	.p2align	8
	.type	_ZN7rocprim17ROCPRIM_400000_NS6detail17trampoline_kernelINS0_14default_configENS1_25partition_config_selectorILNS1_17partition_subalgoE5ElNS0_10empty_typeEbEEZZNS1_14partition_implILS5_5ELb0ES3_mN6hipcub16HIPCUB_304000_NS21CountingInputIteratorIllEEPS6_NSA_22TransformInputIteratorIbN2at6native12_GLOBAL__N_19NonZeroOpIlEEPKllEENS0_5tupleIJPlS6_EEENSN_IJSD_SD_EEES6_PiJS6_EEE10hipError_tPvRmT3_T4_T5_T6_T7_T9_mT8_P12ihipStream_tbDpT10_ENKUlT_T0_E_clISt17integral_constantIbLb0EES1B_EEDaS16_S17_EUlS16_E_NS1_11comp_targetILNS1_3genE0ELNS1_11target_archE4294967295ELNS1_3gpuE0ELNS1_3repE0EEENS1_30default_config_static_selectorELNS0_4arch9wavefront6targetE0EEEvT1_,@function
_ZN7rocprim17ROCPRIM_400000_NS6detail17trampoline_kernelINS0_14default_configENS1_25partition_config_selectorILNS1_17partition_subalgoE5ElNS0_10empty_typeEbEEZZNS1_14partition_implILS5_5ELb0ES3_mN6hipcub16HIPCUB_304000_NS21CountingInputIteratorIllEEPS6_NSA_22TransformInputIteratorIbN2at6native12_GLOBAL__N_19NonZeroOpIlEEPKllEENS0_5tupleIJPlS6_EEENSN_IJSD_SD_EEES6_PiJS6_EEE10hipError_tPvRmT3_T4_T5_T6_T7_T9_mT8_P12ihipStream_tbDpT10_ENKUlT_T0_E_clISt17integral_constantIbLb0EES1B_EEDaS16_S17_EUlS16_E_NS1_11comp_targetILNS1_3genE0ELNS1_11target_archE4294967295ELNS1_3gpuE0ELNS1_3repE0EEENS1_30default_config_static_selectorELNS0_4arch9wavefront6targetE0EEEvT1_: ; @_ZN7rocprim17ROCPRIM_400000_NS6detail17trampoline_kernelINS0_14default_configENS1_25partition_config_selectorILNS1_17partition_subalgoE5ElNS0_10empty_typeEbEEZZNS1_14partition_implILS5_5ELb0ES3_mN6hipcub16HIPCUB_304000_NS21CountingInputIteratorIllEEPS6_NSA_22TransformInputIteratorIbN2at6native12_GLOBAL__N_19NonZeroOpIlEEPKllEENS0_5tupleIJPlS6_EEENSN_IJSD_SD_EEES6_PiJS6_EEE10hipError_tPvRmT3_T4_T5_T6_T7_T9_mT8_P12ihipStream_tbDpT10_ENKUlT_T0_E_clISt17integral_constantIbLb0EES1B_EEDaS16_S17_EUlS16_E_NS1_11comp_targetILNS1_3genE0ELNS1_11target_archE4294967295ELNS1_3gpuE0ELNS1_3repE0EEENS1_30default_config_static_selectorELNS0_4arch9wavefront6targetE0EEEvT1_
; %bb.0:
	.section	.rodata,"a",@progbits
	.p2align	6, 0x0
	.amdhsa_kernel _ZN7rocprim17ROCPRIM_400000_NS6detail17trampoline_kernelINS0_14default_configENS1_25partition_config_selectorILNS1_17partition_subalgoE5ElNS0_10empty_typeEbEEZZNS1_14partition_implILS5_5ELb0ES3_mN6hipcub16HIPCUB_304000_NS21CountingInputIteratorIllEEPS6_NSA_22TransformInputIteratorIbN2at6native12_GLOBAL__N_19NonZeroOpIlEEPKllEENS0_5tupleIJPlS6_EEENSN_IJSD_SD_EEES6_PiJS6_EEE10hipError_tPvRmT3_T4_T5_T6_T7_T9_mT8_P12ihipStream_tbDpT10_ENKUlT_T0_E_clISt17integral_constantIbLb0EES1B_EEDaS16_S17_EUlS16_E_NS1_11comp_targetILNS1_3genE0ELNS1_11target_archE4294967295ELNS1_3gpuE0ELNS1_3repE0EEENS1_30default_config_static_selectorELNS0_4arch9wavefront6targetE0EEEvT1_
		.amdhsa_group_segment_fixed_size 0
		.amdhsa_private_segment_fixed_size 0
		.amdhsa_kernarg_size 120
		.amdhsa_user_sgpr_count 2
		.amdhsa_user_sgpr_dispatch_ptr 0
		.amdhsa_user_sgpr_queue_ptr 0
		.amdhsa_user_sgpr_kernarg_segment_ptr 1
		.amdhsa_user_sgpr_dispatch_id 0
		.amdhsa_user_sgpr_private_segment_size 0
		.amdhsa_wavefront_size32 1
		.amdhsa_uses_dynamic_stack 0
		.amdhsa_enable_private_segment 0
		.amdhsa_system_sgpr_workgroup_id_x 1
		.amdhsa_system_sgpr_workgroup_id_y 0
		.amdhsa_system_sgpr_workgroup_id_z 0
		.amdhsa_system_sgpr_workgroup_info 0
		.amdhsa_system_vgpr_workitem_id 0
		.amdhsa_next_free_vgpr 1
		.amdhsa_next_free_sgpr 1
		.amdhsa_reserve_vcc 0
		.amdhsa_float_round_mode_32 0
		.amdhsa_float_round_mode_16_64 0
		.amdhsa_float_denorm_mode_32 3
		.amdhsa_float_denorm_mode_16_64 3
		.amdhsa_fp16_overflow 0
		.amdhsa_workgroup_processor_mode 1
		.amdhsa_memory_ordered 1
		.amdhsa_forward_progress 1
		.amdhsa_inst_pref_size 0
		.amdhsa_round_robin_scheduling 0
		.amdhsa_exception_fp_ieee_invalid_op 0
		.amdhsa_exception_fp_denorm_src 0
		.amdhsa_exception_fp_ieee_div_zero 0
		.amdhsa_exception_fp_ieee_overflow 0
		.amdhsa_exception_fp_ieee_underflow 0
		.amdhsa_exception_fp_ieee_inexact 0
		.amdhsa_exception_int_div_zero 0
	.end_amdhsa_kernel
	.section	.text._ZN7rocprim17ROCPRIM_400000_NS6detail17trampoline_kernelINS0_14default_configENS1_25partition_config_selectorILNS1_17partition_subalgoE5ElNS0_10empty_typeEbEEZZNS1_14partition_implILS5_5ELb0ES3_mN6hipcub16HIPCUB_304000_NS21CountingInputIteratorIllEEPS6_NSA_22TransformInputIteratorIbN2at6native12_GLOBAL__N_19NonZeroOpIlEEPKllEENS0_5tupleIJPlS6_EEENSN_IJSD_SD_EEES6_PiJS6_EEE10hipError_tPvRmT3_T4_T5_T6_T7_T9_mT8_P12ihipStream_tbDpT10_ENKUlT_T0_E_clISt17integral_constantIbLb0EES1B_EEDaS16_S17_EUlS16_E_NS1_11comp_targetILNS1_3genE0ELNS1_11target_archE4294967295ELNS1_3gpuE0ELNS1_3repE0EEENS1_30default_config_static_selectorELNS0_4arch9wavefront6targetE0EEEvT1_,"axG",@progbits,_ZN7rocprim17ROCPRIM_400000_NS6detail17trampoline_kernelINS0_14default_configENS1_25partition_config_selectorILNS1_17partition_subalgoE5ElNS0_10empty_typeEbEEZZNS1_14partition_implILS5_5ELb0ES3_mN6hipcub16HIPCUB_304000_NS21CountingInputIteratorIllEEPS6_NSA_22TransformInputIteratorIbN2at6native12_GLOBAL__N_19NonZeroOpIlEEPKllEENS0_5tupleIJPlS6_EEENSN_IJSD_SD_EEES6_PiJS6_EEE10hipError_tPvRmT3_T4_T5_T6_T7_T9_mT8_P12ihipStream_tbDpT10_ENKUlT_T0_E_clISt17integral_constantIbLb0EES1B_EEDaS16_S17_EUlS16_E_NS1_11comp_targetILNS1_3genE0ELNS1_11target_archE4294967295ELNS1_3gpuE0ELNS1_3repE0EEENS1_30default_config_static_selectorELNS0_4arch9wavefront6targetE0EEEvT1_,comdat
.Lfunc_end254:
	.size	_ZN7rocprim17ROCPRIM_400000_NS6detail17trampoline_kernelINS0_14default_configENS1_25partition_config_selectorILNS1_17partition_subalgoE5ElNS0_10empty_typeEbEEZZNS1_14partition_implILS5_5ELb0ES3_mN6hipcub16HIPCUB_304000_NS21CountingInputIteratorIllEEPS6_NSA_22TransformInputIteratorIbN2at6native12_GLOBAL__N_19NonZeroOpIlEEPKllEENS0_5tupleIJPlS6_EEENSN_IJSD_SD_EEES6_PiJS6_EEE10hipError_tPvRmT3_T4_T5_T6_T7_T9_mT8_P12ihipStream_tbDpT10_ENKUlT_T0_E_clISt17integral_constantIbLb0EES1B_EEDaS16_S17_EUlS16_E_NS1_11comp_targetILNS1_3genE0ELNS1_11target_archE4294967295ELNS1_3gpuE0ELNS1_3repE0EEENS1_30default_config_static_selectorELNS0_4arch9wavefront6targetE0EEEvT1_, .Lfunc_end254-_ZN7rocprim17ROCPRIM_400000_NS6detail17trampoline_kernelINS0_14default_configENS1_25partition_config_selectorILNS1_17partition_subalgoE5ElNS0_10empty_typeEbEEZZNS1_14partition_implILS5_5ELb0ES3_mN6hipcub16HIPCUB_304000_NS21CountingInputIteratorIllEEPS6_NSA_22TransformInputIteratorIbN2at6native12_GLOBAL__N_19NonZeroOpIlEEPKllEENS0_5tupleIJPlS6_EEENSN_IJSD_SD_EEES6_PiJS6_EEE10hipError_tPvRmT3_T4_T5_T6_T7_T9_mT8_P12ihipStream_tbDpT10_ENKUlT_T0_E_clISt17integral_constantIbLb0EES1B_EEDaS16_S17_EUlS16_E_NS1_11comp_targetILNS1_3genE0ELNS1_11target_archE4294967295ELNS1_3gpuE0ELNS1_3repE0EEENS1_30default_config_static_selectorELNS0_4arch9wavefront6targetE0EEEvT1_
                                        ; -- End function
	.set _ZN7rocprim17ROCPRIM_400000_NS6detail17trampoline_kernelINS0_14default_configENS1_25partition_config_selectorILNS1_17partition_subalgoE5ElNS0_10empty_typeEbEEZZNS1_14partition_implILS5_5ELb0ES3_mN6hipcub16HIPCUB_304000_NS21CountingInputIteratorIllEEPS6_NSA_22TransformInputIteratorIbN2at6native12_GLOBAL__N_19NonZeroOpIlEEPKllEENS0_5tupleIJPlS6_EEENSN_IJSD_SD_EEES6_PiJS6_EEE10hipError_tPvRmT3_T4_T5_T6_T7_T9_mT8_P12ihipStream_tbDpT10_ENKUlT_T0_E_clISt17integral_constantIbLb0EES1B_EEDaS16_S17_EUlS16_E_NS1_11comp_targetILNS1_3genE0ELNS1_11target_archE4294967295ELNS1_3gpuE0ELNS1_3repE0EEENS1_30default_config_static_selectorELNS0_4arch9wavefront6targetE0EEEvT1_.num_vgpr, 0
	.set _ZN7rocprim17ROCPRIM_400000_NS6detail17trampoline_kernelINS0_14default_configENS1_25partition_config_selectorILNS1_17partition_subalgoE5ElNS0_10empty_typeEbEEZZNS1_14partition_implILS5_5ELb0ES3_mN6hipcub16HIPCUB_304000_NS21CountingInputIteratorIllEEPS6_NSA_22TransformInputIteratorIbN2at6native12_GLOBAL__N_19NonZeroOpIlEEPKllEENS0_5tupleIJPlS6_EEENSN_IJSD_SD_EEES6_PiJS6_EEE10hipError_tPvRmT3_T4_T5_T6_T7_T9_mT8_P12ihipStream_tbDpT10_ENKUlT_T0_E_clISt17integral_constantIbLb0EES1B_EEDaS16_S17_EUlS16_E_NS1_11comp_targetILNS1_3genE0ELNS1_11target_archE4294967295ELNS1_3gpuE0ELNS1_3repE0EEENS1_30default_config_static_selectorELNS0_4arch9wavefront6targetE0EEEvT1_.num_agpr, 0
	.set _ZN7rocprim17ROCPRIM_400000_NS6detail17trampoline_kernelINS0_14default_configENS1_25partition_config_selectorILNS1_17partition_subalgoE5ElNS0_10empty_typeEbEEZZNS1_14partition_implILS5_5ELb0ES3_mN6hipcub16HIPCUB_304000_NS21CountingInputIteratorIllEEPS6_NSA_22TransformInputIteratorIbN2at6native12_GLOBAL__N_19NonZeroOpIlEEPKllEENS0_5tupleIJPlS6_EEENSN_IJSD_SD_EEES6_PiJS6_EEE10hipError_tPvRmT3_T4_T5_T6_T7_T9_mT8_P12ihipStream_tbDpT10_ENKUlT_T0_E_clISt17integral_constantIbLb0EES1B_EEDaS16_S17_EUlS16_E_NS1_11comp_targetILNS1_3genE0ELNS1_11target_archE4294967295ELNS1_3gpuE0ELNS1_3repE0EEENS1_30default_config_static_selectorELNS0_4arch9wavefront6targetE0EEEvT1_.numbered_sgpr, 0
	.set _ZN7rocprim17ROCPRIM_400000_NS6detail17trampoline_kernelINS0_14default_configENS1_25partition_config_selectorILNS1_17partition_subalgoE5ElNS0_10empty_typeEbEEZZNS1_14partition_implILS5_5ELb0ES3_mN6hipcub16HIPCUB_304000_NS21CountingInputIteratorIllEEPS6_NSA_22TransformInputIteratorIbN2at6native12_GLOBAL__N_19NonZeroOpIlEEPKllEENS0_5tupleIJPlS6_EEENSN_IJSD_SD_EEES6_PiJS6_EEE10hipError_tPvRmT3_T4_T5_T6_T7_T9_mT8_P12ihipStream_tbDpT10_ENKUlT_T0_E_clISt17integral_constantIbLb0EES1B_EEDaS16_S17_EUlS16_E_NS1_11comp_targetILNS1_3genE0ELNS1_11target_archE4294967295ELNS1_3gpuE0ELNS1_3repE0EEENS1_30default_config_static_selectorELNS0_4arch9wavefront6targetE0EEEvT1_.num_named_barrier, 0
	.set _ZN7rocprim17ROCPRIM_400000_NS6detail17trampoline_kernelINS0_14default_configENS1_25partition_config_selectorILNS1_17partition_subalgoE5ElNS0_10empty_typeEbEEZZNS1_14partition_implILS5_5ELb0ES3_mN6hipcub16HIPCUB_304000_NS21CountingInputIteratorIllEEPS6_NSA_22TransformInputIteratorIbN2at6native12_GLOBAL__N_19NonZeroOpIlEEPKllEENS0_5tupleIJPlS6_EEENSN_IJSD_SD_EEES6_PiJS6_EEE10hipError_tPvRmT3_T4_T5_T6_T7_T9_mT8_P12ihipStream_tbDpT10_ENKUlT_T0_E_clISt17integral_constantIbLb0EES1B_EEDaS16_S17_EUlS16_E_NS1_11comp_targetILNS1_3genE0ELNS1_11target_archE4294967295ELNS1_3gpuE0ELNS1_3repE0EEENS1_30default_config_static_selectorELNS0_4arch9wavefront6targetE0EEEvT1_.private_seg_size, 0
	.set _ZN7rocprim17ROCPRIM_400000_NS6detail17trampoline_kernelINS0_14default_configENS1_25partition_config_selectorILNS1_17partition_subalgoE5ElNS0_10empty_typeEbEEZZNS1_14partition_implILS5_5ELb0ES3_mN6hipcub16HIPCUB_304000_NS21CountingInputIteratorIllEEPS6_NSA_22TransformInputIteratorIbN2at6native12_GLOBAL__N_19NonZeroOpIlEEPKllEENS0_5tupleIJPlS6_EEENSN_IJSD_SD_EEES6_PiJS6_EEE10hipError_tPvRmT3_T4_T5_T6_T7_T9_mT8_P12ihipStream_tbDpT10_ENKUlT_T0_E_clISt17integral_constantIbLb0EES1B_EEDaS16_S17_EUlS16_E_NS1_11comp_targetILNS1_3genE0ELNS1_11target_archE4294967295ELNS1_3gpuE0ELNS1_3repE0EEENS1_30default_config_static_selectorELNS0_4arch9wavefront6targetE0EEEvT1_.uses_vcc, 0
	.set _ZN7rocprim17ROCPRIM_400000_NS6detail17trampoline_kernelINS0_14default_configENS1_25partition_config_selectorILNS1_17partition_subalgoE5ElNS0_10empty_typeEbEEZZNS1_14partition_implILS5_5ELb0ES3_mN6hipcub16HIPCUB_304000_NS21CountingInputIteratorIllEEPS6_NSA_22TransformInputIteratorIbN2at6native12_GLOBAL__N_19NonZeroOpIlEEPKllEENS0_5tupleIJPlS6_EEENSN_IJSD_SD_EEES6_PiJS6_EEE10hipError_tPvRmT3_T4_T5_T6_T7_T9_mT8_P12ihipStream_tbDpT10_ENKUlT_T0_E_clISt17integral_constantIbLb0EES1B_EEDaS16_S17_EUlS16_E_NS1_11comp_targetILNS1_3genE0ELNS1_11target_archE4294967295ELNS1_3gpuE0ELNS1_3repE0EEENS1_30default_config_static_selectorELNS0_4arch9wavefront6targetE0EEEvT1_.uses_flat_scratch, 0
	.set _ZN7rocprim17ROCPRIM_400000_NS6detail17trampoline_kernelINS0_14default_configENS1_25partition_config_selectorILNS1_17partition_subalgoE5ElNS0_10empty_typeEbEEZZNS1_14partition_implILS5_5ELb0ES3_mN6hipcub16HIPCUB_304000_NS21CountingInputIteratorIllEEPS6_NSA_22TransformInputIteratorIbN2at6native12_GLOBAL__N_19NonZeroOpIlEEPKllEENS0_5tupleIJPlS6_EEENSN_IJSD_SD_EEES6_PiJS6_EEE10hipError_tPvRmT3_T4_T5_T6_T7_T9_mT8_P12ihipStream_tbDpT10_ENKUlT_T0_E_clISt17integral_constantIbLb0EES1B_EEDaS16_S17_EUlS16_E_NS1_11comp_targetILNS1_3genE0ELNS1_11target_archE4294967295ELNS1_3gpuE0ELNS1_3repE0EEENS1_30default_config_static_selectorELNS0_4arch9wavefront6targetE0EEEvT1_.has_dyn_sized_stack, 0
	.set _ZN7rocprim17ROCPRIM_400000_NS6detail17trampoline_kernelINS0_14default_configENS1_25partition_config_selectorILNS1_17partition_subalgoE5ElNS0_10empty_typeEbEEZZNS1_14partition_implILS5_5ELb0ES3_mN6hipcub16HIPCUB_304000_NS21CountingInputIteratorIllEEPS6_NSA_22TransformInputIteratorIbN2at6native12_GLOBAL__N_19NonZeroOpIlEEPKllEENS0_5tupleIJPlS6_EEENSN_IJSD_SD_EEES6_PiJS6_EEE10hipError_tPvRmT3_T4_T5_T6_T7_T9_mT8_P12ihipStream_tbDpT10_ENKUlT_T0_E_clISt17integral_constantIbLb0EES1B_EEDaS16_S17_EUlS16_E_NS1_11comp_targetILNS1_3genE0ELNS1_11target_archE4294967295ELNS1_3gpuE0ELNS1_3repE0EEENS1_30default_config_static_selectorELNS0_4arch9wavefront6targetE0EEEvT1_.has_recursion, 0
	.set _ZN7rocprim17ROCPRIM_400000_NS6detail17trampoline_kernelINS0_14default_configENS1_25partition_config_selectorILNS1_17partition_subalgoE5ElNS0_10empty_typeEbEEZZNS1_14partition_implILS5_5ELb0ES3_mN6hipcub16HIPCUB_304000_NS21CountingInputIteratorIllEEPS6_NSA_22TransformInputIteratorIbN2at6native12_GLOBAL__N_19NonZeroOpIlEEPKllEENS0_5tupleIJPlS6_EEENSN_IJSD_SD_EEES6_PiJS6_EEE10hipError_tPvRmT3_T4_T5_T6_T7_T9_mT8_P12ihipStream_tbDpT10_ENKUlT_T0_E_clISt17integral_constantIbLb0EES1B_EEDaS16_S17_EUlS16_E_NS1_11comp_targetILNS1_3genE0ELNS1_11target_archE4294967295ELNS1_3gpuE0ELNS1_3repE0EEENS1_30default_config_static_selectorELNS0_4arch9wavefront6targetE0EEEvT1_.has_indirect_call, 0
	.section	.AMDGPU.csdata,"",@progbits
; Kernel info:
; codeLenInByte = 0
; TotalNumSgprs: 0
; NumVgprs: 0
; ScratchSize: 0
; MemoryBound: 0
; FloatMode: 240
; IeeeMode: 1
; LDSByteSize: 0 bytes/workgroup (compile time only)
; SGPRBlocks: 0
; VGPRBlocks: 0
; NumSGPRsForWavesPerEU: 1
; NumVGPRsForWavesPerEU: 1
; Occupancy: 16
; WaveLimiterHint : 0
; COMPUTE_PGM_RSRC2:SCRATCH_EN: 0
; COMPUTE_PGM_RSRC2:USER_SGPR: 2
; COMPUTE_PGM_RSRC2:TRAP_HANDLER: 0
; COMPUTE_PGM_RSRC2:TGID_X_EN: 1
; COMPUTE_PGM_RSRC2:TGID_Y_EN: 0
; COMPUTE_PGM_RSRC2:TGID_Z_EN: 0
; COMPUTE_PGM_RSRC2:TIDIG_COMP_CNT: 0
	.section	.text._ZN7rocprim17ROCPRIM_400000_NS6detail17trampoline_kernelINS0_14default_configENS1_25partition_config_selectorILNS1_17partition_subalgoE5ElNS0_10empty_typeEbEEZZNS1_14partition_implILS5_5ELb0ES3_mN6hipcub16HIPCUB_304000_NS21CountingInputIteratorIllEEPS6_NSA_22TransformInputIteratorIbN2at6native12_GLOBAL__N_19NonZeroOpIlEEPKllEENS0_5tupleIJPlS6_EEENSN_IJSD_SD_EEES6_PiJS6_EEE10hipError_tPvRmT3_T4_T5_T6_T7_T9_mT8_P12ihipStream_tbDpT10_ENKUlT_T0_E_clISt17integral_constantIbLb0EES1B_EEDaS16_S17_EUlS16_E_NS1_11comp_targetILNS1_3genE5ELNS1_11target_archE942ELNS1_3gpuE9ELNS1_3repE0EEENS1_30default_config_static_selectorELNS0_4arch9wavefront6targetE0EEEvT1_,"axG",@progbits,_ZN7rocprim17ROCPRIM_400000_NS6detail17trampoline_kernelINS0_14default_configENS1_25partition_config_selectorILNS1_17partition_subalgoE5ElNS0_10empty_typeEbEEZZNS1_14partition_implILS5_5ELb0ES3_mN6hipcub16HIPCUB_304000_NS21CountingInputIteratorIllEEPS6_NSA_22TransformInputIteratorIbN2at6native12_GLOBAL__N_19NonZeroOpIlEEPKllEENS0_5tupleIJPlS6_EEENSN_IJSD_SD_EEES6_PiJS6_EEE10hipError_tPvRmT3_T4_T5_T6_T7_T9_mT8_P12ihipStream_tbDpT10_ENKUlT_T0_E_clISt17integral_constantIbLb0EES1B_EEDaS16_S17_EUlS16_E_NS1_11comp_targetILNS1_3genE5ELNS1_11target_archE942ELNS1_3gpuE9ELNS1_3repE0EEENS1_30default_config_static_selectorELNS0_4arch9wavefront6targetE0EEEvT1_,comdat
	.globl	_ZN7rocprim17ROCPRIM_400000_NS6detail17trampoline_kernelINS0_14default_configENS1_25partition_config_selectorILNS1_17partition_subalgoE5ElNS0_10empty_typeEbEEZZNS1_14partition_implILS5_5ELb0ES3_mN6hipcub16HIPCUB_304000_NS21CountingInputIteratorIllEEPS6_NSA_22TransformInputIteratorIbN2at6native12_GLOBAL__N_19NonZeroOpIlEEPKllEENS0_5tupleIJPlS6_EEENSN_IJSD_SD_EEES6_PiJS6_EEE10hipError_tPvRmT3_T4_T5_T6_T7_T9_mT8_P12ihipStream_tbDpT10_ENKUlT_T0_E_clISt17integral_constantIbLb0EES1B_EEDaS16_S17_EUlS16_E_NS1_11comp_targetILNS1_3genE5ELNS1_11target_archE942ELNS1_3gpuE9ELNS1_3repE0EEENS1_30default_config_static_selectorELNS0_4arch9wavefront6targetE0EEEvT1_ ; -- Begin function _ZN7rocprim17ROCPRIM_400000_NS6detail17trampoline_kernelINS0_14default_configENS1_25partition_config_selectorILNS1_17partition_subalgoE5ElNS0_10empty_typeEbEEZZNS1_14partition_implILS5_5ELb0ES3_mN6hipcub16HIPCUB_304000_NS21CountingInputIteratorIllEEPS6_NSA_22TransformInputIteratorIbN2at6native12_GLOBAL__N_19NonZeroOpIlEEPKllEENS0_5tupleIJPlS6_EEENSN_IJSD_SD_EEES6_PiJS6_EEE10hipError_tPvRmT3_T4_T5_T6_T7_T9_mT8_P12ihipStream_tbDpT10_ENKUlT_T0_E_clISt17integral_constantIbLb0EES1B_EEDaS16_S17_EUlS16_E_NS1_11comp_targetILNS1_3genE5ELNS1_11target_archE942ELNS1_3gpuE9ELNS1_3repE0EEENS1_30default_config_static_selectorELNS0_4arch9wavefront6targetE0EEEvT1_
	.p2align	8
	.type	_ZN7rocprim17ROCPRIM_400000_NS6detail17trampoline_kernelINS0_14default_configENS1_25partition_config_selectorILNS1_17partition_subalgoE5ElNS0_10empty_typeEbEEZZNS1_14partition_implILS5_5ELb0ES3_mN6hipcub16HIPCUB_304000_NS21CountingInputIteratorIllEEPS6_NSA_22TransformInputIteratorIbN2at6native12_GLOBAL__N_19NonZeroOpIlEEPKllEENS0_5tupleIJPlS6_EEENSN_IJSD_SD_EEES6_PiJS6_EEE10hipError_tPvRmT3_T4_T5_T6_T7_T9_mT8_P12ihipStream_tbDpT10_ENKUlT_T0_E_clISt17integral_constantIbLb0EES1B_EEDaS16_S17_EUlS16_E_NS1_11comp_targetILNS1_3genE5ELNS1_11target_archE942ELNS1_3gpuE9ELNS1_3repE0EEENS1_30default_config_static_selectorELNS0_4arch9wavefront6targetE0EEEvT1_,@function
_ZN7rocprim17ROCPRIM_400000_NS6detail17trampoline_kernelINS0_14default_configENS1_25partition_config_selectorILNS1_17partition_subalgoE5ElNS0_10empty_typeEbEEZZNS1_14partition_implILS5_5ELb0ES3_mN6hipcub16HIPCUB_304000_NS21CountingInputIteratorIllEEPS6_NSA_22TransformInputIteratorIbN2at6native12_GLOBAL__N_19NonZeroOpIlEEPKllEENS0_5tupleIJPlS6_EEENSN_IJSD_SD_EEES6_PiJS6_EEE10hipError_tPvRmT3_T4_T5_T6_T7_T9_mT8_P12ihipStream_tbDpT10_ENKUlT_T0_E_clISt17integral_constantIbLb0EES1B_EEDaS16_S17_EUlS16_E_NS1_11comp_targetILNS1_3genE5ELNS1_11target_archE942ELNS1_3gpuE9ELNS1_3repE0EEENS1_30default_config_static_selectorELNS0_4arch9wavefront6targetE0EEEvT1_: ; @_ZN7rocprim17ROCPRIM_400000_NS6detail17trampoline_kernelINS0_14default_configENS1_25partition_config_selectorILNS1_17partition_subalgoE5ElNS0_10empty_typeEbEEZZNS1_14partition_implILS5_5ELb0ES3_mN6hipcub16HIPCUB_304000_NS21CountingInputIteratorIllEEPS6_NSA_22TransformInputIteratorIbN2at6native12_GLOBAL__N_19NonZeroOpIlEEPKllEENS0_5tupleIJPlS6_EEENSN_IJSD_SD_EEES6_PiJS6_EEE10hipError_tPvRmT3_T4_T5_T6_T7_T9_mT8_P12ihipStream_tbDpT10_ENKUlT_T0_E_clISt17integral_constantIbLb0EES1B_EEDaS16_S17_EUlS16_E_NS1_11comp_targetILNS1_3genE5ELNS1_11target_archE942ELNS1_3gpuE9ELNS1_3repE0EEENS1_30default_config_static_selectorELNS0_4arch9wavefront6targetE0EEEvT1_
; %bb.0:
	.section	.rodata,"a",@progbits
	.p2align	6, 0x0
	.amdhsa_kernel _ZN7rocprim17ROCPRIM_400000_NS6detail17trampoline_kernelINS0_14default_configENS1_25partition_config_selectorILNS1_17partition_subalgoE5ElNS0_10empty_typeEbEEZZNS1_14partition_implILS5_5ELb0ES3_mN6hipcub16HIPCUB_304000_NS21CountingInputIteratorIllEEPS6_NSA_22TransformInputIteratorIbN2at6native12_GLOBAL__N_19NonZeroOpIlEEPKllEENS0_5tupleIJPlS6_EEENSN_IJSD_SD_EEES6_PiJS6_EEE10hipError_tPvRmT3_T4_T5_T6_T7_T9_mT8_P12ihipStream_tbDpT10_ENKUlT_T0_E_clISt17integral_constantIbLb0EES1B_EEDaS16_S17_EUlS16_E_NS1_11comp_targetILNS1_3genE5ELNS1_11target_archE942ELNS1_3gpuE9ELNS1_3repE0EEENS1_30default_config_static_selectorELNS0_4arch9wavefront6targetE0EEEvT1_
		.amdhsa_group_segment_fixed_size 0
		.amdhsa_private_segment_fixed_size 0
		.amdhsa_kernarg_size 120
		.amdhsa_user_sgpr_count 2
		.amdhsa_user_sgpr_dispatch_ptr 0
		.amdhsa_user_sgpr_queue_ptr 0
		.amdhsa_user_sgpr_kernarg_segment_ptr 1
		.amdhsa_user_sgpr_dispatch_id 0
		.amdhsa_user_sgpr_private_segment_size 0
		.amdhsa_wavefront_size32 1
		.amdhsa_uses_dynamic_stack 0
		.amdhsa_enable_private_segment 0
		.amdhsa_system_sgpr_workgroup_id_x 1
		.amdhsa_system_sgpr_workgroup_id_y 0
		.amdhsa_system_sgpr_workgroup_id_z 0
		.amdhsa_system_sgpr_workgroup_info 0
		.amdhsa_system_vgpr_workitem_id 0
		.amdhsa_next_free_vgpr 1
		.amdhsa_next_free_sgpr 1
		.amdhsa_reserve_vcc 0
		.amdhsa_float_round_mode_32 0
		.amdhsa_float_round_mode_16_64 0
		.amdhsa_float_denorm_mode_32 3
		.amdhsa_float_denorm_mode_16_64 3
		.amdhsa_fp16_overflow 0
		.amdhsa_workgroup_processor_mode 1
		.amdhsa_memory_ordered 1
		.amdhsa_forward_progress 1
		.amdhsa_inst_pref_size 0
		.amdhsa_round_robin_scheduling 0
		.amdhsa_exception_fp_ieee_invalid_op 0
		.amdhsa_exception_fp_denorm_src 0
		.amdhsa_exception_fp_ieee_div_zero 0
		.amdhsa_exception_fp_ieee_overflow 0
		.amdhsa_exception_fp_ieee_underflow 0
		.amdhsa_exception_fp_ieee_inexact 0
		.amdhsa_exception_int_div_zero 0
	.end_amdhsa_kernel
	.section	.text._ZN7rocprim17ROCPRIM_400000_NS6detail17trampoline_kernelINS0_14default_configENS1_25partition_config_selectorILNS1_17partition_subalgoE5ElNS0_10empty_typeEbEEZZNS1_14partition_implILS5_5ELb0ES3_mN6hipcub16HIPCUB_304000_NS21CountingInputIteratorIllEEPS6_NSA_22TransformInputIteratorIbN2at6native12_GLOBAL__N_19NonZeroOpIlEEPKllEENS0_5tupleIJPlS6_EEENSN_IJSD_SD_EEES6_PiJS6_EEE10hipError_tPvRmT3_T4_T5_T6_T7_T9_mT8_P12ihipStream_tbDpT10_ENKUlT_T0_E_clISt17integral_constantIbLb0EES1B_EEDaS16_S17_EUlS16_E_NS1_11comp_targetILNS1_3genE5ELNS1_11target_archE942ELNS1_3gpuE9ELNS1_3repE0EEENS1_30default_config_static_selectorELNS0_4arch9wavefront6targetE0EEEvT1_,"axG",@progbits,_ZN7rocprim17ROCPRIM_400000_NS6detail17trampoline_kernelINS0_14default_configENS1_25partition_config_selectorILNS1_17partition_subalgoE5ElNS0_10empty_typeEbEEZZNS1_14partition_implILS5_5ELb0ES3_mN6hipcub16HIPCUB_304000_NS21CountingInputIteratorIllEEPS6_NSA_22TransformInputIteratorIbN2at6native12_GLOBAL__N_19NonZeroOpIlEEPKllEENS0_5tupleIJPlS6_EEENSN_IJSD_SD_EEES6_PiJS6_EEE10hipError_tPvRmT3_T4_T5_T6_T7_T9_mT8_P12ihipStream_tbDpT10_ENKUlT_T0_E_clISt17integral_constantIbLb0EES1B_EEDaS16_S17_EUlS16_E_NS1_11comp_targetILNS1_3genE5ELNS1_11target_archE942ELNS1_3gpuE9ELNS1_3repE0EEENS1_30default_config_static_selectorELNS0_4arch9wavefront6targetE0EEEvT1_,comdat
.Lfunc_end255:
	.size	_ZN7rocprim17ROCPRIM_400000_NS6detail17trampoline_kernelINS0_14default_configENS1_25partition_config_selectorILNS1_17partition_subalgoE5ElNS0_10empty_typeEbEEZZNS1_14partition_implILS5_5ELb0ES3_mN6hipcub16HIPCUB_304000_NS21CountingInputIteratorIllEEPS6_NSA_22TransformInputIteratorIbN2at6native12_GLOBAL__N_19NonZeroOpIlEEPKllEENS0_5tupleIJPlS6_EEENSN_IJSD_SD_EEES6_PiJS6_EEE10hipError_tPvRmT3_T4_T5_T6_T7_T9_mT8_P12ihipStream_tbDpT10_ENKUlT_T0_E_clISt17integral_constantIbLb0EES1B_EEDaS16_S17_EUlS16_E_NS1_11comp_targetILNS1_3genE5ELNS1_11target_archE942ELNS1_3gpuE9ELNS1_3repE0EEENS1_30default_config_static_selectorELNS0_4arch9wavefront6targetE0EEEvT1_, .Lfunc_end255-_ZN7rocprim17ROCPRIM_400000_NS6detail17trampoline_kernelINS0_14default_configENS1_25partition_config_selectorILNS1_17partition_subalgoE5ElNS0_10empty_typeEbEEZZNS1_14partition_implILS5_5ELb0ES3_mN6hipcub16HIPCUB_304000_NS21CountingInputIteratorIllEEPS6_NSA_22TransformInputIteratorIbN2at6native12_GLOBAL__N_19NonZeroOpIlEEPKllEENS0_5tupleIJPlS6_EEENSN_IJSD_SD_EEES6_PiJS6_EEE10hipError_tPvRmT3_T4_T5_T6_T7_T9_mT8_P12ihipStream_tbDpT10_ENKUlT_T0_E_clISt17integral_constantIbLb0EES1B_EEDaS16_S17_EUlS16_E_NS1_11comp_targetILNS1_3genE5ELNS1_11target_archE942ELNS1_3gpuE9ELNS1_3repE0EEENS1_30default_config_static_selectorELNS0_4arch9wavefront6targetE0EEEvT1_
                                        ; -- End function
	.set _ZN7rocprim17ROCPRIM_400000_NS6detail17trampoline_kernelINS0_14default_configENS1_25partition_config_selectorILNS1_17partition_subalgoE5ElNS0_10empty_typeEbEEZZNS1_14partition_implILS5_5ELb0ES3_mN6hipcub16HIPCUB_304000_NS21CountingInputIteratorIllEEPS6_NSA_22TransformInputIteratorIbN2at6native12_GLOBAL__N_19NonZeroOpIlEEPKllEENS0_5tupleIJPlS6_EEENSN_IJSD_SD_EEES6_PiJS6_EEE10hipError_tPvRmT3_T4_T5_T6_T7_T9_mT8_P12ihipStream_tbDpT10_ENKUlT_T0_E_clISt17integral_constantIbLb0EES1B_EEDaS16_S17_EUlS16_E_NS1_11comp_targetILNS1_3genE5ELNS1_11target_archE942ELNS1_3gpuE9ELNS1_3repE0EEENS1_30default_config_static_selectorELNS0_4arch9wavefront6targetE0EEEvT1_.num_vgpr, 0
	.set _ZN7rocprim17ROCPRIM_400000_NS6detail17trampoline_kernelINS0_14default_configENS1_25partition_config_selectorILNS1_17partition_subalgoE5ElNS0_10empty_typeEbEEZZNS1_14partition_implILS5_5ELb0ES3_mN6hipcub16HIPCUB_304000_NS21CountingInputIteratorIllEEPS6_NSA_22TransformInputIteratorIbN2at6native12_GLOBAL__N_19NonZeroOpIlEEPKllEENS0_5tupleIJPlS6_EEENSN_IJSD_SD_EEES6_PiJS6_EEE10hipError_tPvRmT3_T4_T5_T6_T7_T9_mT8_P12ihipStream_tbDpT10_ENKUlT_T0_E_clISt17integral_constantIbLb0EES1B_EEDaS16_S17_EUlS16_E_NS1_11comp_targetILNS1_3genE5ELNS1_11target_archE942ELNS1_3gpuE9ELNS1_3repE0EEENS1_30default_config_static_selectorELNS0_4arch9wavefront6targetE0EEEvT1_.num_agpr, 0
	.set _ZN7rocprim17ROCPRIM_400000_NS6detail17trampoline_kernelINS0_14default_configENS1_25partition_config_selectorILNS1_17partition_subalgoE5ElNS0_10empty_typeEbEEZZNS1_14partition_implILS5_5ELb0ES3_mN6hipcub16HIPCUB_304000_NS21CountingInputIteratorIllEEPS6_NSA_22TransformInputIteratorIbN2at6native12_GLOBAL__N_19NonZeroOpIlEEPKllEENS0_5tupleIJPlS6_EEENSN_IJSD_SD_EEES6_PiJS6_EEE10hipError_tPvRmT3_T4_T5_T6_T7_T9_mT8_P12ihipStream_tbDpT10_ENKUlT_T0_E_clISt17integral_constantIbLb0EES1B_EEDaS16_S17_EUlS16_E_NS1_11comp_targetILNS1_3genE5ELNS1_11target_archE942ELNS1_3gpuE9ELNS1_3repE0EEENS1_30default_config_static_selectorELNS0_4arch9wavefront6targetE0EEEvT1_.numbered_sgpr, 0
	.set _ZN7rocprim17ROCPRIM_400000_NS6detail17trampoline_kernelINS0_14default_configENS1_25partition_config_selectorILNS1_17partition_subalgoE5ElNS0_10empty_typeEbEEZZNS1_14partition_implILS5_5ELb0ES3_mN6hipcub16HIPCUB_304000_NS21CountingInputIteratorIllEEPS6_NSA_22TransformInputIteratorIbN2at6native12_GLOBAL__N_19NonZeroOpIlEEPKllEENS0_5tupleIJPlS6_EEENSN_IJSD_SD_EEES6_PiJS6_EEE10hipError_tPvRmT3_T4_T5_T6_T7_T9_mT8_P12ihipStream_tbDpT10_ENKUlT_T0_E_clISt17integral_constantIbLb0EES1B_EEDaS16_S17_EUlS16_E_NS1_11comp_targetILNS1_3genE5ELNS1_11target_archE942ELNS1_3gpuE9ELNS1_3repE0EEENS1_30default_config_static_selectorELNS0_4arch9wavefront6targetE0EEEvT1_.num_named_barrier, 0
	.set _ZN7rocprim17ROCPRIM_400000_NS6detail17trampoline_kernelINS0_14default_configENS1_25partition_config_selectorILNS1_17partition_subalgoE5ElNS0_10empty_typeEbEEZZNS1_14partition_implILS5_5ELb0ES3_mN6hipcub16HIPCUB_304000_NS21CountingInputIteratorIllEEPS6_NSA_22TransformInputIteratorIbN2at6native12_GLOBAL__N_19NonZeroOpIlEEPKllEENS0_5tupleIJPlS6_EEENSN_IJSD_SD_EEES6_PiJS6_EEE10hipError_tPvRmT3_T4_T5_T6_T7_T9_mT8_P12ihipStream_tbDpT10_ENKUlT_T0_E_clISt17integral_constantIbLb0EES1B_EEDaS16_S17_EUlS16_E_NS1_11comp_targetILNS1_3genE5ELNS1_11target_archE942ELNS1_3gpuE9ELNS1_3repE0EEENS1_30default_config_static_selectorELNS0_4arch9wavefront6targetE0EEEvT1_.private_seg_size, 0
	.set _ZN7rocprim17ROCPRIM_400000_NS6detail17trampoline_kernelINS0_14default_configENS1_25partition_config_selectorILNS1_17partition_subalgoE5ElNS0_10empty_typeEbEEZZNS1_14partition_implILS5_5ELb0ES3_mN6hipcub16HIPCUB_304000_NS21CountingInputIteratorIllEEPS6_NSA_22TransformInputIteratorIbN2at6native12_GLOBAL__N_19NonZeroOpIlEEPKllEENS0_5tupleIJPlS6_EEENSN_IJSD_SD_EEES6_PiJS6_EEE10hipError_tPvRmT3_T4_T5_T6_T7_T9_mT8_P12ihipStream_tbDpT10_ENKUlT_T0_E_clISt17integral_constantIbLb0EES1B_EEDaS16_S17_EUlS16_E_NS1_11comp_targetILNS1_3genE5ELNS1_11target_archE942ELNS1_3gpuE9ELNS1_3repE0EEENS1_30default_config_static_selectorELNS0_4arch9wavefront6targetE0EEEvT1_.uses_vcc, 0
	.set _ZN7rocprim17ROCPRIM_400000_NS6detail17trampoline_kernelINS0_14default_configENS1_25partition_config_selectorILNS1_17partition_subalgoE5ElNS0_10empty_typeEbEEZZNS1_14partition_implILS5_5ELb0ES3_mN6hipcub16HIPCUB_304000_NS21CountingInputIteratorIllEEPS6_NSA_22TransformInputIteratorIbN2at6native12_GLOBAL__N_19NonZeroOpIlEEPKllEENS0_5tupleIJPlS6_EEENSN_IJSD_SD_EEES6_PiJS6_EEE10hipError_tPvRmT3_T4_T5_T6_T7_T9_mT8_P12ihipStream_tbDpT10_ENKUlT_T0_E_clISt17integral_constantIbLb0EES1B_EEDaS16_S17_EUlS16_E_NS1_11comp_targetILNS1_3genE5ELNS1_11target_archE942ELNS1_3gpuE9ELNS1_3repE0EEENS1_30default_config_static_selectorELNS0_4arch9wavefront6targetE0EEEvT1_.uses_flat_scratch, 0
	.set _ZN7rocprim17ROCPRIM_400000_NS6detail17trampoline_kernelINS0_14default_configENS1_25partition_config_selectorILNS1_17partition_subalgoE5ElNS0_10empty_typeEbEEZZNS1_14partition_implILS5_5ELb0ES3_mN6hipcub16HIPCUB_304000_NS21CountingInputIteratorIllEEPS6_NSA_22TransformInputIteratorIbN2at6native12_GLOBAL__N_19NonZeroOpIlEEPKllEENS0_5tupleIJPlS6_EEENSN_IJSD_SD_EEES6_PiJS6_EEE10hipError_tPvRmT3_T4_T5_T6_T7_T9_mT8_P12ihipStream_tbDpT10_ENKUlT_T0_E_clISt17integral_constantIbLb0EES1B_EEDaS16_S17_EUlS16_E_NS1_11comp_targetILNS1_3genE5ELNS1_11target_archE942ELNS1_3gpuE9ELNS1_3repE0EEENS1_30default_config_static_selectorELNS0_4arch9wavefront6targetE0EEEvT1_.has_dyn_sized_stack, 0
	.set _ZN7rocprim17ROCPRIM_400000_NS6detail17trampoline_kernelINS0_14default_configENS1_25partition_config_selectorILNS1_17partition_subalgoE5ElNS0_10empty_typeEbEEZZNS1_14partition_implILS5_5ELb0ES3_mN6hipcub16HIPCUB_304000_NS21CountingInputIteratorIllEEPS6_NSA_22TransformInputIteratorIbN2at6native12_GLOBAL__N_19NonZeroOpIlEEPKllEENS0_5tupleIJPlS6_EEENSN_IJSD_SD_EEES6_PiJS6_EEE10hipError_tPvRmT3_T4_T5_T6_T7_T9_mT8_P12ihipStream_tbDpT10_ENKUlT_T0_E_clISt17integral_constantIbLb0EES1B_EEDaS16_S17_EUlS16_E_NS1_11comp_targetILNS1_3genE5ELNS1_11target_archE942ELNS1_3gpuE9ELNS1_3repE0EEENS1_30default_config_static_selectorELNS0_4arch9wavefront6targetE0EEEvT1_.has_recursion, 0
	.set _ZN7rocprim17ROCPRIM_400000_NS6detail17trampoline_kernelINS0_14default_configENS1_25partition_config_selectorILNS1_17partition_subalgoE5ElNS0_10empty_typeEbEEZZNS1_14partition_implILS5_5ELb0ES3_mN6hipcub16HIPCUB_304000_NS21CountingInputIteratorIllEEPS6_NSA_22TransformInputIteratorIbN2at6native12_GLOBAL__N_19NonZeroOpIlEEPKllEENS0_5tupleIJPlS6_EEENSN_IJSD_SD_EEES6_PiJS6_EEE10hipError_tPvRmT3_T4_T5_T6_T7_T9_mT8_P12ihipStream_tbDpT10_ENKUlT_T0_E_clISt17integral_constantIbLb0EES1B_EEDaS16_S17_EUlS16_E_NS1_11comp_targetILNS1_3genE5ELNS1_11target_archE942ELNS1_3gpuE9ELNS1_3repE0EEENS1_30default_config_static_selectorELNS0_4arch9wavefront6targetE0EEEvT1_.has_indirect_call, 0
	.section	.AMDGPU.csdata,"",@progbits
; Kernel info:
; codeLenInByte = 0
; TotalNumSgprs: 0
; NumVgprs: 0
; ScratchSize: 0
; MemoryBound: 0
; FloatMode: 240
; IeeeMode: 1
; LDSByteSize: 0 bytes/workgroup (compile time only)
; SGPRBlocks: 0
; VGPRBlocks: 0
; NumSGPRsForWavesPerEU: 1
; NumVGPRsForWavesPerEU: 1
; Occupancy: 16
; WaveLimiterHint : 0
; COMPUTE_PGM_RSRC2:SCRATCH_EN: 0
; COMPUTE_PGM_RSRC2:USER_SGPR: 2
; COMPUTE_PGM_RSRC2:TRAP_HANDLER: 0
; COMPUTE_PGM_RSRC2:TGID_X_EN: 1
; COMPUTE_PGM_RSRC2:TGID_Y_EN: 0
; COMPUTE_PGM_RSRC2:TGID_Z_EN: 0
; COMPUTE_PGM_RSRC2:TIDIG_COMP_CNT: 0
	.section	.text._ZN7rocprim17ROCPRIM_400000_NS6detail17trampoline_kernelINS0_14default_configENS1_25partition_config_selectorILNS1_17partition_subalgoE5ElNS0_10empty_typeEbEEZZNS1_14partition_implILS5_5ELb0ES3_mN6hipcub16HIPCUB_304000_NS21CountingInputIteratorIllEEPS6_NSA_22TransformInputIteratorIbN2at6native12_GLOBAL__N_19NonZeroOpIlEEPKllEENS0_5tupleIJPlS6_EEENSN_IJSD_SD_EEES6_PiJS6_EEE10hipError_tPvRmT3_T4_T5_T6_T7_T9_mT8_P12ihipStream_tbDpT10_ENKUlT_T0_E_clISt17integral_constantIbLb0EES1B_EEDaS16_S17_EUlS16_E_NS1_11comp_targetILNS1_3genE4ELNS1_11target_archE910ELNS1_3gpuE8ELNS1_3repE0EEENS1_30default_config_static_selectorELNS0_4arch9wavefront6targetE0EEEvT1_,"axG",@progbits,_ZN7rocprim17ROCPRIM_400000_NS6detail17trampoline_kernelINS0_14default_configENS1_25partition_config_selectorILNS1_17partition_subalgoE5ElNS0_10empty_typeEbEEZZNS1_14partition_implILS5_5ELb0ES3_mN6hipcub16HIPCUB_304000_NS21CountingInputIteratorIllEEPS6_NSA_22TransformInputIteratorIbN2at6native12_GLOBAL__N_19NonZeroOpIlEEPKllEENS0_5tupleIJPlS6_EEENSN_IJSD_SD_EEES6_PiJS6_EEE10hipError_tPvRmT3_T4_T5_T6_T7_T9_mT8_P12ihipStream_tbDpT10_ENKUlT_T0_E_clISt17integral_constantIbLb0EES1B_EEDaS16_S17_EUlS16_E_NS1_11comp_targetILNS1_3genE4ELNS1_11target_archE910ELNS1_3gpuE8ELNS1_3repE0EEENS1_30default_config_static_selectorELNS0_4arch9wavefront6targetE0EEEvT1_,comdat
	.globl	_ZN7rocprim17ROCPRIM_400000_NS6detail17trampoline_kernelINS0_14default_configENS1_25partition_config_selectorILNS1_17partition_subalgoE5ElNS0_10empty_typeEbEEZZNS1_14partition_implILS5_5ELb0ES3_mN6hipcub16HIPCUB_304000_NS21CountingInputIteratorIllEEPS6_NSA_22TransformInputIteratorIbN2at6native12_GLOBAL__N_19NonZeroOpIlEEPKllEENS0_5tupleIJPlS6_EEENSN_IJSD_SD_EEES6_PiJS6_EEE10hipError_tPvRmT3_T4_T5_T6_T7_T9_mT8_P12ihipStream_tbDpT10_ENKUlT_T0_E_clISt17integral_constantIbLb0EES1B_EEDaS16_S17_EUlS16_E_NS1_11comp_targetILNS1_3genE4ELNS1_11target_archE910ELNS1_3gpuE8ELNS1_3repE0EEENS1_30default_config_static_selectorELNS0_4arch9wavefront6targetE0EEEvT1_ ; -- Begin function _ZN7rocprim17ROCPRIM_400000_NS6detail17trampoline_kernelINS0_14default_configENS1_25partition_config_selectorILNS1_17partition_subalgoE5ElNS0_10empty_typeEbEEZZNS1_14partition_implILS5_5ELb0ES3_mN6hipcub16HIPCUB_304000_NS21CountingInputIteratorIllEEPS6_NSA_22TransformInputIteratorIbN2at6native12_GLOBAL__N_19NonZeroOpIlEEPKllEENS0_5tupleIJPlS6_EEENSN_IJSD_SD_EEES6_PiJS6_EEE10hipError_tPvRmT3_T4_T5_T6_T7_T9_mT8_P12ihipStream_tbDpT10_ENKUlT_T0_E_clISt17integral_constantIbLb0EES1B_EEDaS16_S17_EUlS16_E_NS1_11comp_targetILNS1_3genE4ELNS1_11target_archE910ELNS1_3gpuE8ELNS1_3repE0EEENS1_30default_config_static_selectorELNS0_4arch9wavefront6targetE0EEEvT1_
	.p2align	8
	.type	_ZN7rocprim17ROCPRIM_400000_NS6detail17trampoline_kernelINS0_14default_configENS1_25partition_config_selectorILNS1_17partition_subalgoE5ElNS0_10empty_typeEbEEZZNS1_14partition_implILS5_5ELb0ES3_mN6hipcub16HIPCUB_304000_NS21CountingInputIteratorIllEEPS6_NSA_22TransformInputIteratorIbN2at6native12_GLOBAL__N_19NonZeroOpIlEEPKllEENS0_5tupleIJPlS6_EEENSN_IJSD_SD_EEES6_PiJS6_EEE10hipError_tPvRmT3_T4_T5_T6_T7_T9_mT8_P12ihipStream_tbDpT10_ENKUlT_T0_E_clISt17integral_constantIbLb0EES1B_EEDaS16_S17_EUlS16_E_NS1_11comp_targetILNS1_3genE4ELNS1_11target_archE910ELNS1_3gpuE8ELNS1_3repE0EEENS1_30default_config_static_selectorELNS0_4arch9wavefront6targetE0EEEvT1_,@function
_ZN7rocprim17ROCPRIM_400000_NS6detail17trampoline_kernelINS0_14default_configENS1_25partition_config_selectorILNS1_17partition_subalgoE5ElNS0_10empty_typeEbEEZZNS1_14partition_implILS5_5ELb0ES3_mN6hipcub16HIPCUB_304000_NS21CountingInputIteratorIllEEPS6_NSA_22TransformInputIteratorIbN2at6native12_GLOBAL__N_19NonZeroOpIlEEPKllEENS0_5tupleIJPlS6_EEENSN_IJSD_SD_EEES6_PiJS6_EEE10hipError_tPvRmT3_T4_T5_T6_T7_T9_mT8_P12ihipStream_tbDpT10_ENKUlT_T0_E_clISt17integral_constantIbLb0EES1B_EEDaS16_S17_EUlS16_E_NS1_11comp_targetILNS1_3genE4ELNS1_11target_archE910ELNS1_3gpuE8ELNS1_3repE0EEENS1_30default_config_static_selectorELNS0_4arch9wavefront6targetE0EEEvT1_: ; @_ZN7rocprim17ROCPRIM_400000_NS6detail17trampoline_kernelINS0_14default_configENS1_25partition_config_selectorILNS1_17partition_subalgoE5ElNS0_10empty_typeEbEEZZNS1_14partition_implILS5_5ELb0ES3_mN6hipcub16HIPCUB_304000_NS21CountingInputIteratorIllEEPS6_NSA_22TransformInputIteratorIbN2at6native12_GLOBAL__N_19NonZeroOpIlEEPKllEENS0_5tupleIJPlS6_EEENSN_IJSD_SD_EEES6_PiJS6_EEE10hipError_tPvRmT3_T4_T5_T6_T7_T9_mT8_P12ihipStream_tbDpT10_ENKUlT_T0_E_clISt17integral_constantIbLb0EES1B_EEDaS16_S17_EUlS16_E_NS1_11comp_targetILNS1_3genE4ELNS1_11target_archE910ELNS1_3gpuE8ELNS1_3repE0EEENS1_30default_config_static_selectorELNS0_4arch9wavefront6targetE0EEEvT1_
; %bb.0:
	.section	.rodata,"a",@progbits
	.p2align	6, 0x0
	.amdhsa_kernel _ZN7rocprim17ROCPRIM_400000_NS6detail17trampoline_kernelINS0_14default_configENS1_25partition_config_selectorILNS1_17partition_subalgoE5ElNS0_10empty_typeEbEEZZNS1_14partition_implILS5_5ELb0ES3_mN6hipcub16HIPCUB_304000_NS21CountingInputIteratorIllEEPS6_NSA_22TransformInputIteratorIbN2at6native12_GLOBAL__N_19NonZeroOpIlEEPKllEENS0_5tupleIJPlS6_EEENSN_IJSD_SD_EEES6_PiJS6_EEE10hipError_tPvRmT3_T4_T5_T6_T7_T9_mT8_P12ihipStream_tbDpT10_ENKUlT_T0_E_clISt17integral_constantIbLb0EES1B_EEDaS16_S17_EUlS16_E_NS1_11comp_targetILNS1_3genE4ELNS1_11target_archE910ELNS1_3gpuE8ELNS1_3repE0EEENS1_30default_config_static_selectorELNS0_4arch9wavefront6targetE0EEEvT1_
		.amdhsa_group_segment_fixed_size 0
		.amdhsa_private_segment_fixed_size 0
		.amdhsa_kernarg_size 120
		.amdhsa_user_sgpr_count 2
		.amdhsa_user_sgpr_dispatch_ptr 0
		.amdhsa_user_sgpr_queue_ptr 0
		.amdhsa_user_sgpr_kernarg_segment_ptr 1
		.amdhsa_user_sgpr_dispatch_id 0
		.amdhsa_user_sgpr_private_segment_size 0
		.amdhsa_wavefront_size32 1
		.amdhsa_uses_dynamic_stack 0
		.amdhsa_enable_private_segment 0
		.amdhsa_system_sgpr_workgroup_id_x 1
		.amdhsa_system_sgpr_workgroup_id_y 0
		.amdhsa_system_sgpr_workgroup_id_z 0
		.amdhsa_system_sgpr_workgroup_info 0
		.amdhsa_system_vgpr_workitem_id 0
		.amdhsa_next_free_vgpr 1
		.amdhsa_next_free_sgpr 1
		.amdhsa_reserve_vcc 0
		.amdhsa_float_round_mode_32 0
		.amdhsa_float_round_mode_16_64 0
		.amdhsa_float_denorm_mode_32 3
		.amdhsa_float_denorm_mode_16_64 3
		.amdhsa_fp16_overflow 0
		.amdhsa_workgroup_processor_mode 1
		.amdhsa_memory_ordered 1
		.amdhsa_forward_progress 1
		.amdhsa_inst_pref_size 0
		.amdhsa_round_robin_scheduling 0
		.amdhsa_exception_fp_ieee_invalid_op 0
		.amdhsa_exception_fp_denorm_src 0
		.amdhsa_exception_fp_ieee_div_zero 0
		.amdhsa_exception_fp_ieee_overflow 0
		.amdhsa_exception_fp_ieee_underflow 0
		.amdhsa_exception_fp_ieee_inexact 0
		.amdhsa_exception_int_div_zero 0
	.end_amdhsa_kernel
	.section	.text._ZN7rocprim17ROCPRIM_400000_NS6detail17trampoline_kernelINS0_14default_configENS1_25partition_config_selectorILNS1_17partition_subalgoE5ElNS0_10empty_typeEbEEZZNS1_14partition_implILS5_5ELb0ES3_mN6hipcub16HIPCUB_304000_NS21CountingInputIteratorIllEEPS6_NSA_22TransformInputIteratorIbN2at6native12_GLOBAL__N_19NonZeroOpIlEEPKllEENS0_5tupleIJPlS6_EEENSN_IJSD_SD_EEES6_PiJS6_EEE10hipError_tPvRmT3_T4_T5_T6_T7_T9_mT8_P12ihipStream_tbDpT10_ENKUlT_T0_E_clISt17integral_constantIbLb0EES1B_EEDaS16_S17_EUlS16_E_NS1_11comp_targetILNS1_3genE4ELNS1_11target_archE910ELNS1_3gpuE8ELNS1_3repE0EEENS1_30default_config_static_selectorELNS0_4arch9wavefront6targetE0EEEvT1_,"axG",@progbits,_ZN7rocprim17ROCPRIM_400000_NS6detail17trampoline_kernelINS0_14default_configENS1_25partition_config_selectorILNS1_17partition_subalgoE5ElNS0_10empty_typeEbEEZZNS1_14partition_implILS5_5ELb0ES3_mN6hipcub16HIPCUB_304000_NS21CountingInputIteratorIllEEPS6_NSA_22TransformInputIteratorIbN2at6native12_GLOBAL__N_19NonZeroOpIlEEPKllEENS0_5tupleIJPlS6_EEENSN_IJSD_SD_EEES6_PiJS6_EEE10hipError_tPvRmT3_T4_T5_T6_T7_T9_mT8_P12ihipStream_tbDpT10_ENKUlT_T0_E_clISt17integral_constantIbLb0EES1B_EEDaS16_S17_EUlS16_E_NS1_11comp_targetILNS1_3genE4ELNS1_11target_archE910ELNS1_3gpuE8ELNS1_3repE0EEENS1_30default_config_static_selectorELNS0_4arch9wavefront6targetE0EEEvT1_,comdat
.Lfunc_end256:
	.size	_ZN7rocprim17ROCPRIM_400000_NS6detail17trampoline_kernelINS0_14default_configENS1_25partition_config_selectorILNS1_17partition_subalgoE5ElNS0_10empty_typeEbEEZZNS1_14partition_implILS5_5ELb0ES3_mN6hipcub16HIPCUB_304000_NS21CountingInputIteratorIllEEPS6_NSA_22TransformInputIteratorIbN2at6native12_GLOBAL__N_19NonZeroOpIlEEPKllEENS0_5tupleIJPlS6_EEENSN_IJSD_SD_EEES6_PiJS6_EEE10hipError_tPvRmT3_T4_T5_T6_T7_T9_mT8_P12ihipStream_tbDpT10_ENKUlT_T0_E_clISt17integral_constantIbLb0EES1B_EEDaS16_S17_EUlS16_E_NS1_11comp_targetILNS1_3genE4ELNS1_11target_archE910ELNS1_3gpuE8ELNS1_3repE0EEENS1_30default_config_static_selectorELNS0_4arch9wavefront6targetE0EEEvT1_, .Lfunc_end256-_ZN7rocprim17ROCPRIM_400000_NS6detail17trampoline_kernelINS0_14default_configENS1_25partition_config_selectorILNS1_17partition_subalgoE5ElNS0_10empty_typeEbEEZZNS1_14partition_implILS5_5ELb0ES3_mN6hipcub16HIPCUB_304000_NS21CountingInputIteratorIllEEPS6_NSA_22TransformInputIteratorIbN2at6native12_GLOBAL__N_19NonZeroOpIlEEPKllEENS0_5tupleIJPlS6_EEENSN_IJSD_SD_EEES6_PiJS6_EEE10hipError_tPvRmT3_T4_T5_T6_T7_T9_mT8_P12ihipStream_tbDpT10_ENKUlT_T0_E_clISt17integral_constantIbLb0EES1B_EEDaS16_S17_EUlS16_E_NS1_11comp_targetILNS1_3genE4ELNS1_11target_archE910ELNS1_3gpuE8ELNS1_3repE0EEENS1_30default_config_static_selectorELNS0_4arch9wavefront6targetE0EEEvT1_
                                        ; -- End function
	.set _ZN7rocprim17ROCPRIM_400000_NS6detail17trampoline_kernelINS0_14default_configENS1_25partition_config_selectorILNS1_17partition_subalgoE5ElNS0_10empty_typeEbEEZZNS1_14partition_implILS5_5ELb0ES3_mN6hipcub16HIPCUB_304000_NS21CountingInputIteratorIllEEPS6_NSA_22TransformInputIteratorIbN2at6native12_GLOBAL__N_19NonZeroOpIlEEPKllEENS0_5tupleIJPlS6_EEENSN_IJSD_SD_EEES6_PiJS6_EEE10hipError_tPvRmT3_T4_T5_T6_T7_T9_mT8_P12ihipStream_tbDpT10_ENKUlT_T0_E_clISt17integral_constantIbLb0EES1B_EEDaS16_S17_EUlS16_E_NS1_11comp_targetILNS1_3genE4ELNS1_11target_archE910ELNS1_3gpuE8ELNS1_3repE0EEENS1_30default_config_static_selectorELNS0_4arch9wavefront6targetE0EEEvT1_.num_vgpr, 0
	.set _ZN7rocprim17ROCPRIM_400000_NS6detail17trampoline_kernelINS0_14default_configENS1_25partition_config_selectorILNS1_17partition_subalgoE5ElNS0_10empty_typeEbEEZZNS1_14partition_implILS5_5ELb0ES3_mN6hipcub16HIPCUB_304000_NS21CountingInputIteratorIllEEPS6_NSA_22TransformInputIteratorIbN2at6native12_GLOBAL__N_19NonZeroOpIlEEPKllEENS0_5tupleIJPlS6_EEENSN_IJSD_SD_EEES6_PiJS6_EEE10hipError_tPvRmT3_T4_T5_T6_T7_T9_mT8_P12ihipStream_tbDpT10_ENKUlT_T0_E_clISt17integral_constantIbLb0EES1B_EEDaS16_S17_EUlS16_E_NS1_11comp_targetILNS1_3genE4ELNS1_11target_archE910ELNS1_3gpuE8ELNS1_3repE0EEENS1_30default_config_static_selectorELNS0_4arch9wavefront6targetE0EEEvT1_.num_agpr, 0
	.set _ZN7rocprim17ROCPRIM_400000_NS6detail17trampoline_kernelINS0_14default_configENS1_25partition_config_selectorILNS1_17partition_subalgoE5ElNS0_10empty_typeEbEEZZNS1_14partition_implILS5_5ELb0ES3_mN6hipcub16HIPCUB_304000_NS21CountingInputIteratorIllEEPS6_NSA_22TransformInputIteratorIbN2at6native12_GLOBAL__N_19NonZeroOpIlEEPKllEENS0_5tupleIJPlS6_EEENSN_IJSD_SD_EEES6_PiJS6_EEE10hipError_tPvRmT3_T4_T5_T6_T7_T9_mT8_P12ihipStream_tbDpT10_ENKUlT_T0_E_clISt17integral_constantIbLb0EES1B_EEDaS16_S17_EUlS16_E_NS1_11comp_targetILNS1_3genE4ELNS1_11target_archE910ELNS1_3gpuE8ELNS1_3repE0EEENS1_30default_config_static_selectorELNS0_4arch9wavefront6targetE0EEEvT1_.numbered_sgpr, 0
	.set _ZN7rocprim17ROCPRIM_400000_NS6detail17trampoline_kernelINS0_14default_configENS1_25partition_config_selectorILNS1_17partition_subalgoE5ElNS0_10empty_typeEbEEZZNS1_14partition_implILS5_5ELb0ES3_mN6hipcub16HIPCUB_304000_NS21CountingInputIteratorIllEEPS6_NSA_22TransformInputIteratorIbN2at6native12_GLOBAL__N_19NonZeroOpIlEEPKllEENS0_5tupleIJPlS6_EEENSN_IJSD_SD_EEES6_PiJS6_EEE10hipError_tPvRmT3_T4_T5_T6_T7_T9_mT8_P12ihipStream_tbDpT10_ENKUlT_T0_E_clISt17integral_constantIbLb0EES1B_EEDaS16_S17_EUlS16_E_NS1_11comp_targetILNS1_3genE4ELNS1_11target_archE910ELNS1_3gpuE8ELNS1_3repE0EEENS1_30default_config_static_selectorELNS0_4arch9wavefront6targetE0EEEvT1_.num_named_barrier, 0
	.set _ZN7rocprim17ROCPRIM_400000_NS6detail17trampoline_kernelINS0_14default_configENS1_25partition_config_selectorILNS1_17partition_subalgoE5ElNS0_10empty_typeEbEEZZNS1_14partition_implILS5_5ELb0ES3_mN6hipcub16HIPCUB_304000_NS21CountingInputIteratorIllEEPS6_NSA_22TransformInputIteratorIbN2at6native12_GLOBAL__N_19NonZeroOpIlEEPKllEENS0_5tupleIJPlS6_EEENSN_IJSD_SD_EEES6_PiJS6_EEE10hipError_tPvRmT3_T4_T5_T6_T7_T9_mT8_P12ihipStream_tbDpT10_ENKUlT_T0_E_clISt17integral_constantIbLb0EES1B_EEDaS16_S17_EUlS16_E_NS1_11comp_targetILNS1_3genE4ELNS1_11target_archE910ELNS1_3gpuE8ELNS1_3repE0EEENS1_30default_config_static_selectorELNS0_4arch9wavefront6targetE0EEEvT1_.private_seg_size, 0
	.set _ZN7rocprim17ROCPRIM_400000_NS6detail17trampoline_kernelINS0_14default_configENS1_25partition_config_selectorILNS1_17partition_subalgoE5ElNS0_10empty_typeEbEEZZNS1_14partition_implILS5_5ELb0ES3_mN6hipcub16HIPCUB_304000_NS21CountingInputIteratorIllEEPS6_NSA_22TransformInputIteratorIbN2at6native12_GLOBAL__N_19NonZeroOpIlEEPKllEENS0_5tupleIJPlS6_EEENSN_IJSD_SD_EEES6_PiJS6_EEE10hipError_tPvRmT3_T4_T5_T6_T7_T9_mT8_P12ihipStream_tbDpT10_ENKUlT_T0_E_clISt17integral_constantIbLb0EES1B_EEDaS16_S17_EUlS16_E_NS1_11comp_targetILNS1_3genE4ELNS1_11target_archE910ELNS1_3gpuE8ELNS1_3repE0EEENS1_30default_config_static_selectorELNS0_4arch9wavefront6targetE0EEEvT1_.uses_vcc, 0
	.set _ZN7rocprim17ROCPRIM_400000_NS6detail17trampoline_kernelINS0_14default_configENS1_25partition_config_selectorILNS1_17partition_subalgoE5ElNS0_10empty_typeEbEEZZNS1_14partition_implILS5_5ELb0ES3_mN6hipcub16HIPCUB_304000_NS21CountingInputIteratorIllEEPS6_NSA_22TransformInputIteratorIbN2at6native12_GLOBAL__N_19NonZeroOpIlEEPKllEENS0_5tupleIJPlS6_EEENSN_IJSD_SD_EEES6_PiJS6_EEE10hipError_tPvRmT3_T4_T5_T6_T7_T9_mT8_P12ihipStream_tbDpT10_ENKUlT_T0_E_clISt17integral_constantIbLb0EES1B_EEDaS16_S17_EUlS16_E_NS1_11comp_targetILNS1_3genE4ELNS1_11target_archE910ELNS1_3gpuE8ELNS1_3repE0EEENS1_30default_config_static_selectorELNS0_4arch9wavefront6targetE0EEEvT1_.uses_flat_scratch, 0
	.set _ZN7rocprim17ROCPRIM_400000_NS6detail17trampoline_kernelINS0_14default_configENS1_25partition_config_selectorILNS1_17partition_subalgoE5ElNS0_10empty_typeEbEEZZNS1_14partition_implILS5_5ELb0ES3_mN6hipcub16HIPCUB_304000_NS21CountingInputIteratorIllEEPS6_NSA_22TransformInputIteratorIbN2at6native12_GLOBAL__N_19NonZeroOpIlEEPKllEENS0_5tupleIJPlS6_EEENSN_IJSD_SD_EEES6_PiJS6_EEE10hipError_tPvRmT3_T4_T5_T6_T7_T9_mT8_P12ihipStream_tbDpT10_ENKUlT_T0_E_clISt17integral_constantIbLb0EES1B_EEDaS16_S17_EUlS16_E_NS1_11comp_targetILNS1_3genE4ELNS1_11target_archE910ELNS1_3gpuE8ELNS1_3repE0EEENS1_30default_config_static_selectorELNS0_4arch9wavefront6targetE0EEEvT1_.has_dyn_sized_stack, 0
	.set _ZN7rocprim17ROCPRIM_400000_NS6detail17trampoline_kernelINS0_14default_configENS1_25partition_config_selectorILNS1_17partition_subalgoE5ElNS0_10empty_typeEbEEZZNS1_14partition_implILS5_5ELb0ES3_mN6hipcub16HIPCUB_304000_NS21CountingInputIteratorIllEEPS6_NSA_22TransformInputIteratorIbN2at6native12_GLOBAL__N_19NonZeroOpIlEEPKllEENS0_5tupleIJPlS6_EEENSN_IJSD_SD_EEES6_PiJS6_EEE10hipError_tPvRmT3_T4_T5_T6_T7_T9_mT8_P12ihipStream_tbDpT10_ENKUlT_T0_E_clISt17integral_constantIbLb0EES1B_EEDaS16_S17_EUlS16_E_NS1_11comp_targetILNS1_3genE4ELNS1_11target_archE910ELNS1_3gpuE8ELNS1_3repE0EEENS1_30default_config_static_selectorELNS0_4arch9wavefront6targetE0EEEvT1_.has_recursion, 0
	.set _ZN7rocprim17ROCPRIM_400000_NS6detail17trampoline_kernelINS0_14default_configENS1_25partition_config_selectorILNS1_17partition_subalgoE5ElNS0_10empty_typeEbEEZZNS1_14partition_implILS5_5ELb0ES3_mN6hipcub16HIPCUB_304000_NS21CountingInputIteratorIllEEPS6_NSA_22TransformInputIteratorIbN2at6native12_GLOBAL__N_19NonZeroOpIlEEPKllEENS0_5tupleIJPlS6_EEENSN_IJSD_SD_EEES6_PiJS6_EEE10hipError_tPvRmT3_T4_T5_T6_T7_T9_mT8_P12ihipStream_tbDpT10_ENKUlT_T0_E_clISt17integral_constantIbLb0EES1B_EEDaS16_S17_EUlS16_E_NS1_11comp_targetILNS1_3genE4ELNS1_11target_archE910ELNS1_3gpuE8ELNS1_3repE0EEENS1_30default_config_static_selectorELNS0_4arch9wavefront6targetE0EEEvT1_.has_indirect_call, 0
	.section	.AMDGPU.csdata,"",@progbits
; Kernel info:
; codeLenInByte = 0
; TotalNumSgprs: 0
; NumVgprs: 0
; ScratchSize: 0
; MemoryBound: 0
; FloatMode: 240
; IeeeMode: 1
; LDSByteSize: 0 bytes/workgroup (compile time only)
; SGPRBlocks: 0
; VGPRBlocks: 0
; NumSGPRsForWavesPerEU: 1
; NumVGPRsForWavesPerEU: 1
; Occupancy: 16
; WaveLimiterHint : 0
; COMPUTE_PGM_RSRC2:SCRATCH_EN: 0
; COMPUTE_PGM_RSRC2:USER_SGPR: 2
; COMPUTE_PGM_RSRC2:TRAP_HANDLER: 0
; COMPUTE_PGM_RSRC2:TGID_X_EN: 1
; COMPUTE_PGM_RSRC2:TGID_Y_EN: 0
; COMPUTE_PGM_RSRC2:TGID_Z_EN: 0
; COMPUTE_PGM_RSRC2:TIDIG_COMP_CNT: 0
	.section	.text._ZN7rocprim17ROCPRIM_400000_NS6detail17trampoline_kernelINS0_14default_configENS1_25partition_config_selectorILNS1_17partition_subalgoE5ElNS0_10empty_typeEbEEZZNS1_14partition_implILS5_5ELb0ES3_mN6hipcub16HIPCUB_304000_NS21CountingInputIteratorIllEEPS6_NSA_22TransformInputIteratorIbN2at6native12_GLOBAL__N_19NonZeroOpIlEEPKllEENS0_5tupleIJPlS6_EEENSN_IJSD_SD_EEES6_PiJS6_EEE10hipError_tPvRmT3_T4_T5_T6_T7_T9_mT8_P12ihipStream_tbDpT10_ENKUlT_T0_E_clISt17integral_constantIbLb0EES1B_EEDaS16_S17_EUlS16_E_NS1_11comp_targetILNS1_3genE3ELNS1_11target_archE908ELNS1_3gpuE7ELNS1_3repE0EEENS1_30default_config_static_selectorELNS0_4arch9wavefront6targetE0EEEvT1_,"axG",@progbits,_ZN7rocprim17ROCPRIM_400000_NS6detail17trampoline_kernelINS0_14default_configENS1_25partition_config_selectorILNS1_17partition_subalgoE5ElNS0_10empty_typeEbEEZZNS1_14partition_implILS5_5ELb0ES3_mN6hipcub16HIPCUB_304000_NS21CountingInputIteratorIllEEPS6_NSA_22TransformInputIteratorIbN2at6native12_GLOBAL__N_19NonZeroOpIlEEPKllEENS0_5tupleIJPlS6_EEENSN_IJSD_SD_EEES6_PiJS6_EEE10hipError_tPvRmT3_T4_T5_T6_T7_T9_mT8_P12ihipStream_tbDpT10_ENKUlT_T0_E_clISt17integral_constantIbLb0EES1B_EEDaS16_S17_EUlS16_E_NS1_11comp_targetILNS1_3genE3ELNS1_11target_archE908ELNS1_3gpuE7ELNS1_3repE0EEENS1_30default_config_static_selectorELNS0_4arch9wavefront6targetE0EEEvT1_,comdat
	.globl	_ZN7rocprim17ROCPRIM_400000_NS6detail17trampoline_kernelINS0_14default_configENS1_25partition_config_selectorILNS1_17partition_subalgoE5ElNS0_10empty_typeEbEEZZNS1_14partition_implILS5_5ELb0ES3_mN6hipcub16HIPCUB_304000_NS21CountingInputIteratorIllEEPS6_NSA_22TransformInputIteratorIbN2at6native12_GLOBAL__N_19NonZeroOpIlEEPKllEENS0_5tupleIJPlS6_EEENSN_IJSD_SD_EEES6_PiJS6_EEE10hipError_tPvRmT3_T4_T5_T6_T7_T9_mT8_P12ihipStream_tbDpT10_ENKUlT_T0_E_clISt17integral_constantIbLb0EES1B_EEDaS16_S17_EUlS16_E_NS1_11comp_targetILNS1_3genE3ELNS1_11target_archE908ELNS1_3gpuE7ELNS1_3repE0EEENS1_30default_config_static_selectorELNS0_4arch9wavefront6targetE0EEEvT1_ ; -- Begin function _ZN7rocprim17ROCPRIM_400000_NS6detail17trampoline_kernelINS0_14default_configENS1_25partition_config_selectorILNS1_17partition_subalgoE5ElNS0_10empty_typeEbEEZZNS1_14partition_implILS5_5ELb0ES3_mN6hipcub16HIPCUB_304000_NS21CountingInputIteratorIllEEPS6_NSA_22TransformInputIteratorIbN2at6native12_GLOBAL__N_19NonZeroOpIlEEPKllEENS0_5tupleIJPlS6_EEENSN_IJSD_SD_EEES6_PiJS6_EEE10hipError_tPvRmT3_T4_T5_T6_T7_T9_mT8_P12ihipStream_tbDpT10_ENKUlT_T0_E_clISt17integral_constantIbLb0EES1B_EEDaS16_S17_EUlS16_E_NS1_11comp_targetILNS1_3genE3ELNS1_11target_archE908ELNS1_3gpuE7ELNS1_3repE0EEENS1_30default_config_static_selectorELNS0_4arch9wavefront6targetE0EEEvT1_
	.p2align	8
	.type	_ZN7rocprim17ROCPRIM_400000_NS6detail17trampoline_kernelINS0_14default_configENS1_25partition_config_selectorILNS1_17partition_subalgoE5ElNS0_10empty_typeEbEEZZNS1_14partition_implILS5_5ELb0ES3_mN6hipcub16HIPCUB_304000_NS21CountingInputIteratorIllEEPS6_NSA_22TransformInputIteratorIbN2at6native12_GLOBAL__N_19NonZeroOpIlEEPKllEENS0_5tupleIJPlS6_EEENSN_IJSD_SD_EEES6_PiJS6_EEE10hipError_tPvRmT3_T4_T5_T6_T7_T9_mT8_P12ihipStream_tbDpT10_ENKUlT_T0_E_clISt17integral_constantIbLb0EES1B_EEDaS16_S17_EUlS16_E_NS1_11comp_targetILNS1_3genE3ELNS1_11target_archE908ELNS1_3gpuE7ELNS1_3repE0EEENS1_30default_config_static_selectorELNS0_4arch9wavefront6targetE0EEEvT1_,@function
_ZN7rocprim17ROCPRIM_400000_NS6detail17trampoline_kernelINS0_14default_configENS1_25partition_config_selectorILNS1_17partition_subalgoE5ElNS0_10empty_typeEbEEZZNS1_14partition_implILS5_5ELb0ES3_mN6hipcub16HIPCUB_304000_NS21CountingInputIteratorIllEEPS6_NSA_22TransformInputIteratorIbN2at6native12_GLOBAL__N_19NonZeroOpIlEEPKllEENS0_5tupleIJPlS6_EEENSN_IJSD_SD_EEES6_PiJS6_EEE10hipError_tPvRmT3_T4_T5_T6_T7_T9_mT8_P12ihipStream_tbDpT10_ENKUlT_T0_E_clISt17integral_constantIbLb0EES1B_EEDaS16_S17_EUlS16_E_NS1_11comp_targetILNS1_3genE3ELNS1_11target_archE908ELNS1_3gpuE7ELNS1_3repE0EEENS1_30default_config_static_selectorELNS0_4arch9wavefront6targetE0EEEvT1_: ; @_ZN7rocprim17ROCPRIM_400000_NS6detail17trampoline_kernelINS0_14default_configENS1_25partition_config_selectorILNS1_17partition_subalgoE5ElNS0_10empty_typeEbEEZZNS1_14partition_implILS5_5ELb0ES3_mN6hipcub16HIPCUB_304000_NS21CountingInputIteratorIllEEPS6_NSA_22TransformInputIteratorIbN2at6native12_GLOBAL__N_19NonZeroOpIlEEPKllEENS0_5tupleIJPlS6_EEENSN_IJSD_SD_EEES6_PiJS6_EEE10hipError_tPvRmT3_T4_T5_T6_T7_T9_mT8_P12ihipStream_tbDpT10_ENKUlT_T0_E_clISt17integral_constantIbLb0EES1B_EEDaS16_S17_EUlS16_E_NS1_11comp_targetILNS1_3genE3ELNS1_11target_archE908ELNS1_3gpuE7ELNS1_3repE0EEENS1_30default_config_static_selectorELNS0_4arch9wavefront6targetE0EEEvT1_
; %bb.0:
	.section	.rodata,"a",@progbits
	.p2align	6, 0x0
	.amdhsa_kernel _ZN7rocprim17ROCPRIM_400000_NS6detail17trampoline_kernelINS0_14default_configENS1_25partition_config_selectorILNS1_17partition_subalgoE5ElNS0_10empty_typeEbEEZZNS1_14partition_implILS5_5ELb0ES3_mN6hipcub16HIPCUB_304000_NS21CountingInputIteratorIllEEPS6_NSA_22TransformInputIteratorIbN2at6native12_GLOBAL__N_19NonZeroOpIlEEPKllEENS0_5tupleIJPlS6_EEENSN_IJSD_SD_EEES6_PiJS6_EEE10hipError_tPvRmT3_T4_T5_T6_T7_T9_mT8_P12ihipStream_tbDpT10_ENKUlT_T0_E_clISt17integral_constantIbLb0EES1B_EEDaS16_S17_EUlS16_E_NS1_11comp_targetILNS1_3genE3ELNS1_11target_archE908ELNS1_3gpuE7ELNS1_3repE0EEENS1_30default_config_static_selectorELNS0_4arch9wavefront6targetE0EEEvT1_
		.amdhsa_group_segment_fixed_size 0
		.amdhsa_private_segment_fixed_size 0
		.amdhsa_kernarg_size 120
		.amdhsa_user_sgpr_count 2
		.amdhsa_user_sgpr_dispatch_ptr 0
		.amdhsa_user_sgpr_queue_ptr 0
		.amdhsa_user_sgpr_kernarg_segment_ptr 1
		.amdhsa_user_sgpr_dispatch_id 0
		.amdhsa_user_sgpr_private_segment_size 0
		.amdhsa_wavefront_size32 1
		.amdhsa_uses_dynamic_stack 0
		.amdhsa_enable_private_segment 0
		.amdhsa_system_sgpr_workgroup_id_x 1
		.amdhsa_system_sgpr_workgroup_id_y 0
		.amdhsa_system_sgpr_workgroup_id_z 0
		.amdhsa_system_sgpr_workgroup_info 0
		.amdhsa_system_vgpr_workitem_id 0
		.amdhsa_next_free_vgpr 1
		.amdhsa_next_free_sgpr 1
		.amdhsa_reserve_vcc 0
		.amdhsa_float_round_mode_32 0
		.amdhsa_float_round_mode_16_64 0
		.amdhsa_float_denorm_mode_32 3
		.amdhsa_float_denorm_mode_16_64 3
		.amdhsa_fp16_overflow 0
		.amdhsa_workgroup_processor_mode 1
		.amdhsa_memory_ordered 1
		.amdhsa_forward_progress 1
		.amdhsa_inst_pref_size 0
		.amdhsa_round_robin_scheduling 0
		.amdhsa_exception_fp_ieee_invalid_op 0
		.amdhsa_exception_fp_denorm_src 0
		.amdhsa_exception_fp_ieee_div_zero 0
		.amdhsa_exception_fp_ieee_overflow 0
		.amdhsa_exception_fp_ieee_underflow 0
		.amdhsa_exception_fp_ieee_inexact 0
		.amdhsa_exception_int_div_zero 0
	.end_amdhsa_kernel
	.section	.text._ZN7rocprim17ROCPRIM_400000_NS6detail17trampoline_kernelINS0_14default_configENS1_25partition_config_selectorILNS1_17partition_subalgoE5ElNS0_10empty_typeEbEEZZNS1_14partition_implILS5_5ELb0ES3_mN6hipcub16HIPCUB_304000_NS21CountingInputIteratorIllEEPS6_NSA_22TransformInputIteratorIbN2at6native12_GLOBAL__N_19NonZeroOpIlEEPKllEENS0_5tupleIJPlS6_EEENSN_IJSD_SD_EEES6_PiJS6_EEE10hipError_tPvRmT3_T4_T5_T6_T7_T9_mT8_P12ihipStream_tbDpT10_ENKUlT_T0_E_clISt17integral_constantIbLb0EES1B_EEDaS16_S17_EUlS16_E_NS1_11comp_targetILNS1_3genE3ELNS1_11target_archE908ELNS1_3gpuE7ELNS1_3repE0EEENS1_30default_config_static_selectorELNS0_4arch9wavefront6targetE0EEEvT1_,"axG",@progbits,_ZN7rocprim17ROCPRIM_400000_NS6detail17trampoline_kernelINS0_14default_configENS1_25partition_config_selectorILNS1_17partition_subalgoE5ElNS0_10empty_typeEbEEZZNS1_14partition_implILS5_5ELb0ES3_mN6hipcub16HIPCUB_304000_NS21CountingInputIteratorIllEEPS6_NSA_22TransformInputIteratorIbN2at6native12_GLOBAL__N_19NonZeroOpIlEEPKllEENS0_5tupleIJPlS6_EEENSN_IJSD_SD_EEES6_PiJS6_EEE10hipError_tPvRmT3_T4_T5_T6_T7_T9_mT8_P12ihipStream_tbDpT10_ENKUlT_T0_E_clISt17integral_constantIbLb0EES1B_EEDaS16_S17_EUlS16_E_NS1_11comp_targetILNS1_3genE3ELNS1_11target_archE908ELNS1_3gpuE7ELNS1_3repE0EEENS1_30default_config_static_selectorELNS0_4arch9wavefront6targetE0EEEvT1_,comdat
.Lfunc_end257:
	.size	_ZN7rocprim17ROCPRIM_400000_NS6detail17trampoline_kernelINS0_14default_configENS1_25partition_config_selectorILNS1_17partition_subalgoE5ElNS0_10empty_typeEbEEZZNS1_14partition_implILS5_5ELb0ES3_mN6hipcub16HIPCUB_304000_NS21CountingInputIteratorIllEEPS6_NSA_22TransformInputIteratorIbN2at6native12_GLOBAL__N_19NonZeroOpIlEEPKllEENS0_5tupleIJPlS6_EEENSN_IJSD_SD_EEES6_PiJS6_EEE10hipError_tPvRmT3_T4_T5_T6_T7_T9_mT8_P12ihipStream_tbDpT10_ENKUlT_T0_E_clISt17integral_constantIbLb0EES1B_EEDaS16_S17_EUlS16_E_NS1_11comp_targetILNS1_3genE3ELNS1_11target_archE908ELNS1_3gpuE7ELNS1_3repE0EEENS1_30default_config_static_selectorELNS0_4arch9wavefront6targetE0EEEvT1_, .Lfunc_end257-_ZN7rocprim17ROCPRIM_400000_NS6detail17trampoline_kernelINS0_14default_configENS1_25partition_config_selectorILNS1_17partition_subalgoE5ElNS0_10empty_typeEbEEZZNS1_14partition_implILS5_5ELb0ES3_mN6hipcub16HIPCUB_304000_NS21CountingInputIteratorIllEEPS6_NSA_22TransformInputIteratorIbN2at6native12_GLOBAL__N_19NonZeroOpIlEEPKllEENS0_5tupleIJPlS6_EEENSN_IJSD_SD_EEES6_PiJS6_EEE10hipError_tPvRmT3_T4_T5_T6_T7_T9_mT8_P12ihipStream_tbDpT10_ENKUlT_T0_E_clISt17integral_constantIbLb0EES1B_EEDaS16_S17_EUlS16_E_NS1_11comp_targetILNS1_3genE3ELNS1_11target_archE908ELNS1_3gpuE7ELNS1_3repE0EEENS1_30default_config_static_selectorELNS0_4arch9wavefront6targetE0EEEvT1_
                                        ; -- End function
	.set _ZN7rocprim17ROCPRIM_400000_NS6detail17trampoline_kernelINS0_14default_configENS1_25partition_config_selectorILNS1_17partition_subalgoE5ElNS0_10empty_typeEbEEZZNS1_14partition_implILS5_5ELb0ES3_mN6hipcub16HIPCUB_304000_NS21CountingInputIteratorIllEEPS6_NSA_22TransformInputIteratorIbN2at6native12_GLOBAL__N_19NonZeroOpIlEEPKllEENS0_5tupleIJPlS6_EEENSN_IJSD_SD_EEES6_PiJS6_EEE10hipError_tPvRmT3_T4_T5_T6_T7_T9_mT8_P12ihipStream_tbDpT10_ENKUlT_T0_E_clISt17integral_constantIbLb0EES1B_EEDaS16_S17_EUlS16_E_NS1_11comp_targetILNS1_3genE3ELNS1_11target_archE908ELNS1_3gpuE7ELNS1_3repE0EEENS1_30default_config_static_selectorELNS0_4arch9wavefront6targetE0EEEvT1_.num_vgpr, 0
	.set _ZN7rocprim17ROCPRIM_400000_NS6detail17trampoline_kernelINS0_14default_configENS1_25partition_config_selectorILNS1_17partition_subalgoE5ElNS0_10empty_typeEbEEZZNS1_14partition_implILS5_5ELb0ES3_mN6hipcub16HIPCUB_304000_NS21CountingInputIteratorIllEEPS6_NSA_22TransformInputIteratorIbN2at6native12_GLOBAL__N_19NonZeroOpIlEEPKllEENS0_5tupleIJPlS6_EEENSN_IJSD_SD_EEES6_PiJS6_EEE10hipError_tPvRmT3_T4_T5_T6_T7_T9_mT8_P12ihipStream_tbDpT10_ENKUlT_T0_E_clISt17integral_constantIbLb0EES1B_EEDaS16_S17_EUlS16_E_NS1_11comp_targetILNS1_3genE3ELNS1_11target_archE908ELNS1_3gpuE7ELNS1_3repE0EEENS1_30default_config_static_selectorELNS0_4arch9wavefront6targetE0EEEvT1_.num_agpr, 0
	.set _ZN7rocprim17ROCPRIM_400000_NS6detail17trampoline_kernelINS0_14default_configENS1_25partition_config_selectorILNS1_17partition_subalgoE5ElNS0_10empty_typeEbEEZZNS1_14partition_implILS5_5ELb0ES3_mN6hipcub16HIPCUB_304000_NS21CountingInputIteratorIllEEPS6_NSA_22TransformInputIteratorIbN2at6native12_GLOBAL__N_19NonZeroOpIlEEPKllEENS0_5tupleIJPlS6_EEENSN_IJSD_SD_EEES6_PiJS6_EEE10hipError_tPvRmT3_T4_T5_T6_T7_T9_mT8_P12ihipStream_tbDpT10_ENKUlT_T0_E_clISt17integral_constantIbLb0EES1B_EEDaS16_S17_EUlS16_E_NS1_11comp_targetILNS1_3genE3ELNS1_11target_archE908ELNS1_3gpuE7ELNS1_3repE0EEENS1_30default_config_static_selectorELNS0_4arch9wavefront6targetE0EEEvT1_.numbered_sgpr, 0
	.set _ZN7rocprim17ROCPRIM_400000_NS6detail17trampoline_kernelINS0_14default_configENS1_25partition_config_selectorILNS1_17partition_subalgoE5ElNS0_10empty_typeEbEEZZNS1_14partition_implILS5_5ELb0ES3_mN6hipcub16HIPCUB_304000_NS21CountingInputIteratorIllEEPS6_NSA_22TransformInputIteratorIbN2at6native12_GLOBAL__N_19NonZeroOpIlEEPKllEENS0_5tupleIJPlS6_EEENSN_IJSD_SD_EEES6_PiJS6_EEE10hipError_tPvRmT3_T4_T5_T6_T7_T9_mT8_P12ihipStream_tbDpT10_ENKUlT_T0_E_clISt17integral_constantIbLb0EES1B_EEDaS16_S17_EUlS16_E_NS1_11comp_targetILNS1_3genE3ELNS1_11target_archE908ELNS1_3gpuE7ELNS1_3repE0EEENS1_30default_config_static_selectorELNS0_4arch9wavefront6targetE0EEEvT1_.num_named_barrier, 0
	.set _ZN7rocprim17ROCPRIM_400000_NS6detail17trampoline_kernelINS0_14default_configENS1_25partition_config_selectorILNS1_17partition_subalgoE5ElNS0_10empty_typeEbEEZZNS1_14partition_implILS5_5ELb0ES3_mN6hipcub16HIPCUB_304000_NS21CountingInputIteratorIllEEPS6_NSA_22TransformInputIteratorIbN2at6native12_GLOBAL__N_19NonZeroOpIlEEPKllEENS0_5tupleIJPlS6_EEENSN_IJSD_SD_EEES6_PiJS6_EEE10hipError_tPvRmT3_T4_T5_T6_T7_T9_mT8_P12ihipStream_tbDpT10_ENKUlT_T0_E_clISt17integral_constantIbLb0EES1B_EEDaS16_S17_EUlS16_E_NS1_11comp_targetILNS1_3genE3ELNS1_11target_archE908ELNS1_3gpuE7ELNS1_3repE0EEENS1_30default_config_static_selectorELNS0_4arch9wavefront6targetE0EEEvT1_.private_seg_size, 0
	.set _ZN7rocprim17ROCPRIM_400000_NS6detail17trampoline_kernelINS0_14default_configENS1_25partition_config_selectorILNS1_17partition_subalgoE5ElNS0_10empty_typeEbEEZZNS1_14partition_implILS5_5ELb0ES3_mN6hipcub16HIPCUB_304000_NS21CountingInputIteratorIllEEPS6_NSA_22TransformInputIteratorIbN2at6native12_GLOBAL__N_19NonZeroOpIlEEPKllEENS0_5tupleIJPlS6_EEENSN_IJSD_SD_EEES6_PiJS6_EEE10hipError_tPvRmT3_T4_T5_T6_T7_T9_mT8_P12ihipStream_tbDpT10_ENKUlT_T0_E_clISt17integral_constantIbLb0EES1B_EEDaS16_S17_EUlS16_E_NS1_11comp_targetILNS1_3genE3ELNS1_11target_archE908ELNS1_3gpuE7ELNS1_3repE0EEENS1_30default_config_static_selectorELNS0_4arch9wavefront6targetE0EEEvT1_.uses_vcc, 0
	.set _ZN7rocprim17ROCPRIM_400000_NS6detail17trampoline_kernelINS0_14default_configENS1_25partition_config_selectorILNS1_17partition_subalgoE5ElNS0_10empty_typeEbEEZZNS1_14partition_implILS5_5ELb0ES3_mN6hipcub16HIPCUB_304000_NS21CountingInputIteratorIllEEPS6_NSA_22TransformInputIteratorIbN2at6native12_GLOBAL__N_19NonZeroOpIlEEPKllEENS0_5tupleIJPlS6_EEENSN_IJSD_SD_EEES6_PiJS6_EEE10hipError_tPvRmT3_T4_T5_T6_T7_T9_mT8_P12ihipStream_tbDpT10_ENKUlT_T0_E_clISt17integral_constantIbLb0EES1B_EEDaS16_S17_EUlS16_E_NS1_11comp_targetILNS1_3genE3ELNS1_11target_archE908ELNS1_3gpuE7ELNS1_3repE0EEENS1_30default_config_static_selectorELNS0_4arch9wavefront6targetE0EEEvT1_.uses_flat_scratch, 0
	.set _ZN7rocprim17ROCPRIM_400000_NS6detail17trampoline_kernelINS0_14default_configENS1_25partition_config_selectorILNS1_17partition_subalgoE5ElNS0_10empty_typeEbEEZZNS1_14partition_implILS5_5ELb0ES3_mN6hipcub16HIPCUB_304000_NS21CountingInputIteratorIllEEPS6_NSA_22TransformInputIteratorIbN2at6native12_GLOBAL__N_19NonZeroOpIlEEPKllEENS0_5tupleIJPlS6_EEENSN_IJSD_SD_EEES6_PiJS6_EEE10hipError_tPvRmT3_T4_T5_T6_T7_T9_mT8_P12ihipStream_tbDpT10_ENKUlT_T0_E_clISt17integral_constantIbLb0EES1B_EEDaS16_S17_EUlS16_E_NS1_11comp_targetILNS1_3genE3ELNS1_11target_archE908ELNS1_3gpuE7ELNS1_3repE0EEENS1_30default_config_static_selectorELNS0_4arch9wavefront6targetE0EEEvT1_.has_dyn_sized_stack, 0
	.set _ZN7rocprim17ROCPRIM_400000_NS6detail17trampoline_kernelINS0_14default_configENS1_25partition_config_selectorILNS1_17partition_subalgoE5ElNS0_10empty_typeEbEEZZNS1_14partition_implILS5_5ELb0ES3_mN6hipcub16HIPCUB_304000_NS21CountingInputIteratorIllEEPS6_NSA_22TransformInputIteratorIbN2at6native12_GLOBAL__N_19NonZeroOpIlEEPKllEENS0_5tupleIJPlS6_EEENSN_IJSD_SD_EEES6_PiJS6_EEE10hipError_tPvRmT3_T4_T5_T6_T7_T9_mT8_P12ihipStream_tbDpT10_ENKUlT_T0_E_clISt17integral_constantIbLb0EES1B_EEDaS16_S17_EUlS16_E_NS1_11comp_targetILNS1_3genE3ELNS1_11target_archE908ELNS1_3gpuE7ELNS1_3repE0EEENS1_30default_config_static_selectorELNS0_4arch9wavefront6targetE0EEEvT1_.has_recursion, 0
	.set _ZN7rocprim17ROCPRIM_400000_NS6detail17trampoline_kernelINS0_14default_configENS1_25partition_config_selectorILNS1_17partition_subalgoE5ElNS0_10empty_typeEbEEZZNS1_14partition_implILS5_5ELb0ES3_mN6hipcub16HIPCUB_304000_NS21CountingInputIteratorIllEEPS6_NSA_22TransformInputIteratorIbN2at6native12_GLOBAL__N_19NonZeroOpIlEEPKllEENS0_5tupleIJPlS6_EEENSN_IJSD_SD_EEES6_PiJS6_EEE10hipError_tPvRmT3_T4_T5_T6_T7_T9_mT8_P12ihipStream_tbDpT10_ENKUlT_T0_E_clISt17integral_constantIbLb0EES1B_EEDaS16_S17_EUlS16_E_NS1_11comp_targetILNS1_3genE3ELNS1_11target_archE908ELNS1_3gpuE7ELNS1_3repE0EEENS1_30default_config_static_selectorELNS0_4arch9wavefront6targetE0EEEvT1_.has_indirect_call, 0
	.section	.AMDGPU.csdata,"",@progbits
; Kernel info:
; codeLenInByte = 0
; TotalNumSgprs: 0
; NumVgprs: 0
; ScratchSize: 0
; MemoryBound: 0
; FloatMode: 240
; IeeeMode: 1
; LDSByteSize: 0 bytes/workgroup (compile time only)
; SGPRBlocks: 0
; VGPRBlocks: 0
; NumSGPRsForWavesPerEU: 1
; NumVGPRsForWavesPerEU: 1
; Occupancy: 16
; WaveLimiterHint : 0
; COMPUTE_PGM_RSRC2:SCRATCH_EN: 0
; COMPUTE_PGM_RSRC2:USER_SGPR: 2
; COMPUTE_PGM_RSRC2:TRAP_HANDLER: 0
; COMPUTE_PGM_RSRC2:TGID_X_EN: 1
; COMPUTE_PGM_RSRC2:TGID_Y_EN: 0
; COMPUTE_PGM_RSRC2:TGID_Z_EN: 0
; COMPUTE_PGM_RSRC2:TIDIG_COMP_CNT: 0
	.section	.text._ZN7rocprim17ROCPRIM_400000_NS6detail17trampoline_kernelINS0_14default_configENS1_25partition_config_selectorILNS1_17partition_subalgoE5ElNS0_10empty_typeEbEEZZNS1_14partition_implILS5_5ELb0ES3_mN6hipcub16HIPCUB_304000_NS21CountingInputIteratorIllEEPS6_NSA_22TransformInputIteratorIbN2at6native12_GLOBAL__N_19NonZeroOpIlEEPKllEENS0_5tupleIJPlS6_EEENSN_IJSD_SD_EEES6_PiJS6_EEE10hipError_tPvRmT3_T4_T5_T6_T7_T9_mT8_P12ihipStream_tbDpT10_ENKUlT_T0_E_clISt17integral_constantIbLb0EES1B_EEDaS16_S17_EUlS16_E_NS1_11comp_targetILNS1_3genE2ELNS1_11target_archE906ELNS1_3gpuE6ELNS1_3repE0EEENS1_30default_config_static_selectorELNS0_4arch9wavefront6targetE0EEEvT1_,"axG",@progbits,_ZN7rocprim17ROCPRIM_400000_NS6detail17trampoline_kernelINS0_14default_configENS1_25partition_config_selectorILNS1_17partition_subalgoE5ElNS0_10empty_typeEbEEZZNS1_14partition_implILS5_5ELb0ES3_mN6hipcub16HIPCUB_304000_NS21CountingInputIteratorIllEEPS6_NSA_22TransformInputIteratorIbN2at6native12_GLOBAL__N_19NonZeroOpIlEEPKllEENS0_5tupleIJPlS6_EEENSN_IJSD_SD_EEES6_PiJS6_EEE10hipError_tPvRmT3_T4_T5_T6_T7_T9_mT8_P12ihipStream_tbDpT10_ENKUlT_T0_E_clISt17integral_constantIbLb0EES1B_EEDaS16_S17_EUlS16_E_NS1_11comp_targetILNS1_3genE2ELNS1_11target_archE906ELNS1_3gpuE6ELNS1_3repE0EEENS1_30default_config_static_selectorELNS0_4arch9wavefront6targetE0EEEvT1_,comdat
	.globl	_ZN7rocprim17ROCPRIM_400000_NS6detail17trampoline_kernelINS0_14default_configENS1_25partition_config_selectorILNS1_17partition_subalgoE5ElNS0_10empty_typeEbEEZZNS1_14partition_implILS5_5ELb0ES3_mN6hipcub16HIPCUB_304000_NS21CountingInputIteratorIllEEPS6_NSA_22TransformInputIteratorIbN2at6native12_GLOBAL__N_19NonZeroOpIlEEPKllEENS0_5tupleIJPlS6_EEENSN_IJSD_SD_EEES6_PiJS6_EEE10hipError_tPvRmT3_T4_T5_T6_T7_T9_mT8_P12ihipStream_tbDpT10_ENKUlT_T0_E_clISt17integral_constantIbLb0EES1B_EEDaS16_S17_EUlS16_E_NS1_11comp_targetILNS1_3genE2ELNS1_11target_archE906ELNS1_3gpuE6ELNS1_3repE0EEENS1_30default_config_static_selectorELNS0_4arch9wavefront6targetE0EEEvT1_ ; -- Begin function _ZN7rocprim17ROCPRIM_400000_NS6detail17trampoline_kernelINS0_14default_configENS1_25partition_config_selectorILNS1_17partition_subalgoE5ElNS0_10empty_typeEbEEZZNS1_14partition_implILS5_5ELb0ES3_mN6hipcub16HIPCUB_304000_NS21CountingInputIteratorIllEEPS6_NSA_22TransformInputIteratorIbN2at6native12_GLOBAL__N_19NonZeroOpIlEEPKllEENS0_5tupleIJPlS6_EEENSN_IJSD_SD_EEES6_PiJS6_EEE10hipError_tPvRmT3_T4_T5_T6_T7_T9_mT8_P12ihipStream_tbDpT10_ENKUlT_T0_E_clISt17integral_constantIbLb0EES1B_EEDaS16_S17_EUlS16_E_NS1_11comp_targetILNS1_3genE2ELNS1_11target_archE906ELNS1_3gpuE6ELNS1_3repE0EEENS1_30default_config_static_selectorELNS0_4arch9wavefront6targetE0EEEvT1_
	.p2align	8
	.type	_ZN7rocprim17ROCPRIM_400000_NS6detail17trampoline_kernelINS0_14default_configENS1_25partition_config_selectorILNS1_17partition_subalgoE5ElNS0_10empty_typeEbEEZZNS1_14partition_implILS5_5ELb0ES3_mN6hipcub16HIPCUB_304000_NS21CountingInputIteratorIllEEPS6_NSA_22TransformInputIteratorIbN2at6native12_GLOBAL__N_19NonZeroOpIlEEPKllEENS0_5tupleIJPlS6_EEENSN_IJSD_SD_EEES6_PiJS6_EEE10hipError_tPvRmT3_T4_T5_T6_T7_T9_mT8_P12ihipStream_tbDpT10_ENKUlT_T0_E_clISt17integral_constantIbLb0EES1B_EEDaS16_S17_EUlS16_E_NS1_11comp_targetILNS1_3genE2ELNS1_11target_archE906ELNS1_3gpuE6ELNS1_3repE0EEENS1_30default_config_static_selectorELNS0_4arch9wavefront6targetE0EEEvT1_,@function
_ZN7rocprim17ROCPRIM_400000_NS6detail17trampoline_kernelINS0_14default_configENS1_25partition_config_selectorILNS1_17partition_subalgoE5ElNS0_10empty_typeEbEEZZNS1_14partition_implILS5_5ELb0ES3_mN6hipcub16HIPCUB_304000_NS21CountingInputIteratorIllEEPS6_NSA_22TransformInputIteratorIbN2at6native12_GLOBAL__N_19NonZeroOpIlEEPKllEENS0_5tupleIJPlS6_EEENSN_IJSD_SD_EEES6_PiJS6_EEE10hipError_tPvRmT3_T4_T5_T6_T7_T9_mT8_P12ihipStream_tbDpT10_ENKUlT_T0_E_clISt17integral_constantIbLb0EES1B_EEDaS16_S17_EUlS16_E_NS1_11comp_targetILNS1_3genE2ELNS1_11target_archE906ELNS1_3gpuE6ELNS1_3repE0EEENS1_30default_config_static_selectorELNS0_4arch9wavefront6targetE0EEEvT1_: ; @_ZN7rocprim17ROCPRIM_400000_NS6detail17trampoline_kernelINS0_14default_configENS1_25partition_config_selectorILNS1_17partition_subalgoE5ElNS0_10empty_typeEbEEZZNS1_14partition_implILS5_5ELb0ES3_mN6hipcub16HIPCUB_304000_NS21CountingInputIteratorIllEEPS6_NSA_22TransformInputIteratorIbN2at6native12_GLOBAL__N_19NonZeroOpIlEEPKllEENS0_5tupleIJPlS6_EEENSN_IJSD_SD_EEES6_PiJS6_EEE10hipError_tPvRmT3_T4_T5_T6_T7_T9_mT8_P12ihipStream_tbDpT10_ENKUlT_T0_E_clISt17integral_constantIbLb0EES1B_EEDaS16_S17_EUlS16_E_NS1_11comp_targetILNS1_3genE2ELNS1_11target_archE906ELNS1_3gpuE6ELNS1_3repE0EEENS1_30default_config_static_selectorELNS0_4arch9wavefront6targetE0EEEvT1_
; %bb.0:
	.section	.rodata,"a",@progbits
	.p2align	6, 0x0
	.amdhsa_kernel _ZN7rocprim17ROCPRIM_400000_NS6detail17trampoline_kernelINS0_14default_configENS1_25partition_config_selectorILNS1_17partition_subalgoE5ElNS0_10empty_typeEbEEZZNS1_14partition_implILS5_5ELb0ES3_mN6hipcub16HIPCUB_304000_NS21CountingInputIteratorIllEEPS6_NSA_22TransformInputIteratorIbN2at6native12_GLOBAL__N_19NonZeroOpIlEEPKllEENS0_5tupleIJPlS6_EEENSN_IJSD_SD_EEES6_PiJS6_EEE10hipError_tPvRmT3_T4_T5_T6_T7_T9_mT8_P12ihipStream_tbDpT10_ENKUlT_T0_E_clISt17integral_constantIbLb0EES1B_EEDaS16_S17_EUlS16_E_NS1_11comp_targetILNS1_3genE2ELNS1_11target_archE906ELNS1_3gpuE6ELNS1_3repE0EEENS1_30default_config_static_selectorELNS0_4arch9wavefront6targetE0EEEvT1_
		.amdhsa_group_segment_fixed_size 0
		.amdhsa_private_segment_fixed_size 0
		.amdhsa_kernarg_size 120
		.amdhsa_user_sgpr_count 2
		.amdhsa_user_sgpr_dispatch_ptr 0
		.amdhsa_user_sgpr_queue_ptr 0
		.amdhsa_user_sgpr_kernarg_segment_ptr 1
		.amdhsa_user_sgpr_dispatch_id 0
		.amdhsa_user_sgpr_private_segment_size 0
		.amdhsa_wavefront_size32 1
		.amdhsa_uses_dynamic_stack 0
		.amdhsa_enable_private_segment 0
		.amdhsa_system_sgpr_workgroup_id_x 1
		.amdhsa_system_sgpr_workgroup_id_y 0
		.amdhsa_system_sgpr_workgroup_id_z 0
		.amdhsa_system_sgpr_workgroup_info 0
		.amdhsa_system_vgpr_workitem_id 0
		.amdhsa_next_free_vgpr 1
		.amdhsa_next_free_sgpr 1
		.amdhsa_reserve_vcc 0
		.amdhsa_float_round_mode_32 0
		.amdhsa_float_round_mode_16_64 0
		.amdhsa_float_denorm_mode_32 3
		.amdhsa_float_denorm_mode_16_64 3
		.amdhsa_fp16_overflow 0
		.amdhsa_workgroup_processor_mode 1
		.amdhsa_memory_ordered 1
		.amdhsa_forward_progress 1
		.amdhsa_inst_pref_size 0
		.amdhsa_round_robin_scheduling 0
		.amdhsa_exception_fp_ieee_invalid_op 0
		.amdhsa_exception_fp_denorm_src 0
		.amdhsa_exception_fp_ieee_div_zero 0
		.amdhsa_exception_fp_ieee_overflow 0
		.amdhsa_exception_fp_ieee_underflow 0
		.amdhsa_exception_fp_ieee_inexact 0
		.amdhsa_exception_int_div_zero 0
	.end_amdhsa_kernel
	.section	.text._ZN7rocprim17ROCPRIM_400000_NS6detail17trampoline_kernelINS0_14default_configENS1_25partition_config_selectorILNS1_17partition_subalgoE5ElNS0_10empty_typeEbEEZZNS1_14partition_implILS5_5ELb0ES3_mN6hipcub16HIPCUB_304000_NS21CountingInputIteratorIllEEPS6_NSA_22TransformInputIteratorIbN2at6native12_GLOBAL__N_19NonZeroOpIlEEPKllEENS0_5tupleIJPlS6_EEENSN_IJSD_SD_EEES6_PiJS6_EEE10hipError_tPvRmT3_T4_T5_T6_T7_T9_mT8_P12ihipStream_tbDpT10_ENKUlT_T0_E_clISt17integral_constantIbLb0EES1B_EEDaS16_S17_EUlS16_E_NS1_11comp_targetILNS1_3genE2ELNS1_11target_archE906ELNS1_3gpuE6ELNS1_3repE0EEENS1_30default_config_static_selectorELNS0_4arch9wavefront6targetE0EEEvT1_,"axG",@progbits,_ZN7rocprim17ROCPRIM_400000_NS6detail17trampoline_kernelINS0_14default_configENS1_25partition_config_selectorILNS1_17partition_subalgoE5ElNS0_10empty_typeEbEEZZNS1_14partition_implILS5_5ELb0ES3_mN6hipcub16HIPCUB_304000_NS21CountingInputIteratorIllEEPS6_NSA_22TransformInputIteratorIbN2at6native12_GLOBAL__N_19NonZeroOpIlEEPKllEENS0_5tupleIJPlS6_EEENSN_IJSD_SD_EEES6_PiJS6_EEE10hipError_tPvRmT3_T4_T5_T6_T7_T9_mT8_P12ihipStream_tbDpT10_ENKUlT_T0_E_clISt17integral_constantIbLb0EES1B_EEDaS16_S17_EUlS16_E_NS1_11comp_targetILNS1_3genE2ELNS1_11target_archE906ELNS1_3gpuE6ELNS1_3repE0EEENS1_30default_config_static_selectorELNS0_4arch9wavefront6targetE0EEEvT1_,comdat
.Lfunc_end258:
	.size	_ZN7rocprim17ROCPRIM_400000_NS6detail17trampoline_kernelINS0_14default_configENS1_25partition_config_selectorILNS1_17partition_subalgoE5ElNS0_10empty_typeEbEEZZNS1_14partition_implILS5_5ELb0ES3_mN6hipcub16HIPCUB_304000_NS21CountingInputIteratorIllEEPS6_NSA_22TransformInputIteratorIbN2at6native12_GLOBAL__N_19NonZeroOpIlEEPKllEENS0_5tupleIJPlS6_EEENSN_IJSD_SD_EEES6_PiJS6_EEE10hipError_tPvRmT3_T4_T5_T6_T7_T9_mT8_P12ihipStream_tbDpT10_ENKUlT_T0_E_clISt17integral_constantIbLb0EES1B_EEDaS16_S17_EUlS16_E_NS1_11comp_targetILNS1_3genE2ELNS1_11target_archE906ELNS1_3gpuE6ELNS1_3repE0EEENS1_30default_config_static_selectorELNS0_4arch9wavefront6targetE0EEEvT1_, .Lfunc_end258-_ZN7rocprim17ROCPRIM_400000_NS6detail17trampoline_kernelINS0_14default_configENS1_25partition_config_selectorILNS1_17partition_subalgoE5ElNS0_10empty_typeEbEEZZNS1_14partition_implILS5_5ELb0ES3_mN6hipcub16HIPCUB_304000_NS21CountingInputIteratorIllEEPS6_NSA_22TransformInputIteratorIbN2at6native12_GLOBAL__N_19NonZeroOpIlEEPKllEENS0_5tupleIJPlS6_EEENSN_IJSD_SD_EEES6_PiJS6_EEE10hipError_tPvRmT3_T4_T5_T6_T7_T9_mT8_P12ihipStream_tbDpT10_ENKUlT_T0_E_clISt17integral_constantIbLb0EES1B_EEDaS16_S17_EUlS16_E_NS1_11comp_targetILNS1_3genE2ELNS1_11target_archE906ELNS1_3gpuE6ELNS1_3repE0EEENS1_30default_config_static_selectorELNS0_4arch9wavefront6targetE0EEEvT1_
                                        ; -- End function
	.set _ZN7rocprim17ROCPRIM_400000_NS6detail17trampoline_kernelINS0_14default_configENS1_25partition_config_selectorILNS1_17partition_subalgoE5ElNS0_10empty_typeEbEEZZNS1_14partition_implILS5_5ELb0ES3_mN6hipcub16HIPCUB_304000_NS21CountingInputIteratorIllEEPS6_NSA_22TransformInputIteratorIbN2at6native12_GLOBAL__N_19NonZeroOpIlEEPKllEENS0_5tupleIJPlS6_EEENSN_IJSD_SD_EEES6_PiJS6_EEE10hipError_tPvRmT3_T4_T5_T6_T7_T9_mT8_P12ihipStream_tbDpT10_ENKUlT_T0_E_clISt17integral_constantIbLb0EES1B_EEDaS16_S17_EUlS16_E_NS1_11comp_targetILNS1_3genE2ELNS1_11target_archE906ELNS1_3gpuE6ELNS1_3repE0EEENS1_30default_config_static_selectorELNS0_4arch9wavefront6targetE0EEEvT1_.num_vgpr, 0
	.set _ZN7rocprim17ROCPRIM_400000_NS6detail17trampoline_kernelINS0_14default_configENS1_25partition_config_selectorILNS1_17partition_subalgoE5ElNS0_10empty_typeEbEEZZNS1_14partition_implILS5_5ELb0ES3_mN6hipcub16HIPCUB_304000_NS21CountingInputIteratorIllEEPS6_NSA_22TransformInputIteratorIbN2at6native12_GLOBAL__N_19NonZeroOpIlEEPKllEENS0_5tupleIJPlS6_EEENSN_IJSD_SD_EEES6_PiJS6_EEE10hipError_tPvRmT3_T4_T5_T6_T7_T9_mT8_P12ihipStream_tbDpT10_ENKUlT_T0_E_clISt17integral_constantIbLb0EES1B_EEDaS16_S17_EUlS16_E_NS1_11comp_targetILNS1_3genE2ELNS1_11target_archE906ELNS1_3gpuE6ELNS1_3repE0EEENS1_30default_config_static_selectorELNS0_4arch9wavefront6targetE0EEEvT1_.num_agpr, 0
	.set _ZN7rocprim17ROCPRIM_400000_NS6detail17trampoline_kernelINS0_14default_configENS1_25partition_config_selectorILNS1_17partition_subalgoE5ElNS0_10empty_typeEbEEZZNS1_14partition_implILS5_5ELb0ES3_mN6hipcub16HIPCUB_304000_NS21CountingInputIteratorIllEEPS6_NSA_22TransformInputIteratorIbN2at6native12_GLOBAL__N_19NonZeroOpIlEEPKllEENS0_5tupleIJPlS6_EEENSN_IJSD_SD_EEES6_PiJS6_EEE10hipError_tPvRmT3_T4_T5_T6_T7_T9_mT8_P12ihipStream_tbDpT10_ENKUlT_T0_E_clISt17integral_constantIbLb0EES1B_EEDaS16_S17_EUlS16_E_NS1_11comp_targetILNS1_3genE2ELNS1_11target_archE906ELNS1_3gpuE6ELNS1_3repE0EEENS1_30default_config_static_selectorELNS0_4arch9wavefront6targetE0EEEvT1_.numbered_sgpr, 0
	.set _ZN7rocprim17ROCPRIM_400000_NS6detail17trampoline_kernelINS0_14default_configENS1_25partition_config_selectorILNS1_17partition_subalgoE5ElNS0_10empty_typeEbEEZZNS1_14partition_implILS5_5ELb0ES3_mN6hipcub16HIPCUB_304000_NS21CountingInputIteratorIllEEPS6_NSA_22TransformInputIteratorIbN2at6native12_GLOBAL__N_19NonZeroOpIlEEPKllEENS0_5tupleIJPlS6_EEENSN_IJSD_SD_EEES6_PiJS6_EEE10hipError_tPvRmT3_T4_T5_T6_T7_T9_mT8_P12ihipStream_tbDpT10_ENKUlT_T0_E_clISt17integral_constantIbLb0EES1B_EEDaS16_S17_EUlS16_E_NS1_11comp_targetILNS1_3genE2ELNS1_11target_archE906ELNS1_3gpuE6ELNS1_3repE0EEENS1_30default_config_static_selectorELNS0_4arch9wavefront6targetE0EEEvT1_.num_named_barrier, 0
	.set _ZN7rocprim17ROCPRIM_400000_NS6detail17trampoline_kernelINS0_14default_configENS1_25partition_config_selectorILNS1_17partition_subalgoE5ElNS0_10empty_typeEbEEZZNS1_14partition_implILS5_5ELb0ES3_mN6hipcub16HIPCUB_304000_NS21CountingInputIteratorIllEEPS6_NSA_22TransformInputIteratorIbN2at6native12_GLOBAL__N_19NonZeroOpIlEEPKllEENS0_5tupleIJPlS6_EEENSN_IJSD_SD_EEES6_PiJS6_EEE10hipError_tPvRmT3_T4_T5_T6_T7_T9_mT8_P12ihipStream_tbDpT10_ENKUlT_T0_E_clISt17integral_constantIbLb0EES1B_EEDaS16_S17_EUlS16_E_NS1_11comp_targetILNS1_3genE2ELNS1_11target_archE906ELNS1_3gpuE6ELNS1_3repE0EEENS1_30default_config_static_selectorELNS0_4arch9wavefront6targetE0EEEvT1_.private_seg_size, 0
	.set _ZN7rocprim17ROCPRIM_400000_NS6detail17trampoline_kernelINS0_14default_configENS1_25partition_config_selectorILNS1_17partition_subalgoE5ElNS0_10empty_typeEbEEZZNS1_14partition_implILS5_5ELb0ES3_mN6hipcub16HIPCUB_304000_NS21CountingInputIteratorIllEEPS6_NSA_22TransformInputIteratorIbN2at6native12_GLOBAL__N_19NonZeroOpIlEEPKllEENS0_5tupleIJPlS6_EEENSN_IJSD_SD_EEES6_PiJS6_EEE10hipError_tPvRmT3_T4_T5_T6_T7_T9_mT8_P12ihipStream_tbDpT10_ENKUlT_T0_E_clISt17integral_constantIbLb0EES1B_EEDaS16_S17_EUlS16_E_NS1_11comp_targetILNS1_3genE2ELNS1_11target_archE906ELNS1_3gpuE6ELNS1_3repE0EEENS1_30default_config_static_selectorELNS0_4arch9wavefront6targetE0EEEvT1_.uses_vcc, 0
	.set _ZN7rocprim17ROCPRIM_400000_NS6detail17trampoline_kernelINS0_14default_configENS1_25partition_config_selectorILNS1_17partition_subalgoE5ElNS0_10empty_typeEbEEZZNS1_14partition_implILS5_5ELb0ES3_mN6hipcub16HIPCUB_304000_NS21CountingInputIteratorIllEEPS6_NSA_22TransformInputIteratorIbN2at6native12_GLOBAL__N_19NonZeroOpIlEEPKllEENS0_5tupleIJPlS6_EEENSN_IJSD_SD_EEES6_PiJS6_EEE10hipError_tPvRmT3_T4_T5_T6_T7_T9_mT8_P12ihipStream_tbDpT10_ENKUlT_T0_E_clISt17integral_constantIbLb0EES1B_EEDaS16_S17_EUlS16_E_NS1_11comp_targetILNS1_3genE2ELNS1_11target_archE906ELNS1_3gpuE6ELNS1_3repE0EEENS1_30default_config_static_selectorELNS0_4arch9wavefront6targetE0EEEvT1_.uses_flat_scratch, 0
	.set _ZN7rocprim17ROCPRIM_400000_NS6detail17trampoline_kernelINS0_14default_configENS1_25partition_config_selectorILNS1_17partition_subalgoE5ElNS0_10empty_typeEbEEZZNS1_14partition_implILS5_5ELb0ES3_mN6hipcub16HIPCUB_304000_NS21CountingInputIteratorIllEEPS6_NSA_22TransformInputIteratorIbN2at6native12_GLOBAL__N_19NonZeroOpIlEEPKllEENS0_5tupleIJPlS6_EEENSN_IJSD_SD_EEES6_PiJS6_EEE10hipError_tPvRmT3_T4_T5_T6_T7_T9_mT8_P12ihipStream_tbDpT10_ENKUlT_T0_E_clISt17integral_constantIbLb0EES1B_EEDaS16_S17_EUlS16_E_NS1_11comp_targetILNS1_3genE2ELNS1_11target_archE906ELNS1_3gpuE6ELNS1_3repE0EEENS1_30default_config_static_selectorELNS0_4arch9wavefront6targetE0EEEvT1_.has_dyn_sized_stack, 0
	.set _ZN7rocprim17ROCPRIM_400000_NS6detail17trampoline_kernelINS0_14default_configENS1_25partition_config_selectorILNS1_17partition_subalgoE5ElNS0_10empty_typeEbEEZZNS1_14partition_implILS5_5ELb0ES3_mN6hipcub16HIPCUB_304000_NS21CountingInputIteratorIllEEPS6_NSA_22TransformInputIteratorIbN2at6native12_GLOBAL__N_19NonZeroOpIlEEPKllEENS0_5tupleIJPlS6_EEENSN_IJSD_SD_EEES6_PiJS6_EEE10hipError_tPvRmT3_T4_T5_T6_T7_T9_mT8_P12ihipStream_tbDpT10_ENKUlT_T0_E_clISt17integral_constantIbLb0EES1B_EEDaS16_S17_EUlS16_E_NS1_11comp_targetILNS1_3genE2ELNS1_11target_archE906ELNS1_3gpuE6ELNS1_3repE0EEENS1_30default_config_static_selectorELNS0_4arch9wavefront6targetE0EEEvT1_.has_recursion, 0
	.set _ZN7rocprim17ROCPRIM_400000_NS6detail17trampoline_kernelINS0_14default_configENS1_25partition_config_selectorILNS1_17partition_subalgoE5ElNS0_10empty_typeEbEEZZNS1_14partition_implILS5_5ELb0ES3_mN6hipcub16HIPCUB_304000_NS21CountingInputIteratorIllEEPS6_NSA_22TransformInputIteratorIbN2at6native12_GLOBAL__N_19NonZeroOpIlEEPKllEENS0_5tupleIJPlS6_EEENSN_IJSD_SD_EEES6_PiJS6_EEE10hipError_tPvRmT3_T4_T5_T6_T7_T9_mT8_P12ihipStream_tbDpT10_ENKUlT_T0_E_clISt17integral_constantIbLb0EES1B_EEDaS16_S17_EUlS16_E_NS1_11comp_targetILNS1_3genE2ELNS1_11target_archE906ELNS1_3gpuE6ELNS1_3repE0EEENS1_30default_config_static_selectorELNS0_4arch9wavefront6targetE0EEEvT1_.has_indirect_call, 0
	.section	.AMDGPU.csdata,"",@progbits
; Kernel info:
; codeLenInByte = 0
; TotalNumSgprs: 0
; NumVgprs: 0
; ScratchSize: 0
; MemoryBound: 0
; FloatMode: 240
; IeeeMode: 1
; LDSByteSize: 0 bytes/workgroup (compile time only)
; SGPRBlocks: 0
; VGPRBlocks: 0
; NumSGPRsForWavesPerEU: 1
; NumVGPRsForWavesPerEU: 1
; Occupancy: 16
; WaveLimiterHint : 0
; COMPUTE_PGM_RSRC2:SCRATCH_EN: 0
; COMPUTE_PGM_RSRC2:USER_SGPR: 2
; COMPUTE_PGM_RSRC2:TRAP_HANDLER: 0
; COMPUTE_PGM_RSRC2:TGID_X_EN: 1
; COMPUTE_PGM_RSRC2:TGID_Y_EN: 0
; COMPUTE_PGM_RSRC2:TGID_Z_EN: 0
; COMPUTE_PGM_RSRC2:TIDIG_COMP_CNT: 0
	.section	.text._ZN7rocprim17ROCPRIM_400000_NS6detail17trampoline_kernelINS0_14default_configENS1_25partition_config_selectorILNS1_17partition_subalgoE5ElNS0_10empty_typeEbEEZZNS1_14partition_implILS5_5ELb0ES3_mN6hipcub16HIPCUB_304000_NS21CountingInputIteratorIllEEPS6_NSA_22TransformInputIteratorIbN2at6native12_GLOBAL__N_19NonZeroOpIlEEPKllEENS0_5tupleIJPlS6_EEENSN_IJSD_SD_EEES6_PiJS6_EEE10hipError_tPvRmT3_T4_T5_T6_T7_T9_mT8_P12ihipStream_tbDpT10_ENKUlT_T0_E_clISt17integral_constantIbLb0EES1B_EEDaS16_S17_EUlS16_E_NS1_11comp_targetILNS1_3genE10ELNS1_11target_archE1200ELNS1_3gpuE4ELNS1_3repE0EEENS1_30default_config_static_selectorELNS0_4arch9wavefront6targetE0EEEvT1_,"axG",@progbits,_ZN7rocprim17ROCPRIM_400000_NS6detail17trampoline_kernelINS0_14default_configENS1_25partition_config_selectorILNS1_17partition_subalgoE5ElNS0_10empty_typeEbEEZZNS1_14partition_implILS5_5ELb0ES3_mN6hipcub16HIPCUB_304000_NS21CountingInputIteratorIllEEPS6_NSA_22TransformInputIteratorIbN2at6native12_GLOBAL__N_19NonZeroOpIlEEPKllEENS0_5tupleIJPlS6_EEENSN_IJSD_SD_EEES6_PiJS6_EEE10hipError_tPvRmT3_T4_T5_T6_T7_T9_mT8_P12ihipStream_tbDpT10_ENKUlT_T0_E_clISt17integral_constantIbLb0EES1B_EEDaS16_S17_EUlS16_E_NS1_11comp_targetILNS1_3genE10ELNS1_11target_archE1200ELNS1_3gpuE4ELNS1_3repE0EEENS1_30default_config_static_selectorELNS0_4arch9wavefront6targetE0EEEvT1_,comdat
	.globl	_ZN7rocprim17ROCPRIM_400000_NS6detail17trampoline_kernelINS0_14default_configENS1_25partition_config_selectorILNS1_17partition_subalgoE5ElNS0_10empty_typeEbEEZZNS1_14partition_implILS5_5ELb0ES3_mN6hipcub16HIPCUB_304000_NS21CountingInputIteratorIllEEPS6_NSA_22TransformInputIteratorIbN2at6native12_GLOBAL__N_19NonZeroOpIlEEPKllEENS0_5tupleIJPlS6_EEENSN_IJSD_SD_EEES6_PiJS6_EEE10hipError_tPvRmT3_T4_T5_T6_T7_T9_mT8_P12ihipStream_tbDpT10_ENKUlT_T0_E_clISt17integral_constantIbLb0EES1B_EEDaS16_S17_EUlS16_E_NS1_11comp_targetILNS1_3genE10ELNS1_11target_archE1200ELNS1_3gpuE4ELNS1_3repE0EEENS1_30default_config_static_selectorELNS0_4arch9wavefront6targetE0EEEvT1_ ; -- Begin function _ZN7rocprim17ROCPRIM_400000_NS6detail17trampoline_kernelINS0_14default_configENS1_25partition_config_selectorILNS1_17partition_subalgoE5ElNS0_10empty_typeEbEEZZNS1_14partition_implILS5_5ELb0ES3_mN6hipcub16HIPCUB_304000_NS21CountingInputIteratorIllEEPS6_NSA_22TransformInputIteratorIbN2at6native12_GLOBAL__N_19NonZeroOpIlEEPKllEENS0_5tupleIJPlS6_EEENSN_IJSD_SD_EEES6_PiJS6_EEE10hipError_tPvRmT3_T4_T5_T6_T7_T9_mT8_P12ihipStream_tbDpT10_ENKUlT_T0_E_clISt17integral_constantIbLb0EES1B_EEDaS16_S17_EUlS16_E_NS1_11comp_targetILNS1_3genE10ELNS1_11target_archE1200ELNS1_3gpuE4ELNS1_3repE0EEENS1_30default_config_static_selectorELNS0_4arch9wavefront6targetE0EEEvT1_
	.p2align	8
	.type	_ZN7rocprim17ROCPRIM_400000_NS6detail17trampoline_kernelINS0_14default_configENS1_25partition_config_selectorILNS1_17partition_subalgoE5ElNS0_10empty_typeEbEEZZNS1_14partition_implILS5_5ELb0ES3_mN6hipcub16HIPCUB_304000_NS21CountingInputIteratorIllEEPS6_NSA_22TransformInputIteratorIbN2at6native12_GLOBAL__N_19NonZeroOpIlEEPKllEENS0_5tupleIJPlS6_EEENSN_IJSD_SD_EEES6_PiJS6_EEE10hipError_tPvRmT3_T4_T5_T6_T7_T9_mT8_P12ihipStream_tbDpT10_ENKUlT_T0_E_clISt17integral_constantIbLb0EES1B_EEDaS16_S17_EUlS16_E_NS1_11comp_targetILNS1_3genE10ELNS1_11target_archE1200ELNS1_3gpuE4ELNS1_3repE0EEENS1_30default_config_static_selectorELNS0_4arch9wavefront6targetE0EEEvT1_,@function
_ZN7rocprim17ROCPRIM_400000_NS6detail17trampoline_kernelINS0_14default_configENS1_25partition_config_selectorILNS1_17partition_subalgoE5ElNS0_10empty_typeEbEEZZNS1_14partition_implILS5_5ELb0ES3_mN6hipcub16HIPCUB_304000_NS21CountingInputIteratorIllEEPS6_NSA_22TransformInputIteratorIbN2at6native12_GLOBAL__N_19NonZeroOpIlEEPKllEENS0_5tupleIJPlS6_EEENSN_IJSD_SD_EEES6_PiJS6_EEE10hipError_tPvRmT3_T4_T5_T6_T7_T9_mT8_P12ihipStream_tbDpT10_ENKUlT_T0_E_clISt17integral_constantIbLb0EES1B_EEDaS16_S17_EUlS16_E_NS1_11comp_targetILNS1_3genE10ELNS1_11target_archE1200ELNS1_3gpuE4ELNS1_3repE0EEENS1_30default_config_static_selectorELNS0_4arch9wavefront6targetE0EEEvT1_: ; @_ZN7rocprim17ROCPRIM_400000_NS6detail17trampoline_kernelINS0_14default_configENS1_25partition_config_selectorILNS1_17partition_subalgoE5ElNS0_10empty_typeEbEEZZNS1_14partition_implILS5_5ELb0ES3_mN6hipcub16HIPCUB_304000_NS21CountingInputIteratorIllEEPS6_NSA_22TransformInputIteratorIbN2at6native12_GLOBAL__N_19NonZeroOpIlEEPKllEENS0_5tupleIJPlS6_EEENSN_IJSD_SD_EEES6_PiJS6_EEE10hipError_tPvRmT3_T4_T5_T6_T7_T9_mT8_P12ihipStream_tbDpT10_ENKUlT_T0_E_clISt17integral_constantIbLb0EES1B_EEDaS16_S17_EUlS16_E_NS1_11comp_targetILNS1_3genE10ELNS1_11target_archE1200ELNS1_3gpuE4ELNS1_3repE0EEENS1_30default_config_static_selectorELNS0_4arch9wavefront6targetE0EEEvT1_
; %bb.0:
	s_clause 0x3
	s_load_b128 s[8:11], s[0:1], 0x48
	s_load_b32 s16, s[0:1], 0x70
	s_load_b128 s[4:7], s[0:1], 0x8
	s_load_b64 s[2:3], s[0:1], 0x58
	s_mov_b32 s13, 0
	s_lshl_b32 s12, ttmp9, 10
	s_mov_b32 s15, s13
	v_lshrrev_b32_e32 v12, 2, v0
	v_or_b32_e32 v9, 0x200, v0
	v_or_b32_e32 v10, 0x300, v0
	v_and_b32_e32 v11, 0xf8, v0
	s_mov_b32 s19, -1
	s_wait_kmcnt 0x0
	s_load_b64 s[10:11], s[10:11], 0x0
	s_lshl_b32 s14, s16, 10
	s_add_co_i32 s16, s16, -1
	s_add_nc_u64 s[14:15], s[6:7], s[14:15]
	s_lshl_b32 s17, s16, 10
	v_cmp_le_u64_e64 s14, s[2:3], s[14:15]
	s_add_co_i32 s3, s6, s17
	s_cmp_eq_u32 ttmp9, s16
	s_add_nc_u64 s[4:5], s[6:7], s[4:5]
	s_cselect_b32 s16, -1, 0
	s_delay_alu instid0(SALU_CYCLE_1) | instskip(SKIP_2) | instid1(SALU_CYCLE_1)
	s_and_b32 s14, s16, s14
	s_wait_alu 0xfffe
	s_xor_b32 s17, s14, -1
	s_and_b32 vcc_lo, exec_lo, s17
	s_cbranch_vccz .LBB259_2
; %bb.1:
	v_or_b32_e32 v7, 0x100, v0
	v_or_b32_e32 v1, s12, v0
	v_lshrrev_b32_e32 v8, 2, v9
	v_lshrrev_b32_e32 v13, 2, v10
	v_and_b32_e32 v14, 56, v12
	v_lshrrev_b32_e32 v7, 2, v7
	v_add_co_u32 v1, s14, s4, v1
	s_wait_alu 0xf1ff
	v_add_co_ci_u32_e64 v2, null, s5, 0, s14
	v_lshlrev_b32_e32 v15, 3, v0
	v_and_b32_e32 v16, 0x78, v7
	v_add_co_u32 v3, vcc_lo, 0x100, v1
	v_and_b32_e32 v17, 0xb8, v8
	v_and_b32_e32 v13, 0xf8, v13
	v_add_co_ci_u32_e64 v4, null, 0, v2, vcc_lo
	v_add_co_u32 v5, vcc_lo, 0x200, v1
	v_add_nc_u32_e32 v14, v14, v15
	s_wait_alu 0xfffd
	v_add_co_ci_u32_e64 v6, null, 0, v2, vcc_lo
	v_add_co_u32 v7, vcc_lo, 0x300, v1
	v_add_nc_u32_e32 v16, v16, v15
	v_add_nc_u32_e32 v17, v17, v15
	s_wait_alu 0xfffd
	v_add_co_ci_u32_e64 v8, null, 0, v2, vcc_lo
	v_add_nc_u32_e32 v13, v13, v15
	ds_store_b64 v14, v[1:2]
	ds_store_b64 v16, v[3:4] offset:2048
	ds_store_b64 v17, v[5:6] offset:4096
	ds_store_b64 v13, v[7:8] offset:6144
	v_lshl_add_u32 v1, v0, 5, v11
	s_wait_dscnt 0x0
	s_barrier_signal -1
	s_barrier_wait -1
	global_inv scope:SCOPE_SE
	ds_load_2addr_b64 v[5:8], v1 offset1:1
	ds_load_2addr_b64 v[1:4], v1 offset0:2 offset1:3
	s_mov_b32 s19, s13
	s_branch .LBB259_3
.LBB259_2:
                                        ; implicit-def: $vgpr3_vgpr4
                                        ; implicit-def: $vgpr7_vgpr8
.LBB259_3:
	s_load_b64 s[14:15], s[0:1], 0x20
	s_sub_co_i32 s18, s2, s3
	s_and_not1_b32 vcc_lo, exec_lo, s19
	v_cmp_gt_u32_e64 s2, s18, v0
	s_wait_alu 0xfffe
	s_cbranch_vccnz .LBB259_5
; %bb.4:
	s_wait_dscnt 0x1
	v_or_b32_e32 v7, 0x100, v0
	s_add_nc_u64 s[4:5], s[4:5], s[12:13]
	v_lshrrev_b32_e32 v14, 2, v9
	s_wait_dscnt 0x0
	s_wait_alu 0xfffe
	v_add_co_u32 v1, s3, s4, v0
	s_wait_alu 0xf1ff
	v_add_co_ci_u32_e64 v2, null, s5, 0, s3
	v_add_co_u32 v3, s3, s4, v7
	s_wait_alu 0xf1ff
	v_add_co_ci_u32_e64 v4, null, s5, 0, s3
	v_cmp_gt_u32_e32 vcc_lo, s18, v7
	v_add_co_u32 v13, s3, s4, v10
	s_wait_alu 0xf1ff
	v_add_co_ci_u32_e64 v8, null, s5, 0, s3
	s_wait_alu 0xfffd
	v_dual_cndmask_b32 v4, 0, v4 :: v_dual_cndmask_b32 v3, 0, v3
	v_cmp_gt_u32_e32 vcc_lo, s18, v10
	v_lshrrev_b32_e32 v7, 2, v7
	v_lshrrev_b32_e32 v15, 2, v10
	v_cndmask_b32_e64 v2, 0, v2, s2
	v_cndmask_b32_e64 v1, 0, v1, s2
	v_add_co_u32 v5, s2, s4, v9
	v_and_b32_e32 v12, 56, v12
	v_lshlrev_b32_e32 v16, 3, v0
	s_wait_alu 0xfffd
	v_dual_cndmask_b32 v8, 0, v8 :: v_dual_and_b32 v17, 0x78, v7
	s_wait_alu 0xf1ff
	v_add_co_ci_u32_e64 v6, null, s5, 0, s2
	v_cmp_gt_u32_e64 s2, s18, v9
	v_and_b32_e32 v14, 0xb8, v14
	v_and_b32_e32 v15, 0xf8, v15
	v_dual_cndmask_b32 v7, 0, v13 :: v_dual_add_nc_u32 v12, v12, v16
	v_add_nc_u32_e32 v13, v17, v16
	s_wait_alu 0xf1ff
	v_cndmask_b32_e64 v6, 0, v6, s2
	v_cndmask_b32_e64 v5, 0, v5, s2
	v_add_nc_u32_e32 v14, v14, v16
	v_add_nc_u32_e32 v15, v15, v16
	ds_store_b64 v12, v[1:2]
	ds_store_b64 v13, v[3:4] offset:2048
	ds_store_b64 v14, v[5:6] offset:4096
	;; [unrolled: 1-line block ×3, first 2 shown]
	v_lshl_add_u32 v1, v0, 5, v11
	s_wait_loadcnt_dscnt 0x0
	s_barrier_signal -1
	s_barrier_wait -1
	global_inv scope:SCOPE_SE
	ds_load_2addr_b64 v[5:8], v1 offset1:1
	ds_load_2addr_b64 v[1:4], v1 offset0:2 offset1:3
.LBB259_5:
	s_lshl_b64 s[2:3], s[6:7], 3
	v_lshrrev_b32_e32 v26, 5, v0
	s_wait_kmcnt 0x0
	s_wait_alu 0xfffe
	s_add_nc_u64 s[2:3], s[14:15], s[2:3]
	s_lshl_b64 s[4:5], s[12:13], 3
	s_and_b32 vcc_lo, exec_lo, s17
	s_wait_alu 0xfffe
	s_add_nc_u64 s[2:3], s[2:3], s[4:5]
	s_mov_b32 s4, -1
	s_wait_loadcnt_dscnt 0x0
	s_barrier_signal -1
	s_barrier_wait -1
	global_inv scope:SCOPE_SE
	s_cbranch_vccz .LBB259_7
; %bb.6:
	v_lshlrev_b32_e32 v17, 3, v0
	v_or_b32_e32 v19, 0x100, v0
	v_lshrrev_b32_e32 v20, 5, v9
	v_lshrrev_b32_e32 v21, 5, v10
	v_and_b32_e32 v22, 4, v26
	s_clause 0x3
	global_load_b64 v[11:12], v17, s[2:3]
	global_load_b64 v[13:14], v17, s[2:3] offset:2048
	global_load_b64 v[15:16], v17, s[2:3] offset:4096
	;; [unrolled: 1-line block ×3, first 2 shown]
	v_lshrrev_b32_e32 v19, 5, v19
	v_and_b32_e32 v20, 20, v20
	v_and_b32_e32 v21, 28, v21
	v_add_nc_u32_e32 v22, v22, v0
	s_mov_b32 s4, 0
	v_and_b32_e32 v19, 12, v19
	v_add_nc_u32_e32 v20, v20, v0
	v_add_nc_u32_e32 v21, v21, v0
	s_delay_alu instid0(VALU_DEP_3)
	v_add_nc_u32_e32 v19, v19, v0
	s_wait_loadcnt 0x3
	v_cmp_ne_u64_e32 vcc_lo, 0, v[11:12]
	s_wait_alu 0xfffd
	v_cndmask_b32_e64 v11, 0, 1, vcc_lo
	s_wait_loadcnt 0x2
	v_cmp_ne_u64_e32 vcc_lo, 0, v[13:14]
	s_wait_alu 0xfffd
	v_cndmask_b32_e64 v12, 0, 1, vcc_lo
	;; [unrolled: 4-line block ×4, first 2 shown]
	ds_store_b8 v22, v11
	ds_store_b8 v19, v12 offset:256
	ds_store_b8 v20, v13 offset:512
	;; [unrolled: 1-line block ×3, first 2 shown]
	s_wait_dscnt 0x0
	s_barrier_signal -1
	s_barrier_wait -1
.LBB259_7:
	s_wait_alu 0xfffe
	s_and_not1_b32 vcc_lo, exec_lo, s4
	s_wait_alu 0xfffe
	s_cbranch_vccnz .LBB259_15
; %bb.8:
	v_dual_mov_b32 v11, 0 :: v_dual_mov_b32 v12, 0
	s_mov_b32 s4, exec_lo
	v_cmpx_gt_u32_e64 s18, v0
	s_cbranch_execz .LBB259_10
; %bb.9:
	v_lshlrev_b32_e32 v11, 3, v0
	global_load_b64 v[11:12], v11, s[2:3]
	s_wait_loadcnt 0x0
	v_cmp_ne_u64_e32 vcc_lo, 0, v[11:12]
	s_wait_alu 0xfffd
	v_cndmask_b32_e64 v11, 0, 1, vcc_lo
	v_cndmask_b32_e64 v12, 0, 1, vcc_lo
.LBB259_10:
	s_wait_alu 0xfffe
	s_or_b32 exec_lo, exec_lo, s4
	v_or_b32_e32 v13, 0x100, v0
	s_mov_b32 s4, exec_lo
	s_delay_alu instid0(VALU_DEP_1)
	v_cmpx_gt_u32_e64 s18, v13
	s_cbranch_execnz .LBB259_129
; %bb.11:
	s_wait_alu 0xfffe
	s_or_b32 exec_lo, exec_lo, s4
	s_delay_alu instid0(SALU_CYCLE_1)
	s_mov_b32 s4, exec_lo
	v_cmpx_gt_u32_e64 s18, v9
	s_cbranch_execnz .LBB259_130
.LBB259_12:
	s_wait_alu 0xfffe
	s_or_b32 exec_lo, exec_lo, s4
	s_delay_alu instid0(SALU_CYCLE_1)
	s_mov_b32 s4, exec_lo
	v_cmpx_gt_u32_e64 s18, v10
	s_cbranch_execz .LBB259_14
.LBB259_13:
	v_lshlrev_b32_e32 v14, 3, v0
	global_load_b64 v[14:15], v14, s[2:3] offset:6144
	s_wait_loadcnt 0x0
	v_cmp_ne_u64_e32 vcc_lo, 0, v[14:15]
	v_lshrrev_b32_e32 v15, 16, v12
	s_wait_alu 0xfffd
	v_cndmask_b32_e64 v14, 0, 1, vcc_lo
	s_delay_alu instid0(VALU_DEP_1) | instskip(NEXT) | instid1(VALU_DEP_1)
	v_lshlrev_b16 v14, 8, v14
	v_or_b32_e32 v14, v15, v14
	s_delay_alu instid0(VALU_DEP_1) | instskip(NEXT) | instid1(VALU_DEP_1)
	v_lshlrev_b32_e32 v14, 16, v14
	v_and_or_b32 v12, 0xffff, v12, v14
.LBB259_14:
	s_wait_alu 0xfffe
	s_or_b32 exec_lo, exec_lo, s4
	v_lshrrev_b32_e32 v13, 5, v13
	v_lshrrev_b32_e32 v9, 5, v9
	;; [unrolled: 1-line block ×3, first 2 shown]
	v_and_b32_e32 v14, 4, v26
	v_lshrrev_b32_e32 v15, 8, v12
	v_and_b32_e32 v13, 12, v13
	v_and_b32_e32 v9, 28, v9
	;; [unrolled: 1-line block ×3, first 2 shown]
	v_add_nc_u32_e32 v14, v14, v0
	v_lshrrev_b32_e32 v16, 24, v12
	v_add_nc_u32_e32 v13, v13, v0
	v_add_nc_u32_e32 v9, v9, v0
	;; [unrolled: 1-line block ×3, first 2 shown]
	ds_store_b8 v14, v11
	ds_store_b8 v13, v15 offset:256
	ds_store_b8_d16_hi v9, v12 offset:512
	ds_store_b8 v10, v16 offset:768
	s_wait_loadcnt_dscnt 0x0
	s_barrier_signal -1
	s_barrier_wait -1
.LBB259_15:
	v_lshrrev_b32_e32 v9, 3, v0
	s_wait_loadcnt 0x0
	global_inv scope:SCOPE_SE
	s_load_b64 s[6:7], s[0:1], 0x68
	v_mbcnt_lo_u32_b32 v31, -1, 0
	s_cmp_lg_u32 ttmp9, 0
	v_dual_mov_b32 v10, 0 :: v_dual_and_b32 v9, 28, v9
	s_mov_b32 s3, -1
	s_delay_alu instid0(VALU_DEP_2) | instskip(NEXT) | instid1(VALU_DEP_2)
	v_and_b32_e32 v32, 15, v31
	v_lshl_add_u32 v9, v0, 2, v9
	ds_load_b32 v27, v9
	s_wait_loadcnt_dscnt 0x0
	s_barrier_signal -1
	s_barrier_wait -1
	global_inv scope:SCOPE_SE
	v_and_b32_e32 v30, 0xff, v27
	v_bfe_u32 v29, v27, 8, 8
	v_bfe_u32 v28, v27, 16, 8
	v_lshrrev_b32_e32 v25, 24, v27
	s_delay_alu instid0(VALU_DEP_2) | instskip(NEXT) | instid1(VALU_DEP_1)
	v_add3_u32 v9, v29, v30, v28
	v_add_co_u32 v17, s2, v9, v25
	s_wait_alu 0xf1ff
	v_add_co_ci_u32_e64 v18, null, 0, 0, s2
	v_cmp_ne_u32_e64 s2, 0, v32
	s_cbranch_scc0 .LBB259_72
; %bb.16:
	v_mov_b32_e32 v11, v17
	v_mov_b32_dpp v9, v17 row_shr:1 row_mask:0xf bank_mask:0xf
	v_mov_b32_dpp v14, v10 row_shr:1 row_mask:0xf bank_mask:0xf
	v_dual_mov_b32 v13, v17 :: v_dual_mov_b32 v12, v18
	s_and_saveexec_b32 s3, s2
; %bb.17:
	s_delay_alu instid0(VALU_DEP_3) | instskip(SKIP_2) | instid1(VALU_DEP_2)
	v_add_co_u32 v13, vcc_lo, v17, v9
	s_wait_alu 0xfffd
	v_add_co_ci_u32_e64 v10, null, 0, v18, vcc_lo
	v_add_co_u32 v9, vcc_lo, 0, v13
	s_wait_alu 0xfffd
	s_delay_alu instid0(VALU_DEP_2) | instskip(NEXT) | instid1(VALU_DEP_1)
	v_add_co_ci_u32_e64 v10, null, v14, v10, vcc_lo
	v_dual_mov_b32 v12, v10 :: v_dual_mov_b32 v11, v9
; %bb.18:
	s_wait_alu 0xfffe
	s_or_b32 exec_lo, exec_lo, s3
	v_mov_b32_dpp v9, v13 row_shr:2 row_mask:0xf bank_mask:0xf
	v_mov_b32_dpp v14, v10 row_shr:2 row_mask:0xf bank_mask:0xf
	s_mov_b32 s3, exec_lo
	v_cmpx_lt_u32_e32 1, v32
; %bb.19:
	s_delay_alu instid0(VALU_DEP_3) | instskip(SKIP_2) | instid1(VALU_DEP_2)
	v_add_co_u32 v13, vcc_lo, v11, v9
	s_wait_alu 0xfffd
	v_add_co_ci_u32_e64 v10, null, 0, v12, vcc_lo
	v_add_co_u32 v9, vcc_lo, 0, v13
	s_wait_alu 0xfffd
	s_delay_alu instid0(VALU_DEP_2) | instskip(NEXT) | instid1(VALU_DEP_1)
	v_add_co_ci_u32_e64 v10, null, v14, v10, vcc_lo
	v_dual_mov_b32 v12, v10 :: v_dual_mov_b32 v11, v9
; %bb.20:
	s_wait_alu 0xfffe
	s_or_b32 exec_lo, exec_lo, s3
	v_mov_b32_dpp v9, v13 row_shr:4 row_mask:0xf bank_mask:0xf
	v_mov_b32_dpp v14, v10 row_shr:4 row_mask:0xf bank_mask:0xf
	s_mov_b32 s3, exec_lo
	v_cmpx_lt_u32_e32 3, v32
	;; [unrolled: 17-line block ×3, first 2 shown]
; %bb.23:
	s_delay_alu instid0(VALU_DEP_3) | instskip(SKIP_2) | instid1(VALU_DEP_2)
	v_add_co_u32 v13, vcc_lo, v11, v14
	s_wait_alu 0xfffd
	v_add_co_ci_u32_e64 v10, null, 0, v12, vcc_lo
	v_add_co_u32 v11, vcc_lo, 0, v13
	s_wait_alu 0xfffd
	s_delay_alu instid0(VALU_DEP_2) | instskip(NEXT) | instid1(VALU_DEP_1)
	v_add_co_ci_u32_e64 v12, null, v9, v10, vcc_lo
	v_mov_b32_e32 v10, v12
; %bb.24:
	s_wait_alu 0xfffe
	s_or_b32 exec_lo, exec_lo, s3
	ds_swizzle_b32 v9, v13 offset:swizzle(BROADCAST,32,15)
	ds_swizzle_b32 v14, v10 offset:swizzle(BROADCAST,32,15)
	v_and_b32_e32 v15, 16, v31
	s_mov_b32 s3, exec_lo
	s_delay_alu instid0(VALU_DEP_1)
	v_cmpx_ne_u32_e32 0, v15
	s_cbranch_execz .LBB259_26
; %bb.25:
	s_wait_dscnt 0x1
	v_add_co_u32 v13, vcc_lo, v11, v9
	s_wait_alu 0xfffd
	v_add_co_ci_u32_e64 v10, null, 0, v12, vcc_lo
	s_delay_alu instid0(VALU_DEP_2) | instskip(SKIP_2) | instid1(VALU_DEP_2)
	v_add_co_u32 v9, vcc_lo, 0, v13
	s_wait_dscnt 0x0
	s_wait_alu 0xfffd
	v_add_co_ci_u32_e64 v10, null, v14, v10, vcc_lo
	s_delay_alu instid0(VALU_DEP_1)
	v_dual_mov_b32 v12, v10 :: v_dual_mov_b32 v11, v9
.LBB259_26:
	s_wait_alu 0xfffe
	s_or_b32 exec_lo, exec_lo, s3
	s_wait_dscnt 0x1
	v_or_b32_e32 v9, 31, v0
	s_mov_b32 s3, exec_lo
	s_delay_alu instid0(VALU_DEP_1)
	v_cmpx_eq_u32_e64 v0, v9
; %bb.27:
	v_lshlrev_b32_e32 v9, 3, v26
	ds_store_b64 v9, v[11:12]
; %bb.28:
	s_wait_alu 0xfffe
	s_or_b32 exec_lo, exec_lo, s3
	s_delay_alu instid0(SALU_CYCLE_1)
	s_mov_b32 s3, exec_lo
	s_wait_loadcnt_dscnt 0x0
	s_barrier_signal -1
	s_barrier_wait -1
	global_inv scope:SCOPE_SE
	v_cmpx_gt_u32_e32 8, v0
	s_cbranch_execz .LBB259_36
; %bb.29:
	v_lshlrev_b32_e32 v9, 3, v0
	s_mov_b32 s4, exec_lo
	ds_load_b64 v[11:12], v9
	s_wait_dscnt 0x0
	v_dual_mov_b32 v15, v11 :: v_dual_and_b32 v14, 7, v31
	v_mov_b32_dpp v19, v11 row_shr:1 row_mask:0xf bank_mask:0xf
	v_mov_b32_dpp v16, v12 row_shr:1 row_mask:0xf bank_mask:0xf
	s_delay_alu instid0(VALU_DEP_3)
	v_cmpx_ne_u32_e32 0, v14
; %bb.30:
	s_delay_alu instid0(VALU_DEP_3) | instskip(SKIP_2) | instid1(VALU_DEP_2)
	v_add_co_u32 v15, vcc_lo, v11, v19
	s_wait_alu 0xfffd
	v_add_co_ci_u32_e64 v12, null, 0, v12, vcc_lo
	v_add_co_u32 v11, vcc_lo, 0, v15
	s_wait_alu 0xfffd
	s_delay_alu instid0(VALU_DEP_2)
	v_add_co_ci_u32_e64 v12, null, v16, v12, vcc_lo
; %bb.31:
	s_wait_alu 0xfffe
	s_or_b32 exec_lo, exec_lo, s4
	v_mov_b32_dpp v19, v15 row_shr:2 row_mask:0xf bank_mask:0xf
	s_delay_alu instid0(VALU_DEP_2)
	v_mov_b32_dpp v16, v12 row_shr:2 row_mask:0xf bank_mask:0xf
	s_mov_b32 s4, exec_lo
	v_cmpx_lt_u32_e32 1, v14
; %bb.32:
	s_delay_alu instid0(VALU_DEP_3) | instskip(SKIP_2) | instid1(VALU_DEP_2)
	v_add_co_u32 v15, vcc_lo, v11, v19
	s_wait_alu 0xfffd
	v_add_co_ci_u32_e64 v12, null, 0, v12, vcc_lo
	v_add_co_u32 v11, vcc_lo, 0, v15
	s_wait_alu 0xfffd
	s_delay_alu instid0(VALU_DEP_2)
	v_add_co_ci_u32_e64 v12, null, v16, v12, vcc_lo
; %bb.33:
	s_wait_alu 0xfffe
	s_or_b32 exec_lo, exec_lo, s4
	v_mov_b32_dpp v16, v15 row_shr:4 row_mask:0xf bank_mask:0xf
	s_delay_alu instid0(VALU_DEP_2)
	v_mov_b32_dpp v15, v12 row_shr:4 row_mask:0xf bank_mask:0xf
	s_mov_b32 s4, exec_lo
	v_cmpx_lt_u32_e32 3, v14
; %bb.34:
	s_delay_alu instid0(VALU_DEP_3) | instskip(SKIP_2) | instid1(VALU_DEP_2)
	v_add_co_u32 v11, vcc_lo, v11, v16
	s_wait_alu 0xfffd
	v_add_co_ci_u32_e64 v12, null, 0, v12, vcc_lo
	v_add_co_u32 v11, vcc_lo, v11, 0
	s_wait_alu 0xfffd
	s_delay_alu instid0(VALU_DEP_2)
	v_add_co_ci_u32_e64 v12, null, v12, v15, vcc_lo
; %bb.35:
	s_wait_alu 0xfffe
	s_or_b32 exec_lo, exec_lo, s4
	ds_store_b64 v9, v[11:12]
.LBB259_36:
	s_wait_alu 0xfffe
	s_or_b32 exec_lo, exec_lo, s3
	s_delay_alu instid0(SALU_CYCLE_1)
	s_mov_b32 s4, exec_lo
	v_cmp_gt_u32_e32 vcc_lo, 32, v0
	s_wait_loadcnt_dscnt 0x0
	s_barrier_signal -1
	s_barrier_wait -1
	global_inv scope:SCOPE_SE
                                        ; implicit-def: $vgpr19_vgpr20
	v_cmpx_lt_u32_e32 31, v0
	s_cbranch_execz .LBB259_38
; %bb.37:
	v_lshl_add_u32 v9, v26, 3, -8
	ds_load_b64 v[19:20], v9
	s_wait_dscnt 0x0
	v_add_co_u32 v13, s3, v13, v19
	s_wait_alu 0xf1ff
	v_add_co_ci_u32_e64 v10, null, v10, v20, s3
.LBB259_38:
	s_wait_alu 0xfffe
	s_or_b32 exec_lo, exec_lo, s4
	v_sub_co_u32 v9, s3, v31, 1
	s_delay_alu instid0(VALU_DEP_1) | instskip(SKIP_1) | instid1(VALU_DEP_1)
	v_cmp_gt_i32_e64 s4, 0, v9
	s_wait_alu 0xf1ff
	v_cndmask_b32_e64 v9, v9, v31, s4
	s_delay_alu instid0(VALU_DEP_1)
	v_lshlrev_b32_e32 v9, 2, v9
	ds_bpermute_b32 v33, v9, v13
	ds_bpermute_b32 v34, v9, v10
	s_and_saveexec_b32 s4, vcc_lo
	s_cbranch_execz .LBB259_77
; %bb.39:
	v_mov_b32_e32 v12, 0
	ds_load_b64 v[9:10], v12 offset:56
	s_and_saveexec_b32 s5, s3
	s_cbranch_execz .LBB259_41
; %bb.40:
	s_add_co_i32 s12, ttmp9, 32
	s_wait_alu 0xfffe
	s_lshl_b64 s[12:13], s[12:13], 4
	s_wait_kmcnt 0x0
	s_wait_alu 0xfffe
	s_add_nc_u64 s[12:13], s[6:7], s[12:13]
	s_wait_alu 0xfffe
	v_dual_mov_b32 v11, 1 :: v_dual_mov_b32 v14, s13
	v_mov_b32_e32 v13, s12
	s_wait_dscnt 0x0
	;;#ASMSTART
	global_store_b128 v[13:14], v[9:12] off scope:SCOPE_DEV	
s_wait_storecnt 0x0
	;;#ASMEND
.LBB259_41:
	s_wait_alu 0xfffe
	s_or_b32 exec_lo, exec_lo, s5
	v_xad_u32 v21, v31, -1, ttmp9
	s_mov_b32 s12, 0
	s_mov_b32 s5, exec_lo
	s_delay_alu instid0(VALU_DEP_1) | instskip(NEXT) | instid1(VALU_DEP_1)
	v_add_nc_u32_e32 v11, 32, v21
	v_lshlrev_b64_e32 v[11:12], 4, v[11:12]
	s_wait_kmcnt 0x0
	s_delay_alu instid0(VALU_DEP_1) | instskip(SKIP_1) | instid1(VALU_DEP_2)
	v_add_co_u32 v11, vcc_lo, s6, v11
	s_wait_alu 0xfffd
	v_add_co_ci_u32_e64 v12, null, s7, v12, vcc_lo
	;;#ASMSTART
	global_load_b128 v[13:16], v[11:12] off scope:SCOPE_DEV	
s_wait_loadcnt 0x0
	;;#ASMEND
	v_and_b32_e32 v16, 0xff, v15
	s_delay_alu instid0(VALU_DEP_1)
	v_cmpx_eq_u16_e32 0, v16
	s_cbranch_execz .LBB259_44
.LBB259_42:                             ; =>This Inner Loop Header: Depth=1
	;;#ASMSTART
	global_load_b128 v[13:16], v[11:12] off scope:SCOPE_DEV	
s_wait_loadcnt 0x0
	;;#ASMEND
	v_and_b32_e32 v16, 0xff, v15
	s_delay_alu instid0(VALU_DEP_1)
	v_cmp_ne_u16_e32 vcc_lo, 0, v16
	s_wait_alu 0xfffe
	s_or_b32 s12, vcc_lo, s12
	s_wait_alu 0xfffe
	s_and_not1_b32 exec_lo, exec_lo, s12
	s_cbranch_execnz .LBB259_42
; %bb.43:
	s_or_b32 exec_lo, exec_lo, s12
.LBB259_44:
	s_wait_alu 0xfffe
	s_or_b32 exec_lo, exec_lo, s5
	v_cmp_ne_u32_e32 vcc_lo, 31, v31
	v_and_b32_e32 v12, 0xff, v15
	v_lshlrev_b32_e64 v36, v31, -1
	s_mov_b32 s5, exec_lo
	s_wait_alu 0xfffd
	v_add_co_ci_u32_e64 v11, null, 0, v31, vcc_lo
	v_cmp_eq_u16_e32 vcc_lo, 2, v12
	s_delay_alu instid0(VALU_DEP_2)
	v_dual_mov_b32 v12, v13 :: v_dual_lshlrev_b32 v35, 2, v11
	s_wait_alu 0xfffd
	v_and_or_b32 v11, vcc_lo, v36, 0x80000000
	ds_bpermute_b32 v22, v35, v13
	ds_bpermute_b32 v16, v35, v14
	v_ctz_i32_b32_e32 v11, v11
	s_delay_alu instid0(VALU_DEP_1)
	v_cmpx_lt_u32_e64 v31, v11
	s_cbranch_execz .LBB259_46
; %bb.45:
	s_wait_dscnt 0x1
	v_add_co_u32 v12, vcc_lo, v13, v22
	s_wait_alu 0xfffd
	v_add_co_ci_u32_e64 v14, null, 0, v14, vcc_lo
	s_delay_alu instid0(VALU_DEP_2) | instskip(SKIP_2) | instid1(VALU_DEP_2)
	v_add_co_u32 v13, vcc_lo, 0, v12
	s_wait_dscnt 0x0
	s_wait_alu 0xfffd
	v_add_co_ci_u32_e64 v14, null, v16, v14, vcc_lo
.LBB259_46:
	s_wait_alu 0xfffe
	s_or_b32 exec_lo, exec_lo, s5
	v_cmp_gt_u32_e32 vcc_lo, 30, v31
	v_add_nc_u32_e32 v38, 2, v31
	s_mov_b32 s5, exec_lo
	s_wait_dscnt 0x0
	s_wait_alu 0xfffd
	v_cndmask_b32_e64 v16, 0, 2, vcc_lo
	s_delay_alu instid0(VALU_DEP_1)
	v_add_lshl_u32 v37, v16, v31, 2
	ds_bpermute_b32 v22, v37, v12
	ds_bpermute_b32 v16, v37, v14
	v_cmpx_le_u32_e64 v38, v11
	s_cbranch_execz .LBB259_48
; %bb.47:
	s_wait_dscnt 0x1
	v_add_co_u32 v12, vcc_lo, v13, v22
	s_wait_alu 0xfffd
	v_add_co_ci_u32_e64 v14, null, 0, v14, vcc_lo
	s_delay_alu instid0(VALU_DEP_2) | instskip(SKIP_2) | instid1(VALU_DEP_2)
	v_add_co_u32 v13, vcc_lo, 0, v12
	s_wait_dscnt 0x0
	s_wait_alu 0xfffd
	v_add_co_ci_u32_e64 v14, null, v16, v14, vcc_lo
.LBB259_48:
	s_wait_alu 0xfffe
	s_or_b32 exec_lo, exec_lo, s5
	v_cmp_gt_u32_e32 vcc_lo, 28, v31
	v_add_nc_u32_e32 v40, 4, v31
	s_mov_b32 s5, exec_lo
	s_wait_dscnt 0x0
	s_wait_alu 0xfffd
	v_cndmask_b32_e64 v16, 0, 4, vcc_lo
	s_delay_alu instid0(VALU_DEP_1)
	v_add_lshl_u32 v39, v16, v31, 2
	ds_bpermute_b32 v22, v39, v12
	ds_bpermute_b32 v16, v39, v14
	v_cmpx_le_u32_e64 v40, v11
	s_cbranch_execz .LBB259_50
; %bb.49:
	s_wait_dscnt 0x1
	v_add_co_u32 v12, vcc_lo, v13, v22
	s_wait_alu 0xfffd
	v_add_co_ci_u32_e64 v14, null, 0, v14, vcc_lo
	s_delay_alu instid0(VALU_DEP_2) | instskip(SKIP_2) | instid1(VALU_DEP_2)
	v_add_co_u32 v13, vcc_lo, 0, v12
	s_wait_dscnt 0x0
	s_wait_alu 0xfffd
	v_add_co_ci_u32_e64 v14, null, v16, v14, vcc_lo
.LBB259_50:
	s_wait_alu 0xfffe
	s_or_b32 exec_lo, exec_lo, s5
	v_cmp_gt_u32_e32 vcc_lo, 24, v31
	v_add_nc_u32_e32 v42, 8, v31
	s_mov_b32 s5, exec_lo
	s_wait_dscnt 0x0
	s_wait_alu 0xfffd
	v_cndmask_b32_e64 v16, 0, 8, vcc_lo
	s_delay_alu instid0(VALU_DEP_1)
	v_add_lshl_u32 v41, v16, v31, 2
	ds_bpermute_b32 v22, v41, v12
	ds_bpermute_b32 v16, v41, v14
	v_cmpx_le_u32_e64 v42, v11
	s_cbranch_execz .LBB259_52
; %bb.51:
	s_wait_dscnt 0x1
	v_add_co_u32 v12, vcc_lo, v13, v22
	s_wait_alu 0xfffd
	v_add_co_ci_u32_e64 v14, null, 0, v14, vcc_lo
	s_delay_alu instid0(VALU_DEP_2) | instskip(SKIP_2) | instid1(VALU_DEP_2)
	v_add_co_u32 v13, vcc_lo, 0, v12
	s_wait_dscnt 0x0
	s_wait_alu 0xfffd
	v_add_co_ci_u32_e64 v14, null, v16, v14, vcc_lo
.LBB259_52:
	s_wait_alu 0xfffe
	s_or_b32 exec_lo, exec_lo, s5
	v_lshl_or_b32 v43, v31, 2, 64
	v_add_nc_u32_e32 v44, 16, v31
	s_mov_b32 s5, exec_lo
	s_wait_dscnt 0x0
	ds_bpermute_b32 v16, v43, v12
	ds_bpermute_b32 v12, v43, v14
	v_cmpx_le_u32_e64 v44, v11
	s_cbranch_execz .LBB259_54
; %bb.53:
	s_wait_dscnt 0x1
	v_add_co_u32 v11, vcc_lo, v13, v16
	s_wait_alu 0xfffd
	v_add_co_ci_u32_e64 v14, null, 0, v14, vcc_lo
	s_delay_alu instid0(VALU_DEP_2) | instskip(SKIP_2) | instid1(VALU_DEP_2)
	v_add_co_u32 v13, vcc_lo, v11, 0
	s_wait_dscnt 0x0
	s_wait_alu 0xfffd
	v_add_co_ci_u32_e64 v14, null, v14, v12, vcc_lo
.LBB259_54:
	s_wait_alu 0xfffe
	s_or_b32 exec_lo, exec_lo, s5
	v_mov_b32_e32 v22, 0
	s_branch .LBB259_57
.LBB259_55:                             ;   in Loop: Header=BB259_57 Depth=1
	s_wait_alu 0xfffe
	s_or_b32 exec_lo, exec_lo, s5
	v_add_co_u32 v13, vcc_lo, v13, v11
	v_subrev_nc_u32_e32 v21, 32, v21
	s_wait_alu 0xfffd
	v_add_co_ci_u32_e64 v14, null, v14, v12, vcc_lo
	s_mov_b32 s5, 0
.LBB259_56:                             ;   in Loop: Header=BB259_57 Depth=1
	s_wait_alu 0xfffe
	s_and_b32 vcc_lo, exec_lo, s5
	s_wait_alu 0xfffe
	s_cbranch_vccnz .LBB259_73
.LBB259_57:                             ; =>This Loop Header: Depth=1
                                        ;     Child Loop BB259_60 Depth 2
	v_and_b32_e32 v11, 0xff, v15
	s_mov_b32 s5, -1
	s_delay_alu instid0(VALU_DEP_1)
	v_cmp_ne_u16_e32 vcc_lo, 2, v11
	s_wait_dscnt 0x0
	v_dual_mov_b32 v11, v13 :: v_dual_mov_b32 v12, v14
                                        ; implicit-def: $vgpr13_vgpr14
	s_cmp_lg_u32 vcc_lo, exec_lo
	s_cbranch_scc1 .LBB259_56
; %bb.58:                               ;   in Loop: Header=BB259_57 Depth=1
	v_lshlrev_b64_e32 v[13:14], 4, v[21:22]
	s_mov_b32 s5, exec_lo
	s_delay_alu instid0(VALU_DEP_1) | instskip(SKIP_1) | instid1(VALU_DEP_2)
	v_add_co_u32 v23, vcc_lo, s6, v13
	s_wait_alu 0xfffd
	v_add_co_ci_u32_e64 v24, null, s7, v14, vcc_lo
	;;#ASMSTART
	global_load_b128 v[13:16], v[23:24] off scope:SCOPE_DEV	
s_wait_loadcnt 0x0
	;;#ASMEND
	v_and_b32_e32 v16, 0xff, v15
	s_delay_alu instid0(VALU_DEP_1)
	v_cmpx_eq_u16_e32 0, v16
	s_cbranch_execz .LBB259_62
; %bb.59:                               ;   in Loop: Header=BB259_57 Depth=1
	s_mov_b32 s12, 0
.LBB259_60:                             ;   Parent Loop BB259_57 Depth=1
                                        ; =>  This Inner Loop Header: Depth=2
	;;#ASMSTART
	global_load_b128 v[13:16], v[23:24] off scope:SCOPE_DEV	
s_wait_loadcnt 0x0
	;;#ASMEND
	v_and_b32_e32 v16, 0xff, v15
	s_delay_alu instid0(VALU_DEP_1)
	v_cmp_ne_u16_e32 vcc_lo, 0, v16
	s_wait_alu 0xfffe
	s_or_b32 s12, vcc_lo, s12
	s_wait_alu 0xfffe
	s_and_not1_b32 exec_lo, exec_lo, s12
	s_cbranch_execnz .LBB259_60
; %bb.61:                               ;   in Loop: Header=BB259_57 Depth=1
	s_or_b32 exec_lo, exec_lo, s12
.LBB259_62:                             ;   in Loop: Header=BB259_57 Depth=1
	s_wait_alu 0xfffe
	s_or_b32 exec_lo, exec_lo, s5
	v_dual_mov_b32 v23, v13 :: v_dual_and_b32 v16, 0xff, v15
	ds_bpermute_b32 v45, v35, v13
	ds_bpermute_b32 v24, v35, v14
	s_mov_b32 s5, exec_lo
	v_cmp_eq_u16_e32 vcc_lo, 2, v16
	s_wait_alu 0xfffd
	v_and_or_b32 v16, vcc_lo, v36, 0x80000000
	s_delay_alu instid0(VALU_DEP_1) | instskip(NEXT) | instid1(VALU_DEP_1)
	v_ctz_i32_b32_e32 v16, v16
	v_cmpx_lt_u32_e64 v31, v16
	s_cbranch_execz .LBB259_64
; %bb.63:                               ;   in Loop: Header=BB259_57 Depth=1
	s_wait_dscnt 0x1
	v_add_co_u32 v23, vcc_lo, v13, v45
	s_wait_alu 0xfffd
	v_add_co_ci_u32_e64 v14, null, 0, v14, vcc_lo
	s_delay_alu instid0(VALU_DEP_2) | instskip(SKIP_2) | instid1(VALU_DEP_2)
	v_add_co_u32 v13, vcc_lo, 0, v23
	s_wait_dscnt 0x0
	s_wait_alu 0xfffd
	v_add_co_ci_u32_e64 v14, null, v24, v14, vcc_lo
.LBB259_64:                             ;   in Loop: Header=BB259_57 Depth=1
	s_wait_alu 0xfffe
	s_or_b32 exec_lo, exec_lo, s5
	s_wait_dscnt 0x1
	ds_bpermute_b32 v45, v37, v23
	s_wait_dscnt 0x1
	ds_bpermute_b32 v24, v37, v14
	s_mov_b32 s5, exec_lo
	v_cmpx_le_u32_e64 v38, v16
	s_cbranch_execz .LBB259_66
; %bb.65:                               ;   in Loop: Header=BB259_57 Depth=1
	s_wait_dscnt 0x1
	v_add_co_u32 v23, vcc_lo, v13, v45
	s_wait_alu 0xfffd
	v_add_co_ci_u32_e64 v14, null, 0, v14, vcc_lo
	s_delay_alu instid0(VALU_DEP_2) | instskip(SKIP_2) | instid1(VALU_DEP_2)
	v_add_co_u32 v13, vcc_lo, 0, v23
	s_wait_dscnt 0x0
	s_wait_alu 0xfffd
	v_add_co_ci_u32_e64 v14, null, v24, v14, vcc_lo
.LBB259_66:                             ;   in Loop: Header=BB259_57 Depth=1
	s_wait_alu 0xfffe
	s_or_b32 exec_lo, exec_lo, s5
	s_wait_dscnt 0x1
	ds_bpermute_b32 v45, v39, v23
	s_wait_dscnt 0x1
	ds_bpermute_b32 v24, v39, v14
	s_mov_b32 s5, exec_lo
	v_cmpx_le_u32_e64 v40, v16
	;; [unrolled: 20-line block ×3, first 2 shown]
	s_cbranch_execz .LBB259_70
; %bb.69:                               ;   in Loop: Header=BB259_57 Depth=1
	s_wait_dscnt 0x1
	v_add_co_u32 v23, vcc_lo, v13, v45
	s_wait_alu 0xfffd
	v_add_co_ci_u32_e64 v14, null, 0, v14, vcc_lo
	s_delay_alu instid0(VALU_DEP_2) | instskip(SKIP_2) | instid1(VALU_DEP_2)
	v_add_co_u32 v13, vcc_lo, 0, v23
	s_wait_dscnt 0x0
	s_wait_alu 0xfffd
	v_add_co_ci_u32_e64 v14, null, v24, v14, vcc_lo
.LBB259_70:                             ;   in Loop: Header=BB259_57 Depth=1
	s_wait_alu 0xfffe
	s_or_b32 exec_lo, exec_lo, s5
	s_wait_dscnt 0x0
	ds_bpermute_b32 v24, v43, v23
	ds_bpermute_b32 v23, v43, v14
	s_mov_b32 s5, exec_lo
	v_cmpx_le_u32_e64 v44, v16
	s_cbranch_execz .LBB259_55
; %bb.71:                               ;   in Loop: Header=BB259_57 Depth=1
	s_wait_dscnt 0x1
	v_add_co_u32 v13, vcc_lo, v13, v24
	s_wait_alu 0xfffd
	v_add_co_ci_u32_e64 v14, null, 0, v14, vcc_lo
	s_delay_alu instid0(VALU_DEP_2) | instskip(SKIP_2) | instid1(VALU_DEP_2)
	v_add_co_u32 v13, vcc_lo, v13, 0
	s_wait_dscnt 0x0
	s_wait_alu 0xfffd
	v_add_co_ci_u32_e64 v14, null, v14, v23, vcc_lo
	s_branch .LBB259_55
.LBB259_72:
                                        ; implicit-def: $vgpr15_vgpr16
                                        ; implicit-def: $vgpr13_vgpr14
                                        ; implicit-def: $vgpr19_vgpr20
                                        ; implicit-def: $vgpr21_vgpr22
                                        ; implicit-def: $vgpr11_vgpr12
	s_load_b64 s[4:5], s[0:1], 0x30
	s_and_b32 vcc_lo, exec_lo, s3
	s_wait_alu 0xfffe
	s_cbranch_vccnz .LBB259_78
	s_branch .LBB259_103
.LBB259_73:
	s_and_saveexec_b32 s5, s3
	s_cbranch_execz .LBB259_75
; %bb.74:
	s_add_co_i32 s12, ttmp9, 32
	s_mov_b32 s13, 0
	v_add_co_u32 v13, vcc_lo, v11, v9
	s_wait_alu 0xfffe
	s_lshl_b64 s[12:13], s[12:13], 4
	v_dual_mov_b32 v15, 2 :: v_dual_mov_b32 v16, 0
	s_wait_alu 0xfffe
	s_add_nc_u64 s[12:13], s[6:7], s[12:13]
	s_wait_alu 0xfffd
	v_add_co_ci_u32_e64 v14, null, v12, v10, vcc_lo
	s_wait_alu 0xfffe
	v_dual_mov_b32 v22, s13 :: v_dual_mov_b32 v21, s12
	;;#ASMSTART
	global_store_b128 v[21:22], v[13:16] off scope:SCOPE_DEV	
s_wait_storecnt 0x0
	;;#ASMEND
	ds_store_b128 v16, v[9:12] offset:8448
.LBB259_75:
	s_wait_alu 0xfffe
	s_or_b32 exec_lo, exec_lo, s5
	v_cmp_eq_u32_e32 vcc_lo, 0, v0
	s_and_b32 exec_lo, exec_lo, vcc_lo
; %bb.76:
	v_mov_b32_e32 v9, 0
	ds_store_b64 v9, v[11:12] offset:56
.LBB259_77:
	s_wait_alu 0xfffe
	s_or_b32 exec_lo, exec_lo, s4
	s_wait_dscnt 0x1
	v_cndmask_b32_e64 v10, v33, v19, s3
	v_cmp_ne_u32_e32 vcc_lo, 0, v0
	v_mov_b32_e32 v9, 0
	s_wait_loadcnt_dscnt 0x0
	s_barrier_signal -1
	s_barrier_wait -1
	global_inv scope:SCOPE_SE
	s_wait_alu 0xfffd
	v_cndmask_b32_e32 v16, 0, v10, vcc_lo
	ds_load_b64 v[13:14], v9 offset:56
	v_cndmask_b32_e64 v11, v34, v20, s3
	s_wait_loadcnt_dscnt 0x0
	s_barrier_signal -1
	s_barrier_wait -1
	global_inv scope:SCOPE_SE
	v_cndmask_b32_e32 v15, 0, v11, vcc_lo
	ds_load_b128 v[9:12], v9 offset:8448
	v_add_co_u32 v21, vcc_lo, v13, v16
	s_wait_alu 0xfffd
	v_add_co_ci_u32_e64 v22, null, v14, v15, vcc_lo
	s_delay_alu instid0(VALU_DEP_2) | instskip(SKIP_1) | instid1(VALU_DEP_2)
	v_add_co_u32 v19, vcc_lo, v21, v30
	s_wait_alu 0xfffd
	v_add_co_ci_u32_e64 v20, null, 0, v22, vcc_lo
	s_delay_alu instid0(VALU_DEP_2) | instskip(SKIP_1) | instid1(VALU_DEP_2)
	;; [unrolled: 4-line block ×3, first 2 shown]
	v_add_co_u32 v15, vcc_lo, v13, v28
	s_wait_alu 0xfffd
	v_add_co_ci_u32_e64 v16, null, 0, v14, vcc_lo
	s_load_b64 s[4:5], s[0:1], 0x30
	s_branch .LBB259_103
.LBB259_78:
	s_wait_dscnt 0x0
	v_dual_mov_b32 v10, 0 :: v_dual_mov_b32 v11, v17
	v_mov_b32_dpp v12, v17 row_shr:1 row_mask:0xf bank_mask:0xf
	s_delay_alu instid0(VALU_DEP_2)
	v_mov_b32_dpp v9, v10 row_shr:1 row_mask:0xf bank_mask:0xf
	s_and_saveexec_b32 s0, s2
; %bb.79:
	s_delay_alu instid0(VALU_DEP_2) | instskip(SKIP_2) | instid1(VALU_DEP_2)
	v_add_co_u32 v11, vcc_lo, v17, v12
	s_wait_alu 0xfffd
	v_add_co_ci_u32_e64 v10, null, 0, v18, vcc_lo
	v_add_co_u32 v17, vcc_lo, 0, v11
	s_wait_alu 0xfffd
	s_delay_alu instid0(VALU_DEP_2) | instskip(NEXT) | instid1(VALU_DEP_1)
	v_add_co_ci_u32_e64 v18, null, v9, v10, vcc_lo
	v_mov_b32_e32 v10, v18
; %bb.80:
	s_or_b32 exec_lo, exec_lo, s0
	v_mov_b32_dpp v9, v11 row_shr:2 row_mask:0xf bank_mask:0xf
	s_delay_alu instid0(VALU_DEP_2)
	v_mov_b32_dpp v12, v10 row_shr:2 row_mask:0xf bank_mask:0xf
	s_mov_b32 s0, exec_lo
	v_cmpx_lt_u32_e32 1, v32
; %bb.81:
	s_delay_alu instid0(VALU_DEP_3) | instskip(SKIP_2) | instid1(VALU_DEP_2)
	v_add_co_u32 v11, vcc_lo, v17, v9
	s_wait_alu 0xfffd
	v_add_co_ci_u32_e64 v10, null, 0, v18, vcc_lo
	v_add_co_u32 v9, vcc_lo, 0, v11
	s_wait_alu 0xfffd
	s_delay_alu instid0(VALU_DEP_2) | instskip(NEXT) | instid1(VALU_DEP_1)
	v_add_co_ci_u32_e64 v10, null, v12, v10, vcc_lo
	v_dual_mov_b32 v18, v10 :: v_dual_mov_b32 v17, v9
; %bb.82:
	s_or_b32 exec_lo, exec_lo, s0
	v_mov_b32_dpp v9, v11 row_shr:4 row_mask:0xf bank_mask:0xf
	v_mov_b32_dpp v12, v10 row_shr:4 row_mask:0xf bank_mask:0xf
	s_mov_b32 s0, exec_lo
	v_cmpx_lt_u32_e32 3, v32
; %bb.83:
	s_delay_alu instid0(VALU_DEP_3) | instskip(SKIP_2) | instid1(VALU_DEP_2)
	v_add_co_u32 v11, vcc_lo, v17, v9
	s_wait_alu 0xfffd
	v_add_co_ci_u32_e64 v10, null, 0, v18, vcc_lo
	v_add_co_u32 v9, vcc_lo, 0, v11
	s_wait_alu 0xfffd
	s_delay_alu instid0(VALU_DEP_2) | instskip(NEXT) | instid1(VALU_DEP_1)
	v_add_co_ci_u32_e64 v10, null, v12, v10, vcc_lo
	v_dual_mov_b32 v18, v10 :: v_dual_mov_b32 v17, v9
; %bb.84:
	s_or_b32 exec_lo, exec_lo, s0
	v_mov_b32_dpp v12, v11 row_shr:8 row_mask:0xf bank_mask:0xf
	v_mov_b32_dpp v9, v10 row_shr:8 row_mask:0xf bank_mask:0xf
	s_mov_b32 s0, exec_lo
	v_cmpx_lt_u32_e32 7, v32
; %bb.85:
	s_delay_alu instid0(VALU_DEP_3) | instskip(SKIP_2) | instid1(VALU_DEP_2)
	v_add_co_u32 v11, vcc_lo, v17, v12
	s_wait_alu 0xfffd
	v_add_co_ci_u32_e64 v10, null, 0, v18, vcc_lo
	v_add_co_u32 v17, vcc_lo, 0, v11
	s_wait_alu 0xfffd
	s_delay_alu instid0(VALU_DEP_2) | instskip(NEXT) | instid1(VALU_DEP_1)
	v_add_co_ci_u32_e64 v18, null, v9, v10, vcc_lo
	v_mov_b32_e32 v10, v18
; %bb.86:
	s_or_b32 exec_lo, exec_lo, s0
	ds_swizzle_b32 v11, v11 offset:swizzle(BROADCAST,32,15)
	ds_swizzle_b32 v9, v10 offset:swizzle(BROADCAST,32,15)
	v_and_b32_e32 v10, 16, v31
	s_mov_b32 s0, exec_lo
	s_delay_alu instid0(VALU_DEP_1)
	v_cmpx_ne_u32_e32 0, v10
	s_cbranch_execz .LBB259_88
; %bb.87:
	s_wait_dscnt 0x1
	v_add_co_u32 v10, vcc_lo, v17, v11
	s_wait_alu 0xfffd
	v_add_co_ci_u32_e64 v11, null, 0, v18, vcc_lo
	s_delay_alu instid0(VALU_DEP_2) | instskip(SKIP_2) | instid1(VALU_DEP_2)
	v_add_co_u32 v17, vcc_lo, v10, 0
	s_wait_dscnt 0x0
	s_wait_alu 0xfffd
	v_add_co_ci_u32_e64 v18, null, v11, v9, vcc_lo
.LBB259_88:
	s_or_b32 exec_lo, exec_lo, s0
	s_wait_dscnt 0x0
	v_or_b32_e32 v9, 31, v0
	s_mov_b32 s0, exec_lo
	s_delay_alu instid0(VALU_DEP_1)
	v_cmpx_eq_u32_e64 v0, v9
; %bb.89:
	v_lshlrev_b32_e32 v9, 3, v26
	ds_store_b64 v9, v[17:18]
; %bb.90:
	s_or_b32 exec_lo, exec_lo, s0
	s_delay_alu instid0(SALU_CYCLE_1)
	s_mov_b32 s0, exec_lo
	s_wait_loadcnt_dscnt 0x0
	s_barrier_signal -1
	s_barrier_wait -1
	global_inv scope:SCOPE_SE
	v_cmpx_gt_u32_e32 8, v0
	s_cbranch_execz .LBB259_98
; %bb.91:
	v_lshlrev_b32_e32 v11, 3, v0
	s_mov_b32 s1, exec_lo
	ds_load_b64 v[9:10], v11
	s_wait_dscnt 0x0
	v_dual_mov_b32 v13, v9 :: v_dual_and_b32 v12, 7, v31
	v_mov_b32_dpp v15, v9 row_shr:1 row_mask:0xf bank_mask:0xf
	v_mov_b32_dpp v14, v10 row_shr:1 row_mask:0xf bank_mask:0xf
	s_delay_alu instid0(VALU_DEP_3)
	v_cmpx_ne_u32_e32 0, v12
; %bb.92:
	s_delay_alu instid0(VALU_DEP_3) | instskip(SKIP_2) | instid1(VALU_DEP_2)
	v_add_co_u32 v13, vcc_lo, v9, v15
	s_wait_alu 0xfffd
	v_add_co_ci_u32_e64 v10, null, 0, v10, vcc_lo
	v_add_co_u32 v9, vcc_lo, 0, v13
	s_wait_alu 0xfffd
	s_delay_alu instid0(VALU_DEP_2)
	v_add_co_ci_u32_e64 v10, null, v14, v10, vcc_lo
; %bb.93:
	s_or_b32 exec_lo, exec_lo, s1
	v_mov_b32_dpp v15, v13 row_shr:2 row_mask:0xf bank_mask:0xf
	s_delay_alu instid0(VALU_DEP_2)
	v_mov_b32_dpp v14, v10 row_shr:2 row_mask:0xf bank_mask:0xf
	s_mov_b32 s1, exec_lo
	v_cmpx_lt_u32_e32 1, v12
; %bb.94:
	s_delay_alu instid0(VALU_DEP_3) | instskip(SKIP_2) | instid1(VALU_DEP_2)
	v_add_co_u32 v13, vcc_lo, v9, v15
	s_wait_alu 0xfffd
	v_add_co_ci_u32_e64 v10, null, 0, v10, vcc_lo
	v_add_co_u32 v9, vcc_lo, 0, v13
	s_wait_alu 0xfffd
	s_delay_alu instid0(VALU_DEP_2)
	v_add_co_ci_u32_e64 v10, null, v14, v10, vcc_lo
; %bb.95:
	s_or_b32 exec_lo, exec_lo, s1
	v_mov_b32_dpp v14, v13 row_shr:4 row_mask:0xf bank_mask:0xf
	s_delay_alu instid0(VALU_DEP_2)
	v_mov_b32_dpp v13, v10 row_shr:4 row_mask:0xf bank_mask:0xf
	s_mov_b32 s1, exec_lo
	v_cmpx_lt_u32_e32 3, v12
; %bb.96:
	s_delay_alu instid0(VALU_DEP_3) | instskip(SKIP_2) | instid1(VALU_DEP_2)
	v_add_co_u32 v9, vcc_lo, v9, v14
	s_wait_alu 0xfffd
	v_add_co_ci_u32_e64 v10, null, 0, v10, vcc_lo
	v_add_co_u32 v9, vcc_lo, v9, 0
	s_wait_alu 0xfffd
	s_delay_alu instid0(VALU_DEP_2)
	v_add_co_ci_u32_e64 v10, null, v10, v13, vcc_lo
; %bb.97:
	s_or_b32 exec_lo, exec_lo, s1
	ds_store_b64 v11, v[9:10]
.LBB259_98:
	s_or_b32 exec_lo, exec_lo, s0
	v_mov_b32_e32 v13, 0
	v_mov_b32_e32 v14, 0
	s_mov_b32 s0, exec_lo
	s_wait_loadcnt_dscnt 0x0
	s_barrier_signal -1
	s_barrier_wait -1
	global_inv scope:SCOPE_SE
	v_cmpx_lt_u32_e32 31, v0
; %bb.99:
	v_lshl_add_u32 v9, v26, 3, -8
	ds_load_b64 v[13:14], v9
; %bb.100:
	s_or_b32 exec_lo, exec_lo, s0
	v_sub_co_u32 v9, vcc_lo, v31, 1
	v_mov_b32_e32 v12, 0
	s_delay_alu instid0(VALU_DEP_2) | instskip(NEXT) | instid1(VALU_DEP_1)
	v_cmp_gt_i32_e64 s0, 0, v9
	v_cndmask_b32_e64 v9, v9, v31, s0
	s_wait_dscnt 0x0
	v_add_co_u32 v10, s0, v13, v17
	s_wait_alu 0xf1ff
	v_add_co_ci_u32_e64 v11, null, v14, v18, s0
	v_lshlrev_b32_e32 v9, 2, v9
	v_cmp_eq_u32_e64 s0, 0, v0
	ds_bpermute_b32 v15, v9, v10
	ds_bpermute_b32 v16, v9, v11
	ds_load_b64 v[9:10], v12 offset:56
	s_and_saveexec_b32 s1, s0
	s_cbranch_execz .LBB259_102
; %bb.101:
	s_wait_kmcnt 0x0
	s_add_nc_u64 s[2:3], s[6:7], 0x200
	s_wait_alu 0xfffe
	v_dual_mov_b32 v11, 2 :: v_dual_mov_b32 v18, s3
	v_mov_b32_e32 v17, s2
	s_wait_dscnt 0x0
	;;#ASMSTART
	global_store_b128 v[17:18], v[9:12] off scope:SCOPE_DEV	
s_wait_storecnt 0x0
	;;#ASMEND
.LBB259_102:
	s_wait_alu 0xfffe
	s_or_b32 exec_lo, exec_lo, s1
	s_wait_dscnt 0x1
	s_wait_alu 0xfffd
	v_dual_cndmask_b32 v11, v15, v13 :: v_dual_cndmask_b32 v12, v16, v14
	s_wait_loadcnt_dscnt 0x0
	s_barrier_signal -1
	s_barrier_wait -1
	s_delay_alu instid0(VALU_DEP_1)
	v_cndmask_b32_e64 v21, v11, 0, s0
	v_cndmask_b32_e64 v22, v12, 0, s0
	v_mov_b32_e32 v11, 0
	v_mov_b32_e32 v12, 0
	global_inv scope:SCOPE_SE
	v_add_co_u32 v19, vcc_lo, v21, v30
	s_wait_alu 0xfffd
	v_add_co_ci_u32_e64 v20, null, 0, v22, vcc_lo
	s_delay_alu instid0(VALU_DEP_2) | instskip(SKIP_1) | instid1(VALU_DEP_2)
	v_add_co_u32 v13, vcc_lo, v19, v29
	s_wait_alu 0xfffd
	v_add_co_ci_u32_e64 v14, null, 0, v20, vcc_lo
	s_delay_alu instid0(VALU_DEP_2) | instskip(SKIP_1) | instid1(VALU_DEP_2)
	v_add_co_u32 v15, vcc_lo, v13, v28
	s_wait_alu 0xfffd
	v_add_co_ci_u32_e64 v16, null, 0, v14, vcc_lo
.LBB259_103:
	v_and_b32_e32 v26, 1, v27
	s_wait_dscnt 0x0
	v_cmp_gt_u64_e32 vcc_lo, 0x101, v[9:10]
	v_lshrrev_b32_e32 v23, 16, v27
	v_lshrrev_b32_e32 v24, 8, v27
	s_mov_b32 s1, -1
	v_cmp_eq_u32_e64 s0, 1, v26
	s_cbranch_vccnz .LBB259_107
; %bb.104:
	s_wait_alu 0xfffe
	s_and_b32 vcc_lo, exec_lo, s1
	s_wait_alu 0xfffe
	s_cbranch_vccnz .LBB259_116
.LBB259_105:
	v_cmp_eq_u32_e32 vcc_lo, 0, v0
	s_and_b32 s0, vcc_lo, s16
	s_wait_alu 0xfffe
	s_and_saveexec_b32 s1, s0
	s_cbranch_execnz .LBB259_128
.LBB259_106:
	s_endpgm
.LBB259_107:
	v_add_co_u32 v17, vcc_lo, v11, v9
	s_wait_alu 0xfffd
	v_add_co_ci_u32_e64 v18, null, v12, v10, vcc_lo
	s_delay_alu instid0(VALU_DEP_1)
	v_cmp_lt_u64_e32 vcc_lo, v[21:22], v[17:18]
	s_or_b32 s1, s17, vcc_lo
	s_wait_alu 0xfffe
	s_and_b32 s1, s1, s0
	s_wait_alu 0xfffe
	s_and_saveexec_b32 s0, s1
	s_cbranch_execz .LBB259_109
; %bb.108:
	v_lshlrev_b64_e32 v[27:28], 3, v[21:22]
	s_lshl_b64 s[2:3], s[10:11], 3
	s_wait_kmcnt 0x0
	s_wait_alu 0xfffe
	s_add_nc_u64 s[2:3], s[4:5], s[2:3]
	s_wait_alu 0xfffe
	v_add_co_u32 v27, vcc_lo, s2, v27
	s_wait_alu 0xfffd
	v_add_co_ci_u32_e64 v28, null, s3, v28, vcc_lo
	global_store_b64 v[27:28], v[5:6], off
.LBB259_109:
	s_wait_alu 0xfffe
	s_or_b32 exec_lo, exec_lo, s0
	v_and_b32_e32 v22, 1, v24
	v_cmp_lt_u64_e32 vcc_lo, v[19:20], v[17:18]
	s_delay_alu instid0(VALU_DEP_2)
	v_cmp_eq_u32_e64 s0, 1, v22
	s_or_b32 s1, s17, vcc_lo
	s_wait_alu 0xfffe
	s_and_b32 s1, s1, s0
	s_wait_alu 0xfffe
	s_and_saveexec_b32 s0, s1
	s_cbranch_execz .LBB259_111
; %bb.110:
	v_lshlrev_b64_e32 v[27:28], 3, v[19:20]
	s_lshl_b64 s[2:3], s[10:11], 3
	s_wait_kmcnt 0x0
	s_wait_alu 0xfffe
	s_add_nc_u64 s[2:3], s[4:5], s[2:3]
	s_wait_alu 0xfffe
	v_add_co_u32 v27, vcc_lo, s2, v27
	s_wait_alu 0xfffd
	v_add_co_ci_u32_e64 v28, null, s3, v28, vcc_lo
	global_store_b64 v[27:28], v[7:8], off
.LBB259_111:
	s_wait_alu 0xfffe
	s_or_b32 exec_lo, exec_lo, s0
	v_and_b32_e32 v20, 1, v23
	v_cmp_lt_u64_e32 vcc_lo, v[13:14], v[17:18]
	s_delay_alu instid0(VALU_DEP_2)
	v_cmp_eq_u32_e64 s0, 1, v20
	;; [unrolled: 24-line block ×3, first 2 shown]
	s_or_b32 s1, s17, vcc_lo
	s_wait_alu 0xfffe
	s_and_b32 s1, s1, s0
	s_wait_alu 0xfffe
	s_and_saveexec_b32 s0, s1
	s_cbranch_execz .LBB259_115
; %bb.114:
	v_lshlrev_b64_e32 v[16:17], 3, v[15:16]
	s_lshl_b64 s[2:3], s[10:11], 3
	s_wait_kmcnt 0x0
	s_wait_alu 0xfffe
	s_add_nc_u64 s[2:3], s[4:5], s[2:3]
	s_wait_alu 0xfffe
	v_add_co_u32 v16, vcc_lo, s2, v16
	s_wait_alu 0xfffd
	v_add_co_ci_u32_e64 v17, null, s3, v17, vcc_lo
	global_store_b64 v[16:17], v[3:4], off
.LBB259_115:
	s_wait_alu 0xfffe
	s_or_b32 exec_lo, exec_lo, s0
	s_branch .LBB259_105
.LBB259_116:
	s_mov_b32 s0, exec_lo
	v_cmpx_eq_u32_e32 1, v26
; %bb.117:
	v_sub_nc_u32_e32 v14, v21, v11
	s_delay_alu instid0(VALU_DEP_1)
	v_lshlrev_b32_e32 v14, 3, v14
	ds_store_b64 v14, v[5:6]
; %bb.118:
	s_wait_alu 0xfffe
	s_or_b32 exec_lo, exec_lo, s0
	v_and_b32_e32 v5, 1, v24
	s_mov_b32 s0, exec_lo
	s_delay_alu instid0(VALU_DEP_1)
	v_cmpx_eq_u32_e32 1, v5
; %bb.119:
	v_sub_nc_u32_e32 v5, v19, v11
	s_delay_alu instid0(VALU_DEP_1)
	v_lshlrev_b32_e32 v5, 3, v5
	ds_store_b64 v5, v[7:8]
; %bb.120:
	s_wait_alu 0xfffe
	s_or_b32 exec_lo, exec_lo, s0
	v_and_b32_e32 v5, 1, v23
	s_mov_b32 s0, exec_lo
	s_delay_alu instid0(VALU_DEP_1)
	;; [unrolled: 12-line block ×3, first 2 shown]
	v_cmpx_eq_u32_e32 1, v1
; %bb.123:
	v_sub_nc_u32_e32 v1, v15, v11
	s_delay_alu instid0(VALU_DEP_1)
	v_lshlrev_b32_e32 v1, 3, v1
	ds_store_b64 v1, v[3:4]
; %bb.124:
	s_wait_alu 0xfffe
	s_or_b32 exec_lo, exec_lo, s0
	v_mov_b32_e32 v3, 0
	s_mov_b32 s1, exec_lo
	s_wait_storecnt 0x0
	s_wait_loadcnt_dscnt 0x0
	s_barrier_signal -1
	s_barrier_wait -1
	v_mov_b32_e32 v1, v3
	global_inv scope:SCOPE_SE
	v_cmpx_gt_u64_e64 v[9:10], v[0:1]
	s_cbranch_execz .LBB259_127
; %bb.125:
	v_lshlrev_b64_e32 v[4:5], 3, v[11:12]
	s_lshl_b64 s[2:3], s[10:11], 3
	v_or_b32_e32 v2, 0x100, v0
	s_wait_kmcnt 0x0
	s_delay_alu instid0(VALU_DEP_2) | instskip(SKIP_3) | instid1(VALU_DEP_2)
	v_add_co_u32 v4, vcc_lo, s4, v4
	s_wait_alu 0xfffd
	v_add_co_ci_u32_e64 v5, null, s5, v5, vcc_lo
	s_wait_alu 0xfffe
	v_add_co_u32 v6, vcc_lo, v4, s2
	s_wait_alu 0xfffd
	s_delay_alu instid0(VALU_DEP_2)
	v_add_co_ci_u32_e64 v7, null, s3, v5, vcc_lo
	v_dual_mov_b32 v5, v1 :: v_dual_mov_b32 v4, v0
	s_mov_b32 s2, 0
.LBB259_126:                            ; =>This Inner Loop Header: Depth=1
	s_delay_alu instid0(VALU_DEP_1) | instskip(NEXT) | instid1(VALU_DEP_2)
	v_lshlrev_b32_e32 v1, 3, v4
	v_lshlrev_b64_e32 v[15:16], 3, v[4:5]
	v_dual_mov_b32 v5, v3 :: v_dual_mov_b32 v4, v2
	v_cmp_le_u64_e32 vcc_lo, v[9:10], v[2:3]
	ds_load_b64 v[13:14], v1
	v_add_nc_u32_e32 v2, 0x100, v2
	v_add_co_u32 v15, s0, v6, v15
	s_wait_alu 0xf1ff
	v_add_co_ci_u32_e64 v16, null, v7, v16, s0
	s_wait_alu 0xfffe
	s_or_b32 s2, vcc_lo, s2
	s_wait_dscnt 0x0
	global_store_b64 v[15:16], v[13:14], off
	s_wait_alu 0xfffe
	s_and_not1_b32 exec_lo, exec_lo, s2
	s_cbranch_execnz .LBB259_126
.LBB259_127:
	s_wait_alu 0xfffe
	s_or_b32 exec_lo, exec_lo, s1
	v_cmp_eq_u32_e32 vcc_lo, 0, v0
	s_and_b32 s0, vcc_lo, s16
	s_wait_alu 0xfffe
	s_and_saveexec_b32 s1, s0
	s_cbranch_execz .LBB259_106
.LBB259_128:
	v_add_co_u32 v0, vcc_lo, v11, v9
	s_wait_alu 0xfffd
	v_add_co_ci_u32_e64 v1, null, v12, v10, vcc_lo
	v_mov_b32_e32 v2, 0
	s_delay_alu instid0(VALU_DEP_3) | instskip(SKIP_1) | instid1(VALU_DEP_3)
	v_add_co_u32 v0, vcc_lo, v0, s10
	s_wait_alu 0xfffd
	v_add_co_ci_u32_e64 v1, null, s11, v1, vcc_lo
	global_store_b64 v2, v[0:1], s[8:9]
	s_endpgm
.LBB259_129:
	v_lshlrev_b32_e32 v14, 3, v0
	global_load_b64 v[14:15], v14, s[2:3] offset:2048
	s_wait_loadcnt 0x0
	v_cmp_ne_u64_e32 vcc_lo, 0, v[14:15]
	s_wait_alu 0xfffd
	v_cndmask_b32_e64 v14, 0, 1, vcc_lo
	s_delay_alu instid0(VALU_DEP_1) | instskip(NEXT) | instid1(VALU_DEP_1)
	v_lshlrev_b16 v14, 8, v14
	v_or_b32_e32 v12, v12, v14
	s_delay_alu instid0(VALU_DEP_1) | instskip(SKIP_2) | instid1(SALU_CYCLE_1)
	v_and_b32_e32 v12, 0xffff, v12
	s_wait_alu 0xfffe
	s_or_b32 exec_lo, exec_lo, s4
	s_mov_b32 s4, exec_lo
	v_cmpx_gt_u32_e64 s18, v9
	s_cbranch_execz .LBB259_12
.LBB259_130:
	v_lshlrev_b32_e32 v14, 3, v0
	global_load_b64 v[14:15], v14, s[2:3] offset:4096
	s_wait_loadcnt 0x0
	v_cmp_ne_u64_e32 vcc_lo, 0, v[14:15]
	s_wait_alu 0xfffd
	v_cndmask_b32_e64 v14, 0, 1, vcc_lo
	s_delay_alu instid0(VALU_DEP_1) | instskip(SKIP_2) | instid1(SALU_CYCLE_1)
	v_lshl_or_b32 v12, v14, 16, v12
	s_wait_alu 0xfffe
	s_or_b32 exec_lo, exec_lo, s4
	s_mov_b32 s4, exec_lo
	v_cmpx_gt_u32_e64 s18, v10
	s_cbranch_execnz .LBB259_13
	s_branch .LBB259_14
	.section	.rodata,"a",@progbits
	.p2align	6, 0x0
	.amdhsa_kernel _ZN7rocprim17ROCPRIM_400000_NS6detail17trampoline_kernelINS0_14default_configENS1_25partition_config_selectorILNS1_17partition_subalgoE5ElNS0_10empty_typeEbEEZZNS1_14partition_implILS5_5ELb0ES3_mN6hipcub16HIPCUB_304000_NS21CountingInputIteratorIllEEPS6_NSA_22TransformInputIteratorIbN2at6native12_GLOBAL__N_19NonZeroOpIlEEPKllEENS0_5tupleIJPlS6_EEENSN_IJSD_SD_EEES6_PiJS6_EEE10hipError_tPvRmT3_T4_T5_T6_T7_T9_mT8_P12ihipStream_tbDpT10_ENKUlT_T0_E_clISt17integral_constantIbLb0EES1B_EEDaS16_S17_EUlS16_E_NS1_11comp_targetILNS1_3genE10ELNS1_11target_archE1200ELNS1_3gpuE4ELNS1_3repE0EEENS1_30default_config_static_selectorELNS0_4arch9wavefront6targetE0EEEvT1_
		.amdhsa_group_segment_fixed_size 8464
		.amdhsa_private_segment_fixed_size 0
		.amdhsa_kernarg_size 120
		.amdhsa_user_sgpr_count 2
		.amdhsa_user_sgpr_dispatch_ptr 0
		.amdhsa_user_sgpr_queue_ptr 0
		.amdhsa_user_sgpr_kernarg_segment_ptr 1
		.amdhsa_user_sgpr_dispatch_id 0
		.amdhsa_user_sgpr_private_segment_size 0
		.amdhsa_wavefront_size32 1
		.amdhsa_uses_dynamic_stack 0
		.amdhsa_enable_private_segment 0
		.amdhsa_system_sgpr_workgroup_id_x 1
		.amdhsa_system_sgpr_workgroup_id_y 0
		.amdhsa_system_sgpr_workgroup_id_z 0
		.amdhsa_system_sgpr_workgroup_info 0
		.amdhsa_system_vgpr_workitem_id 0
		.amdhsa_next_free_vgpr 46
		.amdhsa_next_free_sgpr 20
		.amdhsa_reserve_vcc 1
		.amdhsa_float_round_mode_32 0
		.amdhsa_float_round_mode_16_64 0
		.amdhsa_float_denorm_mode_32 3
		.amdhsa_float_denorm_mode_16_64 3
		.amdhsa_fp16_overflow 0
		.amdhsa_workgroup_processor_mode 1
		.amdhsa_memory_ordered 1
		.amdhsa_forward_progress 1
		.amdhsa_inst_pref_size 54
		.amdhsa_round_robin_scheduling 0
		.amdhsa_exception_fp_ieee_invalid_op 0
		.amdhsa_exception_fp_denorm_src 0
		.amdhsa_exception_fp_ieee_div_zero 0
		.amdhsa_exception_fp_ieee_overflow 0
		.amdhsa_exception_fp_ieee_underflow 0
		.amdhsa_exception_fp_ieee_inexact 0
		.amdhsa_exception_int_div_zero 0
	.end_amdhsa_kernel
	.section	.text._ZN7rocprim17ROCPRIM_400000_NS6detail17trampoline_kernelINS0_14default_configENS1_25partition_config_selectorILNS1_17partition_subalgoE5ElNS0_10empty_typeEbEEZZNS1_14partition_implILS5_5ELb0ES3_mN6hipcub16HIPCUB_304000_NS21CountingInputIteratorIllEEPS6_NSA_22TransformInputIteratorIbN2at6native12_GLOBAL__N_19NonZeroOpIlEEPKllEENS0_5tupleIJPlS6_EEENSN_IJSD_SD_EEES6_PiJS6_EEE10hipError_tPvRmT3_T4_T5_T6_T7_T9_mT8_P12ihipStream_tbDpT10_ENKUlT_T0_E_clISt17integral_constantIbLb0EES1B_EEDaS16_S17_EUlS16_E_NS1_11comp_targetILNS1_3genE10ELNS1_11target_archE1200ELNS1_3gpuE4ELNS1_3repE0EEENS1_30default_config_static_selectorELNS0_4arch9wavefront6targetE0EEEvT1_,"axG",@progbits,_ZN7rocprim17ROCPRIM_400000_NS6detail17trampoline_kernelINS0_14default_configENS1_25partition_config_selectorILNS1_17partition_subalgoE5ElNS0_10empty_typeEbEEZZNS1_14partition_implILS5_5ELb0ES3_mN6hipcub16HIPCUB_304000_NS21CountingInputIteratorIllEEPS6_NSA_22TransformInputIteratorIbN2at6native12_GLOBAL__N_19NonZeroOpIlEEPKllEENS0_5tupleIJPlS6_EEENSN_IJSD_SD_EEES6_PiJS6_EEE10hipError_tPvRmT3_T4_T5_T6_T7_T9_mT8_P12ihipStream_tbDpT10_ENKUlT_T0_E_clISt17integral_constantIbLb0EES1B_EEDaS16_S17_EUlS16_E_NS1_11comp_targetILNS1_3genE10ELNS1_11target_archE1200ELNS1_3gpuE4ELNS1_3repE0EEENS1_30default_config_static_selectorELNS0_4arch9wavefront6targetE0EEEvT1_,comdat
.Lfunc_end259:
	.size	_ZN7rocprim17ROCPRIM_400000_NS6detail17trampoline_kernelINS0_14default_configENS1_25partition_config_selectorILNS1_17partition_subalgoE5ElNS0_10empty_typeEbEEZZNS1_14partition_implILS5_5ELb0ES3_mN6hipcub16HIPCUB_304000_NS21CountingInputIteratorIllEEPS6_NSA_22TransformInputIteratorIbN2at6native12_GLOBAL__N_19NonZeroOpIlEEPKllEENS0_5tupleIJPlS6_EEENSN_IJSD_SD_EEES6_PiJS6_EEE10hipError_tPvRmT3_T4_T5_T6_T7_T9_mT8_P12ihipStream_tbDpT10_ENKUlT_T0_E_clISt17integral_constantIbLb0EES1B_EEDaS16_S17_EUlS16_E_NS1_11comp_targetILNS1_3genE10ELNS1_11target_archE1200ELNS1_3gpuE4ELNS1_3repE0EEENS1_30default_config_static_selectorELNS0_4arch9wavefront6targetE0EEEvT1_, .Lfunc_end259-_ZN7rocprim17ROCPRIM_400000_NS6detail17trampoline_kernelINS0_14default_configENS1_25partition_config_selectorILNS1_17partition_subalgoE5ElNS0_10empty_typeEbEEZZNS1_14partition_implILS5_5ELb0ES3_mN6hipcub16HIPCUB_304000_NS21CountingInputIteratorIllEEPS6_NSA_22TransformInputIteratorIbN2at6native12_GLOBAL__N_19NonZeroOpIlEEPKllEENS0_5tupleIJPlS6_EEENSN_IJSD_SD_EEES6_PiJS6_EEE10hipError_tPvRmT3_T4_T5_T6_T7_T9_mT8_P12ihipStream_tbDpT10_ENKUlT_T0_E_clISt17integral_constantIbLb0EES1B_EEDaS16_S17_EUlS16_E_NS1_11comp_targetILNS1_3genE10ELNS1_11target_archE1200ELNS1_3gpuE4ELNS1_3repE0EEENS1_30default_config_static_selectorELNS0_4arch9wavefront6targetE0EEEvT1_
                                        ; -- End function
	.set _ZN7rocprim17ROCPRIM_400000_NS6detail17trampoline_kernelINS0_14default_configENS1_25partition_config_selectorILNS1_17partition_subalgoE5ElNS0_10empty_typeEbEEZZNS1_14partition_implILS5_5ELb0ES3_mN6hipcub16HIPCUB_304000_NS21CountingInputIteratorIllEEPS6_NSA_22TransformInputIteratorIbN2at6native12_GLOBAL__N_19NonZeroOpIlEEPKllEENS0_5tupleIJPlS6_EEENSN_IJSD_SD_EEES6_PiJS6_EEE10hipError_tPvRmT3_T4_T5_T6_T7_T9_mT8_P12ihipStream_tbDpT10_ENKUlT_T0_E_clISt17integral_constantIbLb0EES1B_EEDaS16_S17_EUlS16_E_NS1_11comp_targetILNS1_3genE10ELNS1_11target_archE1200ELNS1_3gpuE4ELNS1_3repE0EEENS1_30default_config_static_selectorELNS0_4arch9wavefront6targetE0EEEvT1_.num_vgpr, 46
	.set _ZN7rocprim17ROCPRIM_400000_NS6detail17trampoline_kernelINS0_14default_configENS1_25partition_config_selectorILNS1_17partition_subalgoE5ElNS0_10empty_typeEbEEZZNS1_14partition_implILS5_5ELb0ES3_mN6hipcub16HIPCUB_304000_NS21CountingInputIteratorIllEEPS6_NSA_22TransformInputIteratorIbN2at6native12_GLOBAL__N_19NonZeroOpIlEEPKllEENS0_5tupleIJPlS6_EEENSN_IJSD_SD_EEES6_PiJS6_EEE10hipError_tPvRmT3_T4_T5_T6_T7_T9_mT8_P12ihipStream_tbDpT10_ENKUlT_T0_E_clISt17integral_constantIbLb0EES1B_EEDaS16_S17_EUlS16_E_NS1_11comp_targetILNS1_3genE10ELNS1_11target_archE1200ELNS1_3gpuE4ELNS1_3repE0EEENS1_30default_config_static_selectorELNS0_4arch9wavefront6targetE0EEEvT1_.num_agpr, 0
	.set _ZN7rocprim17ROCPRIM_400000_NS6detail17trampoline_kernelINS0_14default_configENS1_25partition_config_selectorILNS1_17partition_subalgoE5ElNS0_10empty_typeEbEEZZNS1_14partition_implILS5_5ELb0ES3_mN6hipcub16HIPCUB_304000_NS21CountingInputIteratorIllEEPS6_NSA_22TransformInputIteratorIbN2at6native12_GLOBAL__N_19NonZeroOpIlEEPKllEENS0_5tupleIJPlS6_EEENSN_IJSD_SD_EEES6_PiJS6_EEE10hipError_tPvRmT3_T4_T5_T6_T7_T9_mT8_P12ihipStream_tbDpT10_ENKUlT_T0_E_clISt17integral_constantIbLb0EES1B_EEDaS16_S17_EUlS16_E_NS1_11comp_targetILNS1_3genE10ELNS1_11target_archE1200ELNS1_3gpuE4ELNS1_3repE0EEENS1_30default_config_static_selectorELNS0_4arch9wavefront6targetE0EEEvT1_.numbered_sgpr, 20
	.set _ZN7rocprim17ROCPRIM_400000_NS6detail17trampoline_kernelINS0_14default_configENS1_25partition_config_selectorILNS1_17partition_subalgoE5ElNS0_10empty_typeEbEEZZNS1_14partition_implILS5_5ELb0ES3_mN6hipcub16HIPCUB_304000_NS21CountingInputIteratorIllEEPS6_NSA_22TransformInputIteratorIbN2at6native12_GLOBAL__N_19NonZeroOpIlEEPKllEENS0_5tupleIJPlS6_EEENSN_IJSD_SD_EEES6_PiJS6_EEE10hipError_tPvRmT3_T4_T5_T6_T7_T9_mT8_P12ihipStream_tbDpT10_ENKUlT_T0_E_clISt17integral_constantIbLb0EES1B_EEDaS16_S17_EUlS16_E_NS1_11comp_targetILNS1_3genE10ELNS1_11target_archE1200ELNS1_3gpuE4ELNS1_3repE0EEENS1_30default_config_static_selectorELNS0_4arch9wavefront6targetE0EEEvT1_.num_named_barrier, 0
	.set _ZN7rocprim17ROCPRIM_400000_NS6detail17trampoline_kernelINS0_14default_configENS1_25partition_config_selectorILNS1_17partition_subalgoE5ElNS0_10empty_typeEbEEZZNS1_14partition_implILS5_5ELb0ES3_mN6hipcub16HIPCUB_304000_NS21CountingInputIteratorIllEEPS6_NSA_22TransformInputIteratorIbN2at6native12_GLOBAL__N_19NonZeroOpIlEEPKllEENS0_5tupleIJPlS6_EEENSN_IJSD_SD_EEES6_PiJS6_EEE10hipError_tPvRmT3_T4_T5_T6_T7_T9_mT8_P12ihipStream_tbDpT10_ENKUlT_T0_E_clISt17integral_constantIbLb0EES1B_EEDaS16_S17_EUlS16_E_NS1_11comp_targetILNS1_3genE10ELNS1_11target_archE1200ELNS1_3gpuE4ELNS1_3repE0EEENS1_30default_config_static_selectorELNS0_4arch9wavefront6targetE0EEEvT1_.private_seg_size, 0
	.set _ZN7rocprim17ROCPRIM_400000_NS6detail17trampoline_kernelINS0_14default_configENS1_25partition_config_selectorILNS1_17partition_subalgoE5ElNS0_10empty_typeEbEEZZNS1_14partition_implILS5_5ELb0ES3_mN6hipcub16HIPCUB_304000_NS21CountingInputIteratorIllEEPS6_NSA_22TransformInputIteratorIbN2at6native12_GLOBAL__N_19NonZeroOpIlEEPKllEENS0_5tupleIJPlS6_EEENSN_IJSD_SD_EEES6_PiJS6_EEE10hipError_tPvRmT3_T4_T5_T6_T7_T9_mT8_P12ihipStream_tbDpT10_ENKUlT_T0_E_clISt17integral_constantIbLb0EES1B_EEDaS16_S17_EUlS16_E_NS1_11comp_targetILNS1_3genE10ELNS1_11target_archE1200ELNS1_3gpuE4ELNS1_3repE0EEENS1_30default_config_static_selectorELNS0_4arch9wavefront6targetE0EEEvT1_.uses_vcc, 1
	.set _ZN7rocprim17ROCPRIM_400000_NS6detail17trampoline_kernelINS0_14default_configENS1_25partition_config_selectorILNS1_17partition_subalgoE5ElNS0_10empty_typeEbEEZZNS1_14partition_implILS5_5ELb0ES3_mN6hipcub16HIPCUB_304000_NS21CountingInputIteratorIllEEPS6_NSA_22TransformInputIteratorIbN2at6native12_GLOBAL__N_19NonZeroOpIlEEPKllEENS0_5tupleIJPlS6_EEENSN_IJSD_SD_EEES6_PiJS6_EEE10hipError_tPvRmT3_T4_T5_T6_T7_T9_mT8_P12ihipStream_tbDpT10_ENKUlT_T0_E_clISt17integral_constantIbLb0EES1B_EEDaS16_S17_EUlS16_E_NS1_11comp_targetILNS1_3genE10ELNS1_11target_archE1200ELNS1_3gpuE4ELNS1_3repE0EEENS1_30default_config_static_selectorELNS0_4arch9wavefront6targetE0EEEvT1_.uses_flat_scratch, 0
	.set _ZN7rocprim17ROCPRIM_400000_NS6detail17trampoline_kernelINS0_14default_configENS1_25partition_config_selectorILNS1_17partition_subalgoE5ElNS0_10empty_typeEbEEZZNS1_14partition_implILS5_5ELb0ES3_mN6hipcub16HIPCUB_304000_NS21CountingInputIteratorIllEEPS6_NSA_22TransformInputIteratorIbN2at6native12_GLOBAL__N_19NonZeroOpIlEEPKllEENS0_5tupleIJPlS6_EEENSN_IJSD_SD_EEES6_PiJS6_EEE10hipError_tPvRmT3_T4_T5_T6_T7_T9_mT8_P12ihipStream_tbDpT10_ENKUlT_T0_E_clISt17integral_constantIbLb0EES1B_EEDaS16_S17_EUlS16_E_NS1_11comp_targetILNS1_3genE10ELNS1_11target_archE1200ELNS1_3gpuE4ELNS1_3repE0EEENS1_30default_config_static_selectorELNS0_4arch9wavefront6targetE0EEEvT1_.has_dyn_sized_stack, 0
	.set _ZN7rocprim17ROCPRIM_400000_NS6detail17trampoline_kernelINS0_14default_configENS1_25partition_config_selectorILNS1_17partition_subalgoE5ElNS0_10empty_typeEbEEZZNS1_14partition_implILS5_5ELb0ES3_mN6hipcub16HIPCUB_304000_NS21CountingInputIteratorIllEEPS6_NSA_22TransformInputIteratorIbN2at6native12_GLOBAL__N_19NonZeroOpIlEEPKllEENS0_5tupleIJPlS6_EEENSN_IJSD_SD_EEES6_PiJS6_EEE10hipError_tPvRmT3_T4_T5_T6_T7_T9_mT8_P12ihipStream_tbDpT10_ENKUlT_T0_E_clISt17integral_constantIbLb0EES1B_EEDaS16_S17_EUlS16_E_NS1_11comp_targetILNS1_3genE10ELNS1_11target_archE1200ELNS1_3gpuE4ELNS1_3repE0EEENS1_30default_config_static_selectorELNS0_4arch9wavefront6targetE0EEEvT1_.has_recursion, 0
	.set _ZN7rocprim17ROCPRIM_400000_NS6detail17trampoline_kernelINS0_14default_configENS1_25partition_config_selectorILNS1_17partition_subalgoE5ElNS0_10empty_typeEbEEZZNS1_14partition_implILS5_5ELb0ES3_mN6hipcub16HIPCUB_304000_NS21CountingInputIteratorIllEEPS6_NSA_22TransformInputIteratorIbN2at6native12_GLOBAL__N_19NonZeroOpIlEEPKllEENS0_5tupleIJPlS6_EEENSN_IJSD_SD_EEES6_PiJS6_EEE10hipError_tPvRmT3_T4_T5_T6_T7_T9_mT8_P12ihipStream_tbDpT10_ENKUlT_T0_E_clISt17integral_constantIbLb0EES1B_EEDaS16_S17_EUlS16_E_NS1_11comp_targetILNS1_3genE10ELNS1_11target_archE1200ELNS1_3gpuE4ELNS1_3repE0EEENS1_30default_config_static_selectorELNS0_4arch9wavefront6targetE0EEEvT1_.has_indirect_call, 0
	.section	.AMDGPU.csdata,"",@progbits
; Kernel info:
; codeLenInByte = 6824
; TotalNumSgprs: 22
; NumVgprs: 46
; ScratchSize: 0
; MemoryBound: 0
; FloatMode: 240
; IeeeMode: 1
; LDSByteSize: 8464 bytes/workgroup (compile time only)
; SGPRBlocks: 0
; VGPRBlocks: 5
; NumSGPRsForWavesPerEU: 22
; NumVGPRsForWavesPerEU: 46
; Occupancy: 16
; WaveLimiterHint : 1
; COMPUTE_PGM_RSRC2:SCRATCH_EN: 0
; COMPUTE_PGM_RSRC2:USER_SGPR: 2
; COMPUTE_PGM_RSRC2:TRAP_HANDLER: 0
; COMPUTE_PGM_RSRC2:TGID_X_EN: 1
; COMPUTE_PGM_RSRC2:TGID_Y_EN: 0
; COMPUTE_PGM_RSRC2:TGID_Z_EN: 0
; COMPUTE_PGM_RSRC2:TIDIG_COMP_CNT: 0
	.section	.text._ZN7rocprim17ROCPRIM_400000_NS6detail17trampoline_kernelINS0_14default_configENS1_25partition_config_selectorILNS1_17partition_subalgoE5ElNS0_10empty_typeEbEEZZNS1_14partition_implILS5_5ELb0ES3_mN6hipcub16HIPCUB_304000_NS21CountingInputIteratorIllEEPS6_NSA_22TransformInputIteratorIbN2at6native12_GLOBAL__N_19NonZeroOpIlEEPKllEENS0_5tupleIJPlS6_EEENSN_IJSD_SD_EEES6_PiJS6_EEE10hipError_tPvRmT3_T4_T5_T6_T7_T9_mT8_P12ihipStream_tbDpT10_ENKUlT_T0_E_clISt17integral_constantIbLb0EES1B_EEDaS16_S17_EUlS16_E_NS1_11comp_targetILNS1_3genE9ELNS1_11target_archE1100ELNS1_3gpuE3ELNS1_3repE0EEENS1_30default_config_static_selectorELNS0_4arch9wavefront6targetE0EEEvT1_,"axG",@progbits,_ZN7rocprim17ROCPRIM_400000_NS6detail17trampoline_kernelINS0_14default_configENS1_25partition_config_selectorILNS1_17partition_subalgoE5ElNS0_10empty_typeEbEEZZNS1_14partition_implILS5_5ELb0ES3_mN6hipcub16HIPCUB_304000_NS21CountingInputIteratorIllEEPS6_NSA_22TransformInputIteratorIbN2at6native12_GLOBAL__N_19NonZeroOpIlEEPKllEENS0_5tupleIJPlS6_EEENSN_IJSD_SD_EEES6_PiJS6_EEE10hipError_tPvRmT3_T4_T5_T6_T7_T9_mT8_P12ihipStream_tbDpT10_ENKUlT_T0_E_clISt17integral_constantIbLb0EES1B_EEDaS16_S17_EUlS16_E_NS1_11comp_targetILNS1_3genE9ELNS1_11target_archE1100ELNS1_3gpuE3ELNS1_3repE0EEENS1_30default_config_static_selectorELNS0_4arch9wavefront6targetE0EEEvT1_,comdat
	.globl	_ZN7rocprim17ROCPRIM_400000_NS6detail17trampoline_kernelINS0_14default_configENS1_25partition_config_selectorILNS1_17partition_subalgoE5ElNS0_10empty_typeEbEEZZNS1_14partition_implILS5_5ELb0ES3_mN6hipcub16HIPCUB_304000_NS21CountingInputIteratorIllEEPS6_NSA_22TransformInputIteratorIbN2at6native12_GLOBAL__N_19NonZeroOpIlEEPKllEENS0_5tupleIJPlS6_EEENSN_IJSD_SD_EEES6_PiJS6_EEE10hipError_tPvRmT3_T4_T5_T6_T7_T9_mT8_P12ihipStream_tbDpT10_ENKUlT_T0_E_clISt17integral_constantIbLb0EES1B_EEDaS16_S17_EUlS16_E_NS1_11comp_targetILNS1_3genE9ELNS1_11target_archE1100ELNS1_3gpuE3ELNS1_3repE0EEENS1_30default_config_static_selectorELNS0_4arch9wavefront6targetE0EEEvT1_ ; -- Begin function _ZN7rocprim17ROCPRIM_400000_NS6detail17trampoline_kernelINS0_14default_configENS1_25partition_config_selectorILNS1_17partition_subalgoE5ElNS0_10empty_typeEbEEZZNS1_14partition_implILS5_5ELb0ES3_mN6hipcub16HIPCUB_304000_NS21CountingInputIteratorIllEEPS6_NSA_22TransformInputIteratorIbN2at6native12_GLOBAL__N_19NonZeroOpIlEEPKllEENS0_5tupleIJPlS6_EEENSN_IJSD_SD_EEES6_PiJS6_EEE10hipError_tPvRmT3_T4_T5_T6_T7_T9_mT8_P12ihipStream_tbDpT10_ENKUlT_T0_E_clISt17integral_constantIbLb0EES1B_EEDaS16_S17_EUlS16_E_NS1_11comp_targetILNS1_3genE9ELNS1_11target_archE1100ELNS1_3gpuE3ELNS1_3repE0EEENS1_30default_config_static_selectorELNS0_4arch9wavefront6targetE0EEEvT1_
	.p2align	8
	.type	_ZN7rocprim17ROCPRIM_400000_NS6detail17trampoline_kernelINS0_14default_configENS1_25partition_config_selectorILNS1_17partition_subalgoE5ElNS0_10empty_typeEbEEZZNS1_14partition_implILS5_5ELb0ES3_mN6hipcub16HIPCUB_304000_NS21CountingInputIteratorIllEEPS6_NSA_22TransformInputIteratorIbN2at6native12_GLOBAL__N_19NonZeroOpIlEEPKllEENS0_5tupleIJPlS6_EEENSN_IJSD_SD_EEES6_PiJS6_EEE10hipError_tPvRmT3_T4_T5_T6_T7_T9_mT8_P12ihipStream_tbDpT10_ENKUlT_T0_E_clISt17integral_constantIbLb0EES1B_EEDaS16_S17_EUlS16_E_NS1_11comp_targetILNS1_3genE9ELNS1_11target_archE1100ELNS1_3gpuE3ELNS1_3repE0EEENS1_30default_config_static_selectorELNS0_4arch9wavefront6targetE0EEEvT1_,@function
_ZN7rocprim17ROCPRIM_400000_NS6detail17trampoline_kernelINS0_14default_configENS1_25partition_config_selectorILNS1_17partition_subalgoE5ElNS0_10empty_typeEbEEZZNS1_14partition_implILS5_5ELb0ES3_mN6hipcub16HIPCUB_304000_NS21CountingInputIteratorIllEEPS6_NSA_22TransformInputIteratorIbN2at6native12_GLOBAL__N_19NonZeroOpIlEEPKllEENS0_5tupleIJPlS6_EEENSN_IJSD_SD_EEES6_PiJS6_EEE10hipError_tPvRmT3_T4_T5_T6_T7_T9_mT8_P12ihipStream_tbDpT10_ENKUlT_T0_E_clISt17integral_constantIbLb0EES1B_EEDaS16_S17_EUlS16_E_NS1_11comp_targetILNS1_3genE9ELNS1_11target_archE1100ELNS1_3gpuE3ELNS1_3repE0EEENS1_30default_config_static_selectorELNS0_4arch9wavefront6targetE0EEEvT1_: ; @_ZN7rocprim17ROCPRIM_400000_NS6detail17trampoline_kernelINS0_14default_configENS1_25partition_config_selectorILNS1_17partition_subalgoE5ElNS0_10empty_typeEbEEZZNS1_14partition_implILS5_5ELb0ES3_mN6hipcub16HIPCUB_304000_NS21CountingInputIteratorIllEEPS6_NSA_22TransformInputIteratorIbN2at6native12_GLOBAL__N_19NonZeroOpIlEEPKllEENS0_5tupleIJPlS6_EEENSN_IJSD_SD_EEES6_PiJS6_EEE10hipError_tPvRmT3_T4_T5_T6_T7_T9_mT8_P12ihipStream_tbDpT10_ENKUlT_T0_E_clISt17integral_constantIbLb0EES1B_EEDaS16_S17_EUlS16_E_NS1_11comp_targetILNS1_3genE9ELNS1_11target_archE1100ELNS1_3gpuE3ELNS1_3repE0EEENS1_30default_config_static_selectorELNS0_4arch9wavefront6targetE0EEEvT1_
; %bb.0:
	.section	.rodata,"a",@progbits
	.p2align	6, 0x0
	.amdhsa_kernel _ZN7rocprim17ROCPRIM_400000_NS6detail17trampoline_kernelINS0_14default_configENS1_25partition_config_selectorILNS1_17partition_subalgoE5ElNS0_10empty_typeEbEEZZNS1_14partition_implILS5_5ELb0ES3_mN6hipcub16HIPCUB_304000_NS21CountingInputIteratorIllEEPS6_NSA_22TransformInputIteratorIbN2at6native12_GLOBAL__N_19NonZeroOpIlEEPKllEENS0_5tupleIJPlS6_EEENSN_IJSD_SD_EEES6_PiJS6_EEE10hipError_tPvRmT3_T4_T5_T6_T7_T9_mT8_P12ihipStream_tbDpT10_ENKUlT_T0_E_clISt17integral_constantIbLb0EES1B_EEDaS16_S17_EUlS16_E_NS1_11comp_targetILNS1_3genE9ELNS1_11target_archE1100ELNS1_3gpuE3ELNS1_3repE0EEENS1_30default_config_static_selectorELNS0_4arch9wavefront6targetE0EEEvT1_
		.amdhsa_group_segment_fixed_size 0
		.amdhsa_private_segment_fixed_size 0
		.amdhsa_kernarg_size 120
		.amdhsa_user_sgpr_count 2
		.amdhsa_user_sgpr_dispatch_ptr 0
		.amdhsa_user_sgpr_queue_ptr 0
		.amdhsa_user_sgpr_kernarg_segment_ptr 1
		.amdhsa_user_sgpr_dispatch_id 0
		.amdhsa_user_sgpr_private_segment_size 0
		.amdhsa_wavefront_size32 1
		.amdhsa_uses_dynamic_stack 0
		.amdhsa_enable_private_segment 0
		.amdhsa_system_sgpr_workgroup_id_x 1
		.amdhsa_system_sgpr_workgroup_id_y 0
		.amdhsa_system_sgpr_workgroup_id_z 0
		.amdhsa_system_sgpr_workgroup_info 0
		.amdhsa_system_vgpr_workitem_id 0
		.amdhsa_next_free_vgpr 1
		.amdhsa_next_free_sgpr 1
		.amdhsa_reserve_vcc 0
		.amdhsa_float_round_mode_32 0
		.amdhsa_float_round_mode_16_64 0
		.amdhsa_float_denorm_mode_32 3
		.amdhsa_float_denorm_mode_16_64 3
		.amdhsa_fp16_overflow 0
		.amdhsa_workgroup_processor_mode 1
		.amdhsa_memory_ordered 1
		.amdhsa_forward_progress 1
		.amdhsa_inst_pref_size 0
		.amdhsa_round_robin_scheduling 0
		.amdhsa_exception_fp_ieee_invalid_op 0
		.amdhsa_exception_fp_denorm_src 0
		.amdhsa_exception_fp_ieee_div_zero 0
		.amdhsa_exception_fp_ieee_overflow 0
		.amdhsa_exception_fp_ieee_underflow 0
		.amdhsa_exception_fp_ieee_inexact 0
		.amdhsa_exception_int_div_zero 0
	.end_amdhsa_kernel
	.section	.text._ZN7rocprim17ROCPRIM_400000_NS6detail17trampoline_kernelINS0_14default_configENS1_25partition_config_selectorILNS1_17partition_subalgoE5ElNS0_10empty_typeEbEEZZNS1_14partition_implILS5_5ELb0ES3_mN6hipcub16HIPCUB_304000_NS21CountingInputIteratorIllEEPS6_NSA_22TransformInputIteratorIbN2at6native12_GLOBAL__N_19NonZeroOpIlEEPKllEENS0_5tupleIJPlS6_EEENSN_IJSD_SD_EEES6_PiJS6_EEE10hipError_tPvRmT3_T4_T5_T6_T7_T9_mT8_P12ihipStream_tbDpT10_ENKUlT_T0_E_clISt17integral_constantIbLb0EES1B_EEDaS16_S17_EUlS16_E_NS1_11comp_targetILNS1_3genE9ELNS1_11target_archE1100ELNS1_3gpuE3ELNS1_3repE0EEENS1_30default_config_static_selectorELNS0_4arch9wavefront6targetE0EEEvT1_,"axG",@progbits,_ZN7rocprim17ROCPRIM_400000_NS6detail17trampoline_kernelINS0_14default_configENS1_25partition_config_selectorILNS1_17partition_subalgoE5ElNS0_10empty_typeEbEEZZNS1_14partition_implILS5_5ELb0ES3_mN6hipcub16HIPCUB_304000_NS21CountingInputIteratorIllEEPS6_NSA_22TransformInputIteratorIbN2at6native12_GLOBAL__N_19NonZeroOpIlEEPKllEENS0_5tupleIJPlS6_EEENSN_IJSD_SD_EEES6_PiJS6_EEE10hipError_tPvRmT3_T4_T5_T6_T7_T9_mT8_P12ihipStream_tbDpT10_ENKUlT_T0_E_clISt17integral_constantIbLb0EES1B_EEDaS16_S17_EUlS16_E_NS1_11comp_targetILNS1_3genE9ELNS1_11target_archE1100ELNS1_3gpuE3ELNS1_3repE0EEENS1_30default_config_static_selectorELNS0_4arch9wavefront6targetE0EEEvT1_,comdat
.Lfunc_end260:
	.size	_ZN7rocprim17ROCPRIM_400000_NS6detail17trampoline_kernelINS0_14default_configENS1_25partition_config_selectorILNS1_17partition_subalgoE5ElNS0_10empty_typeEbEEZZNS1_14partition_implILS5_5ELb0ES3_mN6hipcub16HIPCUB_304000_NS21CountingInputIteratorIllEEPS6_NSA_22TransformInputIteratorIbN2at6native12_GLOBAL__N_19NonZeroOpIlEEPKllEENS0_5tupleIJPlS6_EEENSN_IJSD_SD_EEES6_PiJS6_EEE10hipError_tPvRmT3_T4_T5_T6_T7_T9_mT8_P12ihipStream_tbDpT10_ENKUlT_T0_E_clISt17integral_constantIbLb0EES1B_EEDaS16_S17_EUlS16_E_NS1_11comp_targetILNS1_3genE9ELNS1_11target_archE1100ELNS1_3gpuE3ELNS1_3repE0EEENS1_30default_config_static_selectorELNS0_4arch9wavefront6targetE0EEEvT1_, .Lfunc_end260-_ZN7rocprim17ROCPRIM_400000_NS6detail17trampoline_kernelINS0_14default_configENS1_25partition_config_selectorILNS1_17partition_subalgoE5ElNS0_10empty_typeEbEEZZNS1_14partition_implILS5_5ELb0ES3_mN6hipcub16HIPCUB_304000_NS21CountingInputIteratorIllEEPS6_NSA_22TransformInputIteratorIbN2at6native12_GLOBAL__N_19NonZeroOpIlEEPKllEENS0_5tupleIJPlS6_EEENSN_IJSD_SD_EEES6_PiJS6_EEE10hipError_tPvRmT3_T4_T5_T6_T7_T9_mT8_P12ihipStream_tbDpT10_ENKUlT_T0_E_clISt17integral_constantIbLb0EES1B_EEDaS16_S17_EUlS16_E_NS1_11comp_targetILNS1_3genE9ELNS1_11target_archE1100ELNS1_3gpuE3ELNS1_3repE0EEENS1_30default_config_static_selectorELNS0_4arch9wavefront6targetE0EEEvT1_
                                        ; -- End function
	.set _ZN7rocprim17ROCPRIM_400000_NS6detail17trampoline_kernelINS0_14default_configENS1_25partition_config_selectorILNS1_17partition_subalgoE5ElNS0_10empty_typeEbEEZZNS1_14partition_implILS5_5ELb0ES3_mN6hipcub16HIPCUB_304000_NS21CountingInputIteratorIllEEPS6_NSA_22TransformInputIteratorIbN2at6native12_GLOBAL__N_19NonZeroOpIlEEPKllEENS0_5tupleIJPlS6_EEENSN_IJSD_SD_EEES6_PiJS6_EEE10hipError_tPvRmT3_T4_T5_T6_T7_T9_mT8_P12ihipStream_tbDpT10_ENKUlT_T0_E_clISt17integral_constantIbLb0EES1B_EEDaS16_S17_EUlS16_E_NS1_11comp_targetILNS1_3genE9ELNS1_11target_archE1100ELNS1_3gpuE3ELNS1_3repE0EEENS1_30default_config_static_selectorELNS0_4arch9wavefront6targetE0EEEvT1_.num_vgpr, 0
	.set _ZN7rocprim17ROCPRIM_400000_NS6detail17trampoline_kernelINS0_14default_configENS1_25partition_config_selectorILNS1_17partition_subalgoE5ElNS0_10empty_typeEbEEZZNS1_14partition_implILS5_5ELb0ES3_mN6hipcub16HIPCUB_304000_NS21CountingInputIteratorIllEEPS6_NSA_22TransformInputIteratorIbN2at6native12_GLOBAL__N_19NonZeroOpIlEEPKllEENS0_5tupleIJPlS6_EEENSN_IJSD_SD_EEES6_PiJS6_EEE10hipError_tPvRmT3_T4_T5_T6_T7_T9_mT8_P12ihipStream_tbDpT10_ENKUlT_T0_E_clISt17integral_constantIbLb0EES1B_EEDaS16_S17_EUlS16_E_NS1_11comp_targetILNS1_3genE9ELNS1_11target_archE1100ELNS1_3gpuE3ELNS1_3repE0EEENS1_30default_config_static_selectorELNS0_4arch9wavefront6targetE0EEEvT1_.num_agpr, 0
	.set _ZN7rocprim17ROCPRIM_400000_NS6detail17trampoline_kernelINS0_14default_configENS1_25partition_config_selectorILNS1_17partition_subalgoE5ElNS0_10empty_typeEbEEZZNS1_14partition_implILS5_5ELb0ES3_mN6hipcub16HIPCUB_304000_NS21CountingInputIteratorIllEEPS6_NSA_22TransformInputIteratorIbN2at6native12_GLOBAL__N_19NonZeroOpIlEEPKllEENS0_5tupleIJPlS6_EEENSN_IJSD_SD_EEES6_PiJS6_EEE10hipError_tPvRmT3_T4_T5_T6_T7_T9_mT8_P12ihipStream_tbDpT10_ENKUlT_T0_E_clISt17integral_constantIbLb0EES1B_EEDaS16_S17_EUlS16_E_NS1_11comp_targetILNS1_3genE9ELNS1_11target_archE1100ELNS1_3gpuE3ELNS1_3repE0EEENS1_30default_config_static_selectorELNS0_4arch9wavefront6targetE0EEEvT1_.numbered_sgpr, 0
	.set _ZN7rocprim17ROCPRIM_400000_NS6detail17trampoline_kernelINS0_14default_configENS1_25partition_config_selectorILNS1_17partition_subalgoE5ElNS0_10empty_typeEbEEZZNS1_14partition_implILS5_5ELb0ES3_mN6hipcub16HIPCUB_304000_NS21CountingInputIteratorIllEEPS6_NSA_22TransformInputIteratorIbN2at6native12_GLOBAL__N_19NonZeroOpIlEEPKllEENS0_5tupleIJPlS6_EEENSN_IJSD_SD_EEES6_PiJS6_EEE10hipError_tPvRmT3_T4_T5_T6_T7_T9_mT8_P12ihipStream_tbDpT10_ENKUlT_T0_E_clISt17integral_constantIbLb0EES1B_EEDaS16_S17_EUlS16_E_NS1_11comp_targetILNS1_3genE9ELNS1_11target_archE1100ELNS1_3gpuE3ELNS1_3repE0EEENS1_30default_config_static_selectorELNS0_4arch9wavefront6targetE0EEEvT1_.num_named_barrier, 0
	.set _ZN7rocprim17ROCPRIM_400000_NS6detail17trampoline_kernelINS0_14default_configENS1_25partition_config_selectorILNS1_17partition_subalgoE5ElNS0_10empty_typeEbEEZZNS1_14partition_implILS5_5ELb0ES3_mN6hipcub16HIPCUB_304000_NS21CountingInputIteratorIllEEPS6_NSA_22TransformInputIteratorIbN2at6native12_GLOBAL__N_19NonZeroOpIlEEPKllEENS0_5tupleIJPlS6_EEENSN_IJSD_SD_EEES6_PiJS6_EEE10hipError_tPvRmT3_T4_T5_T6_T7_T9_mT8_P12ihipStream_tbDpT10_ENKUlT_T0_E_clISt17integral_constantIbLb0EES1B_EEDaS16_S17_EUlS16_E_NS1_11comp_targetILNS1_3genE9ELNS1_11target_archE1100ELNS1_3gpuE3ELNS1_3repE0EEENS1_30default_config_static_selectorELNS0_4arch9wavefront6targetE0EEEvT1_.private_seg_size, 0
	.set _ZN7rocprim17ROCPRIM_400000_NS6detail17trampoline_kernelINS0_14default_configENS1_25partition_config_selectorILNS1_17partition_subalgoE5ElNS0_10empty_typeEbEEZZNS1_14partition_implILS5_5ELb0ES3_mN6hipcub16HIPCUB_304000_NS21CountingInputIteratorIllEEPS6_NSA_22TransformInputIteratorIbN2at6native12_GLOBAL__N_19NonZeroOpIlEEPKllEENS0_5tupleIJPlS6_EEENSN_IJSD_SD_EEES6_PiJS6_EEE10hipError_tPvRmT3_T4_T5_T6_T7_T9_mT8_P12ihipStream_tbDpT10_ENKUlT_T0_E_clISt17integral_constantIbLb0EES1B_EEDaS16_S17_EUlS16_E_NS1_11comp_targetILNS1_3genE9ELNS1_11target_archE1100ELNS1_3gpuE3ELNS1_3repE0EEENS1_30default_config_static_selectorELNS0_4arch9wavefront6targetE0EEEvT1_.uses_vcc, 0
	.set _ZN7rocprim17ROCPRIM_400000_NS6detail17trampoline_kernelINS0_14default_configENS1_25partition_config_selectorILNS1_17partition_subalgoE5ElNS0_10empty_typeEbEEZZNS1_14partition_implILS5_5ELb0ES3_mN6hipcub16HIPCUB_304000_NS21CountingInputIteratorIllEEPS6_NSA_22TransformInputIteratorIbN2at6native12_GLOBAL__N_19NonZeroOpIlEEPKllEENS0_5tupleIJPlS6_EEENSN_IJSD_SD_EEES6_PiJS6_EEE10hipError_tPvRmT3_T4_T5_T6_T7_T9_mT8_P12ihipStream_tbDpT10_ENKUlT_T0_E_clISt17integral_constantIbLb0EES1B_EEDaS16_S17_EUlS16_E_NS1_11comp_targetILNS1_3genE9ELNS1_11target_archE1100ELNS1_3gpuE3ELNS1_3repE0EEENS1_30default_config_static_selectorELNS0_4arch9wavefront6targetE0EEEvT1_.uses_flat_scratch, 0
	.set _ZN7rocprim17ROCPRIM_400000_NS6detail17trampoline_kernelINS0_14default_configENS1_25partition_config_selectorILNS1_17partition_subalgoE5ElNS0_10empty_typeEbEEZZNS1_14partition_implILS5_5ELb0ES3_mN6hipcub16HIPCUB_304000_NS21CountingInputIteratorIllEEPS6_NSA_22TransformInputIteratorIbN2at6native12_GLOBAL__N_19NonZeroOpIlEEPKllEENS0_5tupleIJPlS6_EEENSN_IJSD_SD_EEES6_PiJS6_EEE10hipError_tPvRmT3_T4_T5_T6_T7_T9_mT8_P12ihipStream_tbDpT10_ENKUlT_T0_E_clISt17integral_constantIbLb0EES1B_EEDaS16_S17_EUlS16_E_NS1_11comp_targetILNS1_3genE9ELNS1_11target_archE1100ELNS1_3gpuE3ELNS1_3repE0EEENS1_30default_config_static_selectorELNS0_4arch9wavefront6targetE0EEEvT1_.has_dyn_sized_stack, 0
	.set _ZN7rocprim17ROCPRIM_400000_NS6detail17trampoline_kernelINS0_14default_configENS1_25partition_config_selectorILNS1_17partition_subalgoE5ElNS0_10empty_typeEbEEZZNS1_14partition_implILS5_5ELb0ES3_mN6hipcub16HIPCUB_304000_NS21CountingInputIteratorIllEEPS6_NSA_22TransformInputIteratorIbN2at6native12_GLOBAL__N_19NonZeroOpIlEEPKllEENS0_5tupleIJPlS6_EEENSN_IJSD_SD_EEES6_PiJS6_EEE10hipError_tPvRmT3_T4_T5_T6_T7_T9_mT8_P12ihipStream_tbDpT10_ENKUlT_T0_E_clISt17integral_constantIbLb0EES1B_EEDaS16_S17_EUlS16_E_NS1_11comp_targetILNS1_3genE9ELNS1_11target_archE1100ELNS1_3gpuE3ELNS1_3repE0EEENS1_30default_config_static_selectorELNS0_4arch9wavefront6targetE0EEEvT1_.has_recursion, 0
	.set _ZN7rocprim17ROCPRIM_400000_NS6detail17trampoline_kernelINS0_14default_configENS1_25partition_config_selectorILNS1_17partition_subalgoE5ElNS0_10empty_typeEbEEZZNS1_14partition_implILS5_5ELb0ES3_mN6hipcub16HIPCUB_304000_NS21CountingInputIteratorIllEEPS6_NSA_22TransformInputIteratorIbN2at6native12_GLOBAL__N_19NonZeroOpIlEEPKllEENS0_5tupleIJPlS6_EEENSN_IJSD_SD_EEES6_PiJS6_EEE10hipError_tPvRmT3_T4_T5_T6_T7_T9_mT8_P12ihipStream_tbDpT10_ENKUlT_T0_E_clISt17integral_constantIbLb0EES1B_EEDaS16_S17_EUlS16_E_NS1_11comp_targetILNS1_3genE9ELNS1_11target_archE1100ELNS1_3gpuE3ELNS1_3repE0EEENS1_30default_config_static_selectorELNS0_4arch9wavefront6targetE0EEEvT1_.has_indirect_call, 0
	.section	.AMDGPU.csdata,"",@progbits
; Kernel info:
; codeLenInByte = 0
; TotalNumSgprs: 0
; NumVgprs: 0
; ScratchSize: 0
; MemoryBound: 0
; FloatMode: 240
; IeeeMode: 1
; LDSByteSize: 0 bytes/workgroup (compile time only)
; SGPRBlocks: 0
; VGPRBlocks: 0
; NumSGPRsForWavesPerEU: 1
; NumVGPRsForWavesPerEU: 1
; Occupancy: 16
; WaveLimiterHint : 0
; COMPUTE_PGM_RSRC2:SCRATCH_EN: 0
; COMPUTE_PGM_RSRC2:USER_SGPR: 2
; COMPUTE_PGM_RSRC2:TRAP_HANDLER: 0
; COMPUTE_PGM_RSRC2:TGID_X_EN: 1
; COMPUTE_PGM_RSRC2:TGID_Y_EN: 0
; COMPUTE_PGM_RSRC2:TGID_Z_EN: 0
; COMPUTE_PGM_RSRC2:TIDIG_COMP_CNT: 0
	.section	.text._ZN7rocprim17ROCPRIM_400000_NS6detail17trampoline_kernelINS0_14default_configENS1_25partition_config_selectorILNS1_17partition_subalgoE5ElNS0_10empty_typeEbEEZZNS1_14partition_implILS5_5ELb0ES3_mN6hipcub16HIPCUB_304000_NS21CountingInputIteratorIllEEPS6_NSA_22TransformInputIteratorIbN2at6native12_GLOBAL__N_19NonZeroOpIlEEPKllEENS0_5tupleIJPlS6_EEENSN_IJSD_SD_EEES6_PiJS6_EEE10hipError_tPvRmT3_T4_T5_T6_T7_T9_mT8_P12ihipStream_tbDpT10_ENKUlT_T0_E_clISt17integral_constantIbLb0EES1B_EEDaS16_S17_EUlS16_E_NS1_11comp_targetILNS1_3genE8ELNS1_11target_archE1030ELNS1_3gpuE2ELNS1_3repE0EEENS1_30default_config_static_selectorELNS0_4arch9wavefront6targetE0EEEvT1_,"axG",@progbits,_ZN7rocprim17ROCPRIM_400000_NS6detail17trampoline_kernelINS0_14default_configENS1_25partition_config_selectorILNS1_17partition_subalgoE5ElNS0_10empty_typeEbEEZZNS1_14partition_implILS5_5ELb0ES3_mN6hipcub16HIPCUB_304000_NS21CountingInputIteratorIllEEPS6_NSA_22TransformInputIteratorIbN2at6native12_GLOBAL__N_19NonZeroOpIlEEPKllEENS0_5tupleIJPlS6_EEENSN_IJSD_SD_EEES6_PiJS6_EEE10hipError_tPvRmT3_T4_T5_T6_T7_T9_mT8_P12ihipStream_tbDpT10_ENKUlT_T0_E_clISt17integral_constantIbLb0EES1B_EEDaS16_S17_EUlS16_E_NS1_11comp_targetILNS1_3genE8ELNS1_11target_archE1030ELNS1_3gpuE2ELNS1_3repE0EEENS1_30default_config_static_selectorELNS0_4arch9wavefront6targetE0EEEvT1_,comdat
	.globl	_ZN7rocprim17ROCPRIM_400000_NS6detail17trampoline_kernelINS0_14default_configENS1_25partition_config_selectorILNS1_17partition_subalgoE5ElNS0_10empty_typeEbEEZZNS1_14partition_implILS5_5ELb0ES3_mN6hipcub16HIPCUB_304000_NS21CountingInputIteratorIllEEPS6_NSA_22TransformInputIteratorIbN2at6native12_GLOBAL__N_19NonZeroOpIlEEPKllEENS0_5tupleIJPlS6_EEENSN_IJSD_SD_EEES6_PiJS6_EEE10hipError_tPvRmT3_T4_T5_T6_T7_T9_mT8_P12ihipStream_tbDpT10_ENKUlT_T0_E_clISt17integral_constantIbLb0EES1B_EEDaS16_S17_EUlS16_E_NS1_11comp_targetILNS1_3genE8ELNS1_11target_archE1030ELNS1_3gpuE2ELNS1_3repE0EEENS1_30default_config_static_selectorELNS0_4arch9wavefront6targetE0EEEvT1_ ; -- Begin function _ZN7rocprim17ROCPRIM_400000_NS6detail17trampoline_kernelINS0_14default_configENS1_25partition_config_selectorILNS1_17partition_subalgoE5ElNS0_10empty_typeEbEEZZNS1_14partition_implILS5_5ELb0ES3_mN6hipcub16HIPCUB_304000_NS21CountingInputIteratorIllEEPS6_NSA_22TransformInputIteratorIbN2at6native12_GLOBAL__N_19NonZeroOpIlEEPKllEENS0_5tupleIJPlS6_EEENSN_IJSD_SD_EEES6_PiJS6_EEE10hipError_tPvRmT3_T4_T5_T6_T7_T9_mT8_P12ihipStream_tbDpT10_ENKUlT_T0_E_clISt17integral_constantIbLb0EES1B_EEDaS16_S17_EUlS16_E_NS1_11comp_targetILNS1_3genE8ELNS1_11target_archE1030ELNS1_3gpuE2ELNS1_3repE0EEENS1_30default_config_static_selectorELNS0_4arch9wavefront6targetE0EEEvT1_
	.p2align	8
	.type	_ZN7rocprim17ROCPRIM_400000_NS6detail17trampoline_kernelINS0_14default_configENS1_25partition_config_selectorILNS1_17partition_subalgoE5ElNS0_10empty_typeEbEEZZNS1_14partition_implILS5_5ELb0ES3_mN6hipcub16HIPCUB_304000_NS21CountingInputIteratorIllEEPS6_NSA_22TransformInputIteratorIbN2at6native12_GLOBAL__N_19NonZeroOpIlEEPKllEENS0_5tupleIJPlS6_EEENSN_IJSD_SD_EEES6_PiJS6_EEE10hipError_tPvRmT3_T4_T5_T6_T7_T9_mT8_P12ihipStream_tbDpT10_ENKUlT_T0_E_clISt17integral_constantIbLb0EES1B_EEDaS16_S17_EUlS16_E_NS1_11comp_targetILNS1_3genE8ELNS1_11target_archE1030ELNS1_3gpuE2ELNS1_3repE0EEENS1_30default_config_static_selectorELNS0_4arch9wavefront6targetE0EEEvT1_,@function
_ZN7rocprim17ROCPRIM_400000_NS6detail17trampoline_kernelINS0_14default_configENS1_25partition_config_selectorILNS1_17partition_subalgoE5ElNS0_10empty_typeEbEEZZNS1_14partition_implILS5_5ELb0ES3_mN6hipcub16HIPCUB_304000_NS21CountingInputIteratorIllEEPS6_NSA_22TransformInputIteratorIbN2at6native12_GLOBAL__N_19NonZeroOpIlEEPKllEENS0_5tupleIJPlS6_EEENSN_IJSD_SD_EEES6_PiJS6_EEE10hipError_tPvRmT3_T4_T5_T6_T7_T9_mT8_P12ihipStream_tbDpT10_ENKUlT_T0_E_clISt17integral_constantIbLb0EES1B_EEDaS16_S17_EUlS16_E_NS1_11comp_targetILNS1_3genE8ELNS1_11target_archE1030ELNS1_3gpuE2ELNS1_3repE0EEENS1_30default_config_static_selectorELNS0_4arch9wavefront6targetE0EEEvT1_: ; @_ZN7rocprim17ROCPRIM_400000_NS6detail17trampoline_kernelINS0_14default_configENS1_25partition_config_selectorILNS1_17partition_subalgoE5ElNS0_10empty_typeEbEEZZNS1_14partition_implILS5_5ELb0ES3_mN6hipcub16HIPCUB_304000_NS21CountingInputIteratorIllEEPS6_NSA_22TransformInputIteratorIbN2at6native12_GLOBAL__N_19NonZeroOpIlEEPKllEENS0_5tupleIJPlS6_EEENSN_IJSD_SD_EEES6_PiJS6_EEE10hipError_tPvRmT3_T4_T5_T6_T7_T9_mT8_P12ihipStream_tbDpT10_ENKUlT_T0_E_clISt17integral_constantIbLb0EES1B_EEDaS16_S17_EUlS16_E_NS1_11comp_targetILNS1_3genE8ELNS1_11target_archE1030ELNS1_3gpuE2ELNS1_3repE0EEENS1_30default_config_static_selectorELNS0_4arch9wavefront6targetE0EEEvT1_
; %bb.0:
	.section	.rodata,"a",@progbits
	.p2align	6, 0x0
	.amdhsa_kernel _ZN7rocprim17ROCPRIM_400000_NS6detail17trampoline_kernelINS0_14default_configENS1_25partition_config_selectorILNS1_17partition_subalgoE5ElNS0_10empty_typeEbEEZZNS1_14partition_implILS5_5ELb0ES3_mN6hipcub16HIPCUB_304000_NS21CountingInputIteratorIllEEPS6_NSA_22TransformInputIteratorIbN2at6native12_GLOBAL__N_19NonZeroOpIlEEPKllEENS0_5tupleIJPlS6_EEENSN_IJSD_SD_EEES6_PiJS6_EEE10hipError_tPvRmT3_T4_T5_T6_T7_T9_mT8_P12ihipStream_tbDpT10_ENKUlT_T0_E_clISt17integral_constantIbLb0EES1B_EEDaS16_S17_EUlS16_E_NS1_11comp_targetILNS1_3genE8ELNS1_11target_archE1030ELNS1_3gpuE2ELNS1_3repE0EEENS1_30default_config_static_selectorELNS0_4arch9wavefront6targetE0EEEvT1_
		.amdhsa_group_segment_fixed_size 0
		.amdhsa_private_segment_fixed_size 0
		.amdhsa_kernarg_size 120
		.amdhsa_user_sgpr_count 2
		.amdhsa_user_sgpr_dispatch_ptr 0
		.amdhsa_user_sgpr_queue_ptr 0
		.amdhsa_user_sgpr_kernarg_segment_ptr 1
		.amdhsa_user_sgpr_dispatch_id 0
		.amdhsa_user_sgpr_private_segment_size 0
		.amdhsa_wavefront_size32 1
		.amdhsa_uses_dynamic_stack 0
		.amdhsa_enable_private_segment 0
		.amdhsa_system_sgpr_workgroup_id_x 1
		.amdhsa_system_sgpr_workgroup_id_y 0
		.amdhsa_system_sgpr_workgroup_id_z 0
		.amdhsa_system_sgpr_workgroup_info 0
		.amdhsa_system_vgpr_workitem_id 0
		.amdhsa_next_free_vgpr 1
		.amdhsa_next_free_sgpr 1
		.amdhsa_reserve_vcc 0
		.amdhsa_float_round_mode_32 0
		.amdhsa_float_round_mode_16_64 0
		.amdhsa_float_denorm_mode_32 3
		.amdhsa_float_denorm_mode_16_64 3
		.amdhsa_fp16_overflow 0
		.amdhsa_workgroup_processor_mode 1
		.amdhsa_memory_ordered 1
		.amdhsa_forward_progress 1
		.amdhsa_inst_pref_size 0
		.amdhsa_round_robin_scheduling 0
		.amdhsa_exception_fp_ieee_invalid_op 0
		.amdhsa_exception_fp_denorm_src 0
		.amdhsa_exception_fp_ieee_div_zero 0
		.amdhsa_exception_fp_ieee_overflow 0
		.amdhsa_exception_fp_ieee_underflow 0
		.amdhsa_exception_fp_ieee_inexact 0
		.amdhsa_exception_int_div_zero 0
	.end_amdhsa_kernel
	.section	.text._ZN7rocprim17ROCPRIM_400000_NS6detail17trampoline_kernelINS0_14default_configENS1_25partition_config_selectorILNS1_17partition_subalgoE5ElNS0_10empty_typeEbEEZZNS1_14partition_implILS5_5ELb0ES3_mN6hipcub16HIPCUB_304000_NS21CountingInputIteratorIllEEPS6_NSA_22TransformInputIteratorIbN2at6native12_GLOBAL__N_19NonZeroOpIlEEPKllEENS0_5tupleIJPlS6_EEENSN_IJSD_SD_EEES6_PiJS6_EEE10hipError_tPvRmT3_T4_T5_T6_T7_T9_mT8_P12ihipStream_tbDpT10_ENKUlT_T0_E_clISt17integral_constantIbLb0EES1B_EEDaS16_S17_EUlS16_E_NS1_11comp_targetILNS1_3genE8ELNS1_11target_archE1030ELNS1_3gpuE2ELNS1_3repE0EEENS1_30default_config_static_selectorELNS0_4arch9wavefront6targetE0EEEvT1_,"axG",@progbits,_ZN7rocprim17ROCPRIM_400000_NS6detail17trampoline_kernelINS0_14default_configENS1_25partition_config_selectorILNS1_17partition_subalgoE5ElNS0_10empty_typeEbEEZZNS1_14partition_implILS5_5ELb0ES3_mN6hipcub16HIPCUB_304000_NS21CountingInputIteratorIllEEPS6_NSA_22TransformInputIteratorIbN2at6native12_GLOBAL__N_19NonZeroOpIlEEPKllEENS0_5tupleIJPlS6_EEENSN_IJSD_SD_EEES6_PiJS6_EEE10hipError_tPvRmT3_T4_T5_T6_T7_T9_mT8_P12ihipStream_tbDpT10_ENKUlT_T0_E_clISt17integral_constantIbLb0EES1B_EEDaS16_S17_EUlS16_E_NS1_11comp_targetILNS1_3genE8ELNS1_11target_archE1030ELNS1_3gpuE2ELNS1_3repE0EEENS1_30default_config_static_selectorELNS0_4arch9wavefront6targetE0EEEvT1_,comdat
.Lfunc_end261:
	.size	_ZN7rocprim17ROCPRIM_400000_NS6detail17trampoline_kernelINS0_14default_configENS1_25partition_config_selectorILNS1_17partition_subalgoE5ElNS0_10empty_typeEbEEZZNS1_14partition_implILS5_5ELb0ES3_mN6hipcub16HIPCUB_304000_NS21CountingInputIteratorIllEEPS6_NSA_22TransformInputIteratorIbN2at6native12_GLOBAL__N_19NonZeroOpIlEEPKllEENS0_5tupleIJPlS6_EEENSN_IJSD_SD_EEES6_PiJS6_EEE10hipError_tPvRmT3_T4_T5_T6_T7_T9_mT8_P12ihipStream_tbDpT10_ENKUlT_T0_E_clISt17integral_constantIbLb0EES1B_EEDaS16_S17_EUlS16_E_NS1_11comp_targetILNS1_3genE8ELNS1_11target_archE1030ELNS1_3gpuE2ELNS1_3repE0EEENS1_30default_config_static_selectorELNS0_4arch9wavefront6targetE0EEEvT1_, .Lfunc_end261-_ZN7rocprim17ROCPRIM_400000_NS6detail17trampoline_kernelINS0_14default_configENS1_25partition_config_selectorILNS1_17partition_subalgoE5ElNS0_10empty_typeEbEEZZNS1_14partition_implILS5_5ELb0ES3_mN6hipcub16HIPCUB_304000_NS21CountingInputIteratorIllEEPS6_NSA_22TransformInputIteratorIbN2at6native12_GLOBAL__N_19NonZeroOpIlEEPKllEENS0_5tupleIJPlS6_EEENSN_IJSD_SD_EEES6_PiJS6_EEE10hipError_tPvRmT3_T4_T5_T6_T7_T9_mT8_P12ihipStream_tbDpT10_ENKUlT_T0_E_clISt17integral_constantIbLb0EES1B_EEDaS16_S17_EUlS16_E_NS1_11comp_targetILNS1_3genE8ELNS1_11target_archE1030ELNS1_3gpuE2ELNS1_3repE0EEENS1_30default_config_static_selectorELNS0_4arch9wavefront6targetE0EEEvT1_
                                        ; -- End function
	.set _ZN7rocprim17ROCPRIM_400000_NS6detail17trampoline_kernelINS0_14default_configENS1_25partition_config_selectorILNS1_17partition_subalgoE5ElNS0_10empty_typeEbEEZZNS1_14partition_implILS5_5ELb0ES3_mN6hipcub16HIPCUB_304000_NS21CountingInputIteratorIllEEPS6_NSA_22TransformInputIteratorIbN2at6native12_GLOBAL__N_19NonZeroOpIlEEPKllEENS0_5tupleIJPlS6_EEENSN_IJSD_SD_EEES6_PiJS6_EEE10hipError_tPvRmT3_T4_T5_T6_T7_T9_mT8_P12ihipStream_tbDpT10_ENKUlT_T0_E_clISt17integral_constantIbLb0EES1B_EEDaS16_S17_EUlS16_E_NS1_11comp_targetILNS1_3genE8ELNS1_11target_archE1030ELNS1_3gpuE2ELNS1_3repE0EEENS1_30default_config_static_selectorELNS0_4arch9wavefront6targetE0EEEvT1_.num_vgpr, 0
	.set _ZN7rocprim17ROCPRIM_400000_NS6detail17trampoline_kernelINS0_14default_configENS1_25partition_config_selectorILNS1_17partition_subalgoE5ElNS0_10empty_typeEbEEZZNS1_14partition_implILS5_5ELb0ES3_mN6hipcub16HIPCUB_304000_NS21CountingInputIteratorIllEEPS6_NSA_22TransformInputIteratorIbN2at6native12_GLOBAL__N_19NonZeroOpIlEEPKllEENS0_5tupleIJPlS6_EEENSN_IJSD_SD_EEES6_PiJS6_EEE10hipError_tPvRmT3_T4_T5_T6_T7_T9_mT8_P12ihipStream_tbDpT10_ENKUlT_T0_E_clISt17integral_constantIbLb0EES1B_EEDaS16_S17_EUlS16_E_NS1_11comp_targetILNS1_3genE8ELNS1_11target_archE1030ELNS1_3gpuE2ELNS1_3repE0EEENS1_30default_config_static_selectorELNS0_4arch9wavefront6targetE0EEEvT1_.num_agpr, 0
	.set _ZN7rocprim17ROCPRIM_400000_NS6detail17trampoline_kernelINS0_14default_configENS1_25partition_config_selectorILNS1_17partition_subalgoE5ElNS0_10empty_typeEbEEZZNS1_14partition_implILS5_5ELb0ES3_mN6hipcub16HIPCUB_304000_NS21CountingInputIteratorIllEEPS6_NSA_22TransformInputIteratorIbN2at6native12_GLOBAL__N_19NonZeroOpIlEEPKllEENS0_5tupleIJPlS6_EEENSN_IJSD_SD_EEES6_PiJS6_EEE10hipError_tPvRmT3_T4_T5_T6_T7_T9_mT8_P12ihipStream_tbDpT10_ENKUlT_T0_E_clISt17integral_constantIbLb0EES1B_EEDaS16_S17_EUlS16_E_NS1_11comp_targetILNS1_3genE8ELNS1_11target_archE1030ELNS1_3gpuE2ELNS1_3repE0EEENS1_30default_config_static_selectorELNS0_4arch9wavefront6targetE0EEEvT1_.numbered_sgpr, 0
	.set _ZN7rocprim17ROCPRIM_400000_NS6detail17trampoline_kernelINS0_14default_configENS1_25partition_config_selectorILNS1_17partition_subalgoE5ElNS0_10empty_typeEbEEZZNS1_14partition_implILS5_5ELb0ES3_mN6hipcub16HIPCUB_304000_NS21CountingInputIteratorIllEEPS6_NSA_22TransformInputIteratorIbN2at6native12_GLOBAL__N_19NonZeroOpIlEEPKllEENS0_5tupleIJPlS6_EEENSN_IJSD_SD_EEES6_PiJS6_EEE10hipError_tPvRmT3_T4_T5_T6_T7_T9_mT8_P12ihipStream_tbDpT10_ENKUlT_T0_E_clISt17integral_constantIbLb0EES1B_EEDaS16_S17_EUlS16_E_NS1_11comp_targetILNS1_3genE8ELNS1_11target_archE1030ELNS1_3gpuE2ELNS1_3repE0EEENS1_30default_config_static_selectorELNS0_4arch9wavefront6targetE0EEEvT1_.num_named_barrier, 0
	.set _ZN7rocprim17ROCPRIM_400000_NS6detail17trampoline_kernelINS0_14default_configENS1_25partition_config_selectorILNS1_17partition_subalgoE5ElNS0_10empty_typeEbEEZZNS1_14partition_implILS5_5ELb0ES3_mN6hipcub16HIPCUB_304000_NS21CountingInputIteratorIllEEPS6_NSA_22TransformInputIteratorIbN2at6native12_GLOBAL__N_19NonZeroOpIlEEPKllEENS0_5tupleIJPlS6_EEENSN_IJSD_SD_EEES6_PiJS6_EEE10hipError_tPvRmT3_T4_T5_T6_T7_T9_mT8_P12ihipStream_tbDpT10_ENKUlT_T0_E_clISt17integral_constantIbLb0EES1B_EEDaS16_S17_EUlS16_E_NS1_11comp_targetILNS1_3genE8ELNS1_11target_archE1030ELNS1_3gpuE2ELNS1_3repE0EEENS1_30default_config_static_selectorELNS0_4arch9wavefront6targetE0EEEvT1_.private_seg_size, 0
	.set _ZN7rocprim17ROCPRIM_400000_NS6detail17trampoline_kernelINS0_14default_configENS1_25partition_config_selectorILNS1_17partition_subalgoE5ElNS0_10empty_typeEbEEZZNS1_14partition_implILS5_5ELb0ES3_mN6hipcub16HIPCUB_304000_NS21CountingInputIteratorIllEEPS6_NSA_22TransformInputIteratorIbN2at6native12_GLOBAL__N_19NonZeroOpIlEEPKllEENS0_5tupleIJPlS6_EEENSN_IJSD_SD_EEES6_PiJS6_EEE10hipError_tPvRmT3_T4_T5_T6_T7_T9_mT8_P12ihipStream_tbDpT10_ENKUlT_T0_E_clISt17integral_constantIbLb0EES1B_EEDaS16_S17_EUlS16_E_NS1_11comp_targetILNS1_3genE8ELNS1_11target_archE1030ELNS1_3gpuE2ELNS1_3repE0EEENS1_30default_config_static_selectorELNS0_4arch9wavefront6targetE0EEEvT1_.uses_vcc, 0
	.set _ZN7rocprim17ROCPRIM_400000_NS6detail17trampoline_kernelINS0_14default_configENS1_25partition_config_selectorILNS1_17partition_subalgoE5ElNS0_10empty_typeEbEEZZNS1_14partition_implILS5_5ELb0ES3_mN6hipcub16HIPCUB_304000_NS21CountingInputIteratorIllEEPS6_NSA_22TransformInputIteratorIbN2at6native12_GLOBAL__N_19NonZeroOpIlEEPKllEENS0_5tupleIJPlS6_EEENSN_IJSD_SD_EEES6_PiJS6_EEE10hipError_tPvRmT3_T4_T5_T6_T7_T9_mT8_P12ihipStream_tbDpT10_ENKUlT_T0_E_clISt17integral_constantIbLb0EES1B_EEDaS16_S17_EUlS16_E_NS1_11comp_targetILNS1_3genE8ELNS1_11target_archE1030ELNS1_3gpuE2ELNS1_3repE0EEENS1_30default_config_static_selectorELNS0_4arch9wavefront6targetE0EEEvT1_.uses_flat_scratch, 0
	.set _ZN7rocprim17ROCPRIM_400000_NS6detail17trampoline_kernelINS0_14default_configENS1_25partition_config_selectorILNS1_17partition_subalgoE5ElNS0_10empty_typeEbEEZZNS1_14partition_implILS5_5ELb0ES3_mN6hipcub16HIPCUB_304000_NS21CountingInputIteratorIllEEPS6_NSA_22TransformInputIteratorIbN2at6native12_GLOBAL__N_19NonZeroOpIlEEPKllEENS0_5tupleIJPlS6_EEENSN_IJSD_SD_EEES6_PiJS6_EEE10hipError_tPvRmT3_T4_T5_T6_T7_T9_mT8_P12ihipStream_tbDpT10_ENKUlT_T0_E_clISt17integral_constantIbLb0EES1B_EEDaS16_S17_EUlS16_E_NS1_11comp_targetILNS1_3genE8ELNS1_11target_archE1030ELNS1_3gpuE2ELNS1_3repE0EEENS1_30default_config_static_selectorELNS0_4arch9wavefront6targetE0EEEvT1_.has_dyn_sized_stack, 0
	.set _ZN7rocprim17ROCPRIM_400000_NS6detail17trampoline_kernelINS0_14default_configENS1_25partition_config_selectorILNS1_17partition_subalgoE5ElNS0_10empty_typeEbEEZZNS1_14partition_implILS5_5ELb0ES3_mN6hipcub16HIPCUB_304000_NS21CountingInputIteratorIllEEPS6_NSA_22TransformInputIteratorIbN2at6native12_GLOBAL__N_19NonZeroOpIlEEPKllEENS0_5tupleIJPlS6_EEENSN_IJSD_SD_EEES6_PiJS6_EEE10hipError_tPvRmT3_T4_T5_T6_T7_T9_mT8_P12ihipStream_tbDpT10_ENKUlT_T0_E_clISt17integral_constantIbLb0EES1B_EEDaS16_S17_EUlS16_E_NS1_11comp_targetILNS1_3genE8ELNS1_11target_archE1030ELNS1_3gpuE2ELNS1_3repE0EEENS1_30default_config_static_selectorELNS0_4arch9wavefront6targetE0EEEvT1_.has_recursion, 0
	.set _ZN7rocprim17ROCPRIM_400000_NS6detail17trampoline_kernelINS0_14default_configENS1_25partition_config_selectorILNS1_17partition_subalgoE5ElNS0_10empty_typeEbEEZZNS1_14partition_implILS5_5ELb0ES3_mN6hipcub16HIPCUB_304000_NS21CountingInputIteratorIllEEPS6_NSA_22TransformInputIteratorIbN2at6native12_GLOBAL__N_19NonZeroOpIlEEPKllEENS0_5tupleIJPlS6_EEENSN_IJSD_SD_EEES6_PiJS6_EEE10hipError_tPvRmT3_T4_T5_T6_T7_T9_mT8_P12ihipStream_tbDpT10_ENKUlT_T0_E_clISt17integral_constantIbLb0EES1B_EEDaS16_S17_EUlS16_E_NS1_11comp_targetILNS1_3genE8ELNS1_11target_archE1030ELNS1_3gpuE2ELNS1_3repE0EEENS1_30default_config_static_selectorELNS0_4arch9wavefront6targetE0EEEvT1_.has_indirect_call, 0
	.section	.AMDGPU.csdata,"",@progbits
; Kernel info:
; codeLenInByte = 0
; TotalNumSgprs: 0
; NumVgprs: 0
; ScratchSize: 0
; MemoryBound: 0
; FloatMode: 240
; IeeeMode: 1
; LDSByteSize: 0 bytes/workgroup (compile time only)
; SGPRBlocks: 0
; VGPRBlocks: 0
; NumSGPRsForWavesPerEU: 1
; NumVGPRsForWavesPerEU: 1
; Occupancy: 16
; WaveLimiterHint : 0
; COMPUTE_PGM_RSRC2:SCRATCH_EN: 0
; COMPUTE_PGM_RSRC2:USER_SGPR: 2
; COMPUTE_PGM_RSRC2:TRAP_HANDLER: 0
; COMPUTE_PGM_RSRC2:TGID_X_EN: 1
; COMPUTE_PGM_RSRC2:TGID_Y_EN: 0
; COMPUTE_PGM_RSRC2:TGID_Z_EN: 0
; COMPUTE_PGM_RSRC2:TIDIG_COMP_CNT: 0
	.section	.text._ZN7rocprim17ROCPRIM_400000_NS6detail17trampoline_kernelINS0_14default_configENS1_25partition_config_selectorILNS1_17partition_subalgoE5ElNS0_10empty_typeEbEEZZNS1_14partition_implILS5_5ELb0ES3_mN6hipcub16HIPCUB_304000_NS21CountingInputIteratorIllEEPS6_NSA_22TransformInputIteratorIbN2at6native12_GLOBAL__N_19NonZeroOpIlEEPKllEENS0_5tupleIJPlS6_EEENSN_IJSD_SD_EEES6_PiJS6_EEE10hipError_tPvRmT3_T4_T5_T6_T7_T9_mT8_P12ihipStream_tbDpT10_ENKUlT_T0_E_clISt17integral_constantIbLb1EES1B_EEDaS16_S17_EUlS16_E_NS1_11comp_targetILNS1_3genE0ELNS1_11target_archE4294967295ELNS1_3gpuE0ELNS1_3repE0EEENS1_30default_config_static_selectorELNS0_4arch9wavefront6targetE0EEEvT1_,"axG",@progbits,_ZN7rocprim17ROCPRIM_400000_NS6detail17trampoline_kernelINS0_14default_configENS1_25partition_config_selectorILNS1_17partition_subalgoE5ElNS0_10empty_typeEbEEZZNS1_14partition_implILS5_5ELb0ES3_mN6hipcub16HIPCUB_304000_NS21CountingInputIteratorIllEEPS6_NSA_22TransformInputIteratorIbN2at6native12_GLOBAL__N_19NonZeroOpIlEEPKllEENS0_5tupleIJPlS6_EEENSN_IJSD_SD_EEES6_PiJS6_EEE10hipError_tPvRmT3_T4_T5_T6_T7_T9_mT8_P12ihipStream_tbDpT10_ENKUlT_T0_E_clISt17integral_constantIbLb1EES1B_EEDaS16_S17_EUlS16_E_NS1_11comp_targetILNS1_3genE0ELNS1_11target_archE4294967295ELNS1_3gpuE0ELNS1_3repE0EEENS1_30default_config_static_selectorELNS0_4arch9wavefront6targetE0EEEvT1_,comdat
	.globl	_ZN7rocprim17ROCPRIM_400000_NS6detail17trampoline_kernelINS0_14default_configENS1_25partition_config_selectorILNS1_17partition_subalgoE5ElNS0_10empty_typeEbEEZZNS1_14partition_implILS5_5ELb0ES3_mN6hipcub16HIPCUB_304000_NS21CountingInputIteratorIllEEPS6_NSA_22TransformInputIteratorIbN2at6native12_GLOBAL__N_19NonZeroOpIlEEPKllEENS0_5tupleIJPlS6_EEENSN_IJSD_SD_EEES6_PiJS6_EEE10hipError_tPvRmT3_T4_T5_T6_T7_T9_mT8_P12ihipStream_tbDpT10_ENKUlT_T0_E_clISt17integral_constantIbLb1EES1B_EEDaS16_S17_EUlS16_E_NS1_11comp_targetILNS1_3genE0ELNS1_11target_archE4294967295ELNS1_3gpuE0ELNS1_3repE0EEENS1_30default_config_static_selectorELNS0_4arch9wavefront6targetE0EEEvT1_ ; -- Begin function _ZN7rocprim17ROCPRIM_400000_NS6detail17trampoline_kernelINS0_14default_configENS1_25partition_config_selectorILNS1_17partition_subalgoE5ElNS0_10empty_typeEbEEZZNS1_14partition_implILS5_5ELb0ES3_mN6hipcub16HIPCUB_304000_NS21CountingInputIteratorIllEEPS6_NSA_22TransformInputIteratorIbN2at6native12_GLOBAL__N_19NonZeroOpIlEEPKllEENS0_5tupleIJPlS6_EEENSN_IJSD_SD_EEES6_PiJS6_EEE10hipError_tPvRmT3_T4_T5_T6_T7_T9_mT8_P12ihipStream_tbDpT10_ENKUlT_T0_E_clISt17integral_constantIbLb1EES1B_EEDaS16_S17_EUlS16_E_NS1_11comp_targetILNS1_3genE0ELNS1_11target_archE4294967295ELNS1_3gpuE0ELNS1_3repE0EEENS1_30default_config_static_selectorELNS0_4arch9wavefront6targetE0EEEvT1_
	.p2align	8
	.type	_ZN7rocprim17ROCPRIM_400000_NS6detail17trampoline_kernelINS0_14default_configENS1_25partition_config_selectorILNS1_17partition_subalgoE5ElNS0_10empty_typeEbEEZZNS1_14partition_implILS5_5ELb0ES3_mN6hipcub16HIPCUB_304000_NS21CountingInputIteratorIllEEPS6_NSA_22TransformInputIteratorIbN2at6native12_GLOBAL__N_19NonZeroOpIlEEPKllEENS0_5tupleIJPlS6_EEENSN_IJSD_SD_EEES6_PiJS6_EEE10hipError_tPvRmT3_T4_T5_T6_T7_T9_mT8_P12ihipStream_tbDpT10_ENKUlT_T0_E_clISt17integral_constantIbLb1EES1B_EEDaS16_S17_EUlS16_E_NS1_11comp_targetILNS1_3genE0ELNS1_11target_archE4294967295ELNS1_3gpuE0ELNS1_3repE0EEENS1_30default_config_static_selectorELNS0_4arch9wavefront6targetE0EEEvT1_,@function
_ZN7rocprim17ROCPRIM_400000_NS6detail17trampoline_kernelINS0_14default_configENS1_25partition_config_selectorILNS1_17partition_subalgoE5ElNS0_10empty_typeEbEEZZNS1_14partition_implILS5_5ELb0ES3_mN6hipcub16HIPCUB_304000_NS21CountingInputIteratorIllEEPS6_NSA_22TransformInputIteratorIbN2at6native12_GLOBAL__N_19NonZeroOpIlEEPKllEENS0_5tupleIJPlS6_EEENSN_IJSD_SD_EEES6_PiJS6_EEE10hipError_tPvRmT3_T4_T5_T6_T7_T9_mT8_P12ihipStream_tbDpT10_ENKUlT_T0_E_clISt17integral_constantIbLb1EES1B_EEDaS16_S17_EUlS16_E_NS1_11comp_targetILNS1_3genE0ELNS1_11target_archE4294967295ELNS1_3gpuE0ELNS1_3repE0EEENS1_30default_config_static_selectorELNS0_4arch9wavefront6targetE0EEEvT1_: ; @_ZN7rocprim17ROCPRIM_400000_NS6detail17trampoline_kernelINS0_14default_configENS1_25partition_config_selectorILNS1_17partition_subalgoE5ElNS0_10empty_typeEbEEZZNS1_14partition_implILS5_5ELb0ES3_mN6hipcub16HIPCUB_304000_NS21CountingInputIteratorIllEEPS6_NSA_22TransformInputIteratorIbN2at6native12_GLOBAL__N_19NonZeroOpIlEEPKllEENS0_5tupleIJPlS6_EEENSN_IJSD_SD_EEES6_PiJS6_EEE10hipError_tPvRmT3_T4_T5_T6_T7_T9_mT8_P12ihipStream_tbDpT10_ENKUlT_T0_E_clISt17integral_constantIbLb1EES1B_EEDaS16_S17_EUlS16_E_NS1_11comp_targetILNS1_3genE0ELNS1_11target_archE4294967295ELNS1_3gpuE0ELNS1_3repE0EEENS1_30default_config_static_selectorELNS0_4arch9wavefront6targetE0EEEvT1_
; %bb.0:
	.section	.rodata,"a",@progbits
	.p2align	6, 0x0
	.amdhsa_kernel _ZN7rocprim17ROCPRIM_400000_NS6detail17trampoline_kernelINS0_14default_configENS1_25partition_config_selectorILNS1_17partition_subalgoE5ElNS0_10empty_typeEbEEZZNS1_14partition_implILS5_5ELb0ES3_mN6hipcub16HIPCUB_304000_NS21CountingInputIteratorIllEEPS6_NSA_22TransformInputIteratorIbN2at6native12_GLOBAL__N_19NonZeroOpIlEEPKllEENS0_5tupleIJPlS6_EEENSN_IJSD_SD_EEES6_PiJS6_EEE10hipError_tPvRmT3_T4_T5_T6_T7_T9_mT8_P12ihipStream_tbDpT10_ENKUlT_T0_E_clISt17integral_constantIbLb1EES1B_EEDaS16_S17_EUlS16_E_NS1_11comp_targetILNS1_3genE0ELNS1_11target_archE4294967295ELNS1_3gpuE0ELNS1_3repE0EEENS1_30default_config_static_selectorELNS0_4arch9wavefront6targetE0EEEvT1_
		.amdhsa_group_segment_fixed_size 0
		.amdhsa_private_segment_fixed_size 0
		.amdhsa_kernarg_size 136
		.amdhsa_user_sgpr_count 2
		.amdhsa_user_sgpr_dispatch_ptr 0
		.amdhsa_user_sgpr_queue_ptr 0
		.amdhsa_user_sgpr_kernarg_segment_ptr 1
		.amdhsa_user_sgpr_dispatch_id 0
		.amdhsa_user_sgpr_private_segment_size 0
		.amdhsa_wavefront_size32 1
		.amdhsa_uses_dynamic_stack 0
		.amdhsa_enable_private_segment 0
		.amdhsa_system_sgpr_workgroup_id_x 1
		.amdhsa_system_sgpr_workgroup_id_y 0
		.amdhsa_system_sgpr_workgroup_id_z 0
		.amdhsa_system_sgpr_workgroup_info 0
		.amdhsa_system_vgpr_workitem_id 0
		.amdhsa_next_free_vgpr 1
		.amdhsa_next_free_sgpr 1
		.amdhsa_reserve_vcc 0
		.amdhsa_float_round_mode_32 0
		.amdhsa_float_round_mode_16_64 0
		.amdhsa_float_denorm_mode_32 3
		.amdhsa_float_denorm_mode_16_64 3
		.amdhsa_fp16_overflow 0
		.amdhsa_workgroup_processor_mode 1
		.amdhsa_memory_ordered 1
		.amdhsa_forward_progress 1
		.amdhsa_inst_pref_size 0
		.amdhsa_round_robin_scheduling 0
		.amdhsa_exception_fp_ieee_invalid_op 0
		.amdhsa_exception_fp_denorm_src 0
		.amdhsa_exception_fp_ieee_div_zero 0
		.amdhsa_exception_fp_ieee_overflow 0
		.amdhsa_exception_fp_ieee_underflow 0
		.amdhsa_exception_fp_ieee_inexact 0
		.amdhsa_exception_int_div_zero 0
	.end_amdhsa_kernel
	.section	.text._ZN7rocprim17ROCPRIM_400000_NS6detail17trampoline_kernelINS0_14default_configENS1_25partition_config_selectorILNS1_17partition_subalgoE5ElNS0_10empty_typeEbEEZZNS1_14partition_implILS5_5ELb0ES3_mN6hipcub16HIPCUB_304000_NS21CountingInputIteratorIllEEPS6_NSA_22TransformInputIteratorIbN2at6native12_GLOBAL__N_19NonZeroOpIlEEPKllEENS0_5tupleIJPlS6_EEENSN_IJSD_SD_EEES6_PiJS6_EEE10hipError_tPvRmT3_T4_T5_T6_T7_T9_mT8_P12ihipStream_tbDpT10_ENKUlT_T0_E_clISt17integral_constantIbLb1EES1B_EEDaS16_S17_EUlS16_E_NS1_11comp_targetILNS1_3genE0ELNS1_11target_archE4294967295ELNS1_3gpuE0ELNS1_3repE0EEENS1_30default_config_static_selectorELNS0_4arch9wavefront6targetE0EEEvT1_,"axG",@progbits,_ZN7rocprim17ROCPRIM_400000_NS6detail17trampoline_kernelINS0_14default_configENS1_25partition_config_selectorILNS1_17partition_subalgoE5ElNS0_10empty_typeEbEEZZNS1_14partition_implILS5_5ELb0ES3_mN6hipcub16HIPCUB_304000_NS21CountingInputIteratorIllEEPS6_NSA_22TransformInputIteratorIbN2at6native12_GLOBAL__N_19NonZeroOpIlEEPKllEENS0_5tupleIJPlS6_EEENSN_IJSD_SD_EEES6_PiJS6_EEE10hipError_tPvRmT3_T4_T5_T6_T7_T9_mT8_P12ihipStream_tbDpT10_ENKUlT_T0_E_clISt17integral_constantIbLb1EES1B_EEDaS16_S17_EUlS16_E_NS1_11comp_targetILNS1_3genE0ELNS1_11target_archE4294967295ELNS1_3gpuE0ELNS1_3repE0EEENS1_30default_config_static_selectorELNS0_4arch9wavefront6targetE0EEEvT1_,comdat
.Lfunc_end262:
	.size	_ZN7rocprim17ROCPRIM_400000_NS6detail17trampoline_kernelINS0_14default_configENS1_25partition_config_selectorILNS1_17partition_subalgoE5ElNS0_10empty_typeEbEEZZNS1_14partition_implILS5_5ELb0ES3_mN6hipcub16HIPCUB_304000_NS21CountingInputIteratorIllEEPS6_NSA_22TransformInputIteratorIbN2at6native12_GLOBAL__N_19NonZeroOpIlEEPKllEENS0_5tupleIJPlS6_EEENSN_IJSD_SD_EEES6_PiJS6_EEE10hipError_tPvRmT3_T4_T5_T6_T7_T9_mT8_P12ihipStream_tbDpT10_ENKUlT_T0_E_clISt17integral_constantIbLb1EES1B_EEDaS16_S17_EUlS16_E_NS1_11comp_targetILNS1_3genE0ELNS1_11target_archE4294967295ELNS1_3gpuE0ELNS1_3repE0EEENS1_30default_config_static_selectorELNS0_4arch9wavefront6targetE0EEEvT1_, .Lfunc_end262-_ZN7rocprim17ROCPRIM_400000_NS6detail17trampoline_kernelINS0_14default_configENS1_25partition_config_selectorILNS1_17partition_subalgoE5ElNS0_10empty_typeEbEEZZNS1_14partition_implILS5_5ELb0ES3_mN6hipcub16HIPCUB_304000_NS21CountingInputIteratorIllEEPS6_NSA_22TransformInputIteratorIbN2at6native12_GLOBAL__N_19NonZeroOpIlEEPKllEENS0_5tupleIJPlS6_EEENSN_IJSD_SD_EEES6_PiJS6_EEE10hipError_tPvRmT3_T4_T5_T6_T7_T9_mT8_P12ihipStream_tbDpT10_ENKUlT_T0_E_clISt17integral_constantIbLb1EES1B_EEDaS16_S17_EUlS16_E_NS1_11comp_targetILNS1_3genE0ELNS1_11target_archE4294967295ELNS1_3gpuE0ELNS1_3repE0EEENS1_30default_config_static_selectorELNS0_4arch9wavefront6targetE0EEEvT1_
                                        ; -- End function
	.set _ZN7rocprim17ROCPRIM_400000_NS6detail17trampoline_kernelINS0_14default_configENS1_25partition_config_selectorILNS1_17partition_subalgoE5ElNS0_10empty_typeEbEEZZNS1_14partition_implILS5_5ELb0ES3_mN6hipcub16HIPCUB_304000_NS21CountingInputIteratorIllEEPS6_NSA_22TransformInputIteratorIbN2at6native12_GLOBAL__N_19NonZeroOpIlEEPKllEENS0_5tupleIJPlS6_EEENSN_IJSD_SD_EEES6_PiJS6_EEE10hipError_tPvRmT3_T4_T5_T6_T7_T9_mT8_P12ihipStream_tbDpT10_ENKUlT_T0_E_clISt17integral_constantIbLb1EES1B_EEDaS16_S17_EUlS16_E_NS1_11comp_targetILNS1_3genE0ELNS1_11target_archE4294967295ELNS1_3gpuE0ELNS1_3repE0EEENS1_30default_config_static_selectorELNS0_4arch9wavefront6targetE0EEEvT1_.num_vgpr, 0
	.set _ZN7rocprim17ROCPRIM_400000_NS6detail17trampoline_kernelINS0_14default_configENS1_25partition_config_selectorILNS1_17partition_subalgoE5ElNS0_10empty_typeEbEEZZNS1_14partition_implILS5_5ELb0ES3_mN6hipcub16HIPCUB_304000_NS21CountingInputIteratorIllEEPS6_NSA_22TransformInputIteratorIbN2at6native12_GLOBAL__N_19NonZeroOpIlEEPKllEENS0_5tupleIJPlS6_EEENSN_IJSD_SD_EEES6_PiJS6_EEE10hipError_tPvRmT3_T4_T5_T6_T7_T9_mT8_P12ihipStream_tbDpT10_ENKUlT_T0_E_clISt17integral_constantIbLb1EES1B_EEDaS16_S17_EUlS16_E_NS1_11comp_targetILNS1_3genE0ELNS1_11target_archE4294967295ELNS1_3gpuE0ELNS1_3repE0EEENS1_30default_config_static_selectorELNS0_4arch9wavefront6targetE0EEEvT1_.num_agpr, 0
	.set _ZN7rocprim17ROCPRIM_400000_NS6detail17trampoline_kernelINS0_14default_configENS1_25partition_config_selectorILNS1_17partition_subalgoE5ElNS0_10empty_typeEbEEZZNS1_14partition_implILS5_5ELb0ES3_mN6hipcub16HIPCUB_304000_NS21CountingInputIteratorIllEEPS6_NSA_22TransformInputIteratorIbN2at6native12_GLOBAL__N_19NonZeroOpIlEEPKllEENS0_5tupleIJPlS6_EEENSN_IJSD_SD_EEES6_PiJS6_EEE10hipError_tPvRmT3_T4_T5_T6_T7_T9_mT8_P12ihipStream_tbDpT10_ENKUlT_T0_E_clISt17integral_constantIbLb1EES1B_EEDaS16_S17_EUlS16_E_NS1_11comp_targetILNS1_3genE0ELNS1_11target_archE4294967295ELNS1_3gpuE0ELNS1_3repE0EEENS1_30default_config_static_selectorELNS0_4arch9wavefront6targetE0EEEvT1_.numbered_sgpr, 0
	.set _ZN7rocprim17ROCPRIM_400000_NS6detail17trampoline_kernelINS0_14default_configENS1_25partition_config_selectorILNS1_17partition_subalgoE5ElNS0_10empty_typeEbEEZZNS1_14partition_implILS5_5ELb0ES3_mN6hipcub16HIPCUB_304000_NS21CountingInputIteratorIllEEPS6_NSA_22TransformInputIteratorIbN2at6native12_GLOBAL__N_19NonZeroOpIlEEPKllEENS0_5tupleIJPlS6_EEENSN_IJSD_SD_EEES6_PiJS6_EEE10hipError_tPvRmT3_T4_T5_T6_T7_T9_mT8_P12ihipStream_tbDpT10_ENKUlT_T0_E_clISt17integral_constantIbLb1EES1B_EEDaS16_S17_EUlS16_E_NS1_11comp_targetILNS1_3genE0ELNS1_11target_archE4294967295ELNS1_3gpuE0ELNS1_3repE0EEENS1_30default_config_static_selectorELNS0_4arch9wavefront6targetE0EEEvT1_.num_named_barrier, 0
	.set _ZN7rocprim17ROCPRIM_400000_NS6detail17trampoline_kernelINS0_14default_configENS1_25partition_config_selectorILNS1_17partition_subalgoE5ElNS0_10empty_typeEbEEZZNS1_14partition_implILS5_5ELb0ES3_mN6hipcub16HIPCUB_304000_NS21CountingInputIteratorIllEEPS6_NSA_22TransformInputIteratorIbN2at6native12_GLOBAL__N_19NonZeroOpIlEEPKllEENS0_5tupleIJPlS6_EEENSN_IJSD_SD_EEES6_PiJS6_EEE10hipError_tPvRmT3_T4_T5_T6_T7_T9_mT8_P12ihipStream_tbDpT10_ENKUlT_T0_E_clISt17integral_constantIbLb1EES1B_EEDaS16_S17_EUlS16_E_NS1_11comp_targetILNS1_3genE0ELNS1_11target_archE4294967295ELNS1_3gpuE0ELNS1_3repE0EEENS1_30default_config_static_selectorELNS0_4arch9wavefront6targetE0EEEvT1_.private_seg_size, 0
	.set _ZN7rocprim17ROCPRIM_400000_NS6detail17trampoline_kernelINS0_14default_configENS1_25partition_config_selectorILNS1_17partition_subalgoE5ElNS0_10empty_typeEbEEZZNS1_14partition_implILS5_5ELb0ES3_mN6hipcub16HIPCUB_304000_NS21CountingInputIteratorIllEEPS6_NSA_22TransformInputIteratorIbN2at6native12_GLOBAL__N_19NonZeroOpIlEEPKllEENS0_5tupleIJPlS6_EEENSN_IJSD_SD_EEES6_PiJS6_EEE10hipError_tPvRmT3_T4_T5_T6_T7_T9_mT8_P12ihipStream_tbDpT10_ENKUlT_T0_E_clISt17integral_constantIbLb1EES1B_EEDaS16_S17_EUlS16_E_NS1_11comp_targetILNS1_3genE0ELNS1_11target_archE4294967295ELNS1_3gpuE0ELNS1_3repE0EEENS1_30default_config_static_selectorELNS0_4arch9wavefront6targetE0EEEvT1_.uses_vcc, 0
	.set _ZN7rocprim17ROCPRIM_400000_NS6detail17trampoline_kernelINS0_14default_configENS1_25partition_config_selectorILNS1_17partition_subalgoE5ElNS0_10empty_typeEbEEZZNS1_14partition_implILS5_5ELb0ES3_mN6hipcub16HIPCUB_304000_NS21CountingInputIteratorIllEEPS6_NSA_22TransformInputIteratorIbN2at6native12_GLOBAL__N_19NonZeroOpIlEEPKllEENS0_5tupleIJPlS6_EEENSN_IJSD_SD_EEES6_PiJS6_EEE10hipError_tPvRmT3_T4_T5_T6_T7_T9_mT8_P12ihipStream_tbDpT10_ENKUlT_T0_E_clISt17integral_constantIbLb1EES1B_EEDaS16_S17_EUlS16_E_NS1_11comp_targetILNS1_3genE0ELNS1_11target_archE4294967295ELNS1_3gpuE0ELNS1_3repE0EEENS1_30default_config_static_selectorELNS0_4arch9wavefront6targetE0EEEvT1_.uses_flat_scratch, 0
	.set _ZN7rocprim17ROCPRIM_400000_NS6detail17trampoline_kernelINS0_14default_configENS1_25partition_config_selectorILNS1_17partition_subalgoE5ElNS0_10empty_typeEbEEZZNS1_14partition_implILS5_5ELb0ES3_mN6hipcub16HIPCUB_304000_NS21CountingInputIteratorIllEEPS6_NSA_22TransformInputIteratorIbN2at6native12_GLOBAL__N_19NonZeroOpIlEEPKllEENS0_5tupleIJPlS6_EEENSN_IJSD_SD_EEES6_PiJS6_EEE10hipError_tPvRmT3_T4_T5_T6_T7_T9_mT8_P12ihipStream_tbDpT10_ENKUlT_T0_E_clISt17integral_constantIbLb1EES1B_EEDaS16_S17_EUlS16_E_NS1_11comp_targetILNS1_3genE0ELNS1_11target_archE4294967295ELNS1_3gpuE0ELNS1_3repE0EEENS1_30default_config_static_selectorELNS0_4arch9wavefront6targetE0EEEvT1_.has_dyn_sized_stack, 0
	.set _ZN7rocprim17ROCPRIM_400000_NS6detail17trampoline_kernelINS0_14default_configENS1_25partition_config_selectorILNS1_17partition_subalgoE5ElNS0_10empty_typeEbEEZZNS1_14partition_implILS5_5ELb0ES3_mN6hipcub16HIPCUB_304000_NS21CountingInputIteratorIllEEPS6_NSA_22TransformInputIteratorIbN2at6native12_GLOBAL__N_19NonZeroOpIlEEPKllEENS0_5tupleIJPlS6_EEENSN_IJSD_SD_EEES6_PiJS6_EEE10hipError_tPvRmT3_T4_T5_T6_T7_T9_mT8_P12ihipStream_tbDpT10_ENKUlT_T0_E_clISt17integral_constantIbLb1EES1B_EEDaS16_S17_EUlS16_E_NS1_11comp_targetILNS1_3genE0ELNS1_11target_archE4294967295ELNS1_3gpuE0ELNS1_3repE0EEENS1_30default_config_static_selectorELNS0_4arch9wavefront6targetE0EEEvT1_.has_recursion, 0
	.set _ZN7rocprim17ROCPRIM_400000_NS6detail17trampoline_kernelINS0_14default_configENS1_25partition_config_selectorILNS1_17partition_subalgoE5ElNS0_10empty_typeEbEEZZNS1_14partition_implILS5_5ELb0ES3_mN6hipcub16HIPCUB_304000_NS21CountingInputIteratorIllEEPS6_NSA_22TransformInputIteratorIbN2at6native12_GLOBAL__N_19NonZeroOpIlEEPKllEENS0_5tupleIJPlS6_EEENSN_IJSD_SD_EEES6_PiJS6_EEE10hipError_tPvRmT3_T4_T5_T6_T7_T9_mT8_P12ihipStream_tbDpT10_ENKUlT_T0_E_clISt17integral_constantIbLb1EES1B_EEDaS16_S17_EUlS16_E_NS1_11comp_targetILNS1_3genE0ELNS1_11target_archE4294967295ELNS1_3gpuE0ELNS1_3repE0EEENS1_30default_config_static_selectorELNS0_4arch9wavefront6targetE0EEEvT1_.has_indirect_call, 0
	.section	.AMDGPU.csdata,"",@progbits
; Kernel info:
; codeLenInByte = 0
; TotalNumSgprs: 0
; NumVgprs: 0
; ScratchSize: 0
; MemoryBound: 0
; FloatMode: 240
; IeeeMode: 1
; LDSByteSize: 0 bytes/workgroup (compile time only)
; SGPRBlocks: 0
; VGPRBlocks: 0
; NumSGPRsForWavesPerEU: 1
; NumVGPRsForWavesPerEU: 1
; Occupancy: 16
; WaveLimiterHint : 0
; COMPUTE_PGM_RSRC2:SCRATCH_EN: 0
; COMPUTE_PGM_RSRC2:USER_SGPR: 2
; COMPUTE_PGM_RSRC2:TRAP_HANDLER: 0
; COMPUTE_PGM_RSRC2:TGID_X_EN: 1
; COMPUTE_PGM_RSRC2:TGID_Y_EN: 0
; COMPUTE_PGM_RSRC2:TGID_Z_EN: 0
; COMPUTE_PGM_RSRC2:TIDIG_COMP_CNT: 0
	.section	.text._ZN7rocprim17ROCPRIM_400000_NS6detail17trampoline_kernelINS0_14default_configENS1_25partition_config_selectorILNS1_17partition_subalgoE5ElNS0_10empty_typeEbEEZZNS1_14partition_implILS5_5ELb0ES3_mN6hipcub16HIPCUB_304000_NS21CountingInputIteratorIllEEPS6_NSA_22TransformInputIteratorIbN2at6native12_GLOBAL__N_19NonZeroOpIlEEPKllEENS0_5tupleIJPlS6_EEENSN_IJSD_SD_EEES6_PiJS6_EEE10hipError_tPvRmT3_T4_T5_T6_T7_T9_mT8_P12ihipStream_tbDpT10_ENKUlT_T0_E_clISt17integral_constantIbLb1EES1B_EEDaS16_S17_EUlS16_E_NS1_11comp_targetILNS1_3genE5ELNS1_11target_archE942ELNS1_3gpuE9ELNS1_3repE0EEENS1_30default_config_static_selectorELNS0_4arch9wavefront6targetE0EEEvT1_,"axG",@progbits,_ZN7rocprim17ROCPRIM_400000_NS6detail17trampoline_kernelINS0_14default_configENS1_25partition_config_selectorILNS1_17partition_subalgoE5ElNS0_10empty_typeEbEEZZNS1_14partition_implILS5_5ELb0ES3_mN6hipcub16HIPCUB_304000_NS21CountingInputIteratorIllEEPS6_NSA_22TransformInputIteratorIbN2at6native12_GLOBAL__N_19NonZeroOpIlEEPKllEENS0_5tupleIJPlS6_EEENSN_IJSD_SD_EEES6_PiJS6_EEE10hipError_tPvRmT3_T4_T5_T6_T7_T9_mT8_P12ihipStream_tbDpT10_ENKUlT_T0_E_clISt17integral_constantIbLb1EES1B_EEDaS16_S17_EUlS16_E_NS1_11comp_targetILNS1_3genE5ELNS1_11target_archE942ELNS1_3gpuE9ELNS1_3repE0EEENS1_30default_config_static_selectorELNS0_4arch9wavefront6targetE0EEEvT1_,comdat
	.globl	_ZN7rocprim17ROCPRIM_400000_NS6detail17trampoline_kernelINS0_14default_configENS1_25partition_config_selectorILNS1_17partition_subalgoE5ElNS0_10empty_typeEbEEZZNS1_14partition_implILS5_5ELb0ES3_mN6hipcub16HIPCUB_304000_NS21CountingInputIteratorIllEEPS6_NSA_22TransformInputIteratorIbN2at6native12_GLOBAL__N_19NonZeroOpIlEEPKllEENS0_5tupleIJPlS6_EEENSN_IJSD_SD_EEES6_PiJS6_EEE10hipError_tPvRmT3_T4_T5_T6_T7_T9_mT8_P12ihipStream_tbDpT10_ENKUlT_T0_E_clISt17integral_constantIbLb1EES1B_EEDaS16_S17_EUlS16_E_NS1_11comp_targetILNS1_3genE5ELNS1_11target_archE942ELNS1_3gpuE9ELNS1_3repE0EEENS1_30default_config_static_selectorELNS0_4arch9wavefront6targetE0EEEvT1_ ; -- Begin function _ZN7rocprim17ROCPRIM_400000_NS6detail17trampoline_kernelINS0_14default_configENS1_25partition_config_selectorILNS1_17partition_subalgoE5ElNS0_10empty_typeEbEEZZNS1_14partition_implILS5_5ELb0ES3_mN6hipcub16HIPCUB_304000_NS21CountingInputIteratorIllEEPS6_NSA_22TransformInputIteratorIbN2at6native12_GLOBAL__N_19NonZeroOpIlEEPKllEENS0_5tupleIJPlS6_EEENSN_IJSD_SD_EEES6_PiJS6_EEE10hipError_tPvRmT3_T4_T5_T6_T7_T9_mT8_P12ihipStream_tbDpT10_ENKUlT_T0_E_clISt17integral_constantIbLb1EES1B_EEDaS16_S17_EUlS16_E_NS1_11comp_targetILNS1_3genE5ELNS1_11target_archE942ELNS1_3gpuE9ELNS1_3repE0EEENS1_30default_config_static_selectorELNS0_4arch9wavefront6targetE0EEEvT1_
	.p2align	8
	.type	_ZN7rocprim17ROCPRIM_400000_NS6detail17trampoline_kernelINS0_14default_configENS1_25partition_config_selectorILNS1_17partition_subalgoE5ElNS0_10empty_typeEbEEZZNS1_14partition_implILS5_5ELb0ES3_mN6hipcub16HIPCUB_304000_NS21CountingInputIteratorIllEEPS6_NSA_22TransformInputIteratorIbN2at6native12_GLOBAL__N_19NonZeroOpIlEEPKllEENS0_5tupleIJPlS6_EEENSN_IJSD_SD_EEES6_PiJS6_EEE10hipError_tPvRmT3_T4_T5_T6_T7_T9_mT8_P12ihipStream_tbDpT10_ENKUlT_T0_E_clISt17integral_constantIbLb1EES1B_EEDaS16_S17_EUlS16_E_NS1_11comp_targetILNS1_3genE5ELNS1_11target_archE942ELNS1_3gpuE9ELNS1_3repE0EEENS1_30default_config_static_selectorELNS0_4arch9wavefront6targetE0EEEvT1_,@function
_ZN7rocprim17ROCPRIM_400000_NS6detail17trampoline_kernelINS0_14default_configENS1_25partition_config_selectorILNS1_17partition_subalgoE5ElNS0_10empty_typeEbEEZZNS1_14partition_implILS5_5ELb0ES3_mN6hipcub16HIPCUB_304000_NS21CountingInputIteratorIllEEPS6_NSA_22TransformInputIteratorIbN2at6native12_GLOBAL__N_19NonZeroOpIlEEPKllEENS0_5tupleIJPlS6_EEENSN_IJSD_SD_EEES6_PiJS6_EEE10hipError_tPvRmT3_T4_T5_T6_T7_T9_mT8_P12ihipStream_tbDpT10_ENKUlT_T0_E_clISt17integral_constantIbLb1EES1B_EEDaS16_S17_EUlS16_E_NS1_11comp_targetILNS1_3genE5ELNS1_11target_archE942ELNS1_3gpuE9ELNS1_3repE0EEENS1_30default_config_static_selectorELNS0_4arch9wavefront6targetE0EEEvT1_: ; @_ZN7rocprim17ROCPRIM_400000_NS6detail17trampoline_kernelINS0_14default_configENS1_25partition_config_selectorILNS1_17partition_subalgoE5ElNS0_10empty_typeEbEEZZNS1_14partition_implILS5_5ELb0ES3_mN6hipcub16HIPCUB_304000_NS21CountingInputIteratorIllEEPS6_NSA_22TransformInputIteratorIbN2at6native12_GLOBAL__N_19NonZeroOpIlEEPKllEENS0_5tupleIJPlS6_EEENSN_IJSD_SD_EEES6_PiJS6_EEE10hipError_tPvRmT3_T4_T5_T6_T7_T9_mT8_P12ihipStream_tbDpT10_ENKUlT_T0_E_clISt17integral_constantIbLb1EES1B_EEDaS16_S17_EUlS16_E_NS1_11comp_targetILNS1_3genE5ELNS1_11target_archE942ELNS1_3gpuE9ELNS1_3repE0EEENS1_30default_config_static_selectorELNS0_4arch9wavefront6targetE0EEEvT1_
; %bb.0:
	.section	.rodata,"a",@progbits
	.p2align	6, 0x0
	.amdhsa_kernel _ZN7rocprim17ROCPRIM_400000_NS6detail17trampoline_kernelINS0_14default_configENS1_25partition_config_selectorILNS1_17partition_subalgoE5ElNS0_10empty_typeEbEEZZNS1_14partition_implILS5_5ELb0ES3_mN6hipcub16HIPCUB_304000_NS21CountingInputIteratorIllEEPS6_NSA_22TransformInputIteratorIbN2at6native12_GLOBAL__N_19NonZeroOpIlEEPKllEENS0_5tupleIJPlS6_EEENSN_IJSD_SD_EEES6_PiJS6_EEE10hipError_tPvRmT3_T4_T5_T6_T7_T9_mT8_P12ihipStream_tbDpT10_ENKUlT_T0_E_clISt17integral_constantIbLb1EES1B_EEDaS16_S17_EUlS16_E_NS1_11comp_targetILNS1_3genE5ELNS1_11target_archE942ELNS1_3gpuE9ELNS1_3repE0EEENS1_30default_config_static_selectorELNS0_4arch9wavefront6targetE0EEEvT1_
		.amdhsa_group_segment_fixed_size 0
		.amdhsa_private_segment_fixed_size 0
		.amdhsa_kernarg_size 136
		.amdhsa_user_sgpr_count 2
		.amdhsa_user_sgpr_dispatch_ptr 0
		.amdhsa_user_sgpr_queue_ptr 0
		.amdhsa_user_sgpr_kernarg_segment_ptr 1
		.amdhsa_user_sgpr_dispatch_id 0
		.amdhsa_user_sgpr_private_segment_size 0
		.amdhsa_wavefront_size32 1
		.amdhsa_uses_dynamic_stack 0
		.amdhsa_enable_private_segment 0
		.amdhsa_system_sgpr_workgroup_id_x 1
		.amdhsa_system_sgpr_workgroup_id_y 0
		.amdhsa_system_sgpr_workgroup_id_z 0
		.amdhsa_system_sgpr_workgroup_info 0
		.amdhsa_system_vgpr_workitem_id 0
		.amdhsa_next_free_vgpr 1
		.amdhsa_next_free_sgpr 1
		.amdhsa_reserve_vcc 0
		.amdhsa_float_round_mode_32 0
		.amdhsa_float_round_mode_16_64 0
		.amdhsa_float_denorm_mode_32 3
		.amdhsa_float_denorm_mode_16_64 3
		.amdhsa_fp16_overflow 0
		.amdhsa_workgroup_processor_mode 1
		.amdhsa_memory_ordered 1
		.amdhsa_forward_progress 1
		.amdhsa_inst_pref_size 0
		.amdhsa_round_robin_scheduling 0
		.amdhsa_exception_fp_ieee_invalid_op 0
		.amdhsa_exception_fp_denorm_src 0
		.amdhsa_exception_fp_ieee_div_zero 0
		.amdhsa_exception_fp_ieee_overflow 0
		.amdhsa_exception_fp_ieee_underflow 0
		.amdhsa_exception_fp_ieee_inexact 0
		.amdhsa_exception_int_div_zero 0
	.end_amdhsa_kernel
	.section	.text._ZN7rocprim17ROCPRIM_400000_NS6detail17trampoline_kernelINS0_14default_configENS1_25partition_config_selectorILNS1_17partition_subalgoE5ElNS0_10empty_typeEbEEZZNS1_14partition_implILS5_5ELb0ES3_mN6hipcub16HIPCUB_304000_NS21CountingInputIteratorIllEEPS6_NSA_22TransformInputIteratorIbN2at6native12_GLOBAL__N_19NonZeroOpIlEEPKllEENS0_5tupleIJPlS6_EEENSN_IJSD_SD_EEES6_PiJS6_EEE10hipError_tPvRmT3_T4_T5_T6_T7_T9_mT8_P12ihipStream_tbDpT10_ENKUlT_T0_E_clISt17integral_constantIbLb1EES1B_EEDaS16_S17_EUlS16_E_NS1_11comp_targetILNS1_3genE5ELNS1_11target_archE942ELNS1_3gpuE9ELNS1_3repE0EEENS1_30default_config_static_selectorELNS0_4arch9wavefront6targetE0EEEvT1_,"axG",@progbits,_ZN7rocprim17ROCPRIM_400000_NS6detail17trampoline_kernelINS0_14default_configENS1_25partition_config_selectorILNS1_17partition_subalgoE5ElNS0_10empty_typeEbEEZZNS1_14partition_implILS5_5ELb0ES3_mN6hipcub16HIPCUB_304000_NS21CountingInputIteratorIllEEPS6_NSA_22TransformInputIteratorIbN2at6native12_GLOBAL__N_19NonZeroOpIlEEPKllEENS0_5tupleIJPlS6_EEENSN_IJSD_SD_EEES6_PiJS6_EEE10hipError_tPvRmT3_T4_T5_T6_T7_T9_mT8_P12ihipStream_tbDpT10_ENKUlT_T0_E_clISt17integral_constantIbLb1EES1B_EEDaS16_S17_EUlS16_E_NS1_11comp_targetILNS1_3genE5ELNS1_11target_archE942ELNS1_3gpuE9ELNS1_3repE0EEENS1_30default_config_static_selectorELNS0_4arch9wavefront6targetE0EEEvT1_,comdat
.Lfunc_end263:
	.size	_ZN7rocprim17ROCPRIM_400000_NS6detail17trampoline_kernelINS0_14default_configENS1_25partition_config_selectorILNS1_17partition_subalgoE5ElNS0_10empty_typeEbEEZZNS1_14partition_implILS5_5ELb0ES3_mN6hipcub16HIPCUB_304000_NS21CountingInputIteratorIllEEPS6_NSA_22TransformInputIteratorIbN2at6native12_GLOBAL__N_19NonZeroOpIlEEPKllEENS0_5tupleIJPlS6_EEENSN_IJSD_SD_EEES6_PiJS6_EEE10hipError_tPvRmT3_T4_T5_T6_T7_T9_mT8_P12ihipStream_tbDpT10_ENKUlT_T0_E_clISt17integral_constantIbLb1EES1B_EEDaS16_S17_EUlS16_E_NS1_11comp_targetILNS1_3genE5ELNS1_11target_archE942ELNS1_3gpuE9ELNS1_3repE0EEENS1_30default_config_static_selectorELNS0_4arch9wavefront6targetE0EEEvT1_, .Lfunc_end263-_ZN7rocprim17ROCPRIM_400000_NS6detail17trampoline_kernelINS0_14default_configENS1_25partition_config_selectorILNS1_17partition_subalgoE5ElNS0_10empty_typeEbEEZZNS1_14partition_implILS5_5ELb0ES3_mN6hipcub16HIPCUB_304000_NS21CountingInputIteratorIllEEPS6_NSA_22TransformInputIteratorIbN2at6native12_GLOBAL__N_19NonZeroOpIlEEPKllEENS0_5tupleIJPlS6_EEENSN_IJSD_SD_EEES6_PiJS6_EEE10hipError_tPvRmT3_T4_T5_T6_T7_T9_mT8_P12ihipStream_tbDpT10_ENKUlT_T0_E_clISt17integral_constantIbLb1EES1B_EEDaS16_S17_EUlS16_E_NS1_11comp_targetILNS1_3genE5ELNS1_11target_archE942ELNS1_3gpuE9ELNS1_3repE0EEENS1_30default_config_static_selectorELNS0_4arch9wavefront6targetE0EEEvT1_
                                        ; -- End function
	.set _ZN7rocprim17ROCPRIM_400000_NS6detail17trampoline_kernelINS0_14default_configENS1_25partition_config_selectorILNS1_17partition_subalgoE5ElNS0_10empty_typeEbEEZZNS1_14partition_implILS5_5ELb0ES3_mN6hipcub16HIPCUB_304000_NS21CountingInputIteratorIllEEPS6_NSA_22TransformInputIteratorIbN2at6native12_GLOBAL__N_19NonZeroOpIlEEPKllEENS0_5tupleIJPlS6_EEENSN_IJSD_SD_EEES6_PiJS6_EEE10hipError_tPvRmT3_T4_T5_T6_T7_T9_mT8_P12ihipStream_tbDpT10_ENKUlT_T0_E_clISt17integral_constantIbLb1EES1B_EEDaS16_S17_EUlS16_E_NS1_11comp_targetILNS1_3genE5ELNS1_11target_archE942ELNS1_3gpuE9ELNS1_3repE0EEENS1_30default_config_static_selectorELNS0_4arch9wavefront6targetE0EEEvT1_.num_vgpr, 0
	.set _ZN7rocprim17ROCPRIM_400000_NS6detail17trampoline_kernelINS0_14default_configENS1_25partition_config_selectorILNS1_17partition_subalgoE5ElNS0_10empty_typeEbEEZZNS1_14partition_implILS5_5ELb0ES3_mN6hipcub16HIPCUB_304000_NS21CountingInputIteratorIllEEPS6_NSA_22TransformInputIteratorIbN2at6native12_GLOBAL__N_19NonZeroOpIlEEPKllEENS0_5tupleIJPlS6_EEENSN_IJSD_SD_EEES6_PiJS6_EEE10hipError_tPvRmT3_T4_T5_T6_T7_T9_mT8_P12ihipStream_tbDpT10_ENKUlT_T0_E_clISt17integral_constantIbLb1EES1B_EEDaS16_S17_EUlS16_E_NS1_11comp_targetILNS1_3genE5ELNS1_11target_archE942ELNS1_3gpuE9ELNS1_3repE0EEENS1_30default_config_static_selectorELNS0_4arch9wavefront6targetE0EEEvT1_.num_agpr, 0
	.set _ZN7rocprim17ROCPRIM_400000_NS6detail17trampoline_kernelINS0_14default_configENS1_25partition_config_selectorILNS1_17partition_subalgoE5ElNS0_10empty_typeEbEEZZNS1_14partition_implILS5_5ELb0ES3_mN6hipcub16HIPCUB_304000_NS21CountingInputIteratorIllEEPS6_NSA_22TransformInputIteratorIbN2at6native12_GLOBAL__N_19NonZeroOpIlEEPKllEENS0_5tupleIJPlS6_EEENSN_IJSD_SD_EEES6_PiJS6_EEE10hipError_tPvRmT3_T4_T5_T6_T7_T9_mT8_P12ihipStream_tbDpT10_ENKUlT_T0_E_clISt17integral_constantIbLb1EES1B_EEDaS16_S17_EUlS16_E_NS1_11comp_targetILNS1_3genE5ELNS1_11target_archE942ELNS1_3gpuE9ELNS1_3repE0EEENS1_30default_config_static_selectorELNS0_4arch9wavefront6targetE0EEEvT1_.numbered_sgpr, 0
	.set _ZN7rocprim17ROCPRIM_400000_NS6detail17trampoline_kernelINS0_14default_configENS1_25partition_config_selectorILNS1_17partition_subalgoE5ElNS0_10empty_typeEbEEZZNS1_14partition_implILS5_5ELb0ES3_mN6hipcub16HIPCUB_304000_NS21CountingInputIteratorIllEEPS6_NSA_22TransformInputIteratorIbN2at6native12_GLOBAL__N_19NonZeroOpIlEEPKllEENS0_5tupleIJPlS6_EEENSN_IJSD_SD_EEES6_PiJS6_EEE10hipError_tPvRmT3_T4_T5_T6_T7_T9_mT8_P12ihipStream_tbDpT10_ENKUlT_T0_E_clISt17integral_constantIbLb1EES1B_EEDaS16_S17_EUlS16_E_NS1_11comp_targetILNS1_3genE5ELNS1_11target_archE942ELNS1_3gpuE9ELNS1_3repE0EEENS1_30default_config_static_selectorELNS0_4arch9wavefront6targetE0EEEvT1_.num_named_barrier, 0
	.set _ZN7rocprim17ROCPRIM_400000_NS6detail17trampoline_kernelINS0_14default_configENS1_25partition_config_selectorILNS1_17partition_subalgoE5ElNS0_10empty_typeEbEEZZNS1_14partition_implILS5_5ELb0ES3_mN6hipcub16HIPCUB_304000_NS21CountingInputIteratorIllEEPS6_NSA_22TransformInputIteratorIbN2at6native12_GLOBAL__N_19NonZeroOpIlEEPKllEENS0_5tupleIJPlS6_EEENSN_IJSD_SD_EEES6_PiJS6_EEE10hipError_tPvRmT3_T4_T5_T6_T7_T9_mT8_P12ihipStream_tbDpT10_ENKUlT_T0_E_clISt17integral_constantIbLb1EES1B_EEDaS16_S17_EUlS16_E_NS1_11comp_targetILNS1_3genE5ELNS1_11target_archE942ELNS1_3gpuE9ELNS1_3repE0EEENS1_30default_config_static_selectorELNS0_4arch9wavefront6targetE0EEEvT1_.private_seg_size, 0
	.set _ZN7rocprim17ROCPRIM_400000_NS6detail17trampoline_kernelINS0_14default_configENS1_25partition_config_selectorILNS1_17partition_subalgoE5ElNS0_10empty_typeEbEEZZNS1_14partition_implILS5_5ELb0ES3_mN6hipcub16HIPCUB_304000_NS21CountingInputIteratorIllEEPS6_NSA_22TransformInputIteratorIbN2at6native12_GLOBAL__N_19NonZeroOpIlEEPKllEENS0_5tupleIJPlS6_EEENSN_IJSD_SD_EEES6_PiJS6_EEE10hipError_tPvRmT3_T4_T5_T6_T7_T9_mT8_P12ihipStream_tbDpT10_ENKUlT_T0_E_clISt17integral_constantIbLb1EES1B_EEDaS16_S17_EUlS16_E_NS1_11comp_targetILNS1_3genE5ELNS1_11target_archE942ELNS1_3gpuE9ELNS1_3repE0EEENS1_30default_config_static_selectorELNS0_4arch9wavefront6targetE0EEEvT1_.uses_vcc, 0
	.set _ZN7rocprim17ROCPRIM_400000_NS6detail17trampoline_kernelINS0_14default_configENS1_25partition_config_selectorILNS1_17partition_subalgoE5ElNS0_10empty_typeEbEEZZNS1_14partition_implILS5_5ELb0ES3_mN6hipcub16HIPCUB_304000_NS21CountingInputIteratorIllEEPS6_NSA_22TransformInputIteratorIbN2at6native12_GLOBAL__N_19NonZeroOpIlEEPKllEENS0_5tupleIJPlS6_EEENSN_IJSD_SD_EEES6_PiJS6_EEE10hipError_tPvRmT3_T4_T5_T6_T7_T9_mT8_P12ihipStream_tbDpT10_ENKUlT_T0_E_clISt17integral_constantIbLb1EES1B_EEDaS16_S17_EUlS16_E_NS1_11comp_targetILNS1_3genE5ELNS1_11target_archE942ELNS1_3gpuE9ELNS1_3repE0EEENS1_30default_config_static_selectorELNS0_4arch9wavefront6targetE0EEEvT1_.uses_flat_scratch, 0
	.set _ZN7rocprim17ROCPRIM_400000_NS6detail17trampoline_kernelINS0_14default_configENS1_25partition_config_selectorILNS1_17partition_subalgoE5ElNS0_10empty_typeEbEEZZNS1_14partition_implILS5_5ELb0ES3_mN6hipcub16HIPCUB_304000_NS21CountingInputIteratorIllEEPS6_NSA_22TransformInputIteratorIbN2at6native12_GLOBAL__N_19NonZeroOpIlEEPKllEENS0_5tupleIJPlS6_EEENSN_IJSD_SD_EEES6_PiJS6_EEE10hipError_tPvRmT3_T4_T5_T6_T7_T9_mT8_P12ihipStream_tbDpT10_ENKUlT_T0_E_clISt17integral_constantIbLb1EES1B_EEDaS16_S17_EUlS16_E_NS1_11comp_targetILNS1_3genE5ELNS1_11target_archE942ELNS1_3gpuE9ELNS1_3repE0EEENS1_30default_config_static_selectorELNS0_4arch9wavefront6targetE0EEEvT1_.has_dyn_sized_stack, 0
	.set _ZN7rocprim17ROCPRIM_400000_NS6detail17trampoline_kernelINS0_14default_configENS1_25partition_config_selectorILNS1_17partition_subalgoE5ElNS0_10empty_typeEbEEZZNS1_14partition_implILS5_5ELb0ES3_mN6hipcub16HIPCUB_304000_NS21CountingInputIteratorIllEEPS6_NSA_22TransformInputIteratorIbN2at6native12_GLOBAL__N_19NonZeroOpIlEEPKllEENS0_5tupleIJPlS6_EEENSN_IJSD_SD_EEES6_PiJS6_EEE10hipError_tPvRmT3_T4_T5_T6_T7_T9_mT8_P12ihipStream_tbDpT10_ENKUlT_T0_E_clISt17integral_constantIbLb1EES1B_EEDaS16_S17_EUlS16_E_NS1_11comp_targetILNS1_3genE5ELNS1_11target_archE942ELNS1_3gpuE9ELNS1_3repE0EEENS1_30default_config_static_selectorELNS0_4arch9wavefront6targetE0EEEvT1_.has_recursion, 0
	.set _ZN7rocprim17ROCPRIM_400000_NS6detail17trampoline_kernelINS0_14default_configENS1_25partition_config_selectorILNS1_17partition_subalgoE5ElNS0_10empty_typeEbEEZZNS1_14partition_implILS5_5ELb0ES3_mN6hipcub16HIPCUB_304000_NS21CountingInputIteratorIllEEPS6_NSA_22TransformInputIteratorIbN2at6native12_GLOBAL__N_19NonZeroOpIlEEPKllEENS0_5tupleIJPlS6_EEENSN_IJSD_SD_EEES6_PiJS6_EEE10hipError_tPvRmT3_T4_T5_T6_T7_T9_mT8_P12ihipStream_tbDpT10_ENKUlT_T0_E_clISt17integral_constantIbLb1EES1B_EEDaS16_S17_EUlS16_E_NS1_11comp_targetILNS1_3genE5ELNS1_11target_archE942ELNS1_3gpuE9ELNS1_3repE0EEENS1_30default_config_static_selectorELNS0_4arch9wavefront6targetE0EEEvT1_.has_indirect_call, 0
	.section	.AMDGPU.csdata,"",@progbits
; Kernel info:
; codeLenInByte = 0
; TotalNumSgprs: 0
; NumVgprs: 0
; ScratchSize: 0
; MemoryBound: 0
; FloatMode: 240
; IeeeMode: 1
; LDSByteSize: 0 bytes/workgroup (compile time only)
; SGPRBlocks: 0
; VGPRBlocks: 0
; NumSGPRsForWavesPerEU: 1
; NumVGPRsForWavesPerEU: 1
; Occupancy: 16
; WaveLimiterHint : 0
; COMPUTE_PGM_RSRC2:SCRATCH_EN: 0
; COMPUTE_PGM_RSRC2:USER_SGPR: 2
; COMPUTE_PGM_RSRC2:TRAP_HANDLER: 0
; COMPUTE_PGM_RSRC2:TGID_X_EN: 1
; COMPUTE_PGM_RSRC2:TGID_Y_EN: 0
; COMPUTE_PGM_RSRC2:TGID_Z_EN: 0
; COMPUTE_PGM_RSRC2:TIDIG_COMP_CNT: 0
	.section	.text._ZN7rocprim17ROCPRIM_400000_NS6detail17trampoline_kernelINS0_14default_configENS1_25partition_config_selectorILNS1_17partition_subalgoE5ElNS0_10empty_typeEbEEZZNS1_14partition_implILS5_5ELb0ES3_mN6hipcub16HIPCUB_304000_NS21CountingInputIteratorIllEEPS6_NSA_22TransformInputIteratorIbN2at6native12_GLOBAL__N_19NonZeroOpIlEEPKllEENS0_5tupleIJPlS6_EEENSN_IJSD_SD_EEES6_PiJS6_EEE10hipError_tPvRmT3_T4_T5_T6_T7_T9_mT8_P12ihipStream_tbDpT10_ENKUlT_T0_E_clISt17integral_constantIbLb1EES1B_EEDaS16_S17_EUlS16_E_NS1_11comp_targetILNS1_3genE4ELNS1_11target_archE910ELNS1_3gpuE8ELNS1_3repE0EEENS1_30default_config_static_selectorELNS0_4arch9wavefront6targetE0EEEvT1_,"axG",@progbits,_ZN7rocprim17ROCPRIM_400000_NS6detail17trampoline_kernelINS0_14default_configENS1_25partition_config_selectorILNS1_17partition_subalgoE5ElNS0_10empty_typeEbEEZZNS1_14partition_implILS5_5ELb0ES3_mN6hipcub16HIPCUB_304000_NS21CountingInputIteratorIllEEPS6_NSA_22TransformInputIteratorIbN2at6native12_GLOBAL__N_19NonZeroOpIlEEPKllEENS0_5tupleIJPlS6_EEENSN_IJSD_SD_EEES6_PiJS6_EEE10hipError_tPvRmT3_T4_T5_T6_T7_T9_mT8_P12ihipStream_tbDpT10_ENKUlT_T0_E_clISt17integral_constantIbLb1EES1B_EEDaS16_S17_EUlS16_E_NS1_11comp_targetILNS1_3genE4ELNS1_11target_archE910ELNS1_3gpuE8ELNS1_3repE0EEENS1_30default_config_static_selectorELNS0_4arch9wavefront6targetE0EEEvT1_,comdat
	.globl	_ZN7rocprim17ROCPRIM_400000_NS6detail17trampoline_kernelINS0_14default_configENS1_25partition_config_selectorILNS1_17partition_subalgoE5ElNS0_10empty_typeEbEEZZNS1_14partition_implILS5_5ELb0ES3_mN6hipcub16HIPCUB_304000_NS21CountingInputIteratorIllEEPS6_NSA_22TransformInputIteratorIbN2at6native12_GLOBAL__N_19NonZeroOpIlEEPKllEENS0_5tupleIJPlS6_EEENSN_IJSD_SD_EEES6_PiJS6_EEE10hipError_tPvRmT3_T4_T5_T6_T7_T9_mT8_P12ihipStream_tbDpT10_ENKUlT_T0_E_clISt17integral_constantIbLb1EES1B_EEDaS16_S17_EUlS16_E_NS1_11comp_targetILNS1_3genE4ELNS1_11target_archE910ELNS1_3gpuE8ELNS1_3repE0EEENS1_30default_config_static_selectorELNS0_4arch9wavefront6targetE0EEEvT1_ ; -- Begin function _ZN7rocprim17ROCPRIM_400000_NS6detail17trampoline_kernelINS0_14default_configENS1_25partition_config_selectorILNS1_17partition_subalgoE5ElNS0_10empty_typeEbEEZZNS1_14partition_implILS5_5ELb0ES3_mN6hipcub16HIPCUB_304000_NS21CountingInputIteratorIllEEPS6_NSA_22TransformInputIteratorIbN2at6native12_GLOBAL__N_19NonZeroOpIlEEPKllEENS0_5tupleIJPlS6_EEENSN_IJSD_SD_EEES6_PiJS6_EEE10hipError_tPvRmT3_T4_T5_T6_T7_T9_mT8_P12ihipStream_tbDpT10_ENKUlT_T0_E_clISt17integral_constantIbLb1EES1B_EEDaS16_S17_EUlS16_E_NS1_11comp_targetILNS1_3genE4ELNS1_11target_archE910ELNS1_3gpuE8ELNS1_3repE0EEENS1_30default_config_static_selectorELNS0_4arch9wavefront6targetE0EEEvT1_
	.p2align	8
	.type	_ZN7rocprim17ROCPRIM_400000_NS6detail17trampoline_kernelINS0_14default_configENS1_25partition_config_selectorILNS1_17partition_subalgoE5ElNS0_10empty_typeEbEEZZNS1_14partition_implILS5_5ELb0ES3_mN6hipcub16HIPCUB_304000_NS21CountingInputIteratorIllEEPS6_NSA_22TransformInputIteratorIbN2at6native12_GLOBAL__N_19NonZeroOpIlEEPKllEENS0_5tupleIJPlS6_EEENSN_IJSD_SD_EEES6_PiJS6_EEE10hipError_tPvRmT3_T4_T5_T6_T7_T9_mT8_P12ihipStream_tbDpT10_ENKUlT_T0_E_clISt17integral_constantIbLb1EES1B_EEDaS16_S17_EUlS16_E_NS1_11comp_targetILNS1_3genE4ELNS1_11target_archE910ELNS1_3gpuE8ELNS1_3repE0EEENS1_30default_config_static_selectorELNS0_4arch9wavefront6targetE0EEEvT1_,@function
_ZN7rocprim17ROCPRIM_400000_NS6detail17trampoline_kernelINS0_14default_configENS1_25partition_config_selectorILNS1_17partition_subalgoE5ElNS0_10empty_typeEbEEZZNS1_14partition_implILS5_5ELb0ES3_mN6hipcub16HIPCUB_304000_NS21CountingInputIteratorIllEEPS6_NSA_22TransformInputIteratorIbN2at6native12_GLOBAL__N_19NonZeroOpIlEEPKllEENS0_5tupleIJPlS6_EEENSN_IJSD_SD_EEES6_PiJS6_EEE10hipError_tPvRmT3_T4_T5_T6_T7_T9_mT8_P12ihipStream_tbDpT10_ENKUlT_T0_E_clISt17integral_constantIbLb1EES1B_EEDaS16_S17_EUlS16_E_NS1_11comp_targetILNS1_3genE4ELNS1_11target_archE910ELNS1_3gpuE8ELNS1_3repE0EEENS1_30default_config_static_selectorELNS0_4arch9wavefront6targetE0EEEvT1_: ; @_ZN7rocprim17ROCPRIM_400000_NS6detail17trampoline_kernelINS0_14default_configENS1_25partition_config_selectorILNS1_17partition_subalgoE5ElNS0_10empty_typeEbEEZZNS1_14partition_implILS5_5ELb0ES3_mN6hipcub16HIPCUB_304000_NS21CountingInputIteratorIllEEPS6_NSA_22TransformInputIteratorIbN2at6native12_GLOBAL__N_19NonZeroOpIlEEPKllEENS0_5tupleIJPlS6_EEENSN_IJSD_SD_EEES6_PiJS6_EEE10hipError_tPvRmT3_T4_T5_T6_T7_T9_mT8_P12ihipStream_tbDpT10_ENKUlT_T0_E_clISt17integral_constantIbLb1EES1B_EEDaS16_S17_EUlS16_E_NS1_11comp_targetILNS1_3genE4ELNS1_11target_archE910ELNS1_3gpuE8ELNS1_3repE0EEENS1_30default_config_static_selectorELNS0_4arch9wavefront6targetE0EEEvT1_
; %bb.0:
	.section	.rodata,"a",@progbits
	.p2align	6, 0x0
	.amdhsa_kernel _ZN7rocprim17ROCPRIM_400000_NS6detail17trampoline_kernelINS0_14default_configENS1_25partition_config_selectorILNS1_17partition_subalgoE5ElNS0_10empty_typeEbEEZZNS1_14partition_implILS5_5ELb0ES3_mN6hipcub16HIPCUB_304000_NS21CountingInputIteratorIllEEPS6_NSA_22TransformInputIteratorIbN2at6native12_GLOBAL__N_19NonZeroOpIlEEPKllEENS0_5tupleIJPlS6_EEENSN_IJSD_SD_EEES6_PiJS6_EEE10hipError_tPvRmT3_T4_T5_T6_T7_T9_mT8_P12ihipStream_tbDpT10_ENKUlT_T0_E_clISt17integral_constantIbLb1EES1B_EEDaS16_S17_EUlS16_E_NS1_11comp_targetILNS1_3genE4ELNS1_11target_archE910ELNS1_3gpuE8ELNS1_3repE0EEENS1_30default_config_static_selectorELNS0_4arch9wavefront6targetE0EEEvT1_
		.amdhsa_group_segment_fixed_size 0
		.amdhsa_private_segment_fixed_size 0
		.amdhsa_kernarg_size 136
		.amdhsa_user_sgpr_count 2
		.amdhsa_user_sgpr_dispatch_ptr 0
		.amdhsa_user_sgpr_queue_ptr 0
		.amdhsa_user_sgpr_kernarg_segment_ptr 1
		.amdhsa_user_sgpr_dispatch_id 0
		.amdhsa_user_sgpr_private_segment_size 0
		.amdhsa_wavefront_size32 1
		.amdhsa_uses_dynamic_stack 0
		.amdhsa_enable_private_segment 0
		.amdhsa_system_sgpr_workgroup_id_x 1
		.amdhsa_system_sgpr_workgroup_id_y 0
		.amdhsa_system_sgpr_workgroup_id_z 0
		.amdhsa_system_sgpr_workgroup_info 0
		.amdhsa_system_vgpr_workitem_id 0
		.amdhsa_next_free_vgpr 1
		.amdhsa_next_free_sgpr 1
		.amdhsa_reserve_vcc 0
		.amdhsa_float_round_mode_32 0
		.amdhsa_float_round_mode_16_64 0
		.amdhsa_float_denorm_mode_32 3
		.amdhsa_float_denorm_mode_16_64 3
		.amdhsa_fp16_overflow 0
		.amdhsa_workgroup_processor_mode 1
		.amdhsa_memory_ordered 1
		.amdhsa_forward_progress 1
		.amdhsa_inst_pref_size 0
		.amdhsa_round_robin_scheduling 0
		.amdhsa_exception_fp_ieee_invalid_op 0
		.amdhsa_exception_fp_denorm_src 0
		.amdhsa_exception_fp_ieee_div_zero 0
		.amdhsa_exception_fp_ieee_overflow 0
		.amdhsa_exception_fp_ieee_underflow 0
		.amdhsa_exception_fp_ieee_inexact 0
		.amdhsa_exception_int_div_zero 0
	.end_amdhsa_kernel
	.section	.text._ZN7rocprim17ROCPRIM_400000_NS6detail17trampoline_kernelINS0_14default_configENS1_25partition_config_selectorILNS1_17partition_subalgoE5ElNS0_10empty_typeEbEEZZNS1_14partition_implILS5_5ELb0ES3_mN6hipcub16HIPCUB_304000_NS21CountingInputIteratorIllEEPS6_NSA_22TransformInputIteratorIbN2at6native12_GLOBAL__N_19NonZeroOpIlEEPKllEENS0_5tupleIJPlS6_EEENSN_IJSD_SD_EEES6_PiJS6_EEE10hipError_tPvRmT3_T4_T5_T6_T7_T9_mT8_P12ihipStream_tbDpT10_ENKUlT_T0_E_clISt17integral_constantIbLb1EES1B_EEDaS16_S17_EUlS16_E_NS1_11comp_targetILNS1_3genE4ELNS1_11target_archE910ELNS1_3gpuE8ELNS1_3repE0EEENS1_30default_config_static_selectorELNS0_4arch9wavefront6targetE0EEEvT1_,"axG",@progbits,_ZN7rocprim17ROCPRIM_400000_NS6detail17trampoline_kernelINS0_14default_configENS1_25partition_config_selectorILNS1_17partition_subalgoE5ElNS0_10empty_typeEbEEZZNS1_14partition_implILS5_5ELb0ES3_mN6hipcub16HIPCUB_304000_NS21CountingInputIteratorIllEEPS6_NSA_22TransformInputIteratorIbN2at6native12_GLOBAL__N_19NonZeroOpIlEEPKllEENS0_5tupleIJPlS6_EEENSN_IJSD_SD_EEES6_PiJS6_EEE10hipError_tPvRmT3_T4_T5_T6_T7_T9_mT8_P12ihipStream_tbDpT10_ENKUlT_T0_E_clISt17integral_constantIbLb1EES1B_EEDaS16_S17_EUlS16_E_NS1_11comp_targetILNS1_3genE4ELNS1_11target_archE910ELNS1_3gpuE8ELNS1_3repE0EEENS1_30default_config_static_selectorELNS0_4arch9wavefront6targetE0EEEvT1_,comdat
.Lfunc_end264:
	.size	_ZN7rocprim17ROCPRIM_400000_NS6detail17trampoline_kernelINS0_14default_configENS1_25partition_config_selectorILNS1_17partition_subalgoE5ElNS0_10empty_typeEbEEZZNS1_14partition_implILS5_5ELb0ES3_mN6hipcub16HIPCUB_304000_NS21CountingInputIteratorIllEEPS6_NSA_22TransformInputIteratorIbN2at6native12_GLOBAL__N_19NonZeroOpIlEEPKllEENS0_5tupleIJPlS6_EEENSN_IJSD_SD_EEES6_PiJS6_EEE10hipError_tPvRmT3_T4_T5_T6_T7_T9_mT8_P12ihipStream_tbDpT10_ENKUlT_T0_E_clISt17integral_constantIbLb1EES1B_EEDaS16_S17_EUlS16_E_NS1_11comp_targetILNS1_3genE4ELNS1_11target_archE910ELNS1_3gpuE8ELNS1_3repE0EEENS1_30default_config_static_selectorELNS0_4arch9wavefront6targetE0EEEvT1_, .Lfunc_end264-_ZN7rocprim17ROCPRIM_400000_NS6detail17trampoline_kernelINS0_14default_configENS1_25partition_config_selectorILNS1_17partition_subalgoE5ElNS0_10empty_typeEbEEZZNS1_14partition_implILS5_5ELb0ES3_mN6hipcub16HIPCUB_304000_NS21CountingInputIteratorIllEEPS6_NSA_22TransformInputIteratorIbN2at6native12_GLOBAL__N_19NonZeroOpIlEEPKllEENS0_5tupleIJPlS6_EEENSN_IJSD_SD_EEES6_PiJS6_EEE10hipError_tPvRmT3_T4_T5_T6_T7_T9_mT8_P12ihipStream_tbDpT10_ENKUlT_T0_E_clISt17integral_constantIbLb1EES1B_EEDaS16_S17_EUlS16_E_NS1_11comp_targetILNS1_3genE4ELNS1_11target_archE910ELNS1_3gpuE8ELNS1_3repE0EEENS1_30default_config_static_selectorELNS0_4arch9wavefront6targetE0EEEvT1_
                                        ; -- End function
	.set _ZN7rocprim17ROCPRIM_400000_NS6detail17trampoline_kernelINS0_14default_configENS1_25partition_config_selectorILNS1_17partition_subalgoE5ElNS0_10empty_typeEbEEZZNS1_14partition_implILS5_5ELb0ES3_mN6hipcub16HIPCUB_304000_NS21CountingInputIteratorIllEEPS6_NSA_22TransformInputIteratorIbN2at6native12_GLOBAL__N_19NonZeroOpIlEEPKllEENS0_5tupleIJPlS6_EEENSN_IJSD_SD_EEES6_PiJS6_EEE10hipError_tPvRmT3_T4_T5_T6_T7_T9_mT8_P12ihipStream_tbDpT10_ENKUlT_T0_E_clISt17integral_constantIbLb1EES1B_EEDaS16_S17_EUlS16_E_NS1_11comp_targetILNS1_3genE4ELNS1_11target_archE910ELNS1_3gpuE8ELNS1_3repE0EEENS1_30default_config_static_selectorELNS0_4arch9wavefront6targetE0EEEvT1_.num_vgpr, 0
	.set _ZN7rocprim17ROCPRIM_400000_NS6detail17trampoline_kernelINS0_14default_configENS1_25partition_config_selectorILNS1_17partition_subalgoE5ElNS0_10empty_typeEbEEZZNS1_14partition_implILS5_5ELb0ES3_mN6hipcub16HIPCUB_304000_NS21CountingInputIteratorIllEEPS6_NSA_22TransformInputIteratorIbN2at6native12_GLOBAL__N_19NonZeroOpIlEEPKllEENS0_5tupleIJPlS6_EEENSN_IJSD_SD_EEES6_PiJS6_EEE10hipError_tPvRmT3_T4_T5_T6_T7_T9_mT8_P12ihipStream_tbDpT10_ENKUlT_T0_E_clISt17integral_constantIbLb1EES1B_EEDaS16_S17_EUlS16_E_NS1_11comp_targetILNS1_3genE4ELNS1_11target_archE910ELNS1_3gpuE8ELNS1_3repE0EEENS1_30default_config_static_selectorELNS0_4arch9wavefront6targetE0EEEvT1_.num_agpr, 0
	.set _ZN7rocprim17ROCPRIM_400000_NS6detail17trampoline_kernelINS0_14default_configENS1_25partition_config_selectorILNS1_17partition_subalgoE5ElNS0_10empty_typeEbEEZZNS1_14partition_implILS5_5ELb0ES3_mN6hipcub16HIPCUB_304000_NS21CountingInputIteratorIllEEPS6_NSA_22TransformInputIteratorIbN2at6native12_GLOBAL__N_19NonZeroOpIlEEPKllEENS0_5tupleIJPlS6_EEENSN_IJSD_SD_EEES6_PiJS6_EEE10hipError_tPvRmT3_T4_T5_T6_T7_T9_mT8_P12ihipStream_tbDpT10_ENKUlT_T0_E_clISt17integral_constantIbLb1EES1B_EEDaS16_S17_EUlS16_E_NS1_11comp_targetILNS1_3genE4ELNS1_11target_archE910ELNS1_3gpuE8ELNS1_3repE0EEENS1_30default_config_static_selectorELNS0_4arch9wavefront6targetE0EEEvT1_.numbered_sgpr, 0
	.set _ZN7rocprim17ROCPRIM_400000_NS6detail17trampoline_kernelINS0_14default_configENS1_25partition_config_selectorILNS1_17partition_subalgoE5ElNS0_10empty_typeEbEEZZNS1_14partition_implILS5_5ELb0ES3_mN6hipcub16HIPCUB_304000_NS21CountingInputIteratorIllEEPS6_NSA_22TransformInputIteratorIbN2at6native12_GLOBAL__N_19NonZeroOpIlEEPKllEENS0_5tupleIJPlS6_EEENSN_IJSD_SD_EEES6_PiJS6_EEE10hipError_tPvRmT3_T4_T5_T6_T7_T9_mT8_P12ihipStream_tbDpT10_ENKUlT_T0_E_clISt17integral_constantIbLb1EES1B_EEDaS16_S17_EUlS16_E_NS1_11comp_targetILNS1_3genE4ELNS1_11target_archE910ELNS1_3gpuE8ELNS1_3repE0EEENS1_30default_config_static_selectorELNS0_4arch9wavefront6targetE0EEEvT1_.num_named_barrier, 0
	.set _ZN7rocprim17ROCPRIM_400000_NS6detail17trampoline_kernelINS0_14default_configENS1_25partition_config_selectorILNS1_17partition_subalgoE5ElNS0_10empty_typeEbEEZZNS1_14partition_implILS5_5ELb0ES3_mN6hipcub16HIPCUB_304000_NS21CountingInputIteratorIllEEPS6_NSA_22TransformInputIteratorIbN2at6native12_GLOBAL__N_19NonZeroOpIlEEPKllEENS0_5tupleIJPlS6_EEENSN_IJSD_SD_EEES6_PiJS6_EEE10hipError_tPvRmT3_T4_T5_T6_T7_T9_mT8_P12ihipStream_tbDpT10_ENKUlT_T0_E_clISt17integral_constantIbLb1EES1B_EEDaS16_S17_EUlS16_E_NS1_11comp_targetILNS1_3genE4ELNS1_11target_archE910ELNS1_3gpuE8ELNS1_3repE0EEENS1_30default_config_static_selectorELNS0_4arch9wavefront6targetE0EEEvT1_.private_seg_size, 0
	.set _ZN7rocprim17ROCPRIM_400000_NS6detail17trampoline_kernelINS0_14default_configENS1_25partition_config_selectorILNS1_17partition_subalgoE5ElNS0_10empty_typeEbEEZZNS1_14partition_implILS5_5ELb0ES3_mN6hipcub16HIPCUB_304000_NS21CountingInputIteratorIllEEPS6_NSA_22TransformInputIteratorIbN2at6native12_GLOBAL__N_19NonZeroOpIlEEPKllEENS0_5tupleIJPlS6_EEENSN_IJSD_SD_EEES6_PiJS6_EEE10hipError_tPvRmT3_T4_T5_T6_T7_T9_mT8_P12ihipStream_tbDpT10_ENKUlT_T0_E_clISt17integral_constantIbLb1EES1B_EEDaS16_S17_EUlS16_E_NS1_11comp_targetILNS1_3genE4ELNS1_11target_archE910ELNS1_3gpuE8ELNS1_3repE0EEENS1_30default_config_static_selectorELNS0_4arch9wavefront6targetE0EEEvT1_.uses_vcc, 0
	.set _ZN7rocprim17ROCPRIM_400000_NS6detail17trampoline_kernelINS0_14default_configENS1_25partition_config_selectorILNS1_17partition_subalgoE5ElNS0_10empty_typeEbEEZZNS1_14partition_implILS5_5ELb0ES3_mN6hipcub16HIPCUB_304000_NS21CountingInputIteratorIllEEPS6_NSA_22TransformInputIteratorIbN2at6native12_GLOBAL__N_19NonZeroOpIlEEPKllEENS0_5tupleIJPlS6_EEENSN_IJSD_SD_EEES6_PiJS6_EEE10hipError_tPvRmT3_T4_T5_T6_T7_T9_mT8_P12ihipStream_tbDpT10_ENKUlT_T0_E_clISt17integral_constantIbLb1EES1B_EEDaS16_S17_EUlS16_E_NS1_11comp_targetILNS1_3genE4ELNS1_11target_archE910ELNS1_3gpuE8ELNS1_3repE0EEENS1_30default_config_static_selectorELNS0_4arch9wavefront6targetE0EEEvT1_.uses_flat_scratch, 0
	.set _ZN7rocprim17ROCPRIM_400000_NS6detail17trampoline_kernelINS0_14default_configENS1_25partition_config_selectorILNS1_17partition_subalgoE5ElNS0_10empty_typeEbEEZZNS1_14partition_implILS5_5ELb0ES3_mN6hipcub16HIPCUB_304000_NS21CountingInputIteratorIllEEPS6_NSA_22TransformInputIteratorIbN2at6native12_GLOBAL__N_19NonZeroOpIlEEPKllEENS0_5tupleIJPlS6_EEENSN_IJSD_SD_EEES6_PiJS6_EEE10hipError_tPvRmT3_T4_T5_T6_T7_T9_mT8_P12ihipStream_tbDpT10_ENKUlT_T0_E_clISt17integral_constantIbLb1EES1B_EEDaS16_S17_EUlS16_E_NS1_11comp_targetILNS1_3genE4ELNS1_11target_archE910ELNS1_3gpuE8ELNS1_3repE0EEENS1_30default_config_static_selectorELNS0_4arch9wavefront6targetE0EEEvT1_.has_dyn_sized_stack, 0
	.set _ZN7rocprim17ROCPRIM_400000_NS6detail17trampoline_kernelINS0_14default_configENS1_25partition_config_selectorILNS1_17partition_subalgoE5ElNS0_10empty_typeEbEEZZNS1_14partition_implILS5_5ELb0ES3_mN6hipcub16HIPCUB_304000_NS21CountingInputIteratorIllEEPS6_NSA_22TransformInputIteratorIbN2at6native12_GLOBAL__N_19NonZeroOpIlEEPKllEENS0_5tupleIJPlS6_EEENSN_IJSD_SD_EEES6_PiJS6_EEE10hipError_tPvRmT3_T4_T5_T6_T7_T9_mT8_P12ihipStream_tbDpT10_ENKUlT_T0_E_clISt17integral_constantIbLb1EES1B_EEDaS16_S17_EUlS16_E_NS1_11comp_targetILNS1_3genE4ELNS1_11target_archE910ELNS1_3gpuE8ELNS1_3repE0EEENS1_30default_config_static_selectorELNS0_4arch9wavefront6targetE0EEEvT1_.has_recursion, 0
	.set _ZN7rocprim17ROCPRIM_400000_NS6detail17trampoline_kernelINS0_14default_configENS1_25partition_config_selectorILNS1_17partition_subalgoE5ElNS0_10empty_typeEbEEZZNS1_14partition_implILS5_5ELb0ES3_mN6hipcub16HIPCUB_304000_NS21CountingInputIteratorIllEEPS6_NSA_22TransformInputIteratorIbN2at6native12_GLOBAL__N_19NonZeroOpIlEEPKllEENS0_5tupleIJPlS6_EEENSN_IJSD_SD_EEES6_PiJS6_EEE10hipError_tPvRmT3_T4_T5_T6_T7_T9_mT8_P12ihipStream_tbDpT10_ENKUlT_T0_E_clISt17integral_constantIbLb1EES1B_EEDaS16_S17_EUlS16_E_NS1_11comp_targetILNS1_3genE4ELNS1_11target_archE910ELNS1_3gpuE8ELNS1_3repE0EEENS1_30default_config_static_selectorELNS0_4arch9wavefront6targetE0EEEvT1_.has_indirect_call, 0
	.section	.AMDGPU.csdata,"",@progbits
; Kernel info:
; codeLenInByte = 0
; TotalNumSgprs: 0
; NumVgprs: 0
; ScratchSize: 0
; MemoryBound: 0
; FloatMode: 240
; IeeeMode: 1
; LDSByteSize: 0 bytes/workgroup (compile time only)
; SGPRBlocks: 0
; VGPRBlocks: 0
; NumSGPRsForWavesPerEU: 1
; NumVGPRsForWavesPerEU: 1
; Occupancy: 16
; WaveLimiterHint : 0
; COMPUTE_PGM_RSRC2:SCRATCH_EN: 0
; COMPUTE_PGM_RSRC2:USER_SGPR: 2
; COMPUTE_PGM_RSRC2:TRAP_HANDLER: 0
; COMPUTE_PGM_RSRC2:TGID_X_EN: 1
; COMPUTE_PGM_RSRC2:TGID_Y_EN: 0
; COMPUTE_PGM_RSRC2:TGID_Z_EN: 0
; COMPUTE_PGM_RSRC2:TIDIG_COMP_CNT: 0
	.section	.text._ZN7rocprim17ROCPRIM_400000_NS6detail17trampoline_kernelINS0_14default_configENS1_25partition_config_selectorILNS1_17partition_subalgoE5ElNS0_10empty_typeEbEEZZNS1_14partition_implILS5_5ELb0ES3_mN6hipcub16HIPCUB_304000_NS21CountingInputIteratorIllEEPS6_NSA_22TransformInputIteratorIbN2at6native12_GLOBAL__N_19NonZeroOpIlEEPKllEENS0_5tupleIJPlS6_EEENSN_IJSD_SD_EEES6_PiJS6_EEE10hipError_tPvRmT3_T4_T5_T6_T7_T9_mT8_P12ihipStream_tbDpT10_ENKUlT_T0_E_clISt17integral_constantIbLb1EES1B_EEDaS16_S17_EUlS16_E_NS1_11comp_targetILNS1_3genE3ELNS1_11target_archE908ELNS1_3gpuE7ELNS1_3repE0EEENS1_30default_config_static_selectorELNS0_4arch9wavefront6targetE0EEEvT1_,"axG",@progbits,_ZN7rocprim17ROCPRIM_400000_NS6detail17trampoline_kernelINS0_14default_configENS1_25partition_config_selectorILNS1_17partition_subalgoE5ElNS0_10empty_typeEbEEZZNS1_14partition_implILS5_5ELb0ES3_mN6hipcub16HIPCUB_304000_NS21CountingInputIteratorIllEEPS6_NSA_22TransformInputIteratorIbN2at6native12_GLOBAL__N_19NonZeroOpIlEEPKllEENS0_5tupleIJPlS6_EEENSN_IJSD_SD_EEES6_PiJS6_EEE10hipError_tPvRmT3_T4_T5_T6_T7_T9_mT8_P12ihipStream_tbDpT10_ENKUlT_T0_E_clISt17integral_constantIbLb1EES1B_EEDaS16_S17_EUlS16_E_NS1_11comp_targetILNS1_3genE3ELNS1_11target_archE908ELNS1_3gpuE7ELNS1_3repE0EEENS1_30default_config_static_selectorELNS0_4arch9wavefront6targetE0EEEvT1_,comdat
	.globl	_ZN7rocprim17ROCPRIM_400000_NS6detail17trampoline_kernelINS0_14default_configENS1_25partition_config_selectorILNS1_17partition_subalgoE5ElNS0_10empty_typeEbEEZZNS1_14partition_implILS5_5ELb0ES3_mN6hipcub16HIPCUB_304000_NS21CountingInputIteratorIllEEPS6_NSA_22TransformInputIteratorIbN2at6native12_GLOBAL__N_19NonZeroOpIlEEPKllEENS0_5tupleIJPlS6_EEENSN_IJSD_SD_EEES6_PiJS6_EEE10hipError_tPvRmT3_T4_T5_T6_T7_T9_mT8_P12ihipStream_tbDpT10_ENKUlT_T0_E_clISt17integral_constantIbLb1EES1B_EEDaS16_S17_EUlS16_E_NS1_11comp_targetILNS1_3genE3ELNS1_11target_archE908ELNS1_3gpuE7ELNS1_3repE0EEENS1_30default_config_static_selectorELNS0_4arch9wavefront6targetE0EEEvT1_ ; -- Begin function _ZN7rocprim17ROCPRIM_400000_NS6detail17trampoline_kernelINS0_14default_configENS1_25partition_config_selectorILNS1_17partition_subalgoE5ElNS0_10empty_typeEbEEZZNS1_14partition_implILS5_5ELb0ES3_mN6hipcub16HIPCUB_304000_NS21CountingInputIteratorIllEEPS6_NSA_22TransformInputIteratorIbN2at6native12_GLOBAL__N_19NonZeroOpIlEEPKllEENS0_5tupleIJPlS6_EEENSN_IJSD_SD_EEES6_PiJS6_EEE10hipError_tPvRmT3_T4_T5_T6_T7_T9_mT8_P12ihipStream_tbDpT10_ENKUlT_T0_E_clISt17integral_constantIbLb1EES1B_EEDaS16_S17_EUlS16_E_NS1_11comp_targetILNS1_3genE3ELNS1_11target_archE908ELNS1_3gpuE7ELNS1_3repE0EEENS1_30default_config_static_selectorELNS0_4arch9wavefront6targetE0EEEvT1_
	.p2align	8
	.type	_ZN7rocprim17ROCPRIM_400000_NS6detail17trampoline_kernelINS0_14default_configENS1_25partition_config_selectorILNS1_17partition_subalgoE5ElNS0_10empty_typeEbEEZZNS1_14partition_implILS5_5ELb0ES3_mN6hipcub16HIPCUB_304000_NS21CountingInputIteratorIllEEPS6_NSA_22TransformInputIteratorIbN2at6native12_GLOBAL__N_19NonZeroOpIlEEPKllEENS0_5tupleIJPlS6_EEENSN_IJSD_SD_EEES6_PiJS6_EEE10hipError_tPvRmT3_T4_T5_T6_T7_T9_mT8_P12ihipStream_tbDpT10_ENKUlT_T0_E_clISt17integral_constantIbLb1EES1B_EEDaS16_S17_EUlS16_E_NS1_11comp_targetILNS1_3genE3ELNS1_11target_archE908ELNS1_3gpuE7ELNS1_3repE0EEENS1_30default_config_static_selectorELNS0_4arch9wavefront6targetE0EEEvT1_,@function
_ZN7rocprim17ROCPRIM_400000_NS6detail17trampoline_kernelINS0_14default_configENS1_25partition_config_selectorILNS1_17partition_subalgoE5ElNS0_10empty_typeEbEEZZNS1_14partition_implILS5_5ELb0ES3_mN6hipcub16HIPCUB_304000_NS21CountingInputIteratorIllEEPS6_NSA_22TransformInputIteratorIbN2at6native12_GLOBAL__N_19NonZeroOpIlEEPKllEENS0_5tupleIJPlS6_EEENSN_IJSD_SD_EEES6_PiJS6_EEE10hipError_tPvRmT3_T4_T5_T6_T7_T9_mT8_P12ihipStream_tbDpT10_ENKUlT_T0_E_clISt17integral_constantIbLb1EES1B_EEDaS16_S17_EUlS16_E_NS1_11comp_targetILNS1_3genE3ELNS1_11target_archE908ELNS1_3gpuE7ELNS1_3repE0EEENS1_30default_config_static_selectorELNS0_4arch9wavefront6targetE0EEEvT1_: ; @_ZN7rocprim17ROCPRIM_400000_NS6detail17trampoline_kernelINS0_14default_configENS1_25partition_config_selectorILNS1_17partition_subalgoE5ElNS0_10empty_typeEbEEZZNS1_14partition_implILS5_5ELb0ES3_mN6hipcub16HIPCUB_304000_NS21CountingInputIteratorIllEEPS6_NSA_22TransformInputIteratorIbN2at6native12_GLOBAL__N_19NonZeroOpIlEEPKllEENS0_5tupleIJPlS6_EEENSN_IJSD_SD_EEES6_PiJS6_EEE10hipError_tPvRmT3_T4_T5_T6_T7_T9_mT8_P12ihipStream_tbDpT10_ENKUlT_T0_E_clISt17integral_constantIbLb1EES1B_EEDaS16_S17_EUlS16_E_NS1_11comp_targetILNS1_3genE3ELNS1_11target_archE908ELNS1_3gpuE7ELNS1_3repE0EEENS1_30default_config_static_selectorELNS0_4arch9wavefront6targetE0EEEvT1_
; %bb.0:
	.section	.rodata,"a",@progbits
	.p2align	6, 0x0
	.amdhsa_kernel _ZN7rocprim17ROCPRIM_400000_NS6detail17trampoline_kernelINS0_14default_configENS1_25partition_config_selectorILNS1_17partition_subalgoE5ElNS0_10empty_typeEbEEZZNS1_14partition_implILS5_5ELb0ES3_mN6hipcub16HIPCUB_304000_NS21CountingInputIteratorIllEEPS6_NSA_22TransformInputIteratorIbN2at6native12_GLOBAL__N_19NonZeroOpIlEEPKllEENS0_5tupleIJPlS6_EEENSN_IJSD_SD_EEES6_PiJS6_EEE10hipError_tPvRmT3_T4_T5_T6_T7_T9_mT8_P12ihipStream_tbDpT10_ENKUlT_T0_E_clISt17integral_constantIbLb1EES1B_EEDaS16_S17_EUlS16_E_NS1_11comp_targetILNS1_3genE3ELNS1_11target_archE908ELNS1_3gpuE7ELNS1_3repE0EEENS1_30default_config_static_selectorELNS0_4arch9wavefront6targetE0EEEvT1_
		.amdhsa_group_segment_fixed_size 0
		.amdhsa_private_segment_fixed_size 0
		.amdhsa_kernarg_size 136
		.amdhsa_user_sgpr_count 2
		.amdhsa_user_sgpr_dispatch_ptr 0
		.amdhsa_user_sgpr_queue_ptr 0
		.amdhsa_user_sgpr_kernarg_segment_ptr 1
		.amdhsa_user_sgpr_dispatch_id 0
		.amdhsa_user_sgpr_private_segment_size 0
		.amdhsa_wavefront_size32 1
		.amdhsa_uses_dynamic_stack 0
		.amdhsa_enable_private_segment 0
		.amdhsa_system_sgpr_workgroup_id_x 1
		.amdhsa_system_sgpr_workgroup_id_y 0
		.amdhsa_system_sgpr_workgroup_id_z 0
		.amdhsa_system_sgpr_workgroup_info 0
		.amdhsa_system_vgpr_workitem_id 0
		.amdhsa_next_free_vgpr 1
		.amdhsa_next_free_sgpr 1
		.amdhsa_reserve_vcc 0
		.amdhsa_float_round_mode_32 0
		.amdhsa_float_round_mode_16_64 0
		.amdhsa_float_denorm_mode_32 3
		.amdhsa_float_denorm_mode_16_64 3
		.amdhsa_fp16_overflow 0
		.amdhsa_workgroup_processor_mode 1
		.amdhsa_memory_ordered 1
		.amdhsa_forward_progress 1
		.amdhsa_inst_pref_size 0
		.amdhsa_round_robin_scheduling 0
		.amdhsa_exception_fp_ieee_invalid_op 0
		.amdhsa_exception_fp_denorm_src 0
		.amdhsa_exception_fp_ieee_div_zero 0
		.amdhsa_exception_fp_ieee_overflow 0
		.amdhsa_exception_fp_ieee_underflow 0
		.amdhsa_exception_fp_ieee_inexact 0
		.amdhsa_exception_int_div_zero 0
	.end_amdhsa_kernel
	.section	.text._ZN7rocprim17ROCPRIM_400000_NS6detail17trampoline_kernelINS0_14default_configENS1_25partition_config_selectorILNS1_17partition_subalgoE5ElNS0_10empty_typeEbEEZZNS1_14partition_implILS5_5ELb0ES3_mN6hipcub16HIPCUB_304000_NS21CountingInputIteratorIllEEPS6_NSA_22TransformInputIteratorIbN2at6native12_GLOBAL__N_19NonZeroOpIlEEPKllEENS0_5tupleIJPlS6_EEENSN_IJSD_SD_EEES6_PiJS6_EEE10hipError_tPvRmT3_T4_T5_T6_T7_T9_mT8_P12ihipStream_tbDpT10_ENKUlT_T0_E_clISt17integral_constantIbLb1EES1B_EEDaS16_S17_EUlS16_E_NS1_11comp_targetILNS1_3genE3ELNS1_11target_archE908ELNS1_3gpuE7ELNS1_3repE0EEENS1_30default_config_static_selectorELNS0_4arch9wavefront6targetE0EEEvT1_,"axG",@progbits,_ZN7rocprim17ROCPRIM_400000_NS6detail17trampoline_kernelINS0_14default_configENS1_25partition_config_selectorILNS1_17partition_subalgoE5ElNS0_10empty_typeEbEEZZNS1_14partition_implILS5_5ELb0ES3_mN6hipcub16HIPCUB_304000_NS21CountingInputIteratorIllEEPS6_NSA_22TransformInputIteratorIbN2at6native12_GLOBAL__N_19NonZeroOpIlEEPKllEENS0_5tupleIJPlS6_EEENSN_IJSD_SD_EEES6_PiJS6_EEE10hipError_tPvRmT3_T4_T5_T6_T7_T9_mT8_P12ihipStream_tbDpT10_ENKUlT_T0_E_clISt17integral_constantIbLb1EES1B_EEDaS16_S17_EUlS16_E_NS1_11comp_targetILNS1_3genE3ELNS1_11target_archE908ELNS1_3gpuE7ELNS1_3repE0EEENS1_30default_config_static_selectorELNS0_4arch9wavefront6targetE0EEEvT1_,comdat
.Lfunc_end265:
	.size	_ZN7rocprim17ROCPRIM_400000_NS6detail17trampoline_kernelINS0_14default_configENS1_25partition_config_selectorILNS1_17partition_subalgoE5ElNS0_10empty_typeEbEEZZNS1_14partition_implILS5_5ELb0ES3_mN6hipcub16HIPCUB_304000_NS21CountingInputIteratorIllEEPS6_NSA_22TransformInputIteratorIbN2at6native12_GLOBAL__N_19NonZeroOpIlEEPKllEENS0_5tupleIJPlS6_EEENSN_IJSD_SD_EEES6_PiJS6_EEE10hipError_tPvRmT3_T4_T5_T6_T7_T9_mT8_P12ihipStream_tbDpT10_ENKUlT_T0_E_clISt17integral_constantIbLb1EES1B_EEDaS16_S17_EUlS16_E_NS1_11comp_targetILNS1_3genE3ELNS1_11target_archE908ELNS1_3gpuE7ELNS1_3repE0EEENS1_30default_config_static_selectorELNS0_4arch9wavefront6targetE0EEEvT1_, .Lfunc_end265-_ZN7rocprim17ROCPRIM_400000_NS6detail17trampoline_kernelINS0_14default_configENS1_25partition_config_selectorILNS1_17partition_subalgoE5ElNS0_10empty_typeEbEEZZNS1_14partition_implILS5_5ELb0ES3_mN6hipcub16HIPCUB_304000_NS21CountingInputIteratorIllEEPS6_NSA_22TransformInputIteratorIbN2at6native12_GLOBAL__N_19NonZeroOpIlEEPKllEENS0_5tupleIJPlS6_EEENSN_IJSD_SD_EEES6_PiJS6_EEE10hipError_tPvRmT3_T4_T5_T6_T7_T9_mT8_P12ihipStream_tbDpT10_ENKUlT_T0_E_clISt17integral_constantIbLb1EES1B_EEDaS16_S17_EUlS16_E_NS1_11comp_targetILNS1_3genE3ELNS1_11target_archE908ELNS1_3gpuE7ELNS1_3repE0EEENS1_30default_config_static_selectorELNS0_4arch9wavefront6targetE0EEEvT1_
                                        ; -- End function
	.set _ZN7rocprim17ROCPRIM_400000_NS6detail17trampoline_kernelINS0_14default_configENS1_25partition_config_selectorILNS1_17partition_subalgoE5ElNS0_10empty_typeEbEEZZNS1_14partition_implILS5_5ELb0ES3_mN6hipcub16HIPCUB_304000_NS21CountingInputIteratorIllEEPS6_NSA_22TransformInputIteratorIbN2at6native12_GLOBAL__N_19NonZeroOpIlEEPKllEENS0_5tupleIJPlS6_EEENSN_IJSD_SD_EEES6_PiJS6_EEE10hipError_tPvRmT3_T4_T5_T6_T7_T9_mT8_P12ihipStream_tbDpT10_ENKUlT_T0_E_clISt17integral_constantIbLb1EES1B_EEDaS16_S17_EUlS16_E_NS1_11comp_targetILNS1_3genE3ELNS1_11target_archE908ELNS1_3gpuE7ELNS1_3repE0EEENS1_30default_config_static_selectorELNS0_4arch9wavefront6targetE0EEEvT1_.num_vgpr, 0
	.set _ZN7rocprim17ROCPRIM_400000_NS6detail17trampoline_kernelINS0_14default_configENS1_25partition_config_selectorILNS1_17partition_subalgoE5ElNS0_10empty_typeEbEEZZNS1_14partition_implILS5_5ELb0ES3_mN6hipcub16HIPCUB_304000_NS21CountingInputIteratorIllEEPS6_NSA_22TransformInputIteratorIbN2at6native12_GLOBAL__N_19NonZeroOpIlEEPKllEENS0_5tupleIJPlS6_EEENSN_IJSD_SD_EEES6_PiJS6_EEE10hipError_tPvRmT3_T4_T5_T6_T7_T9_mT8_P12ihipStream_tbDpT10_ENKUlT_T0_E_clISt17integral_constantIbLb1EES1B_EEDaS16_S17_EUlS16_E_NS1_11comp_targetILNS1_3genE3ELNS1_11target_archE908ELNS1_3gpuE7ELNS1_3repE0EEENS1_30default_config_static_selectorELNS0_4arch9wavefront6targetE0EEEvT1_.num_agpr, 0
	.set _ZN7rocprim17ROCPRIM_400000_NS6detail17trampoline_kernelINS0_14default_configENS1_25partition_config_selectorILNS1_17partition_subalgoE5ElNS0_10empty_typeEbEEZZNS1_14partition_implILS5_5ELb0ES3_mN6hipcub16HIPCUB_304000_NS21CountingInputIteratorIllEEPS6_NSA_22TransformInputIteratorIbN2at6native12_GLOBAL__N_19NonZeroOpIlEEPKllEENS0_5tupleIJPlS6_EEENSN_IJSD_SD_EEES6_PiJS6_EEE10hipError_tPvRmT3_T4_T5_T6_T7_T9_mT8_P12ihipStream_tbDpT10_ENKUlT_T0_E_clISt17integral_constantIbLb1EES1B_EEDaS16_S17_EUlS16_E_NS1_11comp_targetILNS1_3genE3ELNS1_11target_archE908ELNS1_3gpuE7ELNS1_3repE0EEENS1_30default_config_static_selectorELNS0_4arch9wavefront6targetE0EEEvT1_.numbered_sgpr, 0
	.set _ZN7rocprim17ROCPRIM_400000_NS6detail17trampoline_kernelINS0_14default_configENS1_25partition_config_selectorILNS1_17partition_subalgoE5ElNS0_10empty_typeEbEEZZNS1_14partition_implILS5_5ELb0ES3_mN6hipcub16HIPCUB_304000_NS21CountingInputIteratorIllEEPS6_NSA_22TransformInputIteratorIbN2at6native12_GLOBAL__N_19NonZeroOpIlEEPKllEENS0_5tupleIJPlS6_EEENSN_IJSD_SD_EEES6_PiJS6_EEE10hipError_tPvRmT3_T4_T5_T6_T7_T9_mT8_P12ihipStream_tbDpT10_ENKUlT_T0_E_clISt17integral_constantIbLb1EES1B_EEDaS16_S17_EUlS16_E_NS1_11comp_targetILNS1_3genE3ELNS1_11target_archE908ELNS1_3gpuE7ELNS1_3repE0EEENS1_30default_config_static_selectorELNS0_4arch9wavefront6targetE0EEEvT1_.num_named_barrier, 0
	.set _ZN7rocprim17ROCPRIM_400000_NS6detail17trampoline_kernelINS0_14default_configENS1_25partition_config_selectorILNS1_17partition_subalgoE5ElNS0_10empty_typeEbEEZZNS1_14partition_implILS5_5ELb0ES3_mN6hipcub16HIPCUB_304000_NS21CountingInputIteratorIllEEPS6_NSA_22TransformInputIteratorIbN2at6native12_GLOBAL__N_19NonZeroOpIlEEPKllEENS0_5tupleIJPlS6_EEENSN_IJSD_SD_EEES6_PiJS6_EEE10hipError_tPvRmT3_T4_T5_T6_T7_T9_mT8_P12ihipStream_tbDpT10_ENKUlT_T0_E_clISt17integral_constantIbLb1EES1B_EEDaS16_S17_EUlS16_E_NS1_11comp_targetILNS1_3genE3ELNS1_11target_archE908ELNS1_3gpuE7ELNS1_3repE0EEENS1_30default_config_static_selectorELNS0_4arch9wavefront6targetE0EEEvT1_.private_seg_size, 0
	.set _ZN7rocprim17ROCPRIM_400000_NS6detail17trampoline_kernelINS0_14default_configENS1_25partition_config_selectorILNS1_17partition_subalgoE5ElNS0_10empty_typeEbEEZZNS1_14partition_implILS5_5ELb0ES3_mN6hipcub16HIPCUB_304000_NS21CountingInputIteratorIllEEPS6_NSA_22TransformInputIteratorIbN2at6native12_GLOBAL__N_19NonZeroOpIlEEPKllEENS0_5tupleIJPlS6_EEENSN_IJSD_SD_EEES6_PiJS6_EEE10hipError_tPvRmT3_T4_T5_T6_T7_T9_mT8_P12ihipStream_tbDpT10_ENKUlT_T0_E_clISt17integral_constantIbLb1EES1B_EEDaS16_S17_EUlS16_E_NS1_11comp_targetILNS1_3genE3ELNS1_11target_archE908ELNS1_3gpuE7ELNS1_3repE0EEENS1_30default_config_static_selectorELNS0_4arch9wavefront6targetE0EEEvT1_.uses_vcc, 0
	.set _ZN7rocprim17ROCPRIM_400000_NS6detail17trampoline_kernelINS0_14default_configENS1_25partition_config_selectorILNS1_17partition_subalgoE5ElNS0_10empty_typeEbEEZZNS1_14partition_implILS5_5ELb0ES3_mN6hipcub16HIPCUB_304000_NS21CountingInputIteratorIllEEPS6_NSA_22TransformInputIteratorIbN2at6native12_GLOBAL__N_19NonZeroOpIlEEPKllEENS0_5tupleIJPlS6_EEENSN_IJSD_SD_EEES6_PiJS6_EEE10hipError_tPvRmT3_T4_T5_T6_T7_T9_mT8_P12ihipStream_tbDpT10_ENKUlT_T0_E_clISt17integral_constantIbLb1EES1B_EEDaS16_S17_EUlS16_E_NS1_11comp_targetILNS1_3genE3ELNS1_11target_archE908ELNS1_3gpuE7ELNS1_3repE0EEENS1_30default_config_static_selectorELNS0_4arch9wavefront6targetE0EEEvT1_.uses_flat_scratch, 0
	.set _ZN7rocprim17ROCPRIM_400000_NS6detail17trampoline_kernelINS0_14default_configENS1_25partition_config_selectorILNS1_17partition_subalgoE5ElNS0_10empty_typeEbEEZZNS1_14partition_implILS5_5ELb0ES3_mN6hipcub16HIPCUB_304000_NS21CountingInputIteratorIllEEPS6_NSA_22TransformInputIteratorIbN2at6native12_GLOBAL__N_19NonZeroOpIlEEPKllEENS0_5tupleIJPlS6_EEENSN_IJSD_SD_EEES6_PiJS6_EEE10hipError_tPvRmT3_T4_T5_T6_T7_T9_mT8_P12ihipStream_tbDpT10_ENKUlT_T0_E_clISt17integral_constantIbLb1EES1B_EEDaS16_S17_EUlS16_E_NS1_11comp_targetILNS1_3genE3ELNS1_11target_archE908ELNS1_3gpuE7ELNS1_3repE0EEENS1_30default_config_static_selectorELNS0_4arch9wavefront6targetE0EEEvT1_.has_dyn_sized_stack, 0
	.set _ZN7rocprim17ROCPRIM_400000_NS6detail17trampoline_kernelINS0_14default_configENS1_25partition_config_selectorILNS1_17partition_subalgoE5ElNS0_10empty_typeEbEEZZNS1_14partition_implILS5_5ELb0ES3_mN6hipcub16HIPCUB_304000_NS21CountingInputIteratorIllEEPS6_NSA_22TransformInputIteratorIbN2at6native12_GLOBAL__N_19NonZeroOpIlEEPKllEENS0_5tupleIJPlS6_EEENSN_IJSD_SD_EEES6_PiJS6_EEE10hipError_tPvRmT3_T4_T5_T6_T7_T9_mT8_P12ihipStream_tbDpT10_ENKUlT_T0_E_clISt17integral_constantIbLb1EES1B_EEDaS16_S17_EUlS16_E_NS1_11comp_targetILNS1_3genE3ELNS1_11target_archE908ELNS1_3gpuE7ELNS1_3repE0EEENS1_30default_config_static_selectorELNS0_4arch9wavefront6targetE0EEEvT1_.has_recursion, 0
	.set _ZN7rocprim17ROCPRIM_400000_NS6detail17trampoline_kernelINS0_14default_configENS1_25partition_config_selectorILNS1_17partition_subalgoE5ElNS0_10empty_typeEbEEZZNS1_14partition_implILS5_5ELb0ES3_mN6hipcub16HIPCUB_304000_NS21CountingInputIteratorIllEEPS6_NSA_22TransformInputIteratorIbN2at6native12_GLOBAL__N_19NonZeroOpIlEEPKllEENS0_5tupleIJPlS6_EEENSN_IJSD_SD_EEES6_PiJS6_EEE10hipError_tPvRmT3_T4_T5_T6_T7_T9_mT8_P12ihipStream_tbDpT10_ENKUlT_T0_E_clISt17integral_constantIbLb1EES1B_EEDaS16_S17_EUlS16_E_NS1_11comp_targetILNS1_3genE3ELNS1_11target_archE908ELNS1_3gpuE7ELNS1_3repE0EEENS1_30default_config_static_selectorELNS0_4arch9wavefront6targetE0EEEvT1_.has_indirect_call, 0
	.section	.AMDGPU.csdata,"",@progbits
; Kernel info:
; codeLenInByte = 0
; TotalNumSgprs: 0
; NumVgprs: 0
; ScratchSize: 0
; MemoryBound: 0
; FloatMode: 240
; IeeeMode: 1
; LDSByteSize: 0 bytes/workgroup (compile time only)
; SGPRBlocks: 0
; VGPRBlocks: 0
; NumSGPRsForWavesPerEU: 1
; NumVGPRsForWavesPerEU: 1
; Occupancy: 16
; WaveLimiterHint : 0
; COMPUTE_PGM_RSRC2:SCRATCH_EN: 0
; COMPUTE_PGM_RSRC2:USER_SGPR: 2
; COMPUTE_PGM_RSRC2:TRAP_HANDLER: 0
; COMPUTE_PGM_RSRC2:TGID_X_EN: 1
; COMPUTE_PGM_RSRC2:TGID_Y_EN: 0
; COMPUTE_PGM_RSRC2:TGID_Z_EN: 0
; COMPUTE_PGM_RSRC2:TIDIG_COMP_CNT: 0
	.section	.text._ZN7rocprim17ROCPRIM_400000_NS6detail17trampoline_kernelINS0_14default_configENS1_25partition_config_selectorILNS1_17partition_subalgoE5ElNS0_10empty_typeEbEEZZNS1_14partition_implILS5_5ELb0ES3_mN6hipcub16HIPCUB_304000_NS21CountingInputIteratorIllEEPS6_NSA_22TransformInputIteratorIbN2at6native12_GLOBAL__N_19NonZeroOpIlEEPKllEENS0_5tupleIJPlS6_EEENSN_IJSD_SD_EEES6_PiJS6_EEE10hipError_tPvRmT3_T4_T5_T6_T7_T9_mT8_P12ihipStream_tbDpT10_ENKUlT_T0_E_clISt17integral_constantIbLb1EES1B_EEDaS16_S17_EUlS16_E_NS1_11comp_targetILNS1_3genE2ELNS1_11target_archE906ELNS1_3gpuE6ELNS1_3repE0EEENS1_30default_config_static_selectorELNS0_4arch9wavefront6targetE0EEEvT1_,"axG",@progbits,_ZN7rocprim17ROCPRIM_400000_NS6detail17trampoline_kernelINS0_14default_configENS1_25partition_config_selectorILNS1_17partition_subalgoE5ElNS0_10empty_typeEbEEZZNS1_14partition_implILS5_5ELb0ES3_mN6hipcub16HIPCUB_304000_NS21CountingInputIteratorIllEEPS6_NSA_22TransformInputIteratorIbN2at6native12_GLOBAL__N_19NonZeroOpIlEEPKllEENS0_5tupleIJPlS6_EEENSN_IJSD_SD_EEES6_PiJS6_EEE10hipError_tPvRmT3_T4_T5_T6_T7_T9_mT8_P12ihipStream_tbDpT10_ENKUlT_T0_E_clISt17integral_constantIbLb1EES1B_EEDaS16_S17_EUlS16_E_NS1_11comp_targetILNS1_3genE2ELNS1_11target_archE906ELNS1_3gpuE6ELNS1_3repE0EEENS1_30default_config_static_selectorELNS0_4arch9wavefront6targetE0EEEvT1_,comdat
	.globl	_ZN7rocprim17ROCPRIM_400000_NS6detail17trampoline_kernelINS0_14default_configENS1_25partition_config_selectorILNS1_17partition_subalgoE5ElNS0_10empty_typeEbEEZZNS1_14partition_implILS5_5ELb0ES3_mN6hipcub16HIPCUB_304000_NS21CountingInputIteratorIllEEPS6_NSA_22TransformInputIteratorIbN2at6native12_GLOBAL__N_19NonZeroOpIlEEPKllEENS0_5tupleIJPlS6_EEENSN_IJSD_SD_EEES6_PiJS6_EEE10hipError_tPvRmT3_T4_T5_T6_T7_T9_mT8_P12ihipStream_tbDpT10_ENKUlT_T0_E_clISt17integral_constantIbLb1EES1B_EEDaS16_S17_EUlS16_E_NS1_11comp_targetILNS1_3genE2ELNS1_11target_archE906ELNS1_3gpuE6ELNS1_3repE0EEENS1_30default_config_static_selectorELNS0_4arch9wavefront6targetE0EEEvT1_ ; -- Begin function _ZN7rocprim17ROCPRIM_400000_NS6detail17trampoline_kernelINS0_14default_configENS1_25partition_config_selectorILNS1_17partition_subalgoE5ElNS0_10empty_typeEbEEZZNS1_14partition_implILS5_5ELb0ES3_mN6hipcub16HIPCUB_304000_NS21CountingInputIteratorIllEEPS6_NSA_22TransformInputIteratorIbN2at6native12_GLOBAL__N_19NonZeroOpIlEEPKllEENS0_5tupleIJPlS6_EEENSN_IJSD_SD_EEES6_PiJS6_EEE10hipError_tPvRmT3_T4_T5_T6_T7_T9_mT8_P12ihipStream_tbDpT10_ENKUlT_T0_E_clISt17integral_constantIbLb1EES1B_EEDaS16_S17_EUlS16_E_NS1_11comp_targetILNS1_3genE2ELNS1_11target_archE906ELNS1_3gpuE6ELNS1_3repE0EEENS1_30default_config_static_selectorELNS0_4arch9wavefront6targetE0EEEvT1_
	.p2align	8
	.type	_ZN7rocprim17ROCPRIM_400000_NS6detail17trampoline_kernelINS0_14default_configENS1_25partition_config_selectorILNS1_17partition_subalgoE5ElNS0_10empty_typeEbEEZZNS1_14partition_implILS5_5ELb0ES3_mN6hipcub16HIPCUB_304000_NS21CountingInputIteratorIllEEPS6_NSA_22TransformInputIteratorIbN2at6native12_GLOBAL__N_19NonZeroOpIlEEPKllEENS0_5tupleIJPlS6_EEENSN_IJSD_SD_EEES6_PiJS6_EEE10hipError_tPvRmT3_T4_T5_T6_T7_T9_mT8_P12ihipStream_tbDpT10_ENKUlT_T0_E_clISt17integral_constantIbLb1EES1B_EEDaS16_S17_EUlS16_E_NS1_11comp_targetILNS1_3genE2ELNS1_11target_archE906ELNS1_3gpuE6ELNS1_3repE0EEENS1_30default_config_static_selectorELNS0_4arch9wavefront6targetE0EEEvT1_,@function
_ZN7rocprim17ROCPRIM_400000_NS6detail17trampoline_kernelINS0_14default_configENS1_25partition_config_selectorILNS1_17partition_subalgoE5ElNS0_10empty_typeEbEEZZNS1_14partition_implILS5_5ELb0ES3_mN6hipcub16HIPCUB_304000_NS21CountingInputIteratorIllEEPS6_NSA_22TransformInputIteratorIbN2at6native12_GLOBAL__N_19NonZeroOpIlEEPKllEENS0_5tupleIJPlS6_EEENSN_IJSD_SD_EEES6_PiJS6_EEE10hipError_tPvRmT3_T4_T5_T6_T7_T9_mT8_P12ihipStream_tbDpT10_ENKUlT_T0_E_clISt17integral_constantIbLb1EES1B_EEDaS16_S17_EUlS16_E_NS1_11comp_targetILNS1_3genE2ELNS1_11target_archE906ELNS1_3gpuE6ELNS1_3repE0EEENS1_30default_config_static_selectorELNS0_4arch9wavefront6targetE0EEEvT1_: ; @_ZN7rocprim17ROCPRIM_400000_NS6detail17trampoline_kernelINS0_14default_configENS1_25partition_config_selectorILNS1_17partition_subalgoE5ElNS0_10empty_typeEbEEZZNS1_14partition_implILS5_5ELb0ES3_mN6hipcub16HIPCUB_304000_NS21CountingInputIteratorIllEEPS6_NSA_22TransformInputIteratorIbN2at6native12_GLOBAL__N_19NonZeroOpIlEEPKllEENS0_5tupleIJPlS6_EEENSN_IJSD_SD_EEES6_PiJS6_EEE10hipError_tPvRmT3_T4_T5_T6_T7_T9_mT8_P12ihipStream_tbDpT10_ENKUlT_T0_E_clISt17integral_constantIbLb1EES1B_EEDaS16_S17_EUlS16_E_NS1_11comp_targetILNS1_3genE2ELNS1_11target_archE906ELNS1_3gpuE6ELNS1_3repE0EEENS1_30default_config_static_selectorELNS0_4arch9wavefront6targetE0EEEvT1_
; %bb.0:
	.section	.rodata,"a",@progbits
	.p2align	6, 0x0
	.amdhsa_kernel _ZN7rocprim17ROCPRIM_400000_NS6detail17trampoline_kernelINS0_14default_configENS1_25partition_config_selectorILNS1_17partition_subalgoE5ElNS0_10empty_typeEbEEZZNS1_14partition_implILS5_5ELb0ES3_mN6hipcub16HIPCUB_304000_NS21CountingInputIteratorIllEEPS6_NSA_22TransformInputIteratorIbN2at6native12_GLOBAL__N_19NonZeroOpIlEEPKllEENS0_5tupleIJPlS6_EEENSN_IJSD_SD_EEES6_PiJS6_EEE10hipError_tPvRmT3_T4_T5_T6_T7_T9_mT8_P12ihipStream_tbDpT10_ENKUlT_T0_E_clISt17integral_constantIbLb1EES1B_EEDaS16_S17_EUlS16_E_NS1_11comp_targetILNS1_3genE2ELNS1_11target_archE906ELNS1_3gpuE6ELNS1_3repE0EEENS1_30default_config_static_selectorELNS0_4arch9wavefront6targetE0EEEvT1_
		.amdhsa_group_segment_fixed_size 0
		.amdhsa_private_segment_fixed_size 0
		.amdhsa_kernarg_size 136
		.amdhsa_user_sgpr_count 2
		.amdhsa_user_sgpr_dispatch_ptr 0
		.amdhsa_user_sgpr_queue_ptr 0
		.amdhsa_user_sgpr_kernarg_segment_ptr 1
		.amdhsa_user_sgpr_dispatch_id 0
		.amdhsa_user_sgpr_private_segment_size 0
		.amdhsa_wavefront_size32 1
		.amdhsa_uses_dynamic_stack 0
		.amdhsa_enable_private_segment 0
		.amdhsa_system_sgpr_workgroup_id_x 1
		.amdhsa_system_sgpr_workgroup_id_y 0
		.amdhsa_system_sgpr_workgroup_id_z 0
		.amdhsa_system_sgpr_workgroup_info 0
		.amdhsa_system_vgpr_workitem_id 0
		.amdhsa_next_free_vgpr 1
		.amdhsa_next_free_sgpr 1
		.amdhsa_reserve_vcc 0
		.amdhsa_float_round_mode_32 0
		.amdhsa_float_round_mode_16_64 0
		.amdhsa_float_denorm_mode_32 3
		.amdhsa_float_denorm_mode_16_64 3
		.amdhsa_fp16_overflow 0
		.amdhsa_workgroup_processor_mode 1
		.amdhsa_memory_ordered 1
		.amdhsa_forward_progress 1
		.amdhsa_inst_pref_size 0
		.amdhsa_round_robin_scheduling 0
		.amdhsa_exception_fp_ieee_invalid_op 0
		.amdhsa_exception_fp_denorm_src 0
		.amdhsa_exception_fp_ieee_div_zero 0
		.amdhsa_exception_fp_ieee_overflow 0
		.amdhsa_exception_fp_ieee_underflow 0
		.amdhsa_exception_fp_ieee_inexact 0
		.amdhsa_exception_int_div_zero 0
	.end_amdhsa_kernel
	.section	.text._ZN7rocprim17ROCPRIM_400000_NS6detail17trampoline_kernelINS0_14default_configENS1_25partition_config_selectorILNS1_17partition_subalgoE5ElNS0_10empty_typeEbEEZZNS1_14partition_implILS5_5ELb0ES3_mN6hipcub16HIPCUB_304000_NS21CountingInputIteratorIllEEPS6_NSA_22TransformInputIteratorIbN2at6native12_GLOBAL__N_19NonZeroOpIlEEPKllEENS0_5tupleIJPlS6_EEENSN_IJSD_SD_EEES6_PiJS6_EEE10hipError_tPvRmT3_T4_T5_T6_T7_T9_mT8_P12ihipStream_tbDpT10_ENKUlT_T0_E_clISt17integral_constantIbLb1EES1B_EEDaS16_S17_EUlS16_E_NS1_11comp_targetILNS1_3genE2ELNS1_11target_archE906ELNS1_3gpuE6ELNS1_3repE0EEENS1_30default_config_static_selectorELNS0_4arch9wavefront6targetE0EEEvT1_,"axG",@progbits,_ZN7rocprim17ROCPRIM_400000_NS6detail17trampoline_kernelINS0_14default_configENS1_25partition_config_selectorILNS1_17partition_subalgoE5ElNS0_10empty_typeEbEEZZNS1_14partition_implILS5_5ELb0ES3_mN6hipcub16HIPCUB_304000_NS21CountingInputIteratorIllEEPS6_NSA_22TransformInputIteratorIbN2at6native12_GLOBAL__N_19NonZeroOpIlEEPKllEENS0_5tupleIJPlS6_EEENSN_IJSD_SD_EEES6_PiJS6_EEE10hipError_tPvRmT3_T4_T5_T6_T7_T9_mT8_P12ihipStream_tbDpT10_ENKUlT_T0_E_clISt17integral_constantIbLb1EES1B_EEDaS16_S17_EUlS16_E_NS1_11comp_targetILNS1_3genE2ELNS1_11target_archE906ELNS1_3gpuE6ELNS1_3repE0EEENS1_30default_config_static_selectorELNS0_4arch9wavefront6targetE0EEEvT1_,comdat
.Lfunc_end266:
	.size	_ZN7rocprim17ROCPRIM_400000_NS6detail17trampoline_kernelINS0_14default_configENS1_25partition_config_selectorILNS1_17partition_subalgoE5ElNS0_10empty_typeEbEEZZNS1_14partition_implILS5_5ELb0ES3_mN6hipcub16HIPCUB_304000_NS21CountingInputIteratorIllEEPS6_NSA_22TransformInputIteratorIbN2at6native12_GLOBAL__N_19NonZeroOpIlEEPKllEENS0_5tupleIJPlS6_EEENSN_IJSD_SD_EEES6_PiJS6_EEE10hipError_tPvRmT3_T4_T5_T6_T7_T9_mT8_P12ihipStream_tbDpT10_ENKUlT_T0_E_clISt17integral_constantIbLb1EES1B_EEDaS16_S17_EUlS16_E_NS1_11comp_targetILNS1_3genE2ELNS1_11target_archE906ELNS1_3gpuE6ELNS1_3repE0EEENS1_30default_config_static_selectorELNS0_4arch9wavefront6targetE0EEEvT1_, .Lfunc_end266-_ZN7rocprim17ROCPRIM_400000_NS6detail17trampoline_kernelINS0_14default_configENS1_25partition_config_selectorILNS1_17partition_subalgoE5ElNS0_10empty_typeEbEEZZNS1_14partition_implILS5_5ELb0ES3_mN6hipcub16HIPCUB_304000_NS21CountingInputIteratorIllEEPS6_NSA_22TransformInputIteratorIbN2at6native12_GLOBAL__N_19NonZeroOpIlEEPKllEENS0_5tupleIJPlS6_EEENSN_IJSD_SD_EEES6_PiJS6_EEE10hipError_tPvRmT3_T4_T5_T6_T7_T9_mT8_P12ihipStream_tbDpT10_ENKUlT_T0_E_clISt17integral_constantIbLb1EES1B_EEDaS16_S17_EUlS16_E_NS1_11comp_targetILNS1_3genE2ELNS1_11target_archE906ELNS1_3gpuE6ELNS1_3repE0EEENS1_30default_config_static_selectorELNS0_4arch9wavefront6targetE0EEEvT1_
                                        ; -- End function
	.set _ZN7rocprim17ROCPRIM_400000_NS6detail17trampoline_kernelINS0_14default_configENS1_25partition_config_selectorILNS1_17partition_subalgoE5ElNS0_10empty_typeEbEEZZNS1_14partition_implILS5_5ELb0ES3_mN6hipcub16HIPCUB_304000_NS21CountingInputIteratorIllEEPS6_NSA_22TransformInputIteratorIbN2at6native12_GLOBAL__N_19NonZeroOpIlEEPKllEENS0_5tupleIJPlS6_EEENSN_IJSD_SD_EEES6_PiJS6_EEE10hipError_tPvRmT3_T4_T5_T6_T7_T9_mT8_P12ihipStream_tbDpT10_ENKUlT_T0_E_clISt17integral_constantIbLb1EES1B_EEDaS16_S17_EUlS16_E_NS1_11comp_targetILNS1_3genE2ELNS1_11target_archE906ELNS1_3gpuE6ELNS1_3repE0EEENS1_30default_config_static_selectorELNS0_4arch9wavefront6targetE0EEEvT1_.num_vgpr, 0
	.set _ZN7rocprim17ROCPRIM_400000_NS6detail17trampoline_kernelINS0_14default_configENS1_25partition_config_selectorILNS1_17partition_subalgoE5ElNS0_10empty_typeEbEEZZNS1_14partition_implILS5_5ELb0ES3_mN6hipcub16HIPCUB_304000_NS21CountingInputIteratorIllEEPS6_NSA_22TransformInputIteratorIbN2at6native12_GLOBAL__N_19NonZeroOpIlEEPKllEENS0_5tupleIJPlS6_EEENSN_IJSD_SD_EEES6_PiJS6_EEE10hipError_tPvRmT3_T4_T5_T6_T7_T9_mT8_P12ihipStream_tbDpT10_ENKUlT_T0_E_clISt17integral_constantIbLb1EES1B_EEDaS16_S17_EUlS16_E_NS1_11comp_targetILNS1_3genE2ELNS1_11target_archE906ELNS1_3gpuE6ELNS1_3repE0EEENS1_30default_config_static_selectorELNS0_4arch9wavefront6targetE0EEEvT1_.num_agpr, 0
	.set _ZN7rocprim17ROCPRIM_400000_NS6detail17trampoline_kernelINS0_14default_configENS1_25partition_config_selectorILNS1_17partition_subalgoE5ElNS0_10empty_typeEbEEZZNS1_14partition_implILS5_5ELb0ES3_mN6hipcub16HIPCUB_304000_NS21CountingInputIteratorIllEEPS6_NSA_22TransformInputIteratorIbN2at6native12_GLOBAL__N_19NonZeroOpIlEEPKllEENS0_5tupleIJPlS6_EEENSN_IJSD_SD_EEES6_PiJS6_EEE10hipError_tPvRmT3_T4_T5_T6_T7_T9_mT8_P12ihipStream_tbDpT10_ENKUlT_T0_E_clISt17integral_constantIbLb1EES1B_EEDaS16_S17_EUlS16_E_NS1_11comp_targetILNS1_3genE2ELNS1_11target_archE906ELNS1_3gpuE6ELNS1_3repE0EEENS1_30default_config_static_selectorELNS0_4arch9wavefront6targetE0EEEvT1_.numbered_sgpr, 0
	.set _ZN7rocprim17ROCPRIM_400000_NS6detail17trampoline_kernelINS0_14default_configENS1_25partition_config_selectorILNS1_17partition_subalgoE5ElNS0_10empty_typeEbEEZZNS1_14partition_implILS5_5ELb0ES3_mN6hipcub16HIPCUB_304000_NS21CountingInputIteratorIllEEPS6_NSA_22TransformInputIteratorIbN2at6native12_GLOBAL__N_19NonZeroOpIlEEPKllEENS0_5tupleIJPlS6_EEENSN_IJSD_SD_EEES6_PiJS6_EEE10hipError_tPvRmT3_T4_T5_T6_T7_T9_mT8_P12ihipStream_tbDpT10_ENKUlT_T0_E_clISt17integral_constantIbLb1EES1B_EEDaS16_S17_EUlS16_E_NS1_11comp_targetILNS1_3genE2ELNS1_11target_archE906ELNS1_3gpuE6ELNS1_3repE0EEENS1_30default_config_static_selectorELNS0_4arch9wavefront6targetE0EEEvT1_.num_named_barrier, 0
	.set _ZN7rocprim17ROCPRIM_400000_NS6detail17trampoline_kernelINS0_14default_configENS1_25partition_config_selectorILNS1_17partition_subalgoE5ElNS0_10empty_typeEbEEZZNS1_14partition_implILS5_5ELb0ES3_mN6hipcub16HIPCUB_304000_NS21CountingInputIteratorIllEEPS6_NSA_22TransformInputIteratorIbN2at6native12_GLOBAL__N_19NonZeroOpIlEEPKllEENS0_5tupleIJPlS6_EEENSN_IJSD_SD_EEES6_PiJS6_EEE10hipError_tPvRmT3_T4_T5_T6_T7_T9_mT8_P12ihipStream_tbDpT10_ENKUlT_T0_E_clISt17integral_constantIbLb1EES1B_EEDaS16_S17_EUlS16_E_NS1_11comp_targetILNS1_3genE2ELNS1_11target_archE906ELNS1_3gpuE6ELNS1_3repE0EEENS1_30default_config_static_selectorELNS0_4arch9wavefront6targetE0EEEvT1_.private_seg_size, 0
	.set _ZN7rocprim17ROCPRIM_400000_NS6detail17trampoline_kernelINS0_14default_configENS1_25partition_config_selectorILNS1_17partition_subalgoE5ElNS0_10empty_typeEbEEZZNS1_14partition_implILS5_5ELb0ES3_mN6hipcub16HIPCUB_304000_NS21CountingInputIteratorIllEEPS6_NSA_22TransformInputIteratorIbN2at6native12_GLOBAL__N_19NonZeroOpIlEEPKllEENS0_5tupleIJPlS6_EEENSN_IJSD_SD_EEES6_PiJS6_EEE10hipError_tPvRmT3_T4_T5_T6_T7_T9_mT8_P12ihipStream_tbDpT10_ENKUlT_T0_E_clISt17integral_constantIbLb1EES1B_EEDaS16_S17_EUlS16_E_NS1_11comp_targetILNS1_3genE2ELNS1_11target_archE906ELNS1_3gpuE6ELNS1_3repE0EEENS1_30default_config_static_selectorELNS0_4arch9wavefront6targetE0EEEvT1_.uses_vcc, 0
	.set _ZN7rocprim17ROCPRIM_400000_NS6detail17trampoline_kernelINS0_14default_configENS1_25partition_config_selectorILNS1_17partition_subalgoE5ElNS0_10empty_typeEbEEZZNS1_14partition_implILS5_5ELb0ES3_mN6hipcub16HIPCUB_304000_NS21CountingInputIteratorIllEEPS6_NSA_22TransformInputIteratorIbN2at6native12_GLOBAL__N_19NonZeroOpIlEEPKllEENS0_5tupleIJPlS6_EEENSN_IJSD_SD_EEES6_PiJS6_EEE10hipError_tPvRmT3_T4_T5_T6_T7_T9_mT8_P12ihipStream_tbDpT10_ENKUlT_T0_E_clISt17integral_constantIbLb1EES1B_EEDaS16_S17_EUlS16_E_NS1_11comp_targetILNS1_3genE2ELNS1_11target_archE906ELNS1_3gpuE6ELNS1_3repE0EEENS1_30default_config_static_selectorELNS0_4arch9wavefront6targetE0EEEvT1_.uses_flat_scratch, 0
	.set _ZN7rocprim17ROCPRIM_400000_NS6detail17trampoline_kernelINS0_14default_configENS1_25partition_config_selectorILNS1_17partition_subalgoE5ElNS0_10empty_typeEbEEZZNS1_14partition_implILS5_5ELb0ES3_mN6hipcub16HIPCUB_304000_NS21CountingInputIteratorIllEEPS6_NSA_22TransformInputIteratorIbN2at6native12_GLOBAL__N_19NonZeroOpIlEEPKllEENS0_5tupleIJPlS6_EEENSN_IJSD_SD_EEES6_PiJS6_EEE10hipError_tPvRmT3_T4_T5_T6_T7_T9_mT8_P12ihipStream_tbDpT10_ENKUlT_T0_E_clISt17integral_constantIbLb1EES1B_EEDaS16_S17_EUlS16_E_NS1_11comp_targetILNS1_3genE2ELNS1_11target_archE906ELNS1_3gpuE6ELNS1_3repE0EEENS1_30default_config_static_selectorELNS0_4arch9wavefront6targetE0EEEvT1_.has_dyn_sized_stack, 0
	.set _ZN7rocprim17ROCPRIM_400000_NS6detail17trampoline_kernelINS0_14default_configENS1_25partition_config_selectorILNS1_17partition_subalgoE5ElNS0_10empty_typeEbEEZZNS1_14partition_implILS5_5ELb0ES3_mN6hipcub16HIPCUB_304000_NS21CountingInputIteratorIllEEPS6_NSA_22TransformInputIteratorIbN2at6native12_GLOBAL__N_19NonZeroOpIlEEPKllEENS0_5tupleIJPlS6_EEENSN_IJSD_SD_EEES6_PiJS6_EEE10hipError_tPvRmT3_T4_T5_T6_T7_T9_mT8_P12ihipStream_tbDpT10_ENKUlT_T0_E_clISt17integral_constantIbLb1EES1B_EEDaS16_S17_EUlS16_E_NS1_11comp_targetILNS1_3genE2ELNS1_11target_archE906ELNS1_3gpuE6ELNS1_3repE0EEENS1_30default_config_static_selectorELNS0_4arch9wavefront6targetE0EEEvT1_.has_recursion, 0
	.set _ZN7rocprim17ROCPRIM_400000_NS6detail17trampoline_kernelINS0_14default_configENS1_25partition_config_selectorILNS1_17partition_subalgoE5ElNS0_10empty_typeEbEEZZNS1_14partition_implILS5_5ELb0ES3_mN6hipcub16HIPCUB_304000_NS21CountingInputIteratorIllEEPS6_NSA_22TransformInputIteratorIbN2at6native12_GLOBAL__N_19NonZeroOpIlEEPKllEENS0_5tupleIJPlS6_EEENSN_IJSD_SD_EEES6_PiJS6_EEE10hipError_tPvRmT3_T4_T5_T6_T7_T9_mT8_P12ihipStream_tbDpT10_ENKUlT_T0_E_clISt17integral_constantIbLb1EES1B_EEDaS16_S17_EUlS16_E_NS1_11comp_targetILNS1_3genE2ELNS1_11target_archE906ELNS1_3gpuE6ELNS1_3repE0EEENS1_30default_config_static_selectorELNS0_4arch9wavefront6targetE0EEEvT1_.has_indirect_call, 0
	.section	.AMDGPU.csdata,"",@progbits
; Kernel info:
; codeLenInByte = 0
; TotalNumSgprs: 0
; NumVgprs: 0
; ScratchSize: 0
; MemoryBound: 0
; FloatMode: 240
; IeeeMode: 1
; LDSByteSize: 0 bytes/workgroup (compile time only)
; SGPRBlocks: 0
; VGPRBlocks: 0
; NumSGPRsForWavesPerEU: 1
; NumVGPRsForWavesPerEU: 1
; Occupancy: 16
; WaveLimiterHint : 0
; COMPUTE_PGM_RSRC2:SCRATCH_EN: 0
; COMPUTE_PGM_RSRC2:USER_SGPR: 2
; COMPUTE_PGM_RSRC2:TRAP_HANDLER: 0
; COMPUTE_PGM_RSRC2:TGID_X_EN: 1
; COMPUTE_PGM_RSRC2:TGID_Y_EN: 0
; COMPUTE_PGM_RSRC2:TGID_Z_EN: 0
; COMPUTE_PGM_RSRC2:TIDIG_COMP_CNT: 0
	.section	.text._ZN7rocprim17ROCPRIM_400000_NS6detail17trampoline_kernelINS0_14default_configENS1_25partition_config_selectorILNS1_17partition_subalgoE5ElNS0_10empty_typeEbEEZZNS1_14partition_implILS5_5ELb0ES3_mN6hipcub16HIPCUB_304000_NS21CountingInputIteratorIllEEPS6_NSA_22TransformInputIteratorIbN2at6native12_GLOBAL__N_19NonZeroOpIlEEPKllEENS0_5tupleIJPlS6_EEENSN_IJSD_SD_EEES6_PiJS6_EEE10hipError_tPvRmT3_T4_T5_T6_T7_T9_mT8_P12ihipStream_tbDpT10_ENKUlT_T0_E_clISt17integral_constantIbLb1EES1B_EEDaS16_S17_EUlS16_E_NS1_11comp_targetILNS1_3genE10ELNS1_11target_archE1200ELNS1_3gpuE4ELNS1_3repE0EEENS1_30default_config_static_selectorELNS0_4arch9wavefront6targetE0EEEvT1_,"axG",@progbits,_ZN7rocprim17ROCPRIM_400000_NS6detail17trampoline_kernelINS0_14default_configENS1_25partition_config_selectorILNS1_17partition_subalgoE5ElNS0_10empty_typeEbEEZZNS1_14partition_implILS5_5ELb0ES3_mN6hipcub16HIPCUB_304000_NS21CountingInputIteratorIllEEPS6_NSA_22TransformInputIteratorIbN2at6native12_GLOBAL__N_19NonZeroOpIlEEPKllEENS0_5tupleIJPlS6_EEENSN_IJSD_SD_EEES6_PiJS6_EEE10hipError_tPvRmT3_T4_T5_T6_T7_T9_mT8_P12ihipStream_tbDpT10_ENKUlT_T0_E_clISt17integral_constantIbLb1EES1B_EEDaS16_S17_EUlS16_E_NS1_11comp_targetILNS1_3genE10ELNS1_11target_archE1200ELNS1_3gpuE4ELNS1_3repE0EEENS1_30default_config_static_selectorELNS0_4arch9wavefront6targetE0EEEvT1_,comdat
	.globl	_ZN7rocprim17ROCPRIM_400000_NS6detail17trampoline_kernelINS0_14default_configENS1_25partition_config_selectorILNS1_17partition_subalgoE5ElNS0_10empty_typeEbEEZZNS1_14partition_implILS5_5ELb0ES3_mN6hipcub16HIPCUB_304000_NS21CountingInputIteratorIllEEPS6_NSA_22TransformInputIteratorIbN2at6native12_GLOBAL__N_19NonZeroOpIlEEPKllEENS0_5tupleIJPlS6_EEENSN_IJSD_SD_EEES6_PiJS6_EEE10hipError_tPvRmT3_T4_T5_T6_T7_T9_mT8_P12ihipStream_tbDpT10_ENKUlT_T0_E_clISt17integral_constantIbLb1EES1B_EEDaS16_S17_EUlS16_E_NS1_11comp_targetILNS1_3genE10ELNS1_11target_archE1200ELNS1_3gpuE4ELNS1_3repE0EEENS1_30default_config_static_selectorELNS0_4arch9wavefront6targetE0EEEvT1_ ; -- Begin function _ZN7rocprim17ROCPRIM_400000_NS6detail17trampoline_kernelINS0_14default_configENS1_25partition_config_selectorILNS1_17partition_subalgoE5ElNS0_10empty_typeEbEEZZNS1_14partition_implILS5_5ELb0ES3_mN6hipcub16HIPCUB_304000_NS21CountingInputIteratorIllEEPS6_NSA_22TransformInputIteratorIbN2at6native12_GLOBAL__N_19NonZeroOpIlEEPKllEENS0_5tupleIJPlS6_EEENSN_IJSD_SD_EEES6_PiJS6_EEE10hipError_tPvRmT3_T4_T5_T6_T7_T9_mT8_P12ihipStream_tbDpT10_ENKUlT_T0_E_clISt17integral_constantIbLb1EES1B_EEDaS16_S17_EUlS16_E_NS1_11comp_targetILNS1_3genE10ELNS1_11target_archE1200ELNS1_3gpuE4ELNS1_3repE0EEENS1_30default_config_static_selectorELNS0_4arch9wavefront6targetE0EEEvT1_
	.p2align	8
	.type	_ZN7rocprim17ROCPRIM_400000_NS6detail17trampoline_kernelINS0_14default_configENS1_25partition_config_selectorILNS1_17partition_subalgoE5ElNS0_10empty_typeEbEEZZNS1_14partition_implILS5_5ELb0ES3_mN6hipcub16HIPCUB_304000_NS21CountingInputIteratorIllEEPS6_NSA_22TransformInputIteratorIbN2at6native12_GLOBAL__N_19NonZeroOpIlEEPKllEENS0_5tupleIJPlS6_EEENSN_IJSD_SD_EEES6_PiJS6_EEE10hipError_tPvRmT3_T4_T5_T6_T7_T9_mT8_P12ihipStream_tbDpT10_ENKUlT_T0_E_clISt17integral_constantIbLb1EES1B_EEDaS16_S17_EUlS16_E_NS1_11comp_targetILNS1_3genE10ELNS1_11target_archE1200ELNS1_3gpuE4ELNS1_3repE0EEENS1_30default_config_static_selectorELNS0_4arch9wavefront6targetE0EEEvT1_,@function
_ZN7rocprim17ROCPRIM_400000_NS6detail17trampoline_kernelINS0_14default_configENS1_25partition_config_selectorILNS1_17partition_subalgoE5ElNS0_10empty_typeEbEEZZNS1_14partition_implILS5_5ELb0ES3_mN6hipcub16HIPCUB_304000_NS21CountingInputIteratorIllEEPS6_NSA_22TransformInputIteratorIbN2at6native12_GLOBAL__N_19NonZeroOpIlEEPKllEENS0_5tupleIJPlS6_EEENSN_IJSD_SD_EEES6_PiJS6_EEE10hipError_tPvRmT3_T4_T5_T6_T7_T9_mT8_P12ihipStream_tbDpT10_ENKUlT_T0_E_clISt17integral_constantIbLb1EES1B_EEDaS16_S17_EUlS16_E_NS1_11comp_targetILNS1_3genE10ELNS1_11target_archE1200ELNS1_3gpuE4ELNS1_3repE0EEENS1_30default_config_static_selectorELNS0_4arch9wavefront6targetE0EEEvT1_: ; @_ZN7rocprim17ROCPRIM_400000_NS6detail17trampoline_kernelINS0_14default_configENS1_25partition_config_selectorILNS1_17partition_subalgoE5ElNS0_10empty_typeEbEEZZNS1_14partition_implILS5_5ELb0ES3_mN6hipcub16HIPCUB_304000_NS21CountingInputIteratorIllEEPS6_NSA_22TransformInputIteratorIbN2at6native12_GLOBAL__N_19NonZeroOpIlEEPKllEENS0_5tupleIJPlS6_EEENSN_IJSD_SD_EEES6_PiJS6_EEE10hipError_tPvRmT3_T4_T5_T6_T7_T9_mT8_P12ihipStream_tbDpT10_ENKUlT_T0_E_clISt17integral_constantIbLb1EES1B_EEDaS16_S17_EUlS16_E_NS1_11comp_targetILNS1_3genE10ELNS1_11target_archE1200ELNS1_3gpuE4ELNS1_3repE0EEENS1_30default_config_static_selectorELNS0_4arch9wavefront6targetE0EEEvT1_
; %bb.0:
	s_endpgm
	.section	.rodata,"a",@progbits
	.p2align	6, 0x0
	.amdhsa_kernel _ZN7rocprim17ROCPRIM_400000_NS6detail17trampoline_kernelINS0_14default_configENS1_25partition_config_selectorILNS1_17partition_subalgoE5ElNS0_10empty_typeEbEEZZNS1_14partition_implILS5_5ELb0ES3_mN6hipcub16HIPCUB_304000_NS21CountingInputIteratorIllEEPS6_NSA_22TransformInputIteratorIbN2at6native12_GLOBAL__N_19NonZeroOpIlEEPKllEENS0_5tupleIJPlS6_EEENSN_IJSD_SD_EEES6_PiJS6_EEE10hipError_tPvRmT3_T4_T5_T6_T7_T9_mT8_P12ihipStream_tbDpT10_ENKUlT_T0_E_clISt17integral_constantIbLb1EES1B_EEDaS16_S17_EUlS16_E_NS1_11comp_targetILNS1_3genE10ELNS1_11target_archE1200ELNS1_3gpuE4ELNS1_3repE0EEENS1_30default_config_static_selectorELNS0_4arch9wavefront6targetE0EEEvT1_
		.amdhsa_group_segment_fixed_size 0
		.amdhsa_private_segment_fixed_size 0
		.amdhsa_kernarg_size 136
		.amdhsa_user_sgpr_count 2
		.amdhsa_user_sgpr_dispatch_ptr 0
		.amdhsa_user_sgpr_queue_ptr 0
		.amdhsa_user_sgpr_kernarg_segment_ptr 1
		.amdhsa_user_sgpr_dispatch_id 0
		.amdhsa_user_sgpr_private_segment_size 0
		.amdhsa_wavefront_size32 1
		.amdhsa_uses_dynamic_stack 0
		.amdhsa_enable_private_segment 0
		.amdhsa_system_sgpr_workgroup_id_x 1
		.amdhsa_system_sgpr_workgroup_id_y 0
		.amdhsa_system_sgpr_workgroup_id_z 0
		.amdhsa_system_sgpr_workgroup_info 0
		.amdhsa_system_vgpr_workitem_id 0
		.amdhsa_next_free_vgpr 1
		.amdhsa_next_free_sgpr 1
		.amdhsa_reserve_vcc 0
		.amdhsa_float_round_mode_32 0
		.amdhsa_float_round_mode_16_64 0
		.amdhsa_float_denorm_mode_32 3
		.amdhsa_float_denorm_mode_16_64 3
		.amdhsa_fp16_overflow 0
		.amdhsa_workgroup_processor_mode 1
		.amdhsa_memory_ordered 1
		.amdhsa_forward_progress 1
		.amdhsa_inst_pref_size 1
		.amdhsa_round_robin_scheduling 0
		.amdhsa_exception_fp_ieee_invalid_op 0
		.amdhsa_exception_fp_denorm_src 0
		.amdhsa_exception_fp_ieee_div_zero 0
		.amdhsa_exception_fp_ieee_overflow 0
		.amdhsa_exception_fp_ieee_underflow 0
		.amdhsa_exception_fp_ieee_inexact 0
		.amdhsa_exception_int_div_zero 0
	.end_amdhsa_kernel
	.section	.text._ZN7rocprim17ROCPRIM_400000_NS6detail17trampoline_kernelINS0_14default_configENS1_25partition_config_selectorILNS1_17partition_subalgoE5ElNS0_10empty_typeEbEEZZNS1_14partition_implILS5_5ELb0ES3_mN6hipcub16HIPCUB_304000_NS21CountingInputIteratorIllEEPS6_NSA_22TransformInputIteratorIbN2at6native12_GLOBAL__N_19NonZeroOpIlEEPKllEENS0_5tupleIJPlS6_EEENSN_IJSD_SD_EEES6_PiJS6_EEE10hipError_tPvRmT3_T4_T5_T6_T7_T9_mT8_P12ihipStream_tbDpT10_ENKUlT_T0_E_clISt17integral_constantIbLb1EES1B_EEDaS16_S17_EUlS16_E_NS1_11comp_targetILNS1_3genE10ELNS1_11target_archE1200ELNS1_3gpuE4ELNS1_3repE0EEENS1_30default_config_static_selectorELNS0_4arch9wavefront6targetE0EEEvT1_,"axG",@progbits,_ZN7rocprim17ROCPRIM_400000_NS6detail17trampoline_kernelINS0_14default_configENS1_25partition_config_selectorILNS1_17partition_subalgoE5ElNS0_10empty_typeEbEEZZNS1_14partition_implILS5_5ELb0ES3_mN6hipcub16HIPCUB_304000_NS21CountingInputIteratorIllEEPS6_NSA_22TransformInputIteratorIbN2at6native12_GLOBAL__N_19NonZeroOpIlEEPKllEENS0_5tupleIJPlS6_EEENSN_IJSD_SD_EEES6_PiJS6_EEE10hipError_tPvRmT3_T4_T5_T6_T7_T9_mT8_P12ihipStream_tbDpT10_ENKUlT_T0_E_clISt17integral_constantIbLb1EES1B_EEDaS16_S17_EUlS16_E_NS1_11comp_targetILNS1_3genE10ELNS1_11target_archE1200ELNS1_3gpuE4ELNS1_3repE0EEENS1_30default_config_static_selectorELNS0_4arch9wavefront6targetE0EEEvT1_,comdat
.Lfunc_end267:
	.size	_ZN7rocprim17ROCPRIM_400000_NS6detail17trampoline_kernelINS0_14default_configENS1_25partition_config_selectorILNS1_17partition_subalgoE5ElNS0_10empty_typeEbEEZZNS1_14partition_implILS5_5ELb0ES3_mN6hipcub16HIPCUB_304000_NS21CountingInputIteratorIllEEPS6_NSA_22TransformInputIteratorIbN2at6native12_GLOBAL__N_19NonZeroOpIlEEPKllEENS0_5tupleIJPlS6_EEENSN_IJSD_SD_EEES6_PiJS6_EEE10hipError_tPvRmT3_T4_T5_T6_T7_T9_mT8_P12ihipStream_tbDpT10_ENKUlT_T0_E_clISt17integral_constantIbLb1EES1B_EEDaS16_S17_EUlS16_E_NS1_11comp_targetILNS1_3genE10ELNS1_11target_archE1200ELNS1_3gpuE4ELNS1_3repE0EEENS1_30default_config_static_selectorELNS0_4arch9wavefront6targetE0EEEvT1_, .Lfunc_end267-_ZN7rocprim17ROCPRIM_400000_NS6detail17trampoline_kernelINS0_14default_configENS1_25partition_config_selectorILNS1_17partition_subalgoE5ElNS0_10empty_typeEbEEZZNS1_14partition_implILS5_5ELb0ES3_mN6hipcub16HIPCUB_304000_NS21CountingInputIteratorIllEEPS6_NSA_22TransformInputIteratorIbN2at6native12_GLOBAL__N_19NonZeroOpIlEEPKllEENS0_5tupleIJPlS6_EEENSN_IJSD_SD_EEES6_PiJS6_EEE10hipError_tPvRmT3_T4_T5_T6_T7_T9_mT8_P12ihipStream_tbDpT10_ENKUlT_T0_E_clISt17integral_constantIbLb1EES1B_EEDaS16_S17_EUlS16_E_NS1_11comp_targetILNS1_3genE10ELNS1_11target_archE1200ELNS1_3gpuE4ELNS1_3repE0EEENS1_30default_config_static_selectorELNS0_4arch9wavefront6targetE0EEEvT1_
                                        ; -- End function
	.set _ZN7rocprim17ROCPRIM_400000_NS6detail17trampoline_kernelINS0_14default_configENS1_25partition_config_selectorILNS1_17partition_subalgoE5ElNS0_10empty_typeEbEEZZNS1_14partition_implILS5_5ELb0ES3_mN6hipcub16HIPCUB_304000_NS21CountingInputIteratorIllEEPS6_NSA_22TransformInputIteratorIbN2at6native12_GLOBAL__N_19NonZeroOpIlEEPKllEENS0_5tupleIJPlS6_EEENSN_IJSD_SD_EEES6_PiJS6_EEE10hipError_tPvRmT3_T4_T5_T6_T7_T9_mT8_P12ihipStream_tbDpT10_ENKUlT_T0_E_clISt17integral_constantIbLb1EES1B_EEDaS16_S17_EUlS16_E_NS1_11comp_targetILNS1_3genE10ELNS1_11target_archE1200ELNS1_3gpuE4ELNS1_3repE0EEENS1_30default_config_static_selectorELNS0_4arch9wavefront6targetE0EEEvT1_.num_vgpr, 0
	.set _ZN7rocprim17ROCPRIM_400000_NS6detail17trampoline_kernelINS0_14default_configENS1_25partition_config_selectorILNS1_17partition_subalgoE5ElNS0_10empty_typeEbEEZZNS1_14partition_implILS5_5ELb0ES3_mN6hipcub16HIPCUB_304000_NS21CountingInputIteratorIllEEPS6_NSA_22TransformInputIteratorIbN2at6native12_GLOBAL__N_19NonZeroOpIlEEPKllEENS0_5tupleIJPlS6_EEENSN_IJSD_SD_EEES6_PiJS6_EEE10hipError_tPvRmT3_T4_T5_T6_T7_T9_mT8_P12ihipStream_tbDpT10_ENKUlT_T0_E_clISt17integral_constantIbLb1EES1B_EEDaS16_S17_EUlS16_E_NS1_11comp_targetILNS1_3genE10ELNS1_11target_archE1200ELNS1_3gpuE4ELNS1_3repE0EEENS1_30default_config_static_selectorELNS0_4arch9wavefront6targetE0EEEvT1_.num_agpr, 0
	.set _ZN7rocprim17ROCPRIM_400000_NS6detail17trampoline_kernelINS0_14default_configENS1_25partition_config_selectorILNS1_17partition_subalgoE5ElNS0_10empty_typeEbEEZZNS1_14partition_implILS5_5ELb0ES3_mN6hipcub16HIPCUB_304000_NS21CountingInputIteratorIllEEPS6_NSA_22TransformInputIteratorIbN2at6native12_GLOBAL__N_19NonZeroOpIlEEPKllEENS0_5tupleIJPlS6_EEENSN_IJSD_SD_EEES6_PiJS6_EEE10hipError_tPvRmT3_T4_T5_T6_T7_T9_mT8_P12ihipStream_tbDpT10_ENKUlT_T0_E_clISt17integral_constantIbLb1EES1B_EEDaS16_S17_EUlS16_E_NS1_11comp_targetILNS1_3genE10ELNS1_11target_archE1200ELNS1_3gpuE4ELNS1_3repE0EEENS1_30default_config_static_selectorELNS0_4arch9wavefront6targetE0EEEvT1_.numbered_sgpr, 0
	.set _ZN7rocprim17ROCPRIM_400000_NS6detail17trampoline_kernelINS0_14default_configENS1_25partition_config_selectorILNS1_17partition_subalgoE5ElNS0_10empty_typeEbEEZZNS1_14partition_implILS5_5ELb0ES3_mN6hipcub16HIPCUB_304000_NS21CountingInputIteratorIllEEPS6_NSA_22TransformInputIteratorIbN2at6native12_GLOBAL__N_19NonZeroOpIlEEPKllEENS0_5tupleIJPlS6_EEENSN_IJSD_SD_EEES6_PiJS6_EEE10hipError_tPvRmT3_T4_T5_T6_T7_T9_mT8_P12ihipStream_tbDpT10_ENKUlT_T0_E_clISt17integral_constantIbLb1EES1B_EEDaS16_S17_EUlS16_E_NS1_11comp_targetILNS1_3genE10ELNS1_11target_archE1200ELNS1_3gpuE4ELNS1_3repE0EEENS1_30default_config_static_selectorELNS0_4arch9wavefront6targetE0EEEvT1_.num_named_barrier, 0
	.set _ZN7rocprim17ROCPRIM_400000_NS6detail17trampoline_kernelINS0_14default_configENS1_25partition_config_selectorILNS1_17partition_subalgoE5ElNS0_10empty_typeEbEEZZNS1_14partition_implILS5_5ELb0ES3_mN6hipcub16HIPCUB_304000_NS21CountingInputIteratorIllEEPS6_NSA_22TransformInputIteratorIbN2at6native12_GLOBAL__N_19NonZeroOpIlEEPKllEENS0_5tupleIJPlS6_EEENSN_IJSD_SD_EEES6_PiJS6_EEE10hipError_tPvRmT3_T4_T5_T6_T7_T9_mT8_P12ihipStream_tbDpT10_ENKUlT_T0_E_clISt17integral_constantIbLb1EES1B_EEDaS16_S17_EUlS16_E_NS1_11comp_targetILNS1_3genE10ELNS1_11target_archE1200ELNS1_3gpuE4ELNS1_3repE0EEENS1_30default_config_static_selectorELNS0_4arch9wavefront6targetE0EEEvT1_.private_seg_size, 0
	.set _ZN7rocprim17ROCPRIM_400000_NS6detail17trampoline_kernelINS0_14default_configENS1_25partition_config_selectorILNS1_17partition_subalgoE5ElNS0_10empty_typeEbEEZZNS1_14partition_implILS5_5ELb0ES3_mN6hipcub16HIPCUB_304000_NS21CountingInputIteratorIllEEPS6_NSA_22TransformInputIteratorIbN2at6native12_GLOBAL__N_19NonZeroOpIlEEPKllEENS0_5tupleIJPlS6_EEENSN_IJSD_SD_EEES6_PiJS6_EEE10hipError_tPvRmT3_T4_T5_T6_T7_T9_mT8_P12ihipStream_tbDpT10_ENKUlT_T0_E_clISt17integral_constantIbLb1EES1B_EEDaS16_S17_EUlS16_E_NS1_11comp_targetILNS1_3genE10ELNS1_11target_archE1200ELNS1_3gpuE4ELNS1_3repE0EEENS1_30default_config_static_selectorELNS0_4arch9wavefront6targetE0EEEvT1_.uses_vcc, 0
	.set _ZN7rocprim17ROCPRIM_400000_NS6detail17trampoline_kernelINS0_14default_configENS1_25partition_config_selectorILNS1_17partition_subalgoE5ElNS0_10empty_typeEbEEZZNS1_14partition_implILS5_5ELb0ES3_mN6hipcub16HIPCUB_304000_NS21CountingInputIteratorIllEEPS6_NSA_22TransformInputIteratorIbN2at6native12_GLOBAL__N_19NonZeroOpIlEEPKllEENS0_5tupleIJPlS6_EEENSN_IJSD_SD_EEES6_PiJS6_EEE10hipError_tPvRmT3_T4_T5_T6_T7_T9_mT8_P12ihipStream_tbDpT10_ENKUlT_T0_E_clISt17integral_constantIbLb1EES1B_EEDaS16_S17_EUlS16_E_NS1_11comp_targetILNS1_3genE10ELNS1_11target_archE1200ELNS1_3gpuE4ELNS1_3repE0EEENS1_30default_config_static_selectorELNS0_4arch9wavefront6targetE0EEEvT1_.uses_flat_scratch, 0
	.set _ZN7rocprim17ROCPRIM_400000_NS6detail17trampoline_kernelINS0_14default_configENS1_25partition_config_selectorILNS1_17partition_subalgoE5ElNS0_10empty_typeEbEEZZNS1_14partition_implILS5_5ELb0ES3_mN6hipcub16HIPCUB_304000_NS21CountingInputIteratorIllEEPS6_NSA_22TransformInputIteratorIbN2at6native12_GLOBAL__N_19NonZeroOpIlEEPKllEENS0_5tupleIJPlS6_EEENSN_IJSD_SD_EEES6_PiJS6_EEE10hipError_tPvRmT3_T4_T5_T6_T7_T9_mT8_P12ihipStream_tbDpT10_ENKUlT_T0_E_clISt17integral_constantIbLb1EES1B_EEDaS16_S17_EUlS16_E_NS1_11comp_targetILNS1_3genE10ELNS1_11target_archE1200ELNS1_3gpuE4ELNS1_3repE0EEENS1_30default_config_static_selectorELNS0_4arch9wavefront6targetE0EEEvT1_.has_dyn_sized_stack, 0
	.set _ZN7rocprim17ROCPRIM_400000_NS6detail17trampoline_kernelINS0_14default_configENS1_25partition_config_selectorILNS1_17partition_subalgoE5ElNS0_10empty_typeEbEEZZNS1_14partition_implILS5_5ELb0ES3_mN6hipcub16HIPCUB_304000_NS21CountingInputIteratorIllEEPS6_NSA_22TransformInputIteratorIbN2at6native12_GLOBAL__N_19NonZeroOpIlEEPKllEENS0_5tupleIJPlS6_EEENSN_IJSD_SD_EEES6_PiJS6_EEE10hipError_tPvRmT3_T4_T5_T6_T7_T9_mT8_P12ihipStream_tbDpT10_ENKUlT_T0_E_clISt17integral_constantIbLb1EES1B_EEDaS16_S17_EUlS16_E_NS1_11comp_targetILNS1_3genE10ELNS1_11target_archE1200ELNS1_3gpuE4ELNS1_3repE0EEENS1_30default_config_static_selectorELNS0_4arch9wavefront6targetE0EEEvT1_.has_recursion, 0
	.set _ZN7rocprim17ROCPRIM_400000_NS6detail17trampoline_kernelINS0_14default_configENS1_25partition_config_selectorILNS1_17partition_subalgoE5ElNS0_10empty_typeEbEEZZNS1_14partition_implILS5_5ELb0ES3_mN6hipcub16HIPCUB_304000_NS21CountingInputIteratorIllEEPS6_NSA_22TransformInputIteratorIbN2at6native12_GLOBAL__N_19NonZeroOpIlEEPKllEENS0_5tupleIJPlS6_EEENSN_IJSD_SD_EEES6_PiJS6_EEE10hipError_tPvRmT3_T4_T5_T6_T7_T9_mT8_P12ihipStream_tbDpT10_ENKUlT_T0_E_clISt17integral_constantIbLb1EES1B_EEDaS16_S17_EUlS16_E_NS1_11comp_targetILNS1_3genE10ELNS1_11target_archE1200ELNS1_3gpuE4ELNS1_3repE0EEENS1_30default_config_static_selectorELNS0_4arch9wavefront6targetE0EEEvT1_.has_indirect_call, 0
	.section	.AMDGPU.csdata,"",@progbits
; Kernel info:
; codeLenInByte = 4
; TotalNumSgprs: 0
; NumVgprs: 0
; ScratchSize: 0
; MemoryBound: 0
; FloatMode: 240
; IeeeMode: 1
; LDSByteSize: 0 bytes/workgroup (compile time only)
; SGPRBlocks: 0
; VGPRBlocks: 0
; NumSGPRsForWavesPerEU: 1
; NumVGPRsForWavesPerEU: 1
; Occupancy: 16
; WaveLimiterHint : 0
; COMPUTE_PGM_RSRC2:SCRATCH_EN: 0
; COMPUTE_PGM_RSRC2:USER_SGPR: 2
; COMPUTE_PGM_RSRC2:TRAP_HANDLER: 0
; COMPUTE_PGM_RSRC2:TGID_X_EN: 1
; COMPUTE_PGM_RSRC2:TGID_Y_EN: 0
; COMPUTE_PGM_RSRC2:TGID_Z_EN: 0
; COMPUTE_PGM_RSRC2:TIDIG_COMP_CNT: 0
	.section	.text._ZN7rocprim17ROCPRIM_400000_NS6detail17trampoline_kernelINS0_14default_configENS1_25partition_config_selectorILNS1_17partition_subalgoE5ElNS0_10empty_typeEbEEZZNS1_14partition_implILS5_5ELb0ES3_mN6hipcub16HIPCUB_304000_NS21CountingInputIteratorIllEEPS6_NSA_22TransformInputIteratorIbN2at6native12_GLOBAL__N_19NonZeroOpIlEEPKllEENS0_5tupleIJPlS6_EEENSN_IJSD_SD_EEES6_PiJS6_EEE10hipError_tPvRmT3_T4_T5_T6_T7_T9_mT8_P12ihipStream_tbDpT10_ENKUlT_T0_E_clISt17integral_constantIbLb1EES1B_EEDaS16_S17_EUlS16_E_NS1_11comp_targetILNS1_3genE9ELNS1_11target_archE1100ELNS1_3gpuE3ELNS1_3repE0EEENS1_30default_config_static_selectorELNS0_4arch9wavefront6targetE0EEEvT1_,"axG",@progbits,_ZN7rocprim17ROCPRIM_400000_NS6detail17trampoline_kernelINS0_14default_configENS1_25partition_config_selectorILNS1_17partition_subalgoE5ElNS0_10empty_typeEbEEZZNS1_14partition_implILS5_5ELb0ES3_mN6hipcub16HIPCUB_304000_NS21CountingInputIteratorIllEEPS6_NSA_22TransformInputIteratorIbN2at6native12_GLOBAL__N_19NonZeroOpIlEEPKllEENS0_5tupleIJPlS6_EEENSN_IJSD_SD_EEES6_PiJS6_EEE10hipError_tPvRmT3_T4_T5_T6_T7_T9_mT8_P12ihipStream_tbDpT10_ENKUlT_T0_E_clISt17integral_constantIbLb1EES1B_EEDaS16_S17_EUlS16_E_NS1_11comp_targetILNS1_3genE9ELNS1_11target_archE1100ELNS1_3gpuE3ELNS1_3repE0EEENS1_30default_config_static_selectorELNS0_4arch9wavefront6targetE0EEEvT1_,comdat
	.globl	_ZN7rocprim17ROCPRIM_400000_NS6detail17trampoline_kernelINS0_14default_configENS1_25partition_config_selectorILNS1_17partition_subalgoE5ElNS0_10empty_typeEbEEZZNS1_14partition_implILS5_5ELb0ES3_mN6hipcub16HIPCUB_304000_NS21CountingInputIteratorIllEEPS6_NSA_22TransformInputIteratorIbN2at6native12_GLOBAL__N_19NonZeroOpIlEEPKllEENS0_5tupleIJPlS6_EEENSN_IJSD_SD_EEES6_PiJS6_EEE10hipError_tPvRmT3_T4_T5_T6_T7_T9_mT8_P12ihipStream_tbDpT10_ENKUlT_T0_E_clISt17integral_constantIbLb1EES1B_EEDaS16_S17_EUlS16_E_NS1_11comp_targetILNS1_3genE9ELNS1_11target_archE1100ELNS1_3gpuE3ELNS1_3repE0EEENS1_30default_config_static_selectorELNS0_4arch9wavefront6targetE0EEEvT1_ ; -- Begin function _ZN7rocprim17ROCPRIM_400000_NS6detail17trampoline_kernelINS0_14default_configENS1_25partition_config_selectorILNS1_17partition_subalgoE5ElNS0_10empty_typeEbEEZZNS1_14partition_implILS5_5ELb0ES3_mN6hipcub16HIPCUB_304000_NS21CountingInputIteratorIllEEPS6_NSA_22TransformInputIteratorIbN2at6native12_GLOBAL__N_19NonZeroOpIlEEPKllEENS0_5tupleIJPlS6_EEENSN_IJSD_SD_EEES6_PiJS6_EEE10hipError_tPvRmT3_T4_T5_T6_T7_T9_mT8_P12ihipStream_tbDpT10_ENKUlT_T0_E_clISt17integral_constantIbLb1EES1B_EEDaS16_S17_EUlS16_E_NS1_11comp_targetILNS1_3genE9ELNS1_11target_archE1100ELNS1_3gpuE3ELNS1_3repE0EEENS1_30default_config_static_selectorELNS0_4arch9wavefront6targetE0EEEvT1_
	.p2align	8
	.type	_ZN7rocprim17ROCPRIM_400000_NS6detail17trampoline_kernelINS0_14default_configENS1_25partition_config_selectorILNS1_17partition_subalgoE5ElNS0_10empty_typeEbEEZZNS1_14partition_implILS5_5ELb0ES3_mN6hipcub16HIPCUB_304000_NS21CountingInputIteratorIllEEPS6_NSA_22TransformInputIteratorIbN2at6native12_GLOBAL__N_19NonZeroOpIlEEPKllEENS0_5tupleIJPlS6_EEENSN_IJSD_SD_EEES6_PiJS6_EEE10hipError_tPvRmT3_T4_T5_T6_T7_T9_mT8_P12ihipStream_tbDpT10_ENKUlT_T0_E_clISt17integral_constantIbLb1EES1B_EEDaS16_S17_EUlS16_E_NS1_11comp_targetILNS1_3genE9ELNS1_11target_archE1100ELNS1_3gpuE3ELNS1_3repE0EEENS1_30default_config_static_selectorELNS0_4arch9wavefront6targetE0EEEvT1_,@function
_ZN7rocprim17ROCPRIM_400000_NS6detail17trampoline_kernelINS0_14default_configENS1_25partition_config_selectorILNS1_17partition_subalgoE5ElNS0_10empty_typeEbEEZZNS1_14partition_implILS5_5ELb0ES3_mN6hipcub16HIPCUB_304000_NS21CountingInputIteratorIllEEPS6_NSA_22TransformInputIteratorIbN2at6native12_GLOBAL__N_19NonZeroOpIlEEPKllEENS0_5tupleIJPlS6_EEENSN_IJSD_SD_EEES6_PiJS6_EEE10hipError_tPvRmT3_T4_T5_T6_T7_T9_mT8_P12ihipStream_tbDpT10_ENKUlT_T0_E_clISt17integral_constantIbLb1EES1B_EEDaS16_S17_EUlS16_E_NS1_11comp_targetILNS1_3genE9ELNS1_11target_archE1100ELNS1_3gpuE3ELNS1_3repE0EEENS1_30default_config_static_selectorELNS0_4arch9wavefront6targetE0EEEvT1_: ; @_ZN7rocprim17ROCPRIM_400000_NS6detail17trampoline_kernelINS0_14default_configENS1_25partition_config_selectorILNS1_17partition_subalgoE5ElNS0_10empty_typeEbEEZZNS1_14partition_implILS5_5ELb0ES3_mN6hipcub16HIPCUB_304000_NS21CountingInputIteratorIllEEPS6_NSA_22TransformInputIteratorIbN2at6native12_GLOBAL__N_19NonZeroOpIlEEPKllEENS0_5tupleIJPlS6_EEENSN_IJSD_SD_EEES6_PiJS6_EEE10hipError_tPvRmT3_T4_T5_T6_T7_T9_mT8_P12ihipStream_tbDpT10_ENKUlT_T0_E_clISt17integral_constantIbLb1EES1B_EEDaS16_S17_EUlS16_E_NS1_11comp_targetILNS1_3genE9ELNS1_11target_archE1100ELNS1_3gpuE3ELNS1_3repE0EEENS1_30default_config_static_selectorELNS0_4arch9wavefront6targetE0EEEvT1_
; %bb.0:
	.section	.rodata,"a",@progbits
	.p2align	6, 0x0
	.amdhsa_kernel _ZN7rocprim17ROCPRIM_400000_NS6detail17trampoline_kernelINS0_14default_configENS1_25partition_config_selectorILNS1_17partition_subalgoE5ElNS0_10empty_typeEbEEZZNS1_14partition_implILS5_5ELb0ES3_mN6hipcub16HIPCUB_304000_NS21CountingInputIteratorIllEEPS6_NSA_22TransformInputIteratorIbN2at6native12_GLOBAL__N_19NonZeroOpIlEEPKllEENS0_5tupleIJPlS6_EEENSN_IJSD_SD_EEES6_PiJS6_EEE10hipError_tPvRmT3_T4_T5_T6_T7_T9_mT8_P12ihipStream_tbDpT10_ENKUlT_T0_E_clISt17integral_constantIbLb1EES1B_EEDaS16_S17_EUlS16_E_NS1_11comp_targetILNS1_3genE9ELNS1_11target_archE1100ELNS1_3gpuE3ELNS1_3repE0EEENS1_30default_config_static_selectorELNS0_4arch9wavefront6targetE0EEEvT1_
		.amdhsa_group_segment_fixed_size 0
		.amdhsa_private_segment_fixed_size 0
		.amdhsa_kernarg_size 136
		.amdhsa_user_sgpr_count 2
		.amdhsa_user_sgpr_dispatch_ptr 0
		.amdhsa_user_sgpr_queue_ptr 0
		.amdhsa_user_sgpr_kernarg_segment_ptr 1
		.amdhsa_user_sgpr_dispatch_id 0
		.amdhsa_user_sgpr_private_segment_size 0
		.amdhsa_wavefront_size32 1
		.amdhsa_uses_dynamic_stack 0
		.amdhsa_enable_private_segment 0
		.amdhsa_system_sgpr_workgroup_id_x 1
		.amdhsa_system_sgpr_workgroup_id_y 0
		.amdhsa_system_sgpr_workgroup_id_z 0
		.amdhsa_system_sgpr_workgroup_info 0
		.amdhsa_system_vgpr_workitem_id 0
		.amdhsa_next_free_vgpr 1
		.amdhsa_next_free_sgpr 1
		.amdhsa_reserve_vcc 0
		.amdhsa_float_round_mode_32 0
		.amdhsa_float_round_mode_16_64 0
		.amdhsa_float_denorm_mode_32 3
		.amdhsa_float_denorm_mode_16_64 3
		.amdhsa_fp16_overflow 0
		.amdhsa_workgroup_processor_mode 1
		.amdhsa_memory_ordered 1
		.amdhsa_forward_progress 1
		.amdhsa_inst_pref_size 0
		.amdhsa_round_robin_scheduling 0
		.amdhsa_exception_fp_ieee_invalid_op 0
		.amdhsa_exception_fp_denorm_src 0
		.amdhsa_exception_fp_ieee_div_zero 0
		.amdhsa_exception_fp_ieee_overflow 0
		.amdhsa_exception_fp_ieee_underflow 0
		.amdhsa_exception_fp_ieee_inexact 0
		.amdhsa_exception_int_div_zero 0
	.end_amdhsa_kernel
	.section	.text._ZN7rocprim17ROCPRIM_400000_NS6detail17trampoline_kernelINS0_14default_configENS1_25partition_config_selectorILNS1_17partition_subalgoE5ElNS0_10empty_typeEbEEZZNS1_14partition_implILS5_5ELb0ES3_mN6hipcub16HIPCUB_304000_NS21CountingInputIteratorIllEEPS6_NSA_22TransformInputIteratorIbN2at6native12_GLOBAL__N_19NonZeroOpIlEEPKllEENS0_5tupleIJPlS6_EEENSN_IJSD_SD_EEES6_PiJS6_EEE10hipError_tPvRmT3_T4_T5_T6_T7_T9_mT8_P12ihipStream_tbDpT10_ENKUlT_T0_E_clISt17integral_constantIbLb1EES1B_EEDaS16_S17_EUlS16_E_NS1_11comp_targetILNS1_3genE9ELNS1_11target_archE1100ELNS1_3gpuE3ELNS1_3repE0EEENS1_30default_config_static_selectorELNS0_4arch9wavefront6targetE0EEEvT1_,"axG",@progbits,_ZN7rocprim17ROCPRIM_400000_NS6detail17trampoline_kernelINS0_14default_configENS1_25partition_config_selectorILNS1_17partition_subalgoE5ElNS0_10empty_typeEbEEZZNS1_14partition_implILS5_5ELb0ES3_mN6hipcub16HIPCUB_304000_NS21CountingInputIteratorIllEEPS6_NSA_22TransformInputIteratorIbN2at6native12_GLOBAL__N_19NonZeroOpIlEEPKllEENS0_5tupleIJPlS6_EEENSN_IJSD_SD_EEES6_PiJS6_EEE10hipError_tPvRmT3_T4_T5_T6_T7_T9_mT8_P12ihipStream_tbDpT10_ENKUlT_T0_E_clISt17integral_constantIbLb1EES1B_EEDaS16_S17_EUlS16_E_NS1_11comp_targetILNS1_3genE9ELNS1_11target_archE1100ELNS1_3gpuE3ELNS1_3repE0EEENS1_30default_config_static_selectorELNS0_4arch9wavefront6targetE0EEEvT1_,comdat
.Lfunc_end268:
	.size	_ZN7rocprim17ROCPRIM_400000_NS6detail17trampoline_kernelINS0_14default_configENS1_25partition_config_selectorILNS1_17partition_subalgoE5ElNS0_10empty_typeEbEEZZNS1_14partition_implILS5_5ELb0ES3_mN6hipcub16HIPCUB_304000_NS21CountingInputIteratorIllEEPS6_NSA_22TransformInputIteratorIbN2at6native12_GLOBAL__N_19NonZeroOpIlEEPKllEENS0_5tupleIJPlS6_EEENSN_IJSD_SD_EEES6_PiJS6_EEE10hipError_tPvRmT3_T4_T5_T6_T7_T9_mT8_P12ihipStream_tbDpT10_ENKUlT_T0_E_clISt17integral_constantIbLb1EES1B_EEDaS16_S17_EUlS16_E_NS1_11comp_targetILNS1_3genE9ELNS1_11target_archE1100ELNS1_3gpuE3ELNS1_3repE0EEENS1_30default_config_static_selectorELNS0_4arch9wavefront6targetE0EEEvT1_, .Lfunc_end268-_ZN7rocprim17ROCPRIM_400000_NS6detail17trampoline_kernelINS0_14default_configENS1_25partition_config_selectorILNS1_17partition_subalgoE5ElNS0_10empty_typeEbEEZZNS1_14partition_implILS5_5ELb0ES3_mN6hipcub16HIPCUB_304000_NS21CountingInputIteratorIllEEPS6_NSA_22TransformInputIteratorIbN2at6native12_GLOBAL__N_19NonZeroOpIlEEPKllEENS0_5tupleIJPlS6_EEENSN_IJSD_SD_EEES6_PiJS6_EEE10hipError_tPvRmT3_T4_T5_T6_T7_T9_mT8_P12ihipStream_tbDpT10_ENKUlT_T0_E_clISt17integral_constantIbLb1EES1B_EEDaS16_S17_EUlS16_E_NS1_11comp_targetILNS1_3genE9ELNS1_11target_archE1100ELNS1_3gpuE3ELNS1_3repE0EEENS1_30default_config_static_selectorELNS0_4arch9wavefront6targetE0EEEvT1_
                                        ; -- End function
	.set _ZN7rocprim17ROCPRIM_400000_NS6detail17trampoline_kernelINS0_14default_configENS1_25partition_config_selectorILNS1_17partition_subalgoE5ElNS0_10empty_typeEbEEZZNS1_14partition_implILS5_5ELb0ES3_mN6hipcub16HIPCUB_304000_NS21CountingInputIteratorIllEEPS6_NSA_22TransformInputIteratorIbN2at6native12_GLOBAL__N_19NonZeroOpIlEEPKllEENS0_5tupleIJPlS6_EEENSN_IJSD_SD_EEES6_PiJS6_EEE10hipError_tPvRmT3_T4_T5_T6_T7_T9_mT8_P12ihipStream_tbDpT10_ENKUlT_T0_E_clISt17integral_constantIbLb1EES1B_EEDaS16_S17_EUlS16_E_NS1_11comp_targetILNS1_3genE9ELNS1_11target_archE1100ELNS1_3gpuE3ELNS1_3repE0EEENS1_30default_config_static_selectorELNS0_4arch9wavefront6targetE0EEEvT1_.num_vgpr, 0
	.set _ZN7rocprim17ROCPRIM_400000_NS6detail17trampoline_kernelINS0_14default_configENS1_25partition_config_selectorILNS1_17partition_subalgoE5ElNS0_10empty_typeEbEEZZNS1_14partition_implILS5_5ELb0ES3_mN6hipcub16HIPCUB_304000_NS21CountingInputIteratorIllEEPS6_NSA_22TransformInputIteratorIbN2at6native12_GLOBAL__N_19NonZeroOpIlEEPKllEENS0_5tupleIJPlS6_EEENSN_IJSD_SD_EEES6_PiJS6_EEE10hipError_tPvRmT3_T4_T5_T6_T7_T9_mT8_P12ihipStream_tbDpT10_ENKUlT_T0_E_clISt17integral_constantIbLb1EES1B_EEDaS16_S17_EUlS16_E_NS1_11comp_targetILNS1_3genE9ELNS1_11target_archE1100ELNS1_3gpuE3ELNS1_3repE0EEENS1_30default_config_static_selectorELNS0_4arch9wavefront6targetE0EEEvT1_.num_agpr, 0
	.set _ZN7rocprim17ROCPRIM_400000_NS6detail17trampoline_kernelINS0_14default_configENS1_25partition_config_selectorILNS1_17partition_subalgoE5ElNS0_10empty_typeEbEEZZNS1_14partition_implILS5_5ELb0ES3_mN6hipcub16HIPCUB_304000_NS21CountingInputIteratorIllEEPS6_NSA_22TransformInputIteratorIbN2at6native12_GLOBAL__N_19NonZeroOpIlEEPKllEENS0_5tupleIJPlS6_EEENSN_IJSD_SD_EEES6_PiJS6_EEE10hipError_tPvRmT3_T4_T5_T6_T7_T9_mT8_P12ihipStream_tbDpT10_ENKUlT_T0_E_clISt17integral_constantIbLb1EES1B_EEDaS16_S17_EUlS16_E_NS1_11comp_targetILNS1_3genE9ELNS1_11target_archE1100ELNS1_3gpuE3ELNS1_3repE0EEENS1_30default_config_static_selectorELNS0_4arch9wavefront6targetE0EEEvT1_.numbered_sgpr, 0
	.set _ZN7rocprim17ROCPRIM_400000_NS6detail17trampoline_kernelINS0_14default_configENS1_25partition_config_selectorILNS1_17partition_subalgoE5ElNS0_10empty_typeEbEEZZNS1_14partition_implILS5_5ELb0ES3_mN6hipcub16HIPCUB_304000_NS21CountingInputIteratorIllEEPS6_NSA_22TransformInputIteratorIbN2at6native12_GLOBAL__N_19NonZeroOpIlEEPKllEENS0_5tupleIJPlS6_EEENSN_IJSD_SD_EEES6_PiJS6_EEE10hipError_tPvRmT3_T4_T5_T6_T7_T9_mT8_P12ihipStream_tbDpT10_ENKUlT_T0_E_clISt17integral_constantIbLb1EES1B_EEDaS16_S17_EUlS16_E_NS1_11comp_targetILNS1_3genE9ELNS1_11target_archE1100ELNS1_3gpuE3ELNS1_3repE0EEENS1_30default_config_static_selectorELNS0_4arch9wavefront6targetE0EEEvT1_.num_named_barrier, 0
	.set _ZN7rocprim17ROCPRIM_400000_NS6detail17trampoline_kernelINS0_14default_configENS1_25partition_config_selectorILNS1_17partition_subalgoE5ElNS0_10empty_typeEbEEZZNS1_14partition_implILS5_5ELb0ES3_mN6hipcub16HIPCUB_304000_NS21CountingInputIteratorIllEEPS6_NSA_22TransformInputIteratorIbN2at6native12_GLOBAL__N_19NonZeroOpIlEEPKllEENS0_5tupleIJPlS6_EEENSN_IJSD_SD_EEES6_PiJS6_EEE10hipError_tPvRmT3_T4_T5_T6_T7_T9_mT8_P12ihipStream_tbDpT10_ENKUlT_T0_E_clISt17integral_constantIbLb1EES1B_EEDaS16_S17_EUlS16_E_NS1_11comp_targetILNS1_3genE9ELNS1_11target_archE1100ELNS1_3gpuE3ELNS1_3repE0EEENS1_30default_config_static_selectorELNS0_4arch9wavefront6targetE0EEEvT1_.private_seg_size, 0
	.set _ZN7rocprim17ROCPRIM_400000_NS6detail17trampoline_kernelINS0_14default_configENS1_25partition_config_selectorILNS1_17partition_subalgoE5ElNS0_10empty_typeEbEEZZNS1_14partition_implILS5_5ELb0ES3_mN6hipcub16HIPCUB_304000_NS21CountingInputIteratorIllEEPS6_NSA_22TransformInputIteratorIbN2at6native12_GLOBAL__N_19NonZeroOpIlEEPKllEENS0_5tupleIJPlS6_EEENSN_IJSD_SD_EEES6_PiJS6_EEE10hipError_tPvRmT3_T4_T5_T6_T7_T9_mT8_P12ihipStream_tbDpT10_ENKUlT_T0_E_clISt17integral_constantIbLb1EES1B_EEDaS16_S17_EUlS16_E_NS1_11comp_targetILNS1_3genE9ELNS1_11target_archE1100ELNS1_3gpuE3ELNS1_3repE0EEENS1_30default_config_static_selectorELNS0_4arch9wavefront6targetE0EEEvT1_.uses_vcc, 0
	.set _ZN7rocprim17ROCPRIM_400000_NS6detail17trampoline_kernelINS0_14default_configENS1_25partition_config_selectorILNS1_17partition_subalgoE5ElNS0_10empty_typeEbEEZZNS1_14partition_implILS5_5ELb0ES3_mN6hipcub16HIPCUB_304000_NS21CountingInputIteratorIllEEPS6_NSA_22TransformInputIteratorIbN2at6native12_GLOBAL__N_19NonZeroOpIlEEPKllEENS0_5tupleIJPlS6_EEENSN_IJSD_SD_EEES6_PiJS6_EEE10hipError_tPvRmT3_T4_T5_T6_T7_T9_mT8_P12ihipStream_tbDpT10_ENKUlT_T0_E_clISt17integral_constantIbLb1EES1B_EEDaS16_S17_EUlS16_E_NS1_11comp_targetILNS1_3genE9ELNS1_11target_archE1100ELNS1_3gpuE3ELNS1_3repE0EEENS1_30default_config_static_selectorELNS0_4arch9wavefront6targetE0EEEvT1_.uses_flat_scratch, 0
	.set _ZN7rocprim17ROCPRIM_400000_NS6detail17trampoline_kernelINS0_14default_configENS1_25partition_config_selectorILNS1_17partition_subalgoE5ElNS0_10empty_typeEbEEZZNS1_14partition_implILS5_5ELb0ES3_mN6hipcub16HIPCUB_304000_NS21CountingInputIteratorIllEEPS6_NSA_22TransformInputIteratorIbN2at6native12_GLOBAL__N_19NonZeroOpIlEEPKllEENS0_5tupleIJPlS6_EEENSN_IJSD_SD_EEES6_PiJS6_EEE10hipError_tPvRmT3_T4_T5_T6_T7_T9_mT8_P12ihipStream_tbDpT10_ENKUlT_T0_E_clISt17integral_constantIbLb1EES1B_EEDaS16_S17_EUlS16_E_NS1_11comp_targetILNS1_3genE9ELNS1_11target_archE1100ELNS1_3gpuE3ELNS1_3repE0EEENS1_30default_config_static_selectorELNS0_4arch9wavefront6targetE0EEEvT1_.has_dyn_sized_stack, 0
	.set _ZN7rocprim17ROCPRIM_400000_NS6detail17trampoline_kernelINS0_14default_configENS1_25partition_config_selectorILNS1_17partition_subalgoE5ElNS0_10empty_typeEbEEZZNS1_14partition_implILS5_5ELb0ES3_mN6hipcub16HIPCUB_304000_NS21CountingInputIteratorIllEEPS6_NSA_22TransformInputIteratorIbN2at6native12_GLOBAL__N_19NonZeroOpIlEEPKllEENS0_5tupleIJPlS6_EEENSN_IJSD_SD_EEES6_PiJS6_EEE10hipError_tPvRmT3_T4_T5_T6_T7_T9_mT8_P12ihipStream_tbDpT10_ENKUlT_T0_E_clISt17integral_constantIbLb1EES1B_EEDaS16_S17_EUlS16_E_NS1_11comp_targetILNS1_3genE9ELNS1_11target_archE1100ELNS1_3gpuE3ELNS1_3repE0EEENS1_30default_config_static_selectorELNS0_4arch9wavefront6targetE0EEEvT1_.has_recursion, 0
	.set _ZN7rocprim17ROCPRIM_400000_NS6detail17trampoline_kernelINS0_14default_configENS1_25partition_config_selectorILNS1_17partition_subalgoE5ElNS0_10empty_typeEbEEZZNS1_14partition_implILS5_5ELb0ES3_mN6hipcub16HIPCUB_304000_NS21CountingInputIteratorIllEEPS6_NSA_22TransformInputIteratorIbN2at6native12_GLOBAL__N_19NonZeroOpIlEEPKllEENS0_5tupleIJPlS6_EEENSN_IJSD_SD_EEES6_PiJS6_EEE10hipError_tPvRmT3_T4_T5_T6_T7_T9_mT8_P12ihipStream_tbDpT10_ENKUlT_T0_E_clISt17integral_constantIbLb1EES1B_EEDaS16_S17_EUlS16_E_NS1_11comp_targetILNS1_3genE9ELNS1_11target_archE1100ELNS1_3gpuE3ELNS1_3repE0EEENS1_30default_config_static_selectorELNS0_4arch9wavefront6targetE0EEEvT1_.has_indirect_call, 0
	.section	.AMDGPU.csdata,"",@progbits
; Kernel info:
; codeLenInByte = 0
; TotalNumSgprs: 0
; NumVgprs: 0
; ScratchSize: 0
; MemoryBound: 0
; FloatMode: 240
; IeeeMode: 1
; LDSByteSize: 0 bytes/workgroup (compile time only)
; SGPRBlocks: 0
; VGPRBlocks: 0
; NumSGPRsForWavesPerEU: 1
; NumVGPRsForWavesPerEU: 1
; Occupancy: 16
; WaveLimiterHint : 0
; COMPUTE_PGM_RSRC2:SCRATCH_EN: 0
; COMPUTE_PGM_RSRC2:USER_SGPR: 2
; COMPUTE_PGM_RSRC2:TRAP_HANDLER: 0
; COMPUTE_PGM_RSRC2:TGID_X_EN: 1
; COMPUTE_PGM_RSRC2:TGID_Y_EN: 0
; COMPUTE_PGM_RSRC2:TGID_Z_EN: 0
; COMPUTE_PGM_RSRC2:TIDIG_COMP_CNT: 0
	.section	.text._ZN7rocprim17ROCPRIM_400000_NS6detail17trampoline_kernelINS0_14default_configENS1_25partition_config_selectorILNS1_17partition_subalgoE5ElNS0_10empty_typeEbEEZZNS1_14partition_implILS5_5ELb0ES3_mN6hipcub16HIPCUB_304000_NS21CountingInputIteratorIllEEPS6_NSA_22TransformInputIteratorIbN2at6native12_GLOBAL__N_19NonZeroOpIlEEPKllEENS0_5tupleIJPlS6_EEENSN_IJSD_SD_EEES6_PiJS6_EEE10hipError_tPvRmT3_T4_T5_T6_T7_T9_mT8_P12ihipStream_tbDpT10_ENKUlT_T0_E_clISt17integral_constantIbLb1EES1B_EEDaS16_S17_EUlS16_E_NS1_11comp_targetILNS1_3genE8ELNS1_11target_archE1030ELNS1_3gpuE2ELNS1_3repE0EEENS1_30default_config_static_selectorELNS0_4arch9wavefront6targetE0EEEvT1_,"axG",@progbits,_ZN7rocprim17ROCPRIM_400000_NS6detail17trampoline_kernelINS0_14default_configENS1_25partition_config_selectorILNS1_17partition_subalgoE5ElNS0_10empty_typeEbEEZZNS1_14partition_implILS5_5ELb0ES3_mN6hipcub16HIPCUB_304000_NS21CountingInputIteratorIllEEPS6_NSA_22TransformInputIteratorIbN2at6native12_GLOBAL__N_19NonZeroOpIlEEPKllEENS0_5tupleIJPlS6_EEENSN_IJSD_SD_EEES6_PiJS6_EEE10hipError_tPvRmT3_T4_T5_T6_T7_T9_mT8_P12ihipStream_tbDpT10_ENKUlT_T0_E_clISt17integral_constantIbLb1EES1B_EEDaS16_S17_EUlS16_E_NS1_11comp_targetILNS1_3genE8ELNS1_11target_archE1030ELNS1_3gpuE2ELNS1_3repE0EEENS1_30default_config_static_selectorELNS0_4arch9wavefront6targetE0EEEvT1_,comdat
	.globl	_ZN7rocprim17ROCPRIM_400000_NS6detail17trampoline_kernelINS0_14default_configENS1_25partition_config_selectorILNS1_17partition_subalgoE5ElNS0_10empty_typeEbEEZZNS1_14partition_implILS5_5ELb0ES3_mN6hipcub16HIPCUB_304000_NS21CountingInputIteratorIllEEPS6_NSA_22TransformInputIteratorIbN2at6native12_GLOBAL__N_19NonZeroOpIlEEPKllEENS0_5tupleIJPlS6_EEENSN_IJSD_SD_EEES6_PiJS6_EEE10hipError_tPvRmT3_T4_T5_T6_T7_T9_mT8_P12ihipStream_tbDpT10_ENKUlT_T0_E_clISt17integral_constantIbLb1EES1B_EEDaS16_S17_EUlS16_E_NS1_11comp_targetILNS1_3genE8ELNS1_11target_archE1030ELNS1_3gpuE2ELNS1_3repE0EEENS1_30default_config_static_selectorELNS0_4arch9wavefront6targetE0EEEvT1_ ; -- Begin function _ZN7rocprim17ROCPRIM_400000_NS6detail17trampoline_kernelINS0_14default_configENS1_25partition_config_selectorILNS1_17partition_subalgoE5ElNS0_10empty_typeEbEEZZNS1_14partition_implILS5_5ELb0ES3_mN6hipcub16HIPCUB_304000_NS21CountingInputIteratorIllEEPS6_NSA_22TransformInputIteratorIbN2at6native12_GLOBAL__N_19NonZeroOpIlEEPKllEENS0_5tupleIJPlS6_EEENSN_IJSD_SD_EEES6_PiJS6_EEE10hipError_tPvRmT3_T4_T5_T6_T7_T9_mT8_P12ihipStream_tbDpT10_ENKUlT_T0_E_clISt17integral_constantIbLb1EES1B_EEDaS16_S17_EUlS16_E_NS1_11comp_targetILNS1_3genE8ELNS1_11target_archE1030ELNS1_3gpuE2ELNS1_3repE0EEENS1_30default_config_static_selectorELNS0_4arch9wavefront6targetE0EEEvT1_
	.p2align	8
	.type	_ZN7rocprim17ROCPRIM_400000_NS6detail17trampoline_kernelINS0_14default_configENS1_25partition_config_selectorILNS1_17partition_subalgoE5ElNS0_10empty_typeEbEEZZNS1_14partition_implILS5_5ELb0ES3_mN6hipcub16HIPCUB_304000_NS21CountingInputIteratorIllEEPS6_NSA_22TransformInputIteratorIbN2at6native12_GLOBAL__N_19NonZeroOpIlEEPKllEENS0_5tupleIJPlS6_EEENSN_IJSD_SD_EEES6_PiJS6_EEE10hipError_tPvRmT3_T4_T5_T6_T7_T9_mT8_P12ihipStream_tbDpT10_ENKUlT_T0_E_clISt17integral_constantIbLb1EES1B_EEDaS16_S17_EUlS16_E_NS1_11comp_targetILNS1_3genE8ELNS1_11target_archE1030ELNS1_3gpuE2ELNS1_3repE0EEENS1_30default_config_static_selectorELNS0_4arch9wavefront6targetE0EEEvT1_,@function
_ZN7rocprim17ROCPRIM_400000_NS6detail17trampoline_kernelINS0_14default_configENS1_25partition_config_selectorILNS1_17partition_subalgoE5ElNS0_10empty_typeEbEEZZNS1_14partition_implILS5_5ELb0ES3_mN6hipcub16HIPCUB_304000_NS21CountingInputIteratorIllEEPS6_NSA_22TransformInputIteratorIbN2at6native12_GLOBAL__N_19NonZeroOpIlEEPKllEENS0_5tupleIJPlS6_EEENSN_IJSD_SD_EEES6_PiJS6_EEE10hipError_tPvRmT3_T4_T5_T6_T7_T9_mT8_P12ihipStream_tbDpT10_ENKUlT_T0_E_clISt17integral_constantIbLb1EES1B_EEDaS16_S17_EUlS16_E_NS1_11comp_targetILNS1_3genE8ELNS1_11target_archE1030ELNS1_3gpuE2ELNS1_3repE0EEENS1_30default_config_static_selectorELNS0_4arch9wavefront6targetE0EEEvT1_: ; @_ZN7rocprim17ROCPRIM_400000_NS6detail17trampoline_kernelINS0_14default_configENS1_25partition_config_selectorILNS1_17partition_subalgoE5ElNS0_10empty_typeEbEEZZNS1_14partition_implILS5_5ELb0ES3_mN6hipcub16HIPCUB_304000_NS21CountingInputIteratorIllEEPS6_NSA_22TransformInputIteratorIbN2at6native12_GLOBAL__N_19NonZeroOpIlEEPKllEENS0_5tupleIJPlS6_EEENSN_IJSD_SD_EEES6_PiJS6_EEE10hipError_tPvRmT3_T4_T5_T6_T7_T9_mT8_P12ihipStream_tbDpT10_ENKUlT_T0_E_clISt17integral_constantIbLb1EES1B_EEDaS16_S17_EUlS16_E_NS1_11comp_targetILNS1_3genE8ELNS1_11target_archE1030ELNS1_3gpuE2ELNS1_3repE0EEENS1_30default_config_static_selectorELNS0_4arch9wavefront6targetE0EEEvT1_
; %bb.0:
	.section	.rodata,"a",@progbits
	.p2align	6, 0x0
	.amdhsa_kernel _ZN7rocprim17ROCPRIM_400000_NS6detail17trampoline_kernelINS0_14default_configENS1_25partition_config_selectorILNS1_17partition_subalgoE5ElNS0_10empty_typeEbEEZZNS1_14partition_implILS5_5ELb0ES3_mN6hipcub16HIPCUB_304000_NS21CountingInputIteratorIllEEPS6_NSA_22TransformInputIteratorIbN2at6native12_GLOBAL__N_19NonZeroOpIlEEPKllEENS0_5tupleIJPlS6_EEENSN_IJSD_SD_EEES6_PiJS6_EEE10hipError_tPvRmT3_T4_T5_T6_T7_T9_mT8_P12ihipStream_tbDpT10_ENKUlT_T0_E_clISt17integral_constantIbLb1EES1B_EEDaS16_S17_EUlS16_E_NS1_11comp_targetILNS1_3genE8ELNS1_11target_archE1030ELNS1_3gpuE2ELNS1_3repE0EEENS1_30default_config_static_selectorELNS0_4arch9wavefront6targetE0EEEvT1_
		.amdhsa_group_segment_fixed_size 0
		.amdhsa_private_segment_fixed_size 0
		.amdhsa_kernarg_size 136
		.amdhsa_user_sgpr_count 2
		.amdhsa_user_sgpr_dispatch_ptr 0
		.amdhsa_user_sgpr_queue_ptr 0
		.amdhsa_user_sgpr_kernarg_segment_ptr 1
		.amdhsa_user_sgpr_dispatch_id 0
		.amdhsa_user_sgpr_private_segment_size 0
		.amdhsa_wavefront_size32 1
		.amdhsa_uses_dynamic_stack 0
		.amdhsa_enable_private_segment 0
		.amdhsa_system_sgpr_workgroup_id_x 1
		.amdhsa_system_sgpr_workgroup_id_y 0
		.amdhsa_system_sgpr_workgroup_id_z 0
		.amdhsa_system_sgpr_workgroup_info 0
		.amdhsa_system_vgpr_workitem_id 0
		.amdhsa_next_free_vgpr 1
		.amdhsa_next_free_sgpr 1
		.amdhsa_reserve_vcc 0
		.amdhsa_float_round_mode_32 0
		.amdhsa_float_round_mode_16_64 0
		.amdhsa_float_denorm_mode_32 3
		.amdhsa_float_denorm_mode_16_64 3
		.amdhsa_fp16_overflow 0
		.amdhsa_workgroup_processor_mode 1
		.amdhsa_memory_ordered 1
		.amdhsa_forward_progress 1
		.amdhsa_inst_pref_size 0
		.amdhsa_round_robin_scheduling 0
		.amdhsa_exception_fp_ieee_invalid_op 0
		.amdhsa_exception_fp_denorm_src 0
		.amdhsa_exception_fp_ieee_div_zero 0
		.amdhsa_exception_fp_ieee_overflow 0
		.amdhsa_exception_fp_ieee_underflow 0
		.amdhsa_exception_fp_ieee_inexact 0
		.amdhsa_exception_int_div_zero 0
	.end_amdhsa_kernel
	.section	.text._ZN7rocprim17ROCPRIM_400000_NS6detail17trampoline_kernelINS0_14default_configENS1_25partition_config_selectorILNS1_17partition_subalgoE5ElNS0_10empty_typeEbEEZZNS1_14partition_implILS5_5ELb0ES3_mN6hipcub16HIPCUB_304000_NS21CountingInputIteratorIllEEPS6_NSA_22TransformInputIteratorIbN2at6native12_GLOBAL__N_19NonZeroOpIlEEPKllEENS0_5tupleIJPlS6_EEENSN_IJSD_SD_EEES6_PiJS6_EEE10hipError_tPvRmT3_T4_T5_T6_T7_T9_mT8_P12ihipStream_tbDpT10_ENKUlT_T0_E_clISt17integral_constantIbLb1EES1B_EEDaS16_S17_EUlS16_E_NS1_11comp_targetILNS1_3genE8ELNS1_11target_archE1030ELNS1_3gpuE2ELNS1_3repE0EEENS1_30default_config_static_selectorELNS0_4arch9wavefront6targetE0EEEvT1_,"axG",@progbits,_ZN7rocprim17ROCPRIM_400000_NS6detail17trampoline_kernelINS0_14default_configENS1_25partition_config_selectorILNS1_17partition_subalgoE5ElNS0_10empty_typeEbEEZZNS1_14partition_implILS5_5ELb0ES3_mN6hipcub16HIPCUB_304000_NS21CountingInputIteratorIllEEPS6_NSA_22TransformInputIteratorIbN2at6native12_GLOBAL__N_19NonZeroOpIlEEPKllEENS0_5tupleIJPlS6_EEENSN_IJSD_SD_EEES6_PiJS6_EEE10hipError_tPvRmT3_T4_T5_T6_T7_T9_mT8_P12ihipStream_tbDpT10_ENKUlT_T0_E_clISt17integral_constantIbLb1EES1B_EEDaS16_S17_EUlS16_E_NS1_11comp_targetILNS1_3genE8ELNS1_11target_archE1030ELNS1_3gpuE2ELNS1_3repE0EEENS1_30default_config_static_selectorELNS0_4arch9wavefront6targetE0EEEvT1_,comdat
.Lfunc_end269:
	.size	_ZN7rocprim17ROCPRIM_400000_NS6detail17trampoline_kernelINS0_14default_configENS1_25partition_config_selectorILNS1_17partition_subalgoE5ElNS0_10empty_typeEbEEZZNS1_14partition_implILS5_5ELb0ES3_mN6hipcub16HIPCUB_304000_NS21CountingInputIteratorIllEEPS6_NSA_22TransformInputIteratorIbN2at6native12_GLOBAL__N_19NonZeroOpIlEEPKllEENS0_5tupleIJPlS6_EEENSN_IJSD_SD_EEES6_PiJS6_EEE10hipError_tPvRmT3_T4_T5_T6_T7_T9_mT8_P12ihipStream_tbDpT10_ENKUlT_T0_E_clISt17integral_constantIbLb1EES1B_EEDaS16_S17_EUlS16_E_NS1_11comp_targetILNS1_3genE8ELNS1_11target_archE1030ELNS1_3gpuE2ELNS1_3repE0EEENS1_30default_config_static_selectorELNS0_4arch9wavefront6targetE0EEEvT1_, .Lfunc_end269-_ZN7rocprim17ROCPRIM_400000_NS6detail17trampoline_kernelINS0_14default_configENS1_25partition_config_selectorILNS1_17partition_subalgoE5ElNS0_10empty_typeEbEEZZNS1_14partition_implILS5_5ELb0ES3_mN6hipcub16HIPCUB_304000_NS21CountingInputIteratorIllEEPS6_NSA_22TransformInputIteratorIbN2at6native12_GLOBAL__N_19NonZeroOpIlEEPKllEENS0_5tupleIJPlS6_EEENSN_IJSD_SD_EEES6_PiJS6_EEE10hipError_tPvRmT3_T4_T5_T6_T7_T9_mT8_P12ihipStream_tbDpT10_ENKUlT_T0_E_clISt17integral_constantIbLb1EES1B_EEDaS16_S17_EUlS16_E_NS1_11comp_targetILNS1_3genE8ELNS1_11target_archE1030ELNS1_3gpuE2ELNS1_3repE0EEENS1_30default_config_static_selectorELNS0_4arch9wavefront6targetE0EEEvT1_
                                        ; -- End function
	.set _ZN7rocprim17ROCPRIM_400000_NS6detail17trampoline_kernelINS0_14default_configENS1_25partition_config_selectorILNS1_17partition_subalgoE5ElNS0_10empty_typeEbEEZZNS1_14partition_implILS5_5ELb0ES3_mN6hipcub16HIPCUB_304000_NS21CountingInputIteratorIllEEPS6_NSA_22TransformInputIteratorIbN2at6native12_GLOBAL__N_19NonZeroOpIlEEPKllEENS0_5tupleIJPlS6_EEENSN_IJSD_SD_EEES6_PiJS6_EEE10hipError_tPvRmT3_T4_T5_T6_T7_T9_mT8_P12ihipStream_tbDpT10_ENKUlT_T0_E_clISt17integral_constantIbLb1EES1B_EEDaS16_S17_EUlS16_E_NS1_11comp_targetILNS1_3genE8ELNS1_11target_archE1030ELNS1_3gpuE2ELNS1_3repE0EEENS1_30default_config_static_selectorELNS0_4arch9wavefront6targetE0EEEvT1_.num_vgpr, 0
	.set _ZN7rocprim17ROCPRIM_400000_NS6detail17trampoline_kernelINS0_14default_configENS1_25partition_config_selectorILNS1_17partition_subalgoE5ElNS0_10empty_typeEbEEZZNS1_14partition_implILS5_5ELb0ES3_mN6hipcub16HIPCUB_304000_NS21CountingInputIteratorIllEEPS6_NSA_22TransformInputIteratorIbN2at6native12_GLOBAL__N_19NonZeroOpIlEEPKllEENS0_5tupleIJPlS6_EEENSN_IJSD_SD_EEES6_PiJS6_EEE10hipError_tPvRmT3_T4_T5_T6_T7_T9_mT8_P12ihipStream_tbDpT10_ENKUlT_T0_E_clISt17integral_constantIbLb1EES1B_EEDaS16_S17_EUlS16_E_NS1_11comp_targetILNS1_3genE8ELNS1_11target_archE1030ELNS1_3gpuE2ELNS1_3repE0EEENS1_30default_config_static_selectorELNS0_4arch9wavefront6targetE0EEEvT1_.num_agpr, 0
	.set _ZN7rocprim17ROCPRIM_400000_NS6detail17trampoline_kernelINS0_14default_configENS1_25partition_config_selectorILNS1_17partition_subalgoE5ElNS0_10empty_typeEbEEZZNS1_14partition_implILS5_5ELb0ES3_mN6hipcub16HIPCUB_304000_NS21CountingInputIteratorIllEEPS6_NSA_22TransformInputIteratorIbN2at6native12_GLOBAL__N_19NonZeroOpIlEEPKllEENS0_5tupleIJPlS6_EEENSN_IJSD_SD_EEES6_PiJS6_EEE10hipError_tPvRmT3_T4_T5_T6_T7_T9_mT8_P12ihipStream_tbDpT10_ENKUlT_T0_E_clISt17integral_constantIbLb1EES1B_EEDaS16_S17_EUlS16_E_NS1_11comp_targetILNS1_3genE8ELNS1_11target_archE1030ELNS1_3gpuE2ELNS1_3repE0EEENS1_30default_config_static_selectorELNS0_4arch9wavefront6targetE0EEEvT1_.numbered_sgpr, 0
	.set _ZN7rocprim17ROCPRIM_400000_NS6detail17trampoline_kernelINS0_14default_configENS1_25partition_config_selectorILNS1_17partition_subalgoE5ElNS0_10empty_typeEbEEZZNS1_14partition_implILS5_5ELb0ES3_mN6hipcub16HIPCUB_304000_NS21CountingInputIteratorIllEEPS6_NSA_22TransformInputIteratorIbN2at6native12_GLOBAL__N_19NonZeroOpIlEEPKllEENS0_5tupleIJPlS6_EEENSN_IJSD_SD_EEES6_PiJS6_EEE10hipError_tPvRmT3_T4_T5_T6_T7_T9_mT8_P12ihipStream_tbDpT10_ENKUlT_T0_E_clISt17integral_constantIbLb1EES1B_EEDaS16_S17_EUlS16_E_NS1_11comp_targetILNS1_3genE8ELNS1_11target_archE1030ELNS1_3gpuE2ELNS1_3repE0EEENS1_30default_config_static_selectorELNS0_4arch9wavefront6targetE0EEEvT1_.num_named_barrier, 0
	.set _ZN7rocprim17ROCPRIM_400000_NS6detail17trampoline_kernelINS0_14default_configENS1_25partition_config_selectorILNS1_17partition_subalgoE5ElNS0_10empty_typeEbEEZZNS1_14partition_implILS5_5ELb0ES3_mN6hipcub16HIPCUB_304000_NS21CountingInputIteratorIllEEPS6_NSA_22TransformInputIteratorIbN2at6native12_GLOBAL__N_19NonZeroOpIlEEPKllEENS0_5tupleIJPlS6_EEENSN_IJSD_SD_EEES6_PiJS6_EEE10hipError_tPvRmT3_T4_T5_T6_T7_T9_mT8_P12ihipStream_tbDpT10_ENKUlT_T0_E_clISt17integral_constantIbLb1EES1B_EEDaS16_S17_EUlS16_E_NS1_11comp_targetILNS1_3genE8ELNS1_11target_archE1030ELNS1_3gpuE2ELNS1_3repE0EEENS1_30default_config_static_selectorELNS0_4arch9wavefront6targetE0EEEvT1_.private_seg_size, 0
	.set _ZN7rocprim17ROCPRIM_400000_NS6detail17trampoline_kernelINS0_14default_configENS1_25partition_config_selectorILNS1_17partition_subalgoE5ElNS0_10empty_typeEbEEZZNS1_14partition_implILS5_5ELb0ES3_mN6hipcub16HIPCUB_304000_NS21CountingInputIteratorIllEEPS6_NSA_22TransformInputIteratorIbN2at6native12_GLOBAL__N_19NonZeroOpIlEEPKllEENS0_5tupleIJPlS6_EEENSN_IJSD_SD_EEES6_PiJS6_EEE10hipError_tPvRmT3_T4_T5_T6_T7_T9_mT8_P12ihipStream_tbDpT10_ENKUlT_T0_E_clISt17integral_constantIbLb1EES1B_EEDaS16_S17_EUlS16_E_NS1_11comp_targetILNS1_3genE8ELNS1_11target_archE1030ELNS1_3gpuE2ELNS1_3repE0EEENS1_30default_config_static_selectorELNS0_4arch9wavefront6targetE0EEEvT1_.uses_vcc, 0
	.set _ZN7rocprim17ROCPRIM_400000_NS6detail17trampoline_kernelINS0_14default_configENS1_25partition_config_selectorILNS1_17partition_subalgoE5ElNS0_10empty_typeEbEEZZNS1_14partition_implILS5_5ELb0ES3_mN6hipcub16HIPCUB_304000_NS21CountingInputIteratorIllEEPS6_NSA_22TransformInputIteratorIbN2at6native12_GLOBAL__N_19NonZeroOpIlEEPKllEENS0_5tupleIJPlS6_EEENSN_IJSD_SD_EEES6_PiJS6_EEE10hipError_tPvRmT3_T4_T5_T6_T7_T9_mT8_P12ihipStream_tbDpT10_ENKUlT_T0_E_clISt17integral_constantIbLb1EES1B_EEDaS16_S17_EUlS16_E_NS1_11comp_targetILNS1_3genE8ELNS1_11target_archE1030ELNS1_3gpuE2ELNS1_3repE0EEENS1_30default_config_static_selectorELNS0_4arch9wavefront6targetE0EEEvT1_.uses_flat_scratch, 0
	.set _ZN7rocprim17ROCPRIM_400000_NS6detail17trampoline_kernelINS0_14default_configENS1_25partition_config_selectorILNS1_17partition_subalgoE5ElNS0_10empty_typeEbEEZZNS1_14partition_implILS5_5ELb0ES3_mN6hipcub16HIPCUB_304000_NS21CountingInputIteratorIllEEPS6_NSA_22TransformInputIteratorIbN2at6native12_GLOBAL__N_19NonZeroOpIlEEPKllEENS0_5tupleIJPlS6_EEENSN_IJSD_SD_EEES6_PiJS6_EEE10hipError_tPvRmT3_T4_T5_T6_T7_T9_mT8_P12ihipStream_tbDpT10_ENKUlT_T0_E_clISt17integral_constantIbLb1EES1B_EEDaS16_S17_EUlS16_E_NS1_11comp_targetILNS1_3genE8ELNS1_11target_archE1030ELNS1_3gpuE2ELNS1_3repE0EEENS1_30default_config_static_selectorELNS0_4arch9wavefront6targetE0EEEvT1_.has_dyn_sized_stack, 0
	.set _ZN7rocprim17ROCPRIM_400000_NS6detail17trampoline_kernelINS0_14default_configENS1_25partition_config_selectorILNS1_17partition_subalgoE5ElNS0_10empty_typeEbEEZZNS1_14partition_implILS5_5ELb0ES3_mN6hipcub16HIPCUB_304000_NS21CountingInputIteratorIllEEPS6_NSA_22TransformInputIteratorIbN2at6native12_GLOBAL__N_19NonZeroOpIlEEPKllEENS0_5tupleIJPlS6_EEENSN_IJSD_SD_EEES6_PiJS6_EEE10hipError_tPvRmT3_T4_T5_T6_T7_T9_mT8_P12ihipStream_tbDpT10_ENKUlT_T0_E_clISt17integral_constantIbLb1EES1B_EEDaS16_S17_EUlS16_E_NS1_11comp_targetILNS1_3genE8ELNS1_11target_archE1030ELNS1_3gpuE2ELNS1_3repE0EEENS1_30default_config_static_selectorELNS0_4arch9wavefront6targetE0EEEvT1_.has_recursion, 0
	.set _ZN7rocprim17ROCPRIM_400000_NS6detail17trampoline_kernelINS0_14default_configENS1_25partition_config_selectorILNS1_17partition_subalgoE5ElNS0_10empty_typeEbEEZZNS1_14partition_implILS5_5ELb0ES3_mN6hipcub16HIPCUB_304000_NS21CountingInputIteratorIllEEPS6_NSA_22TransformInputIteratorIbN2at6native12_GLOBAL__N_19NonZeroOpIlEEPKllEENS0_5tupleIJPlS6_EEENSN_IJSD_SD_EEES6_PiJS6_EEE10hipError_tPvRmT3_T4_T5_T6_T7_T9_mT8_P12ihipStream_tbDpT10_ENKUlT_T0_E_clISt17integral_constantIbLb1EES1B_EEDaS16_S17_EUlS16_E_NS1_11comp_targetILNS1_3genE8ELNS1_11target_archE1030ELNS1_3gpuE2ELNS1_3repE0EEENS1_30default_config_static_selectorELNS0_4arch9wavefront6targetE0EEEvT1_.has_indirect_call, 0
	.section	.AMDGPU.csdata,"",@progbits
; Kernel info:
; codeLenInByte = 0
; TotalNumSgprs: 0
; NumVgprs: 0
; ScratchSize: 0
; MemoryBound: 0
; FloatMode: 240
; IeeeMode: 1
; LDSByteSize: 0 bytes/workgroup (compile time only)
; SGPRBlocks: 0
; VGPRBlocks: 0
; NumSGPRsForWavesPerEU: 1
; NumVGPRsForWavesPerEU: 1
; Occupancy: 16
; WaveLimiterHint : 0
; COMPUTE_PGM_RSRC2:SCRATCH_EN: 0
; COMPUTE_PGM_RSRC2:USER_SGPR: 2
; COMPUTE_PGM_RSRC2:TRAP_HANDLER: 0
; COMPUTE_PGM_RSRC2:TGID_X_EN: 1
; COMPUTE_PGM_RSRC2:TGID_Y_EN: 0
; COMPUTE_PGM_RSRC2:TGID_Z_EN: 0
; COMPUTE_PGM_RSRC2:TIDIG_COMP_CNT: 0
	.section	.text._ZN7rocprim17ROCPRIM_400000_NS6detail17trampoline_kernelINS0_14default_configENS1_25partition_config_selectorILNS1_17partition_subalgoE5ElNS0_10empty_typeEbEEZZNS1_14partition_implILS5_5ELb0ES3_mN6hipcub16HIPCUB_304000_NS21CountingInputIteratorIllEEPS6_NSA_22TransformInputIteratorIbN2at6native12_GLOBAL__N_19NonZeroOpIlEEPKllEENS0_5tupleIJPlS6_EEENSN_IJSD_SD_EEES6_PiJS6_EEE10hipError_tPvRmT3_T4_T5_T6_T7_T9_mT8_P12ihipStream_tbDpT10_ENKUlT_T0_E_clISt17integral_constantIbLb1EES1A_IbLb0EEEEDaS16_S17_EUlS16_E_NS1_11comp_targetILNS1_3genE0ELNS1_11target_archE4294967295ELNS1_3gpuE0ELNS1_3repE0EEENS1_30default_config_static_selectorELNS0_4arch9wavefront6targetE0EEEvT1_,"axG",@progbits,_ZN7rocprim17ROCPRIM_400000_NS6detail17trampoline_kernelINS0_14default_configENS1_25partition_config_selectorILNS1_17partition_subalgoE5ElNS0_10empty_typeEbEEZZNS1_14partition_implILS5_5ELb0ES3_mN6hipcub16HIPCUB_304000_NS21CountingInputIteratorIllEEPS6_NSA_22TransformInputIteratorIbN2at6native12_GLOBAL__N_19NonZeroOpIlEEPKllEENS0_5tupleIJPlS6_EEENSN_IJSD_SD_EEES6_PiJS6_EEE10hipError_tPvRmT3_T4_T5_T6_T7_T9_mT8_P12ihipStream_tbDpT10_ENKUlT_T0_E_clISt17integral_constantIbLb1EES1A_IbLb0EEEEDaS16_S17_EUlS16_E_NS1_11comp_targetILNS1_3genE0ELNS1_11target_archE4294967295ELNS1_3gpuE0ELNS1_3repE0EEENS1_30default_config_static_selectorELNS0_4arch9wavefront6targetE0EEEvT1_,comdat
	.globl	_ZN7rocprim17ROCPRIM_400000_NS6detail17trampoline_kernelINS0_14default_configENS1_25partition_config_selectorILNS1_17partition_subalgoE5ElNS0_10empty_typeEbEEZZNS1_14partition_implILS5_5ELb0ES3_mN6hipcub16HIPCUB_304000_NS21CountingInputIteratorIllEEPS6_NSA_22TransformInputIteratorIbN2at6native12_GLOBAL__N_19NonZeroOpIlEEPKllEENS0_5tupleIJPlS6_EEENSN_IJSD_SD_EEES6_PiJS6_EEE10hipError_tPvRmT3_T4_T5_T6_T7_T9_mT8_P12ihipStream_tbDpT10_ENKUlT_T0_E_clISt17integral_constantIbLb1EES1A_IbLb0EEEEDaS16_S17_EUlS16_E_NS1_11comp_targetILNS1_3genE0ELNS1_11target_archE4294967295ELNS1_3gpuE0ELNS1_3repE0EEENS1_30default_config_static_selectorELNS0_4arch9wavefront6targetE0EEEvT1_ ; -- Begin function _ZN7rocprim17ROCPRIM_400000_NS6detail17trampoline_kernelINS0_14default_configENS1_25partition_config_selectorILNS1_17partition_subalgoE5ElNS0_10empty_typeEbEEZZNS1_14partition_implILS5_5ELb0ES3_mN6hipcub16HIPCUB_304000_NS21CountingInputIteratorIllEEPS6_NSA_22TransformInputIteratorIbN2at6native12_GLOBAL__N_19NonZeroOpIlEEPKllEENS0_5tupleIJPlS6_EEENSN_IJSD_SD_EEES6_PiJS6_EEE10hipError_tPvRmT3_T4_T5_T6_T7_T9_mT8_P12ihipStream_tbDpT10_ENKUlT_T0_E_clISt17integral_constantIbLb1EES1A_IbLb0EEEEDaS16_S17_EUlS16_E_NS1_11comp_targetILNS1_3genE0ELNS1_11target_archE4294967295ELNS1_3gpuE0ELNS1_3repE0EEENS1_30default_config_static_selectorELNS0_4arch9wavefront6targetE0EEEvT1_
	.p2align	8
	.type	_ZN7rocprim17ROCPRIM_400000_NS6detail17trampoline_kernelINS0_14default_configENS1_25partition_config_selectorILNS1_17partition_subalgoE5ElNS0_10empty_typeEbEEZZNS1_14partition_implILS5_5ELb0ES3_mN6hipcub16HIPCUB_304000_NS21CountingInputIteratorIllEEPS6_NSA_22TransformInputIteratorIbN2at6native12_GLOBAL__N_19NonZeroOpIlEEPKllEENS0_5tupleIJPlS6_EEENSN_IJSD_SD_EEES6_PiJS6_EEE10hipError_tPvRmT3_T4_T5_T6_T7_T9_mT8_P12ihipStream_tbDpT10_ENKUlT_T0_E_clISt17integral_constantIbLb1EES1A_IbLb0EEEEDaS16_S17_EUlS16_E_NS1_11comp_targetILNS1_3genE0ELNS1_11target_archE4294967295ELNS1_3gpuE0ELNS1_3repE0EEENS1_30default_config_static_selectorELNS0_4arch9wavefront6targetE0EEEvT1_,@function
_ZN7rocprim17ROCPRIM_400000_NS6detail17trampoline_kernelINS0_14default_configENS1_25partition_config_selectorILNS1_17partition_subalgoE5ElNS0_10empty_typeEbEEZZNS1_14partition_implILS5_5ELb0ES3_mN6hipcub16HIPCUB_304000_NS21CountingInputIteratorIllEEPS6_NSA_22TransformInputIteratorIbN2at6native12_GLOBAL__N_19NonZeroOpIlEEPKllEENS0_5tupleIJPlS6_EEENSN_IJSD_SD_EEES6_PiJS6_EEE10hipError_tPvRmT3_T4_T5_T6_T7_T9_mT8_P12ihipStream_tbDpT10_ENKUlT_T0_E_clISt17integral_constantIbLb1EES1A_IbLb0EEEEDaS16_S17_EUlS16_E_NS1_11comp_targetILNS1_3genE0ELNS1_11target_archE4294967295ELNS1_3gpuE0ELNS1_3repE0EEENS1_30default_config_static_selectorELNS0_4arch9wavefront6targetE0EEEvT1_: ; @_ZN7rocprim17ROCPRIM_400000_NS6detail17trampoline_kernelINS0_14default_configENS1_25partition_config_selectorILNS1_17partition_subalgoE5ElNS0_10empty_typeEbEEZZNS1_14partition_implILS5_5ELb0ES3_mN6hipcub16HIPCUB_304000_NS21CountingInputIteratorIllEEPS6_NSA_22TransformInputIteratorIbN2at6native12_GLOBAL__N_19NonZeroOpIlEEPKllEENS0_5tupleIJPlS6_EEENSN_IJSD_SD_EEES6_PiJS6_EEE10hipError_tPvRmT3_T4_T5_T6_T7_T9_mT8_P12ihipStream_tbDpT10_ENKUlT_T0_E_clISt17integral_constantIbLb1EES1A_IbLb0EEEEDaS16_S17_EUlS16_E_NS1_11comp_targetILNS1_3genE0ELNS1_11target_archE4294967295ELNS1_3gpuE0ELNS1_3repE0EEENS1_30default_config_static_selectorELNS0_4arch9wavefront6targetE0EEEvT1_
; %bb.0:
	.section	.rodata,"a",@progbits
	.p2align	6, 0x0
	.amdhsa_kernel _ZN7rocprim17ROCPRIM_400000_NS6detail17trampoline_kernelINS0_14default_configENS1_25partition_config_selectorILNS1_17partition_subalgoE5ElNS0_10empty_typeEbEEZZNS1_14partition_implILS5_5ELb0ES3_mN6hipcub16HIPCUB_304000_NS21CountingInputIteratorIllEEPS6_NSA_22TransformInputIteratorIbN2at6native12_GLOBAL__N_19NonZeroOpIlEEPKllEENS0_5tupleIJPlS6_EEENSN_IJSD_SD_EEES6_PiJS6_EEE10hipError_tPvRmT3_T4_T5_T6_T7_T9_mT8_P12ihipStream_tbDpT10_ENKUlT_T0_E_clISt17integral_constantIbLb1EES1A_IbLb0EEEEDaS16_S17_EUlS16_E_NS1_11comp_targetILNS1_3genE0ELNS1_11target_archE4294967295ELNS1_3gpuE0ELNS1_3repE0EEENS1_30default_config_static_selectorELNS0_4arch9wavefront6targetE0EEEvT1_
		.amdhsa_group_segment_fixed_size 0
		.amdhsa_private_segment_fixed_size 0
		.amdhsa_kernarg_size 120
		.amdhsa_user_sgpr_count 2
		.amdhsa_user_sgpr_dispatch_ptr 0
		.amdhsa_user_sgpr_queue_ptr 0
		.amdhsa_user_sgpr_kernarg_segment_ptr 1
		.amdhsa_user_sgpr_dispatch_id 0
		.amdhsa_user_sgpr_private_segment_size 0
		.amdhsa_wavefront_size32 1
		.amdhsa_uses_dynamic_stack 0
		.amdhsa_enable_private_segment 0
		.amdhsa_system_sgpr_workgroup_id_x 1
		.amdhsa_system_sgpr_workgroup_id_y 0
		.amdhsa_system_sgpr_workgroup_id_z 0
		.amdhsa_system_sgpr_workgroup_info 0
		.amdhsa_system_vgpr_workitem_id 0
		.amdhsa_next_free_vgpr 1
		.amdhsa_next_free_sgpr 1
		.amdhsa_reserve_vcc 0
		.amdhsa_float_round_mode_32 0
		.amdhsa_float_round_mode_16_64 0
		.amdhsa_float_denorm_mode_32 3
		.amdhsa_float_denorm_mode_16_64 3
		.amdhsa_fp16_overflow 0
		.amdhsa_workgroup_processor_mode 1
		.amdhsa_memory_ordered 1
		.amdhsa_forward_progress 1
		.amdhsa_inst_pref_size 0
		.amdhsa_round_robin_scheduling 0
		.amdhsa_exception_fp_ieee_invalid_op 0
		.amdhsa_exception_fp_denorm_src 0
		.amdhsa_exception_fp_ieee_div_zero 0
		.amdhsa_exception_fp_ieee_overflow 0
		.amdhsa_exception_fp_ieee_underflow 0
		.amdhsa_exception_fp_ieee_inexact 0
		.amdhsa_exception_int_div_zero 0
	.end_amdhsa_kernel
	.section	.text._ZN7rocprim17ROCPRIM_400000_NS6detail17trampoline_kernelINS0_14default_configENS1_25partition_config_selectorILNS1_17partition_subalgoE5ElNS0_10empty_typeEbEEZZNS1_14partition_implILS5_5ELb0ES3_mN6hipcub16HIPCUB_304000_NS21CountingInputIteratorIllEEPS6_NSA_22TransformInputIteratorIbN2at6native12_GLOBAL__N_19NonZeroOpIlEEPKllEENS0_5tupleIJPlS6_EEENSN_IJSD_SD_EEES6_PiJS6_EEE10hipError_tPvRmT3_T4_T5_T6_T7_T9_mT8_P12ihipStream_tbDpT10_ENKUlT_T0_E_clISt17integral_constantIbLb1EES1A_IbLb0EEEEDaS16_S17_EUlS16_E_NS1_11comp_targetILNS1_3genE0ELNS1_11target_archE4294967295ELNS1_3gpuE0ELNS1_3repE0EEENS1_30default_config_static_selectorELNS0_4arch9wavefront6targetE0EEEvT1_,"axG",@progbits,_ZN7rocprim17ROCPRIM_400000_NS6detail17trampoline_kernelINS0_14default_configENS1_25partition_config_selectorILNS1_17partition_subalgoE5ElNS0_10empty_typeEbEEZZNS1_14partition_implILS5_5ELb0ES3_mN6hipcub16HIPCUB_304000_NS21CountingInputIteratorIllEEPS6_NSA_22TransformInputIteratorIbN2at6native12_GLOBAL__N_19NonZeroOpIlEEPKllEENS0_5tupleIJPlS6_EEENSN_IJSD_SD_EEES6_PiJS6_EEE10hipError_tPvRmT3_T4_T5_T6_T7_T9_mT8_P12ihipStream_tbDpT10_ENKUlT_T0_E_clISt17integral_constantIbLb1EES1A_IbLb0EEEEDaS16_S17_EUlS16_E_NS1_11comp_targetILNS1_3genE0ELNS1_11target_archE4294967295ELNS1_3gpuE0ELNS1_3repE0EEENS1_30default_config_static_selectorELNS0_4arch9wavefront6targetE0EEEvT1_,comdat
.Lfunc_end270:
	.size	_ZN7rocprim17ROCPRIM_400000_NS6detail17trampoline_kernelINS0_14default_configENS1_25partition_config_selectorILNS1_17partition_subalgoE5ElNS0_10empty_typeEbEEZZNS1_14partition_implILS5_5ELb0ES3_mN6hipcub16HIPCUB_304000_NS21CountingInputIteratorIllEEPS6_NSA_22TransformInputIteratorIbN2at6native12_GLOBAL__N_19NonZeroOpIlEEPKllEENS0_5tupleIJPlS6_EEENSN_IJSD_SD_EEES6_PiJS6_EEE10hipError_tPvRmT3_T4_T5_T6_T7_T9_mT8_P12ihipStream_tbDpT10_ENKUlT_T0_E_clISt17integral_constantIbLb1EES1A_IbLb0EEEEDaS16_S17_EUlS16_E_NS1_11comp_targetILNS1_3genE0ELNS1_11target_archE4294967295ELNS1_3gpuE0ELNS1_3repE0EEENS1_30default_config_static_selectorELNS0_4arch9wavefront6targetE0EEEvT1_, .Lfunc_end270-_ZN7rocprim17ROCPRIM_400000_NS6detail17trampoline_kernelINS0_14default_configENS1_25partition_config_selectorILNS1_17partition_subalgoE5ElNS0_10empty_typeEbEEZZNS1_14partition_implILS5_5ELb0ES3_mN6hipcub16HIPCUB_304000_NS21CountingInputIteratorIllEEPS6_NSA_22TransformInputIteratorIbN2at6native12_GLOBAL__N_19NonZeroOpIlEEPKllEENS0_5tupleIJPlS6_EEENSN_IJSD_SD_EEES6_PiJS6_EEE10hipError_tPvRmT3_T4_T5_T6_T7_T9_mT8_P12ihipStream_tbDpT10_ENKUlT_T0_E_clISt17integral_constantIbLb1EES1A_IbLb0EEEEDaS16_S17_EUlS16_E_NS1_11comp_targetILNS1_3genE0ELNS1_11target_archE4294967295ELNS1_3gpuE0ELNS1_3repE0EEENS1_30default_config_static_selectorELNS0_4arch9wavefront6targetE0EEEvT1_
                                        ; -- End function
	.set _ZN7rocprim17ROCPRIM_400000_NS6detail17trampoline_kernelINS0_14default_configENS1_25partition_config_selectorILNS1_17partition_subalgoE5ElNS0_10empty_typeEbEEZZNS1_14partition_implILS5_5ELb0ES3_mN6hipcub16HIPCUB_304000_NS21CountingInputIteratorIllEEPS6_NSA_22TransformInputIteratorIbN2at6native12_GLOBAL__N_19NonZeroOpIlEEPKllEENS0_5tupleIJPlS6_EEENSN_IJSD_SD_EEES6_PiJS6_EEE10hipError_tPvRmT3_T4_T5_T6_T7_T9_mT8_P12ihipStream_tbDpT10_ENKUlT_T0_E_clISt17integral_constantIbLb1EES1A_IbLb0EEEEDaS16_S17_EUlS16_E_NS1_11comp_targetILNS1_3genE0ELNS1_11target_archE4294967295ELNS1_3gpuE0ELNS1_3repE0EEENS1_30default_config_static_selectorELNS0_4arch9wavefront6targetE0EEEvT1_.num_vgpr, 0
	.set _ZN7rocprim17ROCPRIM_400000_NS6detail17trampoline_kernelINS0_14default_configENS1_25partition_config_selectorILNS1_17partition_subalgoE5ElNS0_10empty_typeEbEEZZNS1_14partition_implILS5_5ELb0ES3_mN6hipcub16HIPCUB_304000_NS21CountingInputIteratorIllEEPS6_NSA_22TransformInputIteratorIbN2at6native12_GLOBAL__N_19NonZeroOpIlEEPKllEENS0_5tupleIJPlS6_EEENSN_IJSD_SD_EEES6_PiJS6_EEE10hipError_tPvRmT3_T4_T5_T6_T7_T9_mT8_P12ihipStream_tbDpT10_ENKUlT_T0_E_clISt17integral_constantIbLb1EES1A_IbLb0EEEEDaS16_S17_EUlS16_E_NS1_11comp_targetILNS1_3genE0ELNS1_11target_archE4294967295ELNS1_3gpuE0ELNS1_3repE0EEENS1_30default_config_static_selectorELNS0_4arch9wavefront6targetE0EEEvT1_.num_agpr, 0
	.set _ZN7rocprim17ROCPRIM_400000_NS6detail17trampoline_kernelINS0_14default_configENS1_25partition_config_selectorILNS1_17partition_subalgoE5ElNS0_10empty_typeEbEEZZNS1_14partition_implILS5_5ELb0ES3_mN6hipcub16HIPCUB_304000_NS21CountingInputIteratorIllEEPS6_NSA_22TransformInputIteratorIbN2at6native12_GLOBAL__N_19NonZeroOpIlEEPKllEENS0_5tupleIJPlS6_EEENSN_IJSD_SD_EEES6_PiJS6_EEE10hipError_tPvRmT3_T4_T5_T6_T7_T9_mT8_P12ihipStream_tbDpT10_ENKUlT_T0_E_clISt17integral_constantIbLb1EES1A_IbLb0EEEEDaS16_S17_EUlS16_E_NS1_11comp_targetILNS1_3genE0ELNS1_11target_archE4294967295ELNS1_3gpuE0ELNS1_3repE0EEENS1_30default_config_static_selectorELNS0_4arch9wavefront6targetE0EEEvT1_.numbered_sgpr, 0
	.set _ZN7rocprim17ROCPRIM_400000_NS6detail17trampoline_kernelINS0_14default_configENS1_25partition_config_selectorILNS1_17partition_subalgoE5ElNS0_10empty_typeEbEEZZNS1_14partition_implILS5_5ELb0ES3_mN6hipcub16HIPCUB_304000_NS21CountingInputIteratorIllEEPS6_NSA_22TransformInputIteratorIbN2at6native12_GLOBAL__N_19NonZeroOpIlEEPKllEENS0_5tupleIJPlS6_EEENSN_IJSD_SD_EEES6_PiJS6_EEE10hipError_tPvRmT3_T4_T5_T6_T7_T9_mT8_P12ihipStream_tbDpT10_ENKUlT_T0_E_clISt17integral_constantIbLb1EES1A_IbLb0EEEEDaS16_S17_EUlS16_E_NS1_11comp_targetILNS1_3genE0ELNS1_11target_archE4294967295ELNS1_3gpuE0ELNS1_3repE0EEENS1_30default_config_static_selectorELNS0_4arch9wavefront6targetE0EEEvT1_.num_named_barrier, 0
	.set _ZN7rocprim17ROCPRIM_400000_NS6detail17trampoline_kernelINS0_14default_configENS1_25partition_config_selectorILNS1_17partition_subalgoE5ElNS0_10empty_typeEbEEZZNS1_14partition_implILS5_5ELb0ES3_mN6hipcub16HIPCUB_304000_NS21CountingInputIteratorIllEEPS6_NSA_22TransformInputIteratorIbN2at6native12_GLOBAL__N_19NonZeroOpIlEEPKllEENS0_5tupleIJPlS6_EEENSN_IJSD_SD_EEES6_PiJS6_EEE10hipError_tPvRmT3_T4_T5_T6_T7_T9_mT8_P12ihipStream_tbDpT10_ENKUlT_T0_E_clISt17integral_constantIbLb1EES1A_IbLb0EEEEDaS16_S17_EUlS16_E_NS1_11comp_targetILNS1_3genE0ELNS1_11target_archE4294967295ELNS1_3gpuE0ELNS1_3repE0EEENS1_30default_config_static_selectorELNS0_4arch9wavefront6targetE0EEEvT1_.private_seg_size, 0
	.set _ZN7rocprim17ROCPRIM_400000_NS6detail17trampoline_kernelINS0_14default_configENS1_25partition_config_selectorILNS1_17partition_subalgoE5ElNS0_10empty_typeEbEEZZNS1_14partition_implILS5_5ELb0ES3_mN6hipcub16HIPCUB_304000_NS21CountingInputIteratorIllEEPS6_NSA_22TransformInputIteratorIbN2at6native12_GLOBAL__N_19NonZeroOpIlEEPKllEENS0_5tupleIJPlS6_EEENSN_IJSD_SD_EEES6_PiJS6_EEE10hipError_tPvRmT3_T4_T5_T6_T7_T9_mT8_P12ihipStream_tbDpT10_ENKUlT_T0_E_clISt17integral_constantIbLb1EES1A_IbLb0EEEEDaS16_S17_EUlS16_E_NS1_11comp_targetILNS1_3genE0ELNS1_11target_archE4294967295ELNS1_3gpuE0ELNS1_3repE0EEENS1_30default_config_static_selectorELNS0_4arch9wavefront6targetE0EEEvT1_.uses_vcc, 0
	.set _ZN7rocprim17ROCPRIM_400000_NS6detail17trampoline_kernelINS0_14default_configENS1_25partition_config_selectorILNS1_17partition_subalgoE5ElNS0_10empty_typeEbEEZZNS1_14partition_implILS5_5ELb0ES3_mN6hipcub16HIPCUB_304000_NS21CountingInputIteratorIllEEPS6_NSA_22TransformInputIteratorIbN2at6native12_GLOBAL__N_19NonZeroOpIlEEPKllEENS0_5tupleIJPlS6_EEENSN_IJSD_SD_EEES6_PiJS6_EEE10hipError_tPvRmT3_T4_T5_T6_T7_T9_mT8_P12ihipStream_tbDpT10_ENKUlT_T0_E_clISt17integral_constantIbLb1EES1A_IbLb0EEEEDaS16_S17_EUlS16_E_NS1_11comp_targetILNS1_3genE0ELNS1_11target_archE4294967295ELNS1_3gpuE0ELNS1_3repE0EEENS1_30default_config_static_selectorELNS0_4arch9wavefront6targetE0EEEvT1_.uses_flat_scratch, 0
	.set _ZN7rocprim17ROCPRIM_400000_NS6detail17trampoline_kernelINS0_14default_configENS1_25partition_config_selectorILNS1_17partition_subalgoE5ElNS0_10empty_typeEbEEZZNS1_14partition_implILS5_5ELb0ES3_mN6hipcub16HIPCUB_304000_NS21CountingInputIteratorIllEEPS6_NSA_22TransformInputIteratorIbN2at6native12_GLOBAL__N_19NonZeroOpIlEEPKllEENS0_5tupleIJPlS6_EEENSN_IJSD_SD_EEES6_PiJS6_EEE10hipError_tPvRmT3_T4_T5_T6_T7_T9_mT8_P12ihipStream_tbDpT10_ENKUlT_T0_E_clISt17integral_constantIbLb1EES1A_IbLb0EEEEDaS16_S17_EUlS16_E_NS1_11comp_targetILNS1_3genE0ELNS1_11target_archE4294967295ELNS1_3gpuE0ELNS1_3repE0EEENS1_30default_config_static_selectorELNS0_4arch9wavefront6targetE0EEEvT1_.has_dyn_sized_stack, 0
	.set _ZN7rocprim17ROCPRIM_400000_NS6detail17trampoline_kernelINS0_14default_configENS1_25partition_config_selectorILNS1_17partition_subalgoE5ElNS0_10empty_typeEbEEZZNS1_14partition_implILS5_5ELb0ES3_mN6hipcub16HIPCUB_304000_NS21CountingInputIteratorIllEEPS6_NSA_22TransformInputIteratorIbN2at6native12_GLOBAL__N_19NonZeroOpIlEEPKllEENS0_5tupleIJPlS6_EEENSN_IJSD_SD_EEES6_PiJS6_EEE10hipError_tPvRmT3_T4_T5_T6_T7_T9_mT8_P12ihipStream_tbDpT10_ENKUlT_T0_E_clISt17integral_constantIbLb1EES1A_IbLb0EEEEDaS16_S17_EUlS16_E_NS1_11comp_targetILNS1_3genE0ELNS1_11target_archE4294967295ELNS1_3gpuE0ELNS1_3repE0EEENS1_30default_config_static_selectorELNS0_4arch9wavefront6targetE0EEEvT1_.has_recursion, 0
	.set _ZN7rocprim17ROCPRIM_400000_NS6detail17trampoline_kernelINS0_14default_configENS1_25partition_config_selectorILNS1_17partition_subalgoE5ElNS0_10empty_typeEbEEZZNS1_14partition_implILS5_5ELb0ES3_mN6hipcub16HIPCUB_304000_NS21CountingInputIteratorIllEEPS6_NSA_22TransformInputIteratorIbN2at6native12_GLOBAL__N_19NonZeroOpIlEEPKllEENS0_5tupleIJPlS6_EEENSN_IJSD_SD_EEES6_PiJS6_EEE10hipError_tPvRmT3_T4_T5_T6_T7_T9_mT8_P12ihipStream_tbDpT10_ENKUlT_T0_E_clISt17integral_constantIbLb1EES1A_IbLb0EEEEDaS16_S17_EUlS16_E_NS1_11comp_targetILNS1_3genE0ELNS1_11target_archE4294967295ELNS1_3gpuE0ELNS1_3repE0EEENS1_30default_config_static_selectorELNS0_4arch9wavefront6targetE0EEEvT1_.has_indirect_call, 0
	.section	.AMDGPU.csdata,"",@progbits
; Kernel info:
; codeLenInByte = 0
; TotalNumSgprs: 0
; NumVgprs: 0
; ScratchSize: 0
; MemoryBound: 0
; FloatMode: 240
; IeeeMode: 1
; LDSByteSize: 0 bytes/workgroup (compile time only)
; SGPRBlocks: 0
; VGPRBlocks: 0
; NumSGPRsForWavesPerEU: 1
; NumVGPRsForWavesPerEU: 1
; Occupancy: 16
; WaveLimiterHint : 0
; COMPUTE_PGM_RSRC2:SCRATCH_EN: 0
; COMPUTE_PGM_RSRC2:USER_SGPR: 2
; COMPUTE_PGM_RSRC2:TRAP_HANDLER: 0
; COMPUTE_PGM_RSRC2:TGID_X_EN: 1
; COMPUTE_PGM_RSRC2:TGID_Y_EN: 0
; COMPUTE_PGM_RSRC2:TGID_Z_EN: 0
; COMPUTE_PGM_RSRC2:TIDIG_COMP_CNT: 0
	.section	.text._ZN7rocprim17ROCPRIM_400000_NS6detail17trampoline_kernelINS0_14default_configENS1_25partition_config_selectorILNS1_17partition_subalgoE5ElNS0_10empty_typeEbEEZZNS1_14partition_implILS5_5ELb0ES3_mN6hipcub16HIPCUB_304000_NS21CountingInputIteratorIllEEPS6_NSA_22TransformInputIteratorIbN2at6native12_GLOBAL__N_19NonZeroOpIlEEPKllEENS0_5tupleIJPlS6_EEENSN_IJSD_SD_EEES6_PiJS6_EEE10hipError_tPvRmT3_T4_T5_T6_T7_T9_mT8_P12ihipStream_tbDpT10_ENKUlT_T0_E_clISt17integral_constantIbLb1EES1A_IbLb0EEEEDaS16_S17_EUlS16_E_NS1_11comp_targetILNS1_3genE5ELNS1_11target_archE942ELNS1_3gpuE9ELNS1_3repE0EEENS1_30default_config_static_selectorELNS0_4arch9wavefront6targetE0EEEvT1_,"axG",@progbits,_ZN7rocprim17ROCPRIM_400000_NS6detail17trampoline_kernelINS0_14default_configENS1_25partition_config_selectorILNS1_17partition_subalgoE5ElNS0_10empty_typeEbEEZZNS1_14partition_implILS5_5ELb0ES3_mN6hipcub16HIPCUB_304000_NS21CountingInputIteratorIllEEPS6_NSA_22TransformInputIteratorIbN2at6native12_GLOBAL__N_19NonZeroOpIlEEPKllEENS0_5tupleIJPlS6_EEENSN_IJSD_SD_EEES6_PiJS6_EEE10hipError_tPvRmT3_T4_T5_T6_T7_T9_mT8_P12ihipStream_tbDpT10_ENKUlT_T0_E_clISt17integral_constantIbLb1EES1A_IbLb0EEEEDaS16_S17_EUlS16_E_NS1_11comp_targetILNS1_3genE5ELNS1_11target_archE942ELNS1_3gpuE9ELNS1_3repE0EEENS1_30default_config_static_selectorELNS0_4arch9wavefront6targetE0EEEvT1_,comdat
	.globl	_ZN7rocprim17ROCPRIM_400000_NS6detail17trampoline_kernelINS0_14default_configENS1_25partition_config_selectorILNS1_17partition_subalgoE5ElNS0_10empty_typeEbEEZZNS1_14partition_implILS5_5ELb0ES3_mN6hipcub16HIPCUB_304000_NS21CountingInputIteratorIllEEPS6_NSA_22TransformInputIteratorIbN2at6native12_GLOBAL__N_19NonZeroOpIlEEPKllEENS0_5tupleIJPlS6_EEENSN_IJSD_SD_EEES6_PiJS6_EEE10hipError_tPvRmT3_T4_T5_T6_T7_T9_mT8_P12ihipStream_tbDpT10_ENKUlT_T0_E_clISt17integral_constantIbLb1EES1A_IbLb0EEEEDaS16_S17_EUlS16_E_NS1_11comp_targetILNS1_3genE5ELNS1_11target_archE942ELNS1_3gpuE9ELNS1_3repE0EEENS1_30default_config_static_selectorELNS0_4arch9wavefront6targetE0EEEvT1_ ; -- Begin function _ZN7rocprim17ROCPRIM_400000_NS6detail17trampoline_kernelINS0_14default_configENS1_25partition_config_selectorILNS1_17partition_subalgoE5ElNS0_10empty_typeEbEEZZNS1_14partition_implILS5_5ELb0ES3_mN6hipcub16HIPCUB_304000_NS21CountingInputIteratorIllEEPS6_NSA_22TransformInputIteratorIbN2at6native12_GLOBAL__N_19NonZeroOpIlEEPKllEENS0_5tupleIJPlS6_EEENSN_IJSD_SD_EEES6_PiJS6_EEE10hipError_tPvRmT3_T4_T5_T6_T7_T9_mT8_P12ihipStream_tbDpT10_ENKUlT_T0_E_clISt17integral_constantIbLb1EES1A_IbLb0EEEEDaS16_S17_EUlS16_E_NS1_11comp_targetILNS1_3genE5ELNS1_11target_archE942ELNS1_3gpuE9ELNS1_3repE0EEENS1_30default_config_static_selectorELNS0_4arch9wavefront6targetE0EEEvT1_
	.p2align	8
	.type	_ZN7rocprim17ROCPRIM_400000_NS6detail17trampoline_kernelINS0_14default_configENS1_25partition_config_selectorILNS1_17partition_subalgoE5ElNS0_10empty_typeEbEEZZNS1_14partition_implILS5_5ELb0ES3_mN6hipcub16HIPCUB_304000_NS21CountingInputIteratorIllEEPS6_NSA_22TransformInputIteratorIbN2at6native12_GLOBAL__N_19NonZeroOpIlEEPKllEENS0_5tupleIJPlS6_EEENSN_IJSD_SD_EEES6_PiJS6_EEE10hipError_tPvRmT3_T4_T5_T6_T7_T9_mT8_P12ihipStream_tbDpT10_ENKUlT_T0_E_clISt17integral_constantIbLb1EES1A_IbLb0EEEEDaS16_S17_EUlS16_E_NS1_11comp_targetILNS1_3genE5ELNS1_11target_archE942ELNS1_3gpuE9ELNS1_3repE0EEENS1_30default_config_static_selectorELNS0_4arch9wavefront6targetE0EEEvT1_,@function
_ZN7rocprim17ROCPRIM_400000_NS6detail17trampoline_kernelINS0_14default_configENS1_25partition_config_selectorILNS1_17partition_subalgoE5ElNS0_10empty_typeEbEEZZNS1_14partition_implILS5_5ELb0ES3_mN6hipcub16HIPCUB_304000_NS21CountingInputIteratorIllEEPS6_NSA_22TransformInputIteratorIbN2at6native12_GLOBAL__N_19NonZeroOpIlEEPKllEENS0_5tupleIJPlS6_EEENSN_IJSD_SD_EEES6_PiJS6_EEE10hipError_tPvRmT3_T4_T5_T6_T7_T9_mT8_P12ihipStream_tbDpT10_ENKUlT_T0_E_clISt17integral_constantIbLb1EES1A_IbLb0EEEEDaS16_S17_EUlS16_E_NS1_11comp_targetILNS1_3genE5ELNS1_11target_archE942ELNS1_3gpuE9ELNS1_3repE0EEENS1_30default_config_static_selectorELNS0_4arch9wavefront6targetE0EEEvT1_: ; @_ZN7rocprim17ROCPRIM_400000_NS6detail17trampoline_kernelINS0_14default_configENS1_25partition_config_selectorILNS1_17partition_subalgoE5ElNS0_10empty_typeEbEEZZNS1_14partition_implILS5_5ELb0ES3_mN6hipcub16HIPCUB_304000_NS21CountingInputIteratorIllEEPS6_NSA_22TransformInputIteratorIbN2at6native12_GLOBAL__N_19NonZeroOpIlEEPKllEENS0_5tupleIJPlS6_EEENSN_IJSD_SD_EEES6_PiJS6_EEE10hipError_tPvRmT3_T4_T5_T6_T7_T9_mT8_P12ihipStream_tbDpT10_ENKUlT_T0_E_clISt17integral_constantIbLb1EES1A_IbLb0EEEEDaS16_S17_EUlS16_E_NS1_11comp_targetILNS1_3genE5ELNS1_11target_archE942ELNS1_3gpuE9ELNS1_3repE0EEENS1_30default_config_static_selectorELNS0_4arch9wavefront6targetE0EEEvT1_
; %bb.0:
	.section	.rodata,"a",@progbits
	.p2align	6, 0x0
	.amdhsa_kernel _ZN7rocprim17ROCPRIM_400000_NS6detail17trampoline_kernelINS0_14default_configENS1_25partition_config_selectorILNS1_17partition_subalgoE5ElNS0_10empty_typeEbEEZZNS1_14partition_implILS5_5ELb0ES3_mN6hipcub16HIPCUB_304000_NS21CountingInputIteratorIllEEPS6_NSA_22TransformInputIteratorIbN2at6native12_GLOBAL__N_19NonZeroOpIlEEPKllEENS0_5tupleIJPlS6_EEENSN_IJSD_SD_EEES6_PiJS6_EEE10hipError_tPvRmT3_T4_T5_T6_T7_T9_mT8_P12ihipStream_tbDpT10_ENKUlT_T0_E_clISt17integral_constantIbLb1EES1A_IbLb0EEEEDaS16_S17_EUlS16_E_NS1_11comp_targetILNS1_3genE5ELNS1_11target_archE942ELNS1_3gpuE9ELNS1_3repE0EEENS1_30default_config_static_selectorELNS0_4arch9wavefront6targetE0EEEvT1_
		.amdhsa_group_segment_fixed_size 0
		.amdhsa_private_segment_fixed_size 0
		.amdhsa_kernarg_size 120
		.amdhsa_user_sgpr_count 2
		.amdhsa_user_sgpr_dispatch_ptr 0
		.amdhsa_user_sgpr_queue_ptr 0
		.amdhsa_user_sgpr_kernarg_segment_ptr 1
		.amdhsa_user_sgpr_dispatch_id 0
		.amdhsa_user_sgpr_private_segment_size 0
		.amdhsa_wavefront_size32 1
		.amdhsa_uses_dynamic_stack 0
		.amdhsa_enable_private_segment 0
		.amdhsa_system_sgpr_workgroup_id_x 1
		.amdhsa_system_sgpr_workgroup_id_y 0
		.amdhsa_system_sgpr_workgroup_id_z 0
		.amdhsa_system_sgpr_workgroup_info 0
		.amdhsa_system_vgpr_workitem_id 0
		.amdhsa_next_free_vgpr 1
		.amdhsa_next_free_sgpr 1
		.amdhsa_reserve_vcc 0
		.amdhsa_float_round_mode_32 0
		.amdhsa_float_round_mode_16_64 0
		.amdhsa_float_denorm_mode_32 3
		.amdhsa_float_denorm_mode_16_64 3
		.amdhsa_fp16_overflow 0
		.amdhsa_workgroup_processor_mode 1
		.amdhsa_memory_ordered 1
		.amdhsa_forward_progress 1
		.amdhsa_inst_pref_size 0
		.amdhsa_round_robin_scheduling 0
		.amdhsa_exception_fp_ieee_invalid_op 0
		.amdhsa_exception_fp_denorm_src 0
		.amdhsa_exception_fp_ieee_div_zero 0
		.amdhsa_exception_fp_ieee_overflow 0
		.amdhsa_exception_fp_ieee_underflow 0
		.amdhsa_exception_fp_ieee_inexact 0
		.amdhsa_exception_int_div_zero 0
	.end_amdhsa_kernel
	.section	.text._ZN7rocprim17ROCPRIM_400000_NS6detail17trampoline_kernelINS0_14default_configENS1_25partition_config_selectorILNS1_17partition_subalgoE5ElNS0_10empty_typeEbEEZZNS1_14partition_implILS5_5ELb0ES3_mN6hipcub16HIPCUB_304000_NS21CountingInputIteratorIllEEPS6_NSA_22TransformInputIteratorIbN2at6native12_GLOBAL__N_19NonZeroOpIlEEPKllEENS0_5tupleIJPlS6_EEENSN_IJSD_SD_EEES6_PiJS6_EEE10hipError_tPvRmT3_T4_T5_T6_T7_T9_mT8_P12ihipStream_tbDpT10_ENKUlT_T0_E_clISt17integral_constantIbLb1EES1A_IbLb0EEEEDaS16_S17_EUlS16_E_NS1_11comp_targetILNS1_3genE5ELNS1_11target_archE942ELNS1_3gpuE9ELNS1_3repE0EEENS1_30default_config_static_selectorELNS0_4arch9wavefront6targetE0EEEvT1_,"axG",@progbits,_ZN7rocprim17ROCPRIM_400000_NS6detail17trampoline_kernelINS0_14default_configENS1_25partition_config_selectorILNS1_17partition_subalgoE5ElNS0_10empty_typeEbEEZZNS1_14partition_implILS5_5ELb0ES3_mN6hipcub16HIPCUB_304000_NS21CountingInputIteratorIllEEPS6_NSA_22TransformInputIteratorIbN2at6native12_GLOBAL__N_19NonZeroOpIlEEPKllEENS0_5tupleIJPlS6_EEENSN_IJSD_SD_EEES6_PiJS6_EEE10hipError_tPvRmT3_T4_T5_T6_T7_T9_mT8_P12ihipStream_tbDpT10_ENKUlT_T0_E_clISt17integral_constantIbLb1EES1A_IbLb0EEEEDaS16_S17_EUlS16_E_NS1_11comp_targetILNS1_3genE5ELNS1_11target_archE942ELNS1_3gpuE9ELNS1_3repE0EEENS1_30default_config_static_selectorELNS0_4arch9wavefront6targetE0EEEvT1_,comdat
.Lfunc_end271:
	.size	_ZN7rocprim17ROCPRIM_400000_NS6detail17trampoline_kernelINS0_14default_configENS1_25partition_config_selectorILNS1_17partition_subalgoE5ElNS0_10empty_typeEbEEZZNS1_14partition_implILS5_5ELb0ES3_mN6hipcub16HIPCUB_304000_NS21CountingInputIteratorIllEEPS6_NSA_22TransformInputIteratorIbN2at6native12_GLOBAL__N_19NonZeroOpIlEEPKllEENS0_5tupleIJPlS6_EEENSN_IJSD_SD_EEES6_PiJS6_EEE10hipError_tPvRmT3_T4_T5_T6_T7_T9_mT8_P12ihipStream_tbDpT10_ENKUlT_T0_E_clISt17integral_constantIbLb1EES1A_IbLb0EEEEDaS16_S17_EUlS16_E_NS1_11comp_targetILNS1_3genE5ELNS1_11target_archE942ELNS1_3gpuE9ELNS1_3repE0EEENS1_30default_config_static_selectorELNS0_4arch9wavefront6targetE0EEEvT1_, .Lfunc_end271-_ZN7rocprim17ROCPRIM_400000_NS6detail17trampoline_kernelINS0_14default_configENS1_25partition_config_selectorILNS1_17partition_subalgoE5ElNS0_10empty_typeEbEEZZNS1_14partition_implILS5_5ELb0ES3_mN6hipcub16HIPCUB_304000_NS21CountingInputIteratorIllEEPS6_NSA_22TransformInputIteratorIbN2at6native12_GLOBAL__N_19NonZeroOpIlEEPKllEENS0_5tupleIJPlS6_EEENSN_IJSD_SD_EEES6_PiJS6_EEE10hipError_tPvRmT3_T4_T5_T6_T7_T9_mT8_P12ihipStream_tbDpT10_ENKUlT_T0_E_clISt17integral_constantIbLb1EES1A_IbLb0EEEEDaS16_S17_EUlS16_E_NS1_11comp_targetILNS1_3genE5ELNS1_11target_archE942ELNS1_3gpuE9ELNS1_3repE0EEENS1_30default_config_static_selectorELNS0_4arch9wavefront6targetE0EEEvT1_
                                        ; -- End function
	.set _ZN7rocprim17ROCPRIM_400000_NS6detail17trampoline_kernelINS0_14default_configENS1_25partition_config_selectorILNS1_17partition_subalgoE5ElNS0_10empty_typeEbEEZZNS1_14partition_implILS5_5ELb0ES3_mN6hipcub16HIPCUB_304000_NS21CountingInputIteratorIllEEPS6_NSA_22TransformInputIteratorIbN2at6native12_GLOBAL__N_19NonZeroOpIlEEPKllEENS0_5tupleIJPlS6_EEENSN_IJSD_SD_EEES6_PiJS6_EEE10hipError_tPvRmT3_T4_T5_T6_T7_T9_mT8_P12ihipStream_tbDpT10_ENKUlT_T0_E_clISt17integral_constantIbLb1EES1A_IbLb0EEEEDaS16_S17_EUlS16_E_NS1_11comp_targetILNS1_3genE5ELNS1_11target_archE942ELNS1_3gpuE9ELNS1_3repE0EEENS1_30default_config_static_selectorELNS0_4arch9wavefront6targetE0EEEvT1_.num_vgpr, 0
	.set _ZN7rocprim17ROCPRIM_400000_NS6detail17trampoline_kernelINS0_14default_configENS1_25partition_config_selectorILNS1_17partition_subalgoE5ElNS0_10empty_typeEbEEZZNS1_14partition_implILS5_5ELb0ES3_mN6hipcub16HIPCUB_304000_NS21CountingInputIteratorIllEEPS6_NSA_22TransformInputIteratorIbN2at6native12_GLOBAL__N_19NonZeroOpIlEEPKllEENS0_5tupleIJPlS6_EEENSN_IJSD_SD_EEES6_PiJS6_EEE10hipError_tPvRmT3_T4_T5_T6_T7_T9_mT8_P12ihipStream_tbDpT10_ENKUlT_T0_E_clISt17integral_constantIbLb1EES1A_IbLb0EEEEDaS16_S17_EUlS16_E_NS1_11comp_targetILNS1_3genE5ELNS1_11target_archE942ELNS1_3gpuE9ELNS1_3repE0EEENS1_30default_config_static_selectorELNS0_4arch9wavefront6targetE0EEEvT1_.num_agpr, 0
	.set _ZN7rocprim17ROCPRIM_400000_NS6detail17trampoline_kernelINS0_14default_configENS1_25partition_config_selectorILNS1_17partition_subalgoE5ElNS0_10empty_typeEbEEZZNS1_14partition_implILS5_5ELb0ES3_mN6hipcub16HIPCUB_304000_NS21CountingInputIteratorIllEEPS6_NSA_22TransformInputIteratorIbN2at6native12_GLOBAL__N_19NonZeroOpIlEEPKllEENS0_5tupleIJPlS6_EEENSN_IJSD_SD_EEES6_PiJS6_EEE10hipError_tPvRmT3_T4_T5_T6_T7_T9_mT8_P12ihipStream_tbDpT10_ENKUlT_T0_E_clISt17integral_constantIbLb1EES1A_IbLb0EEEEDaS16_S17_EUlS16_E_NS1_11comp_targetILNS1_3genE5ELNS1_11target_archE942ELNS1_3gpuE9ELNS1_3repE0EEENS1_30default_config_static_selectorELNS0_4arch9wavefront6targetE0EEEvT1_.numbered_sgpr, 0
	.set _ZN7rocprim17ROCPRIM_400000_NS6detail17trampoline_kernelINS0_14default_configENS1_25partition_config_selectorILNS1_17partition_subalgoE5ElNS0_10empty_typeEbEEZZNS1_14partition_implILS5_5ELb0ES3_mN6hipcub16HIPCUB_304000_NS21CountingInputIteratorIllEEPS6_NSA_22TransformInputIteratorIbN2at6native12_GLOBAL__N_19NonZeroOpIlEEPKllEENS0_5tupleIJPlS6_EEENSN_IJSD_SD_EEES6_PiJS6_EEE10hipError_tPvRmT3_T4_T5_T6_T7_T9_mT8_P12ihipStream_tbDpT10_ENKUlT_T0_E_clISt17integral_constantIbLb1EES1A_IbLb0EEEEDaS16_S17_EUlS16_E_NS1_11comp_targetILNS1_3genE5ELNS1_11target_archE942ELNS1_3gpuE9ELNS1_3repE0EEENS1_30default_config_static_selectorELNS0_4arch9wavefront6targetE0EEEvT1_.num_named_barrier, 0
	.set _ZN7rocprim17ROCPRIM_400000_NS6detail17trampoline_kernelINS0_14default_configENS1_25partition_config_selectorILNS1_17partition_subalgoE5ElNS0_10empty_typeEbEEZZNS1_14partition_implILS5_5ELb0ES3_mN6hipcub16HIPCUB_304000_NS21CountingInputIteratorIllEEPS6_NSA_22TransformInputIteratorIbN2at6native12_GLOBAL__N_19NonZeroOpIlEEPKllEENS0_5tupleIJPlS6_EEENSN_IJSD_SD_EEES6_PiJS6_EEE10hipError_tPvRmT3_T4_T5_T6_T7_T9_mT8_P12ihipStream_tbDpT10_ENKUlT_T0_E_clISt17integral_constantIbLb1EES1A_IbLb0EEEEDaS16_S17_EUlS16_E_NS1_11comp_targetILNS1_3genE5ELNS1_11target_archE942ELNS1_3gpuE9ELNS1_3repE0EEENS1_30default_config_static_selectorELNS0_4arch9wavefront6targetE0EEEvT1_.private_seg_size, 0
	.set _ZN7rocprim17ROCPRIM_400000_NS6detail17trampoline_kernelINS0_14default_configENS1_25partition_config_selectorILNS1_17partition_subalgoE5ElNS0_10empty_typeEbEEZZNS1_14partition_implILS5_5ELb0ES3_mN6hipcub16HIPCUB_304000_NS21CountingInputIteratorIllEEPS6_NSA_22TransformInputIteratorIbN2at6native12_GLOBAL__N_19NonZeroOpIlEEPKllEENS0_5tupleIJPlS6_EEENSN_IJSD_SD_EEES6_PiJS6_EEE10hipError_tPvRmT3_T4_T5_T6_T7_T9_mT8_P12ihipStream_tbDpT10_ENKUlT_T0_E_clISt17integral_constantIbLb1EES1A_IbLb0EEEEDaS16_S17_EUlS16_E_NS1_11comp_targetILNS1_3genE5ELNS1_11target_archE942ELNS1_3gpuE9ELNS1_3repE0EEENS1_30default_config_static_selectorELNS0_4arch9wavefront6targetE0EEEvT1_.uses_vcc, 0
	.set _ZN7rocprim17ROCPRIM_400000_NS6detail17trampoline_kernelINS0_14default_configENS1_25partition_config_selectorILNS1_17partition_subalgoE5ElNS0_10empty_typeEbEEZZNS1_14partition_implILS5_5ELb0ES3_mN6hipcub16HIPCUB_304000_NS21CountingInputIteratorIllEEPS6_NSA_22TransformInputIteratorIbN2at6native12_GLOBAL__N_19NonZeroOpIlEEPKllEENS0_5tupleIJPlS6_EEENSN_IJSD_SD_EEES6_PiJS6_EEE10hipError_tPvRmT3_T4_T5_T6_T7_T9_mT8_P12ihipStream_tbDpT10_ENKUlT_T0_E_clISt17integral_constantIbLb1EES1A_IbLb0EEEEDaS16_S17_EUlS16_E_NS1_11comp_targetILNS1_3genE5ELNS1_11target_archE942ELNS1_3gpuE9ELNS1_3repE0EEENS1_30default_config_static_selectorELNS0_4arch9wavefront6targetE0EEEvT1_.uses_flat_scratch, 0
	.set _ZN7rocprim17ROCPRIM_400000_NS6detail17trampoline_kernelINS0_14default_configENS1_25partition_config_selectorILNS1_17partition_subalgoE5ElNS0_10empty_typeEbEEZZNS1_14partition_implILS5_5ELb0ES3_mN6hipcub16HIPCUB_304000_NS21CountingInputIteratorIllEEPS6_NSA_22TransformInputIteratorIbN2at6native12_GLOBAL__N_19NonZeroOpIlEEPKllEENS0_5tupleIJPlS6_EEENSN_IJSD_SD_EEES6_PiJS6_EEE10hipError_tPvRmT3_T4_T5_T6_T7_T9_mT8_P12ihipStream_tbDpT10_ENKUlT_T0_E_clISt17integral_constantIbLb1EES1A_IbLb0EEEEDaS16_S17_EUlS16_E_NS1_11comp_targetILNS1_3genE5ELNS1_11target_archE942ELNS1_3gpuE9ELNS1_3repE0EEENS1_30default_config_static_selectorELNS0_4arch9wavefront6targetE0EEEvT1_.has_dyn_sized_stack, 0
	.set _ZN7rocprim17ROCPRIM_400000_NS6detail17trampoline_kernelINS0_14default_configENS1_25partition_config_selectorILNS1_17partition_subalgoE5ElNS0_10empty_typeEbEEZZNS1_14partition_implILS5_5ELb0ES3_mN6hipcub16HIPCUB_304000_NS21CountingInputIteratorIllEEPS6_NSA_22TransformInputIteratorIbN2at6native12_GLOBAL__N_19NonZeroOpIlEEPKllEENS0_5tupleIJPlS6_EEENSN_IJSD_SD_EEES6_PiJS6_EEE10hipError_tPvRmT3_T4_T5_T6_T7_T9_mT8_P12ihipStream_tbDpT10_ENKUlT_T0_E_clISt17integral_constantIbLb1EES1A_IbLb0EEEEDaS16_S17_EUlS16_E_NS1_11comp_targetILNS1_3genE5ELNS1_11target_archE942ELNS1_3gpuE9ELNS1_3repE0EEENS1_30default_config_static_selectorELNS0_4arch9wavefront6targetE0EEEvT1_.has_recursion, 0
	.set _ZN7rocprim17ROCPRIM_400000_NS6detail17trampoline_kernelINS0_14default_configENS1_25partition_config_selectorILNS1_17partition_subalgoE5ElNS0_10empty_typeEbEEZZNS1_14partition_implILS5_5ELb0ES3_mN6hipcub16HIPCUB_304000_NS21CountingInputIteratorIllEEPS6_NSA_22TransformInputIteratorIbN2at6native12_GLOBAL__N_19NonZeroOpIlEEPKllEENS0_5tupleIJPlS6_EEENSN_IJSD_SD_EEES6_PiJS6_EEE10hipError_tPvRmT3_T4_T5_T6_T7_T9_mT8_P12ihipStream_tbDpT10_ENKUlT_T0_E_clISt17integral_constantIbLb1EES1A_IbLb0EEEEDaS16_S17_EUlS16_E_NS1_11comp_targetILNS1_3genE5ELNS1_11target_archE942ELNS1_3gpuE9ELNS1_3repE0EEENS1_30default_config_static_selectorELNS0_4arch9wavefront6targetE0EEEvT1_.has_indirect_call, 0
	.section	.AMDGPU.csdata,"",@progbits
; Kernel info:
; codeLenInByte = 0
; TotalNumSgprs: 0
; NumVgprs: 0
; ScratchSize: 0
; MemoryBound: 0
; FloatMode: 240
; IeeeMode: 1
; LDSByteSize: 0 bytes/workgroup (compile time only)
; SGPRBlocks: 0
; VGPRBlocks: 0
; NumSGPRsForWavesPerEU: 1
; NumVGPRsForWavesPerEU: 1
; Occupancy: 16
; WaveLimiterHint : 0
; COMPUTE_PGM_RSRC2:SCRATCH_EN: 0
; COMPUTE_PGM_RSRC2:USER_SGPR: 2
; COMPUTE_PGM_RSRC2:TRAP_HANDLER: 0
; COMPUTE_PGM_RSRC2:TGID_X_EN: 1
; COMPUTE_PGM_RSRC2:TGID_Y_EN: 0
; COMPUTE_PGM_RSRC2:TGID_Z_EN: 0
; COMPUTE_PGM_RSRC2:TIDIG_COMP_CNT: 0
	.section	.text._ZN7rocprim17ROCPRIM_400000_NS6detail17trampoline_kernelINS0_14default_configENS1_25partition_config_selectorILNS1_17partition_subalgoE5ElNS0_10empty_typeEbEEZZNS1_14partition_implILS5_5ELb0ES3_mN6hipcub16HIPCUB_304000_NS21CountingInputIteratorIllEEPS6_NSA_22TransformInputIteratorIbN2at6native12_GLOBAL__N_19NonZeroOpIlEEPKllEENS0_5tupleIJPlS6_EEENSN_IJSD_SD_EEES6_PiJS6_EEE10hipError_tPvRmT3_T4_T5_T6_T7_T9_mT8_P12ihipStream_tbDpT10_ENKUlT_T0_E_clISt17integral_constantIbLb1EES1A_IbLb0EEEEDaS16_S17_EUlS16_E_NS1_11comp_targetILNS1_3genE4ELNS1_11target_archE910ELNS1_3gpuE8ELNS1_3repE0EEENS1_30default_config_static_selectorELNS0_4arch9wavefront6targetE0EEEvT1_,"axG",@progbits,_ZN7rocprim17ROCPRIM_400000_NS6detail17trampoline_kernelINS0_14default_configENS1_25partition_config_selectorILNS1_17partition_subalgoE5ElNS0_10empty_typeEbEEZZNS1_14partition_implILS5_5ELb0ES3_mN6hipcub16HIPCUB_304000_NS21CountingInputIteratorIllEEPS6_NSA_22TransformInputIteratorIbN2at6native12_GLOBAL__N_19NonZeroOpIlEEPKllEENS0_5tupleIJPlS6_EEENSN_IJSD_SD_EEES6_PiJS6_EEE10hipError_tPvRmT3_T4_T5_T6_T7_T9_mT8_P12ihipStream_tbDpT10_ENKUlT_T0_E_clISt17integral_constantIbLb1EES1A_IbLb0EEEEDaS16_S17_EUlS16_E_NS1_11comp_targetILNS1_3genE4ELNS1_11target_archE910ELNS1_3gpuE8ELNS1_3repE0EEENS1_30default_config_static_selectorELNS0_4arch9wavefront6targetE0EEEvT1_,comdat
	.globl	_ZN7rocprim17ROCPRIM_400000_NS6detail17trampoline_kernelINS0_14default_configENS1_25partition_config_selectorILNS1_17partition_subalgoE5ElNS0_10empty_typeEbEEZZNS1_14partition_implILS5_5ELb0ES3_mN6hipcub16HIPCUB_304000_NS21CountingInputIteratorIllEEPS6_NSA_22TransformInputIteratorIbN2at6native12_GLOBAL__N_19NonZeroOpIlEEPKllEENS0_5tupleIJPlS6_EEENSN_IJSD_SD_EEES6_PiJS6_EEE10hipError_tPvRmT3_T4_T5_T6_T7_T9_mT8_P12ihipStream_tbDpT10_ENKUlT_T0_E_clISt17integral_constantIbLb1EES1A_IbLb0EEEEDaS16_S17_EUlS16_E_NS1_11comp_targetILNS1_3genE4ELNS1_11target_archE910ELNS1_3gpuE8ELNS1_3repE0EEENS1_30default_config_static_selectorELNS0_4arch9wavefront6targetE0EEEvT1_ ; -- Begin function _ZN7rocprim17ROCPRIM_400000_NS6detail17trampoline_kernelINS0_14default_configENS1_25partition_config_selectorILNS1_17partition_subalgoE5ElNS0_10empty_typeEbEEZZNS1_14partition_implILS5_5ELb0ES3_mN6hipcub16HIPCUB_304000_NS21CountingInputIteratorIllEEPS6_NSA_22TransformInputIteratorIbN2at6native12_GLOBAL__N_19NonZeroOpIlEEPKllEENS0_5tupleIJPlS6_EEENSN_IJSD_SD_EEES6_PiJS6_EEE10hipError_tPvRmT3_T4_T5_T6_T7_T9_mT8_P12ihipStream_tbDpT10_ENKUlT_T0_E_clISt17integral_constantIbLb1EES1A_IbLb0EEEEDaS16_S17_EUlS16_E_NS1_11comp_targetILNS1_3genE4ELNS1_11target_archE910ELNS1_3gpuE8ELNS1_3repE0EEENS1_30default_config_static_selectorELNS0_4arch9wavefront6targetE0EEEvT1_
	.p2align	8
	.type	_ZN7rocprim17ROCPRIM_400000_NS6detail17trampoline_kernelINS0_14default_configENS1_25partition_config_selectorILNS1_17partition_subalgoE5ElNS0_10empty_typeEbEEZZNS1_14partition_implILS5_5ELb0ES3_mN6hipcub16HIPCUB_304000_NS21CountingInputIteratorIllEEPS6_NSA_22TransformInputIteratorIbN2at6native12_GLOBAL__N_19NonZeroOpIlEEPKllEENS0_5tupleIJPlS6_EEENSN_IJSD_SD_EEES6_PiJS6_EEE10hipError_tPvRmT3_T4_T5_T6_T7_T9_mT8_P12ihipStream_tbDpT10_ENKUlT_T0_E_clISt17integral_constantIbLb1EES1A_IbLb0EEEEDaS16_S17_EUlS16_E_NS1_11comp_targetILNS1_3genE4ELNS1_11target_archE910ELNS1_3gpuE8ELNS1_3repE0EEENS1_30default_config_static_selectorELNS0_4arch9wavefront6targetE0EEEvT1_,@function
_ZN7rocprim17ROCPRIM_400000_NS6detail17trampoline_kernelINS0_14default_configENS1_25partition_config_selectorILNS1_17partition_subalgoE5ElNS0_10empty_typeEbEEZZNS1_14partition_implILS5_5ELb0ES3_mN6hipcub16HIPCUB_304000_NS21CountingInputIteratorIllEEPS6_NSA_22TransformInputIteratorIbN2at6native12_GLOBAL__N_19NonZeroOpIlEEPKllEENS0_5tupleIJPlS6_EEENSN_IJSD_SD_EEES6_PiJS6_EEE10hipError_tPvRmT3_T4_T5_T6_T7_T9_mT8_P12ihipStream_tbDpT10_ENKUlT_T0_E_clISt17integral_constantIbLb1EES1A_IbLb0EEEEDaS16_S17_EUlS16_E_NS1_11comp_targetILNS1_3genE4ELNS1_11target_archE910ELNS1_3gpuE8ELNS1_3repE0EEENS1_30default_config_static_selectorELNS0_4arch9wavefront6targetE0EEEvT1_: ; @_ZN7rocprim17ROCPRIM_400000_NS6detail17trampoline_kernelINS0_14default_configENS1_25partition_config_selectorILNS1_17partition_subalgoE5ElNS0_10empty_typeEbEEZZNS1_14partition_implILS5_5ELb0ES3_mN6hipcub16HIPCUB_304000_NS21CountingInputIteratorIllEEPS6_NSA_22TransformInputIteratorIbN2at6native12_GLOBAL__N_19NonZeroOpIlEEPKllEENS0_5tupleIJPlS6_EEENSN_IJSD_SD_EEES6_PiJS6_EEE10hipError_tPvRmT3_T4_T5_T6_T7_T9_mT8_P12ihipStream_tbDpT10_ENKUlT_T0_E_clISt17integral_constantIbLb1EES1A_IbLb0EEEEDaS16_S17_EUlS16_E_NS1_11comp_targetILNS1_3genE4ELNS1_11target_archE910ELNS1_3gpuE8ELNS1_3repE0EEENS1_30default_config_static_selectorELNS0_4arch9wavefront6targetE0EEEvT1_
; %bb.0:
	.section	.rodata,"a",@progbits
	.p2align	6, 0x0
	.amdhsa_kernel _ZN7rocprim17ROCPRIM_400000_NS6detail17trampoline_kernelINS0_14default_configENS1_25partition_config_selectorILNS1_17partition_subalgoE5ElNS0_10empty_typeEbEEZZNS1_14partition_implILS5_5ELb0ES3_mN6hipcub16HIPCUB_304000_NS21CountingInputIteratorIllEEPS6_NSA_22TransformInputIteratorIbN2at6native12_GLOBAL__N_19NonZeroOpIlEEPKllEENS0_5tupleIJPlS6_EEENSN_IJSD_SD_EEES6_PiJS6_EEE10hipError_tPvRmT3_T4_T5_T6_T7_T9_mT8_P12ihipStream_tbDpT10_ENKUlT_T0_E_clISt17integral_constantIbLb1EES1A_IbLb0EEEEDaS16_S17_EUlS16_E_NS1_11comp_targetILNS1_3genE4ELNS1_11target_archE910ELNS1_3gpuE8ELNS1_3repE0EEENS1_30default_config_static_selectorELNS0_4arch9wavefront6targetE0EEEvT1_
		.amdhsa_group_segment_fixed_size 0
		.amdhsa_private_segment_fixed_size 0
		.amdhsa_kernarg_size 120
		.amdhsa_user_sgpr_count 2
		.amdhsa_user_sgpr_dispatch_ptr 0
		.amdhsa_user_sgpr_queue_ptr 0
		.amdhsa_user_sgpr_kernarg_segment_ptr 1
		.amdhsa_user_sgpr_dispatch_id 0
		.amdhsa_user_sgpr_private_segment_size 0
		.amdhsa_wavefront_size32 1
		.amdhsa_uses_dynamic_stack 0
		.amdhsa_enable_private_segment 0
		.amdhsa_system_sgpr_workgroup_id_x 1
		.amdhsa_system_sgpr_workgroup_id_y 0
		.amdhsa_system_sgpr_workgroup_id_z 0
		.amdhsa_system_sgpr_workgroup_info 0
		.amdhsa_system_vgpr_workitem_id 0
		.amdhsa_next_free_vgpr 1
		.amdhsa_next_free_sgpr 1
		.amdhsa_reserve_vcc 0
		.amdhsa_float_round_mode_32 0
		.amdhsa_float_round_mode_16_64 0
		.amdhsa_float_denorm_mode_32 3
		.amdhsa_float_denorm_mode_16_64 3
		.amdhsa_fp16_overflow 0
		.amdhsa_workgroup_processor_mode 1
		.amdhsa_memory_ordered 1
		.amdhsa_forward_progress 1
		.amdhsa_inst_pref_size 0
		.amdhsa_round_robin_scheduling 0
		.amdhsa_exception_fp_ieee_invalid_op 0
		.amdhsa_exception_fp_denorm_src 0
		.amdhsa_exception_fp_ieee_div_zero 0
		.amdhsa_exception_fp_ieee_overflow 0
		.amdhsa_exception_fp_ieee_underflow 0
		.amdhsa_exception_fp_ieee_inexact 0
		.amdhsa_exception_int_div_zero 0
	.end_amdhsa_kernel
	.section	.text._ZN7rocprim17ROCPRIM_400000_NS6detail17trampoline_kernelINS0_14default_configENS1_25partition_config_selectorILNS1_17partition_subalgoE5ElNS0_10empty_typeEbEEZZNS1_14partition_implILS5_5ELb0ES3_mN6hipcub16HIPCUB_304000_NS21CountingInputIteratorIllEEPS6_NSA_22TransformInputIteratorIbN2at6native12_GLOBAL__N_19NonZeroOpIlEEPKllEENS0_5tupleIJPlS6_EEENSN_IJSD_SD_EEES6_PiJS6_EEE10hipError_tPvRmT3_T4_T5_T6_T7_T9_mT8_P12ihipStream_tbDpT10_ENKUlT_T0_E_clISt17integral_constantIbLb1EES1A_IbLb0EEEEDaS16_S17_EUlS16_E_NS1_11comp_targetILNS1_3genE4ELNS1_11target_archE910ELNS1_3gpuE8ELNS1_3repE0EEENS1_30default_config_static_selectorELNS0_4arch9wavefront6targetE0EEEvT1_,"axG",@progbits,_ZN7rocprim17ROCPRIM_400000_NS6detail17trampoline_kernelINS0_14default_configENS1_25partition_config_selectorILNS1_17partition_subalgoE5ElNS0_10empty_typeEbEEZZNS1_14partition_implILS5_5ELb0ES3_mN6hipcub16HIPCUB_304000_NS21CountingInputIteratorIllEEPS6_NSA_22TransformInputIteratorIbN2at6native12_GLOBAL__N_19NonZeroOpIlEEPKllEENS0_5tupleIJPlS6_EEENSN_IJSD_SD_EEES6_PiJS6_EEE10hipError_tPvRmT3_T4_T5_T6_T7_T9_mT8_P12ihipStream_tbDpT10_ENKUlT_T0_E_clISt17integral_constantIbLb1EES1A_IbLb0EEEEDaS16_S17_EUlS16_E_NS1_11comp_targetILNS1_3genE4ELNS1_11target_archE910ELNS1_3gpuE8ELNS1_3repE0EEENS1_30default_config_static_selectorELNS0_4arch9wavefront6targetE0EEEvT1_,comdat
.Lfunc_end272:
	.size	_ZN7rocprim17ROCPRIM_400000_NS6detail17trampoline_kernelINS0_14default_configENS1_25partition_config_selectorILNS1_17partition_subalgoE5ElNS0_10empty_typeEbEEZZNS1_14partition_implILS5_5ELb0ES3_mN6hipcub16HIPCUB_304000_NS21CountingInputIteratorIllEEPS6_NSA_22TransformInputIteratorIbN2at6native12_GLOBAL__N_19NonZeroOpIlEEPKllEENS0_5tupleIJPlS6_EEENSN_IJSD_SD_EEES6_PiJS6_EEE10hipError_tPvRmT3_T4_T5_T6_T7_T9_mT8_P12ihipStream_tbDpT10_ENKUlT_T0_E_clISt17integral_constantIbLb1EES1A_IbLb0EEEEDaS16_S17_EUlS16_E_NS1_11comp_targetILNS1_3genE4ELNS1_11target_archE910ELNS1_3gpuE8ELNS1_3repE0EEENS1_30default_config_static_selectorELNS0_4arch9wavefront6targetE0EEEvT1_, .Lfunc_end272-_ZN7rocprim17ROCPRIM_400000_NS6detail17trampoline_kernelINS0_14default_configENS1_25partition_config_selectorILNS1_17partition_subalgoE5ElNS0_10empty_typeEbEEZZNS1_14partition_implILS5_5ELb0ES3_mN6hipcub16HIPCUB_304000_NS21CountingInputIteratorIllEEPS6_NSA_22TransformInputIteratorIbN2at6native12_GLOBAL__N_19NonZeroOpIlEEPKllEENS0_5tupleIJPlS6_EEENSN_IJSD_SD_EEES6_PiJS6_EEE10hipError_tPvRmT3_T4_T5_T6_T7_T9_mT8_P12ihipStream_tbDpT10_ENKUlT_T0_E_clISt17integral_constantIbLb1EES1A_IbLb0EEEEDaS16_S17_EUlS16_E_NS1_11comp_targetILNS1_3genE4ELNS1_11target_archE910ELNS1_3gpuE8ELNS1_3repE0EEENS1_30default_config_static_selectorELNS0_4arch9wavefront6targetE0EEEvT1_
                                        ; -- End function
	.set _ZN7rocprim17ROCPRIM_400000_NS6detail17trampoline_kernelINS0_14default_configENS1_25partition_config_selectorILNS1_17partition_subalgoE5ElNS0_10empty_typeEbEEZZNS1_14partition_implILS5_5ELb0ES3_mN6hipcub16HIPCUB_304000_NS21CountingInputIteratorIllEEPS6_NSA_22TransformInputIteratorIbN2at6native12_GLOBAL__N_19NonZeroOpIlEEPKllEENS0_5tupleIJPlS6_EEENSN_IJSD_SD_EEES6_PiJS6_EEE10hipError_tPvRmT3_T4_T5_T6_T7_T9_mT8_P12ihipStream_tbDpT10_ENKUlT_T0_E_clISt17integral_constantIbLb1EES1A_IbLb0EEEEDaS16_S17_EUlS16_E_NS1_11comp_targetILNS1_3genE4ELNS1_11target_archE910ELNS1_3gpuE8ELNS1_3repE0EEENS1_30default_config_static_selectorELNS0_4arch9wavefront6targetE0EEEvT1_.num_vgpr, 0
	.set _ZN7rocprim17ROCPRIM_400000_NS6detail17trampoline_kernelINS0_14default_configENS1_25partition_config_selectorILNS1_17partition_subalgoE5ElNS0_10empty_typeEbEEZZNS1_14partition_implILS5_5ELb0ES3_mN6hipcub16HIPCUB_304000_NS21CountingInputIteratorIllEEPS6_NSA_22TransformInputIteratorIbN2at6native12_GLOBAL__N_19NonZeroOpIlEEPKllEENS0_5tupleIJPlS6_EEENSN_IJSD_SD_EEES6_PiJS6_EEE10hipError_tPvRmT3_T4_T5_T6_T7_T9_mT8_P12ihipStream_tbDpT10_ENKUlT_T0_E_clISt17integral_constantIbLb1EES1A_IbLb0EEEEDaS16_S17_EUlS16_E_NS1_11comp_targetILNS1_3genE4ELNS1_11target_archE910ELNS1_3gpuE8ELNS1_3repE0EEENS1_30default_config_static_selectorELNS0_4arch9wavefront6targetE0EEEvT1_.num_agpr, 0
	.set _ZN7rocprim17ROCPRIM_400000_NS6detail17trampoline_kernelINS0_14default_configENS1_25partition_config_selectorILNS1_17partition_subalgoE5ElNS0_10empty_typeEbEEZZNS1_14partition_implILS5_5ELb0ES3_mN6hipcub16HIPCUB_304000_NS21CountingInputIteratorIllEEPS6_NSA_22TransformInputIteratorIbN2at6native12_GLOBAL__N_19NonZeroOpIlEEPKllEENS0_5tupleIJPlS6_EEENSN_IJSD_SD_EEES6_PiJS6_EEE10hipError_tPvRmT3_T4_T5_T6_T7_T9_mT8_P12ihipStream_tbDpT10_ENKUlT_T0_E_clISt17integral_constantIbLb1EES1A_IbLb0EEEEDaS16_S17_EUlS16_E_NS1_11comp_targetILNS1_3genE4ELNS1_11target_archE910ELNS1_3gpuE8ELNS1_3repE0EEENS1_30default_config_static_selectorELNS0_4arch9wavefront6targetE0EEEvT1_.numbered_sgpr, 0
	.set _ZN7rocprim17ROCPRIM_400000_NS6detail17trampoline_kernelINS0_14default_configENS1_25partition_config_selectorILNS1_17partition_subalgoE5ElNS0_10empty_typeEbEEZZNS1_14partition_implILS5_5ELb0ES3_mN6hipcub16HIPCUB_304000_NS21CountingInputIteratorIllEEPS6_NSA_22TransformInputIteratorIbN2at6native12_GLOBAL__N_19NonZeroOpIlEEPKllEENS0_5tupleIJPlS6_EEENSN_IJSD_SD_EEES6_PiJS6_EEE10hipError_tPvRmT3_T4_T5_T6_T7_T9_mT8_P12ihipStream_tbDpT10_ENKUlT_T0_E_clISt17integral_constantIbLb1EES1A_IbLb0EEEEDaS16_S17_EUlS16_E_NS1_11comp_targetILNS1_3genE4ELNS1_11target_archE910ELNS1_3gpuE8ELNS1_3repE0EEENS1_30default_config_static_selectorELNS0_4arch9wavefront6targetE0EEEvT1_.num_named_barrier, 0
	.set _ZN7rocprim17ROCPRIM_400000_NS6detail17trampoline_kernelINS0_14default_configENS1_25partition_config_selectorILNS1_17partition_subalgoE5ElNS0_10empty_typeEbEEZZNS1_14partition_implILS5_5ELb0ES3_mN6hipcub16HIPCUB_304000_NS21CountingInputIteratorIllEEPS6_NSA_22TransformInputIteratorIbN2at6native12_GLOBAL__N_19NonZeroOpIlEEPKllEENS0_5tupleIJPlS6_EEENSN_IJSD_SD_EEES6_PiJS6_EEE10hipError_tPvRmT3_T4_T5_T6_T7_T9_mT8_P12ihipStream_tbDpT10_ENKUlT_T0_E_clISt17integral_constantIbLb1EES1A_IbLb0EEEEDaS16_S17_EUlS16_E_NS1_11comp_targetILNS1_3genE4ELNS1_11target_archE910ELNS1_3gpuE8ELNS1_3repE0EEENS1_30default_config_static_selectorELNS0_4arch9wavefront6targetE0EEEvT1_.private_seg_size, 0
	.set _ZN7rocprim17ROCPRIM_400000_NS6detail17trampoline_kernelINS0_14default_configENS1_25partition_config_selectorILNS1_17partition_subalgoE5ElNS0_10empty_typeEbEEZZNS1_14partition_implILS5_5ELb0ES3_mN6hipcub16HIPCUB_304000_NS21CountingInputIteratorIllEEPS6_NSA_22TransformInputIteratorIbN2at6native12_GLOBAL__N_19NonZeroOpIlEEPKllEENS0_5tupleIJPlS6_EEENSN_IJSD_SD_EEES6_PiJS6_EEE10hipError_tPvRmT3_T4_T5_T6_T7_T9_mT8_P12ihipStream_tbDpT10_ENKUlT_T0_E_clISt17integral_constantIbLb1EES1A_IbLb0EEEEDaS16_S17_EUlS16_E_NS1_11comp_targetILNS1_3genE4ELNS1_11target_archE910ELNS1_3gpuE8ELNS1_3repE0EEENS1_30default_config_static_selectorELNS0_4arch9wavefront6targetE0EEEvT1_.uses_vcc, 0
	.set _ZN7rocprim17ROCPRIM_400000_NS6detail17trampoline_kernelINS0_14default_configENS1_25partition_config_selectorILNS1_17partition_subalgoE5ElNS0_10empty_typeEbEEZZNS1_14partition_implILS5_5ELb0ES3_mN6hipcub16HIPCUB_304000_NS21CountingInputIteratorIllEEPS6_NSA_22TransformInputIteratorIbN2at6native12_GLOBAL__N_19NonZeroOpIlEEPKllEENS0_5tupleIJPlS6_EEENSN_IJSD_SD_EEES6_PiJS6_EEE10hipError_tPvRmT3_T4_T5_T6_T7_T9_mT8_P12ihipStream_tbDpT10_ENKUlT_T0_E_clISt17integral_constantIbLb1EES1A_IbLb0EEEEDaS16_S17_EUlS16_E_NS1_11comp_targetILNS1_3genE4ELNS1_11target_archE910ELNS1_3gpuE8ELNS1_3repE0EEENS1_30default_config_static_selectorELNS0_4arch9wavefront6targetE0EEEvT1_.uses_flat_scratch, 0
	.set _ZN7rocprim17ROCPRIM_400000_NS6detail17trampoline_kernelINS0_14default_configENS1_25partition_config_selectorILNS1_17partition_subalgoE5ElNS0_10empty_typeEbEEZZNS1_14partition_implILS5_5ELb0ES3_mN6hipcub16HIPCUB_304000_NS21CountingInputIteratorIllEEPS6_NSA_22TransformInputIteratorIbN2at6native12_GLOBAL__N_19NonZeroOpIlEEPKllEENS0_5tupleIJPlS6_EEENSN_IJSD_SD_EEES6_PiJS6_EEE10hipError_tPvRmT3_T4_T5_T6_T7_T9_mT8_P12ihipStream_tbDpT10_ENKUlT_T0_E_clISt17integral_constantIbLb1EES1A_IbLb0EEEEDaS16_S17_EUlS16_E_NS1_11comp_targetILNS1_3genE4ELNS1_11target_archE910ELNS1_3gpuE8ELNS1_3repE0EEENS1_30default_config_static_selectorELNS0_4arch9wavefront6targetE0EEEvT1_.has_dyn_sized_stack, 0
	.set _ZN7rocprim17ROCPRIM_400000_NS6detail17trampoline_kernelINS0_14default_configENS1_25partition_config_selectorILNS1_17partition_subalgoE5ElNS0_10empty_typeEbEEZZNS1_14partition_implILS5_5ELb0ES3_mN6hipcub16HIPCUB_304000_NS21CountingInputIteratorIllEEPS6_NSA_22TransformInputIteratorIbN2at6native12_GLOBAL__N_19NonZeroOpIlEEPKllEENS0_5tupleIJPlS6_EEENSN_IJSD_SD_EEES6_PiJS6_EEE10hipError_tPvRmT3_T4_T5_T6_T7_T9_mT8_P12ihipStream_tbDpT10_ENKUlT_T0_E_clISt17integral_constantIbLb1EES1A_IbLb0EEEEDaS16_S17_EUlS16_E_NS1_11comp_targetILNS1_3genE4ELNS1_11target_archE910ELNS1_3gpuE8ELNS1_3repE0EEENS1_30default_config_static_selectorELNS0_4arch9wavefront6targetE0EEEvT1_.has_recursion, 0
	.set _ZN7rocprim17ROCPRIM_400000_NS6detail17trampoline_kernelINS0_14default_configENS1_25partition_config_selectorILNS1_17partition_subalgoE5ElNS0_10empty_typeEbEEZZNS1_14partition_implILS5_5ELb0ES3_mN6hipcub16HIPCUB_304000_NS21CountingInputIteratorIllEEPS6_NSA_22TransformInputIteratorIbN2at6native12_GLOBAL__N_19NonZeroOpIlEEPKllEENS0_5tupleIJPlS6_EEENSN_IJSD_SD_EEES6_PiJS6_EEE10hipError_tPvRmT3_T4_T5_T6_T7_T9_mT8_P12ihipStream_tbDpT10_ENKUlT_T0_E_clISt17integral_constantIbLb1EES1A_IbLb0EEEEDaS16_S17_EUlS16_E_NS1_11comp_targetILNS1_3genE4ELNS1_11target_archE910ELNS1_3gpuE8ELNS1_3repE0EEENS1_30default_config_static_selectorELNS0_4arch9wavefront6targetE0EEEvT1_.has_indirect_call, 0
	.section	.AMDGPU.csdata,"",@progbits
; Kernel info:
; codeLenInByte = 0
; TotalNumSgprs: 0
; NumVgprs: 0
; ScratchSize: 0
; MemoryBound: 0
; FloatMode: 240
; IeeeMode: 1
; LDSByteSize: 0 bytes/workgroup (compile time only)
; SGPRBlocks: 0
; VGPRBlocks: 0
; NumSGPRsForWavesPerEU: 1
; NumVGPRsForWavesPerEU: 1
; Occupancy: 16
; WaveLimiterHint : 0
; COMPUTE_PGM_RSRC2:SCRATCH_EN: 0
; COMPUTE_PGM_RSRC2:USER_SGPR: 2
; COMPUTE_PGM_RSRC2:TRAP_HANDLER: 0
; COMPUTE_PGM_RSRC2:TGID_X_EN: 1
; COMPUTE_PGM_RSRC2:TGID_Y_EN: 0
; COMPUTE_PGM_RSRC2:TGID_Z_EN: 0
; COMPUTE_PGM_RSRC2:TIDIG_COMP_CNT: 0
	.section	.text._ZN7rocprim17ROCPRIM_400000_NS6detail17trampoline_kernelINS0_14default_configENS1_25partition_config_selectorILNS1_17partition_subalgoE5ElNS0_10empty_typeEbEEZZNS1_14partition_implILS5_5ELb0ES3_mN6hipcub16HIPCUB_304000_NS21CountingInputIteratorIllEEPS6_NSA_22TransformInputIteratorIbN2at6native12_GLOBAL__N_19NonZeroOpIlEEPKllEENS0_5tupleIJPlS6_EEENSN_IJSD_SD_EEES6_PiJS6_EEE10hipError_tPvRmT3_T4_T5_T6_T7_T9_mT8_P12ihipStream_tbDpT10_ENKUlT_T0_E_clISt17integral_constantIbLb1EES1A_IbLb0EEEEDaS16_S17_EUlS16_E_NS1_11comp_targetILNS1_3genE3ELNS1_11target_archE908ELNS1_3gpuE7ELNS1_3repE0EEENS1_30default_config_static_selectorELNS0_4arch9wavefront6targetE0EEEvT1_,"axG",@progbits,_ZN7rocprim17ROCPRIM_400000_NS6detail17trampoline_kernelINS0_14default_configENS1_25partition_config_selectorILNS1_17partition_subalgoE5ElNS0_10empty_typeEbEEZZNS1_14partition_implILS5_5ELb0ES3_mN6hipcub16HIPCUB_304000_NS21CountingInputIteratorIllEEPS6_NSA_22TransformInputIteratorIbN2at6native12_GLOBAL__N_19NonZeroOpIlEEPKllEENS0_5tupleIJPlS6_EEENSN_IJSD_SD_EEES6_PiJS6_EEE10hipError_tPvRmT3_T4_T5_T6_T7_T9_mT8_P12ihipStream_tbDpT10_ENKUlT_T0_E_clISt17integral_constantIbLb1EES1A_IbLb0EEEEDaS16_S17_EUlS16_E_NS1_11comp_targetILNS1_3genE3ELNS1_11target_archE908ELNS1_3gpuE7ELNS1_3repE0EEENS1_30default_config_static_selectorELNS0_4arch9wavefront6targetE0EEEvT1_,comdat
	.globl	_ZN7rocprim17ROCPRIM_400000_NS6detail17trampoline_kernelINS0_14default_configENS1_25partition_config_selectorILNS1_17partition_subalgoE5ElNS0_10empty_typeEbEEZZNS1_14partition_implILS5_5ELb0ES3_mN6hipcub16HIPCUB_304000_NS21CountingInputIteratorIllEEPS6_NSA_22TransformInputIteratorIbN2at6native12_GLOBAL__N_19NonZeroOpIlEEPKllEENS0_5tupleIJPlS6_EEENSN_IJSD_SD_EEES6_PiJS6_EEE10hipError_tPvRmT3_T4_T5_T6_T7_T9_mT8_P12ihipStream_tbDpT10_ENKUlT_T0_E_clISt17integral_constantIbLb1EES1A_IbLb0EEEEDaS16_S17_EUlS16_E_NS1_11comp_targetILNS1_3genE3ELNS1_11target_archE908ELNS1_3gpuE7ELNS1_3repE0EEENS1_30default_config_static_selectorELNS0_4arch9wavefront6targetE0EEEvT1_ ; -- Begin function _ZN7rocprim17ROCPRIM_400000_NS6detail17trampoline_kernelINS0_14default_configENS1_25partition_config_selectorILNS1_17partition_subalgoE5ElNS0_10empty_typeEbEEZZNS1_14partition_implILS5_5ELb0ES3_mN6hipcub16HIPCUB_304000_NS21CountingInputIteratorIllEEPS6_NSA_22TransformInputIteratorIbN2at6native12_GLOBAL__N_19NonZeroOpIlEEPKllEENS0_5tupleIJPlS6_EEENSN_IJSD_SD_EEES6_PiJS6_EEE10hipError_tPvRmT3_T4_T5_T6_T7_T9_mT8_P12ihipStream_tbDpT10_ENKUlT_T0_E_clISt17integral_constantIbLb1EES1A_IbLb0EEEEDaS16_S17_EUlS16_E_NS1_11comp_targetILNS1_3genE3ELNS1_11target_archE908ELNS1_3gpuE7ELNS1_3repE0EEENS1_30default_config_static_selectorELNS0_4arch9wavefront6targetE0EEEvT1_
	.p2align	8
	.type	_ZN7rocprim17ROCPRIM_400000_NS6detail17trampoline_kernelINS0_14default_configENS1_25partition_config_selectorILNS1_17partition_subalgoE5ElNS0_10empty_typeEbEEZZNS1_14partition_implILS5_5ELb0ES3_mN6hipcub16HIPCUB_304000_NS21CountingInputIteratorIllEEPS6_NSA_22TransformInputIteratorIbN2at6native12_GLOBAL__N_19NonZeroOpIlEEPKllEENS0_5tupleIJPlS6_EEENSN_IJSD_SD_EEES6_PiJS6_EEE10hipError_tPvRmT3_T4_T5_T6_T7_T9_mT8_P12ihipStream_tbDpT10_ENKUlT_T0_E_clISt17integral_constantIbLb1EES1A_IbLb0EEEEDaS16_S17_EUlS16_E_NS1_11comp_targetILNS1_3genE3ELNS1_11target_archE908ELNS1_3gpuE7ELNS1_3repE0EEENS1_30default_config_static_selectorELNS0_4arch9wavefront6targetE0EEEvT1_,@function
_ZN7rocprim17ROCPRIM_400000_NS6detail17trampoline_kernelINS0_14default_configENS1_25partition_config_selectorILNS1_17partition_subalgoE5ElNS0_10empty_typeEbEEZZNS1_14partition_implILS5_5ELb0ES3_mN6hipcub16HIPCUB_304000_NS21CountingInputIteratorIllEEPS6_NSA_22TransformInputIteratorIbN2at6native12_GLOBAL__N_19NonZeroOpIlEEPKllEENS0_5tupleIJPlS6_EEENSN_IJSD_SD_EEES6_PiJS6_EEE10hipError_tPvRmT3_T4_T5_T6_T7_T9_mT8_P12ihipStream_tbDpT10_ENKUlT_T0_E_clISt17integral_constantIbLb1EES1A_IbLb0EEEEDaS16_S17_EUlS16_E_NS1_11comp_targetILNS1_3genE3ELNS1_11target_archE908ELNS1_3gpuE7ELNS1_3repE0EEENS1_30default_config_static_selectorELNS0_4arch9wavefront6targetE0EEEvT1_: ; @_ZN7rocprim17ROCPRIM_400000_NS6detail17trampoline_kernelINS0_14default_configENS1_25partition_config_selectorILNS1_17partition_subalgoE5ElNS0_10empty_typeEbEEZZNS1_14partition_implILS5_5ELb0ES3_mN6hipcub16HIPCUB_304000_NS21CountingInputIteratorIllEEPS6_NSA_22TransformInputIteratorIbN2at6native12_GLOBAL__N_19NonZeroOpIlEEPKllEENS0_5tupleIJPlS6_EEENSN_IJSD_SD_EEES6_PiJS6_EEE10hipError_tPvRmT3_T4_T5_T6_T7_T9_mT8_P12ihipStream_tbDpT10_ENKUlT_T0_E_clISt17integral_constantIbLb1EES1A_IbLb0EEEEDaS16_S17_EUlS16_E_NS1_11comp_targetILNS1_3genE3ELNS1_11target_archE908ELNS1_3gpuE7ELNS1_3repE0EEENS1_30default_config_static_selectorELNS0_4arch9wavefront6targetE0EEEvT1_
; %bb.0:
	.section	.rodata,"a",@progbits
	.p2align	6, 0x0
	.amdhsa_kernel _ZN7rocprim17ROCPRIM_400000_NS6detail17trampoline_kernelINS0_14default_configENS1_25partition_config_selectorILNS1_17partition_subalgoE5ElNS0_10empty_typeEbEEZZNS1_14partition_implILS5_5ELb0ES3_mN6hipcub16HIPCUB_304000_NS21CountingInputIteratorIllEEPS6_NSA_22TransformInputIteratorIbN2at6native12_GLOBAL__N_19NonZeroOpIlEEPKllEENS0_5tupleIJPlS6_EEENSN_IJSD_SD_EEES6_PiJS6_EEE10hipError_tPvRmT3_T4_T5_T6_T7_T9_mT8_P12ihipStream_tbDpT10_ENKUlT_T0_E_clISt17integral_constantIbLb1EES1A_IbLb0EEEEDaS16_S17_EUlS16_E_NS1_11comp_targetILNS1_3genE3ELNS1_11target_archE908ELNS1_3gpuE7ELNS1_3repE0EEENS1_30default_config_static_selectorELNS0_4arch9wavefront6targetE0EEEvT1_
		.amdhsa_group_segment_fixed_size 0
		.amdhsa_private_segment_fixed_size 0
		.amdhsa_kernarg_size 120
		.amdhsa_user_sgpr_count 2
		.amdhsa_user_sgpr_dispatch_ptr 0
		.amdhsa_user_sgpr_queue_ptr 0
		.amdhsa_user_sgpr_kernarg_segment_ptr 1
		.amdhsa_user_sgpr_dispatch_id 0
		.amdhsa_user_sgpr_private_segment_size 0
		.amdhsa_wavefront_size32 1
		.amdhsa_uses_dynamic_stack 0
		.amdhsa_enable_private_segment 0
		.amdhsa_system_sgpr_workgroup_id_x 1
		.amdhsa_system_sgpr_workgroup_id_y 0
		.amdhsa_system_sgpr_workgroup_id_z 0
		.amdhsa_system_sgpr_workgroup_info 0
		.amdhsa_system_vgpr_workitem_id 0
		.amdhsa_next_free_vgpr 1
		.amdhsa_next_free_sgpr 1
		.amdhsa_reserve_vcc 0
		.amdhsa_float_round_mode_32 0
		.amdhsa_float_round_mode_16_64 0
		.amdhsa_float_denorm_mode_32 3
		.amdhsa_float_denorm_mode_16_64 3
		.amdhsa_fp16_overflow 0
		.amdhsa_workgroup_processor_mode 1
		.amdhsa_memory_ordered 1
		.amdhsa_forward_progress 1
		.amdhsa_inst_pref_size 0
		.amdhsa_round_robin_scheduling 0
		.amdhsa_exception_fp_ieee_invalid_op 0
		.amdhsa_exception_fp_denorm_src 0
		.amdhsa_exception_fp_ieee_div_zero 0
		.amdhsa_exception_fp_ieee_overflow 0
		.amdhsa_exception_fp_ieee_underflow 0
		.amdhsa_exception_fp_ieee_inexact 0
		.amdhsa_exception_int_div_zero 0
	.end_amdhsa_kernel
	.section	.text._ZN7rocprim17ROCPRIM_400000_NS6detail17trampoline_kernelINS0_14default_configENS1_25partition_config_selectorILNS1_17partition_subalgoE5ElNS0_10empty_typeEbEEZZNS1_14partition_implILS5_5ELb0ES3_mN6hipcub16HIPCUB_304000_NS21CountingInputIteratorIllEEPS6_NSA_22TransformInputIteratorIbN2at6native12_GLOBAL__N_19NonZeroOpIlEEPKllEENS0_5tupleIJPlS6_EEENSN_IJSD_SD_EEES6_PiJS6_EEE10hipError_tPvRmT3_T4_T5_T6_T7_T9_mT8_P12ihipStream_tbDpT10_ENKUlT_T0_E_clISt17integral_constantIbLb1EES1A_IbLb0EEEEDaS16_S17_EUlS16_E_NS1_11comp_targetILNS1_3genE3ELNS1_11target_archE908ELNS1_3gpuE7ELNS1_3repE0EEENS1_30default_config_static_selectorELNS0_4arch9wavefront6targetE0EEEvT1_,"axG",@progbits,_ZN7rocprim17ROCPRIM_400000_NS6detail17trampoline_kernelINS0_14default_configENS1_25partition_config_selectorILNS1_17partition_subalgoE5ElNS0_10empty_typeEbEEZZNS1_14partition_implILS5_5ELb0ES3_mN6hipcub16HIPCUB_304000_NS21CountingInputIteratorIllEEPS6_NSA_22TransformInputIteratorIbN2at6native12_GLOBAL__N_19NonZeroOpIlEEPKllEENS0_5tupleIJPlS6_EEENSN_IJSD_SD_EEES6_PiJS6_EEE10hipError_tPvRmT3_T4_T5_T6_T7_T9_mT8_P12ihipStream_tbDpT10_ENKUlT_T0_E_clISt17integral_constantIbLb1EES1A_IbLb0EEEEDaS16_S17_EUlS16_E_NS1_11comp_targetILNS1_3genE3ELNS1_11target_archE908ELNS1_3gpuE7ELNS1_3repE0EEENS1_30default_config_static_selectorELNS0_4arch9wavefront6targetE0EEEvT1_,comdat
.Lfunc_end273:
	.size	_ZN7rocprim17ROCPRIM_400000_NS6detail17trampoline_kernelINS0_14default_configENS1_25partition_config_selectorILNS1_17partition_subalgoE5ElNS0_10empty_typeEbEEZZNS1_14partition_implILS5_5ELb0ES3_mN6hipcub16HIPCUB_304000_NS21CountingInputIteratorIllEEPS6_NSA_22TransformInputIteratorIbN2at6native12_GLOBAL__N_19NonZeroOpIlEEPKllEENS0_5tupleIJPlS6_EEENSN_IJSD_SD_EEES6_PiJS6_EEE10hipError_tPvRmT3_T4_T5_T6_T7_T9_mT8_P12ihipStream_tbDpT10_ENKUlT_T0_E_clISt17integral_constantIbLb1EES1A_IbLb0EEEEDaS16_S17_EUlS16_E_NS1_11comp_targetILNS1_3genE3ELNS1_11target_archE908ELNS1_3gpuE7ELNS1_3repE0EEENS1_30default_config_static_selectorELNS0_4arch9wavefront6targetE0EEEvT1_, .Lfunc_end273-_ZN7rocprim17ROCPRIM_400000_NS6detail17trampoline_kernelINS0_14default_configENS1_25partition_config_selectorILNS1_17partition_subalgoE5ElNS0_10empty_typeEbEEZZNS1_14partition_implILS5_5ELb0ES3_mN6hipcub16HIPCUB_304000_NS21CountingInputIteratorIllEEPS6_NSA_22TransformInputIteratorIbN2at6native12_GLOBAL__N_19NonZeroOpIlEEPKllEENS0_5tupleIJPlS6_EEENSN_IJSD_SD_EEES6_PiJS6_EEE10hipError_tPvRmT3_T4_T5_T6_T7_T9_mT8_P12ihipStream_tbDpT10_ENKUlT_T0_E_clISt17integral_constantIbLb1EES1A_IbLb0EEEEDaS16_S17_EUlS16_E_NS1_11comp_targetILNS1_3genE3ELNS1_11target_archE908ELNS1_3gpuE7ELNS1_3repE0EEENS1_30default_config_static_selectorELNS0_4arch9wavefront6targetE0EEEvT1_
                                        ; -- End function
	.set _ZN7rocprim17ROCPRIM_400000_NS6detail17trampoline_kernelINS0_14default_configENS1_25partition_config_selectorILNS1_17partition_subalgoE5ElNS0_10empty_typeEbEEZZNS1_14partition_implILS5_5ELb0ES3_mN6hipcub16HIPCUB_304000_NS21CountingInputIteratorIllEEPS6_NSA_22TransformInputIteratorIbN2at6native12_GLOBAL__N_19NonZeroOpIlEEPKllEENS0_5tupleIJPlS6_EEENSN_IJSD_SD_EEES6_PiJS6_EEE10hipError_tPvRmT3_T4_T5_T6_T7_T9_mT8_P12ihipStream_tbDpT10_ENKUlT_T0_E_clISt17integral_constantIbLb1EES1A_IbLb0EEEEDaS16_S17_EUlS16_E_NS1_11comp_targetILNS1_3genE3ELNS1_11target_archE908ELNS1_3gpuE7ELNS1_3repE0EEENS1_30default_config_static_selectorELNS0_4arch9wavefront6targetE0EEEvT1_.num_vgpr, 0
	.set _ZN7rocprim17ROCPRIM_400000_NS6detail17trampoline_kernelINS0_14default_configENS1_25partition_config_selectorILNS1_17partition_subalgoE5ElNS0_10empty_typeEbEEZZNS1_14partition_implILS5_5ELb0ES3_mN6hipcub16HIPCUB_304000_NS21CountingInputIteratorIllEEPS6_NSA_22TransformInputIteratorIbN2at6native12_GLOBAL__N_19NonZeroOpIlEEPKllEENS0_5tupleIJPlS6_EEENSN_IJSD_SD_EEES6_PiJS6_EEE10hipError_tPvRmT3_T4_T5_T6_T7_T9_mT8_P12ihipStream_tbDpT10_ENKUlT_T0_E_clISt17integral_constantIbLb1EES1A_IbLb0EEEEDaS16_S17_EUlS16_E_NS1_11comp_targetILNS1_3genE3ELNS1_11target_archE908ELNS1_3gpuE7ELNS1_3repE0EEENS1_30default_config_static_selectorELNS0_4arch9wavefront6targetE0EEEvT1_.num_agpr, 0
	.set _ZN7rocprim17ROCPRIM_400000_NS6detail17trampoline_kernelINS0_14default_configENS1_25partition_config_selectorILNS1_17partition_subalgoE5ElNS0_10empty_typeEbEEZZNS1_14partition_implILS5_5ELb0ES3_mN6hipcub16HIPCUB_304000_NS21CountingInputIteratorIllEEPS6_NSA_22TransformInputIteratorIbN2at6native12_GLOBAL__N_19NonZeroOpIlEEPKllEENS0_5tupleIJPlS6_EEENSN_IJSD_SD_EEES6_PiJS6_EEE10hipError_tPvRmT3_T4_T5_T6_T7_T9_mT8_P12ihipStream_tbDpT10_ENKUlT_T0_E_clISt17integral_constantIbLb1EES1A_IbLb0EEEEDaS16_S17_EUlS16_E_NS1_11comp_targetILNS1_3genE3ELNS1_11target_archE908ELNS1_3gpuE7ELNS1_3repE0EEENS1_30default_config_static_selectorELNS0_4arch9wavefront6targetE0EEEvT1_.numbered_sgpr, 0
	.set _ZN7rocprim17ROCPRIM_400000_NS6detail17trampoline_kernelINS0_14default_configENS1_25partition_config_selectorILNS1_17partition_subalgoE5ElNS0_10empty_typeEbEEZZNS1_14partition_implILS5_5ELb0ES3_mN6hipcub16HIPCUB_304000_NS21CountingInputIteratorIllEEPS6_NSA_22TransformInputIteratorIbN2at6native12_GLOBAL__N_19NonZeroOpIlEEPKllEENS0_5tupleIJPlS6_EEENSN_IJSD_SD_EEES6_PiJS6_EEE10hipError_tPvRmT3_T4_T5_T6_T7_T9_mT8_P12ihipStream_tbDpT10_ENKUlT_T0_E_clISt17integral_constantIbLb1EES1A_IbLb0EEEEDaS16_S17_EUlS16_E_NS1_11comp_targetILNS1_3genE3ELNS1_11target_archE908ELNS1_3gpuE7ELNS1_3repE0EEENS1_30default_config_static_selectorELNS0_4arch9wavefront6targetE0EEEvT1_.num_named_barrier, 0
	.set _ZN7rocprim17ROCPRIM_400000_NS6detail17trampoline_kernelINS0_14default_configENS1_25partition_config_selectorILNS1_17partition_subalgoE5ElNS0_10empty_typeEbEEZZNS1_14partition_implILS5_5ELb0ES3_mN6hipcub16HIPCUB_304000_NS21CountingInputIteratorIllEEPS6_NSA_22TransformInputIteratorIbN2at6native12_GLOBAL__N_19NonZeroOpIlEEPKllEENS0_5tupleIJPlS6_EEENSN_IJSD_SD_EEES6_PiJS6_EEE10hipError_tPvRmT3_T4_T5_T6_T7_T9_mT8_P12ihipStream_tbDpT10_ENKUlT_T0_E_clISt17integral_constantIbLb1EES1A_IbLb0EEEEDaS16_S17_EUlS16_E_NS1_11comp_targetILNS1_3genE3ELNS1_11target_archE908ELNS1_3gpuE7ELNS1_3repE0EEENS1_30default_config_static_selectorELNS0_4arch9wavefront6targetE0EEEvT1_.private_seg_size, 0
	.set _ZN7rocprim17ROCPRIM_400000_NS6detail17trampoline_kernelINS0_14default_configENS1_25partition_config_selectorILNS1_17partition_subalgoE5ElNS0_10empty_typeEbEEZZNS1_14partition_implILS5_5ELb0ES3_mN6hipcub16HIPCUB_304000_NS21CountingInputIteratorIllEEPS6_NSA_22TransformInputIteratorIbN2at6native12_GLOBAL__N_19NonZeroOpIlEEPKllEENS0_5tupleIJPlS6_EEENSN_IJSD_SD_EEES6_PiJS6_EEE10hipError_tPvRmT3_T4_T5_T6_T7_T9_mT8_P12ihipStream_tbDpT10_ENKUlT_T0_E_clISt17integral_constantIbLb1EES1A_IbLb0EEEEDaS16_S17_EUlS16_E_NS1_11comp_targetILNS1_3genE3ELNS1_11target_archE908ELNS1_3gpuE7ELNS1_3repE0EEENS1_30default_config_static_selectorELNS0_4arch9wavefront6targetE0EEEvT1_.uses_vcc, 0
	.set _ZN7rocprim17ROCPRIM_400000_NS6detail17trampoline_kernelINS0_14default_configENS1_25partition_config_selectorILNS1_17partition_subalgoE5ElNS0_10empty_typeEbEEZZNS1_14partition_implILS5_5ELb0ES3_mN6hipcub16HIPCUB_304000_NS21CountingInputIteratorIllEEPS6_NSA_22TransformInputIteratorIbN2at6native12_GLOBAL__N_19NonZeroOpIlEEPKllEENS0_5tupleIJPlS6_EEENSN_IJSD_SD_EEES6_PiJS6_EEE10hipError_tPvRmT3_T4_T5_T6_T7_T9_mT8_P12ihipStream_tbDpT10_ENKUlT_T0_E_clISt17integral_constantIbLb1EES1A_IbLb0EEEEDaS16_S17_EUlS16_E_NS1_11comp_targetILNS1_3genE3ELNS1_11target_archE908ELNS1_3gpuE7ELNS1_3repE0EEENS1_30default_config_static_selectorELNS0_4arch9wavefront6targetE0EEEvT1_.uses_flat_scratch, 0
	.set _ZN7rocprim17ROCPRIM_400000_NS6detail17trampoline_kernelINS0_14default_configENS1_25partition_config_selectorILNS1_17partition_subalgoE5ElNS0_10empty_typeEbEEZZNS1_14partition_implILS5_5ELb0ES3_mN6hipcub16HIPCUB_304000_NS21CountingInputIteratorIllEEPS6_NSA_22TransformInputIteratorIbN2at6native12_GLOBAL__N_19NonZeroOpIlEEPKllEENS0_5tupleIJPlS6_EEENSN_IJSD_SD_EEES6_PiJS6_EEE10hipError_tPvRmT3_T4_T5_T6_T7_T9_mT8_P12ihipStream_tbDpT10_ENKUlT_T0_E_clISt17integral_constantIbLb1EES1A_IbLb0EEEEDaS16_S17_EUlS16_E_NS1_11comp_targetILNS1_3genE3ELNS1_11target_archE908ELNS1_3gpuE7ELNS1_3repE0EEENS1_30default_config_static_selectorELNS0_4arch9wavefront6targetE0EEEvT1_.has_dyn_sized_stack, 0
	.set _ZN7rocprim17ROCPRIM_400000_NS6detail17trampoline_kernelINS0_14default_configENS1_25partition_config_selectorILNS1_17partition_subalgoE5ElNS0_10empty_typeEbEEZZNS1_14partition_implILS5_5ELb0ES3_mN6hipcub16HIPCUB_304000_NS21CountingInputIteratorIllEEPS6_NSA_22TransformInputIteratorIbN2at6native12_GLOBAL__N_19NonZeroOpIlEEPKllEENS0_5tupleIJPlS6_EEENSN_IJSD_SD_EEES6_PiJS6_EEE10hipError_tPvRmT3_T4_T5_T6_T7_T9_mT8_P12ihipStream_tbDpT10_ENKUlT_T0_E_clISt17integral_constantIbLb1EES1A_IbLb0EEEEDaS16_S17_EUlS16_E_NS1_11comp_targetILNS1_3genE3ELNS1_11target_archE908ELNS1_3gpuE7ELNS1_3repE0EEENS1_30default_config_static_selectorELNS0_4arch9wavefront6targetE0EEEvT1_.has_recursion, 0
	.set _ZN7rocprim17ROCPRIM_400000_NS6detail17trampoline_kernelINS0_14default_configENS1_25partition_config_selectorILNS1_17partition_subalgoE5ElNS0_10empty_typeEbEEZZNS1_14partition_implILS5_5ELb0ES3_mN6hipcub16HIPCUB_304000_NS21CountingInputIteratorIllEEPS6_NSA_22TransformInputIteratorIbN2at6native12_GLOBAL__N_19NonZeroOpIlEEPKllEENS0_5tupleIJPlS6_EEENSN_IJSD_SD_EEES6_PiJS6_EEE10hipError_tPvRmT3_T4_T5_T6_T7_T9_mT8_P12ihipStream_tbDpT10_ENKUlT_T0_E_clISt17integral_constantIbLb1EES1A_IbLb0EEEEDaS16_S17_EUlS16_E_NS1_11comp_targetILNS1_3genE3ELNS1_11target_archE908ELNS1_3gpuE7ELNS1_3repE0EEENS1_30default_config_static_selectorELNS0_4arch9wavefront6targetE0EEEvT1_.has_indirect_call, 0
	.section	.AMDGPU.csdata,"",@progbits
; Kernel info:
; codeLenInByte = 0
; TotalNumSgprs: 0
; NumVgprs: 0
; ScratchSize: 0
; MemoryBound: 0
; FloatMode: 240
; IeeeMode: 1
; LDSByteSize: 0 bytes/workgroup (compile time only)
; SGPRBlocks: 0
; VGPRBlocks: 0
; NumSGPRsForWavesPerEU: 1
; NumVGPRsForWavesPerEU: 1
; Occupancy: 16
; WaveLimiterHint : 0
; COMPUTE_PGM_RSRC2:SCRATCH_EN: 0
; COMPUTE_PGM_RSRC2:USER_SGPR: 2
; COMPUTE_PGM_RSRC2:TRAP_HANDLER: 0
; COMPUTE_PGM_RSRC2:TGID_X_EN: 1
; COMPUTE_PGM_RSRC2:TGID_Y_EN: 0
; COMPUTE_PGM_RSRC2:TGID_Z_EN: 0
; COMPUTE_PGM_RSRC2:TIDIG_COMP_CNT: 0
	.section	.text._ZN7rocprim17ROCPRIM_400000_NS6detail17trampoline_kernelINS0_14default_configENS1_25partition_config_selectorILNS1_17partition_subalgoE5ElNS0_10empty_typeEbEEZZNS1_14partition_implILS5_5ELb0ES3_mN6hipcub16HIPCUB_304000_NS21CountingInputIteratorIllEEPS6_NSA_22TransformInputIteratorIbN2at6native12_GLOBAL__N_19NonZeroOpIlEEPKllEENS0_5tupleIJPlS6_EEENSN_IJSD_SD_EEES6_PiJS6_EEE10hipError_tPvRmT3_T4_T5_T6_T7_T9_mT8_P12ihipStream_tbDpT10_ENKUlT_T0_E_clISt17integral_constantIbLb1EES1A_IbLb0EEEEDaS16_S17_EUlS16_E_NS1_11comp_targetILNS1_3genE2ELNS1_11target_archE906ELNS1_3gpuE6ELNS1_3repE0EEENS1_30default_config_static_selectorELNS0_4arch9wavefront6targetE0EEEvT1_,"axG",@progbits,_ZN7rocprim17ROCPRIM_400000_NS6detail17trampoline_kernelINS0_14default_configENS1_25partition_config_selectorILNS1_17partition_subalgoE5ElNS0_10empty_typeEbEEZZNS1_14partition_implILS5_5ELb0ES3_mN6hipcub16HIPCUB_304000_NS21CountingInputIteratorIllEEPS6_NSA_22TransformInputIteratorIbN2at6native12_GLOBAL__N_19NonZeroOpIlEEPKllEENS0_5tupleIJPlS6_EEENSN_IJSD_SD_EEES6_PiJS6_EEE10hipError_tPvRmT3_T4_T5_T6_T7_T9_mT8_P12ihipStream_tbDpT10_ENKUlT_T0_E_clISt17integral_constantIbLb1EES1A_IbLb0EEEEDaS16_S17_EUlS16_E_NS1_11comp_targetILNS1_3genE2ELNS1_11target_archE906ELNS1_3gpuE6ELNS1_3repE0EEENS1_30default_config_static_selectorELNS0_4arch9wavefront6targetE0EEEvT1_,comdat
	.globl	_ZN7rocprim17ROCPRIM_400000_NS6detail17trampoline_kernelINS0_14default_configENS1_25partition_config_selectorILNS1_17partition_subalgoE5ElNS0_10empty_typeEbEEZZNS1_14partition_implILS5_5ELb0ES3_mN6hipcub16HIPCUB_304000_NS21CountingInputIteratorIllEEPS6_NSA_22TransformInputIteratorIbN2at6native12_GLOBAL__N_19NonZeroOpIlEEPKllEENS0_5tupleIJPlS6_EEENSN_IJSD_SD_EEES6_PiJS6_EEE10hipError_tPvRmT3_T4_T5_T6_T7_T9_mT8_P12ihipStream_tbDpT10_ENKUlT_T0_E_clISt17integral_constantIbLb1EES1A_IbLb0EEEEDaS16_S17_EUlS16_E_NS1_11comp_targetILNS1_3genE2ELNS1_11target_archE906ELNS1_3gpuE6ELNS1_3repE0EEENS1_30default_config_static_selectorELNS0_4arch9wavefront6targetE0EEEvT1_ ; -- Begin function _ZN7rocprim17ROCPRIM_400000_NS6detail17trampoline_kernelINS0_14default_configENS1_25partition_config_selectorILNS1_17partition_subalgoE5ElNS0_10empty_typeEbEEZZNS1_14partition_implILS5_5ELb0ES3_mN6hipcub16HIPCUB_304000_NS21CountingInputIteratorIllEEPS6_NSA_22TransformInputIteratorIbN2at6native12_GLOBAL__N_19NonZeroOpIlEEPKllEENS0_5tupleIJPlS6_EEENSN_IJSD_SD_EEES6_PiJS6_EEE10hipError_tPvRmT3_T4_T5_T6_T7_T9_mT8_P12ihipStream_tbDpT10_ENKUlT_T0_E_clISt17integral_constantIbLb1EES1A_IbLb0EEEEDaS16_S17_EUlS16_E_NS1_11comp_targetILNS1_3genE2ELNS1_11target_archE906ELNS1_3gpuE6ELNS1_3repE0EEENS1_30default_config_static_selectorELNS0_4arch9wavefront6targetE0EEEvT1_
	.p2align	8
	.type	_ZN7rocprim17ROCPRIM_400000_NS6detail17trampoline_kernelINS0_14default_configENS1_25partition_config_selectorILNS1_17partition_subalgoE5ElNS0_10empty_typeEbEEZZNS1_14partition_implILS5_5ELb0ES3_mN6hipcub16HIPCUB_304000_NS21CountingInputIteratorIllEEPS6_NSA_22TransformInputIteratorIbN2at6native12_GLOBAL__N_19NonZeroOpIlEEPKllEENS0_5tupleIJPlS6_EEENSN_IJSD_SD_EEES6_PiJS6_EEE10hipError_tPvRmT3_T4_T5_T6_T7_T9_mT8_P12ihipStream_tbDpT10_ENKUlT_T0_E_clISt17integral_constantIbLb1EES1A_IbLb0EEEEDaS16_S17_EUlS16_E_NS1_11comp_targetILNS1_3genE2ELNS1_11target_archE906ELNS1_3gpuE6ELNS1_3repE0EEENS1_30default_config_static_selectorELNS0_4arch9wavefront6targetE0EEEvT1_,@function
_ZN7rocprim17ROCPRIM_400000_NS6detail17trampoline_kernelINS0_14default_configENS1_25partition_config_selectorILNS1_17partition_subalgoE5ElNS0_10empty_typeEbEEZZNS1_14partition_implILS5_5ELb0ES3_mN6hipcub16HIPCUB_304000_NS21CountingInputIteratorIllEEPS6_NSA_22TransformInputIteratorIbN2at6native12_GLOBAL__N_19NonZeroOpIlEEPKllEENS0_5tupleIJPlS6_EEENSN_IJSD_SD_EEES6_PiJS6_EEE10hipError_tPvRmT3_T4_T5_T6_T7_T9_mT8_P12ihipStream_tbDpT10_ENKUlT_T0_E_clISt17integral_constantIbLb1EES1A_IbLb0EEEEDaS16_S17_EUlS16_E_NS1_11comp_targetILNS1_3genE2ELNS1_11target_archE906ELNS1_3gpuE6ELNS1_3repE0EEENS1_30default_config_static_selectorELNS0_4arch9wavefront6targetE0EEEvT1_: ; @_ZN7rocprim17ROCPRIM_400000_NS6detail17trampoline_kernelINS0_14default_configENS1_25partition_config_selectorILNS1_17partition_subalgoE5ElNS0_10empty_typeEbEEZZNS1_14partition_implILS5_5ELb0ES3_mN6hipcub16HIPCUB_304000_NS21CountingInputIteratorIllEEPS6_NSA_22TransformInputIteratorIbN2at6native12_GLOBAL__N_19NonZeroOpIlEEPKllEENS0_5tupleIJPlS6_EEENSN_IJSD_SD_EEES6_PiJS6_EEE10hipError_tPvRmT3_T4_T5_T6_T7_T9_mT8_P12ihipStream_tbDpT10_ENKUlT_T0_E_clISt17integral_constantIbLb1EES1A_IbLb0EEEEDaS16_S17_EUlS16_E_NS1_11comp_targetILNS1_3genE2ELNS1_11target_archE906ELNS1_3gpuE6ELNS1_3repE0EEENS1_30default_config_static_selectorELNS0_4arch9wavefront6targetE0EEEvT1_
; %bb.0:
	.section	.rodata,"a",@progbits
	.p2align	6, 0x0
	.amdhsa_kernel _ZN7rocprim17ROCPRIM_400000_NS6detail17trampoline_kernelINS0_14default_configENS1_25partition_config_selectorILNS1_17partition_subalgoE5ElNS0_10empty_typeEbEEZZNS1_14partition_implILS5_5ELb0ES3_mN6hipcub16HIPCUB_304000_NS21CountingInputIteratorIllEEPS6_NSA_22TransformInputIteratorIbN2at6native12_GLOBAL__N_19NonZeroOpIlEEPKllEENS0_5tupleIJPlS6_EEENSN_IJSD_SD_EEES6_PiJS6_EEE10hipError_tPvRmT3_T4_T5_T6_T7_T9_mT8_P12ihipStream_tbDpT10_ENKUlT_T0_E_clISt17integral_constantIbLb1EES1A_IbLb0EEEEDaS16_S17_EUlS16_E_NS1_11comp_targetILNS1_3genE2ELNS1_11target_archE906ELNS1_3gpuE6ELNS1_3repE0EEENS1_30default_config_static_selectorELNS0_4arch9wavefront6targetE0EEEvT1_
		.amdhsa_group_segment_fixed_size 0
		.amdhsa_private_segment_fixed_size 0
		.amdhsa_kernarg_size 120
		.amdhsa_user_sgpr_count 2
		.amdhsa_user_sgpr_dispatch_ptr 0
		.amdhsa_user_sgpr_queue_ptr 0
		.amdhsa_user_sgpr_kernarg_segment_ptr 1
		.amdhsa_user_sgpr_dispatch_id 0
		.amdhsa_user_sgpr_private_segment_size 0
		.amdhsa_wavefront_size32 1
		.amdhsa_uses_dynamic_stack 0
		.amdhsa_enable_private_segment 0
		.amdhsa_system_sgpr_workgroup_id_x 1
		.amdhsa_system_sgpr_workgroup_id_y 0
		.amdhsa_system_sgpr_workgroup_id_z 0
		.amdhsa_system_sgpr_workgroup_info 0
		.amdhsa_system_vgpr_workitem_id 0
		.amdhsa_next_free_vgpr 1
		.amdhsa_next_free_sgpr 1
		.amdhsa_reserve_vcc 0
		.amdhsa_float_round_mode_32 0
		.amdhsa_float_round_mode_16_64 0
		.amdhsa_float_denorm_mode_32 3
		.amdhsa_float_denorm_mode_16_64 3
		.amdhsa_fp16_overflow 0
		.amdhsa_workgroup_processor_mode 1
		.amdhsa_memory_ordered 1
		.amdhsa_forward_progress 1
		.amdhsa_inst_pref_size 0
		.amdhsa_round_robin_scheduling 0
		.amdhsa_exception_fp_ieee_invalid_op 0
		.amdhsa_exception_fp_denorm_src 0
		.amdhsa_exception_fp_ieee_div_zero 0
		.amdhsa_exception_fp_ieee_overflow 0
		.amdhsa_exception_fp_ieee_underflow 0
		.amdhsa_exception_fp_ieee_inexact 0
		.amdhsa_exception_int_div_zero 0
	.end_amdhsa_kernel
	.section	.text._ZN7rocprim17ROCPRIM_400000_NS6detail17trampoline_kernelINS0_14default_configENS1_25partition_config_selectorILNS1_17partition_subalgoE5ElNS0_10empty_typeEbEEZZNS1_14partition_implILS5_5ELb0ES3_mN6hipcub16HIPCUB_304000_NS21CountingInputIteratorIllEEPS6_NSA_22TransformInputIteratorIbN2at6native12_GLOBAL__N_19NonZeroOpIlEEPKllEENS0_5tupleIJPlS6_EEENSN_IJSD_SD_EEES6_PiJS6_EEE10hipError_tPvRmT3_T4_T5_T6_T7_T9_mT8_P12ihipStream_tbDpT10_ENKUlT_T0_E_clISt17integral_constantIbLb1EES1A_IbLb0EEEEDaS16_S17_EUlS16_E_NS1_11comp_targetILNS1_3genE2ELNS1_11target_archE906ELNS1_3gpuE6ELNS1_3repE0EEENS1_30default_config_static_selectorELNS0_4arch9wavefront6targetE0EEEvT1_,"axG",@progbits,_ZN7rocprim17ROCPRIM_400000_NS6detail17trampoline_kernelINS0_14default_configENS1_25partition_config_selectorILNS1_17partition_subalgoE5ElNS0_10empty_typeEbEEZZNS1_14partition_implILS5_5ELb0ES3_mN6hipcub16HIPCUB_304000_NS21CountingInputIteratorIllEEPS6_NSA_22TransformInputIteratorIbN2at6native12_GLOBAL__N_19NonZeroOpIlEEPKllEENS0_5tupleIJPlS6_EEENSN_IJSD_SD_EEES6_PiJS6_EEE10hipError_tPvRmT3_T4_T5_T6_T7_T9_mT8_P12ihipStream_tbDpT10_ENKUlT_T0_E_clISt17integral_constantIbLb1EES1A_IbLb0EEEEDaS16_S17_EUlS16_E_NS1_11comp_targetILNS1_3genE2ELNS1_11target_archE906ELNS1_3gpuE6ELNS1_3repE0EEENS1_30default_config_static_selectorELNS0_4arch9wavefront6targetE0EEEvT1_,comdat
.Lfunc_end274:
	.size	_ZN7rocprim17ROCPRIM_400000_NS6detail17trampoline_kernelINS0_14default_configENS1_25partition_config_selectorILNS1_17partition_subalgoE5ElNS0_10empty_typeEbEEZZNS1_14partition_implILS5_5ELb0ES3_mN6hipcub16HIPCUB_304000_NS21CountingInputIteratorIllEEPS6_NSA_22TransformInputIteratorIbN2at6native12_GLOBAL__N_19NonZeroOpIlEEPKllEENS0_5tupleIJPlS6_EEENSN_IJSD_SD_EEES6_PiJS6_EEE10hipError_tPvRmT3_T4_T5_T6_T7_T9_mT8_P12ihipStream_tbDpT10_ENKUlT_T0_E_clISt17integral_constantIbLb1EES1A_IbLb0EEEEDaS16_S17_EUlS16_E_NS1_11comp_targetILNS1_3genE2ELNS1_11target_archE906ELNS1_3gpuE6ELNS1_3repE0EEENS1_30default_config_static_selectorELNS0_4arch9wavefront6targetE0EEEvT1_, .Lfunc_end274-_ZN7rocprim17ROCPRIM_400000_NS6detail17trampoline_kernelINS0_14default_configENS1_25partition_config_selectorILNS1_17partition_subalgoE5ElNS0_10empty_typeEbEEZZNS1_14partition_implILS5_5ELb0ES3_mN6hipcub16HIPCUB_304000_NS21CountingInputIteratorIllEEPS6_NSA_22TransformInputIteratorIbN2at6native12_GLOBAL__N_19NonZeroOpIlEEPKllEENS0_5tupleIJPlS6_EEENSN_IJSD_SD_EEES6_PiJS6_EEE10hipError_tPvRmT3_T4_T5_T6_T7_T9_mT8_P12ihipStream_tbDpT10_ENKUlT_T0_E_clISt17integral_constantIbLb1EES1A_IbLb0EEEEDaS16_S17_EUlS16_E_NS1_11comp_targetILNS1_3genE2ELNS1_11target_archE906ELNS1_3gpuE6ELNS1_3repE0EEENS1_30default_config_static_selectorELNS0_4arch9wavefront6targetE0EEEvT1_
                                        ; -- End function
	.set _ZN7rocprim17ROCPRIM_400000_NS6detail17trampoline_kernelINS0_14default_configENS1_25partition_config_selectorILNS1_17partition_subalgoE5ElNS0_10empty_typeEbEEZZNS1_14partition_implILS5_5ELb0ES3_mN6hipcub16HIPCUB_304000_NS21CountingInputIteratorIllEEPS6_NSA_22TransformInputIteratorIbN2at6native12_GLOBAL__N_19NonZeroOpIlEEPKllEENS0_5tupleIJPlS6_EEENSN_IJSD_SD_EEES6_PiJS6_EEE10hipError_tPvRmT3_T4_T5_T6_T7_T9_mT8_P12ihipStream_tbDpT10_ENKUlT_T0_E_clISt17integral_constantIbLb1EES1A_IbLb0EEEEDaS16_S17_EUlS16_E_NS1_11comp_targetILNS1_3genE2ELNS1_11target_archE906ELNS1_3gpuE6ELNS1_3repE0EEENS1_30default_config_static_selectorELNS0_4arch9wavefront6targetE0EEEvT1_.num_vgpr, 0
	.set _ZN7rocprim17ROCPRIM_400000_NS6detail17trampoline_kernelINS0_14default_configENS1_25partition_config_selectorILNS1_17partition_subalgoE5ElNS0_10empty_typeEbEEZZNS1_14partition_implILS5_5ELb0ES3_mN6hipcub16HIPCUB_304000_NS21CountingInputIteratorIllEEPS6_NSA_22TransformInputIteratorIbN2at6native12_GLOBAL__N_19NonZeroOpIlEEPKllEENS0_5tupleIJPlS6_EEENSN_IJSD_SD_EEES6_PiJS6_EEE10hipError_tPvRmT3_T4_T5_T6_T7_T9_mT8_P12ihipStream_tbDpT10_ENKUlT_T0_E_clISt17integral_constantIbLb1EES1A_IbLb0EEEEDaS16_S17_EUlS16_E_NS1_11comp_targetILNS1_3genE2ELNS1_11target_archE906ELNS1_3gpuE6ELNS1_3repE0EEENS1_30default_config_static_selectorELNS0_4arch9wavefront6targetE0EEEvT1_.num_agpr, 0
	.set _ZN7rocprim17ROCPRIM_400000_NS6detail17trampoline_kernelINS0_14default_configENS1_25partition_config_selectorILNS1_17partition_subalgoE5ElNS0_10empty_typeEbEEZZNS1_14partition_implILS5_5ELb0ES3_mN6hipcub16HIPCUB_304000_NS21CountingInputIteratorIllEEPS6_NSA_22TransformInputIteratorIbN2at6native12_GLOBAL__N_19NonZeroOpIlEEPKllEENS0_5tupleIJPlS6_EEENSN_IJSD_SD_EEES6_PiJS6_EEE10hipError_tPvRmT3_T4_T5_T6_T7_T9_mT8_P12ihipStream_tbDpT10_ENKUlT_T0_E_clISt17integral_constantIbLb1EES1A_IbLb0EEEEDaS16_S17_EUlS16_E_NS1_11comp_targetILNS1_3genE2ELNS1_11target_archE906ELNS1_3gpuE6ELNS1_3repE0EEENS1_30default_config_static_selectorELNS0_4arch9wavefront6targetE0EEEvT1_.numbered_sgpr, 0
	.set _ZN7rocprim17ROCPRIM_400000_NS6detail17trampoline_kernelINS0_14default_configENS1_25partition_config_selectorILNS1_17partition_subalgoE5ElNS0_10empty_typeEbEEZZNS1_14partition_implILS5_5ELb0ES3_mN6hipcub16HIPCUB_304000_NS21CountingInputIteratorIllEEPS6_NSA_22TransformInputIteratorIbN2at6native12_GLOBAL__N_19NonZeroOpIlEEPKllEENS0_5tupleIJPlS6_EEENSN_IJSD_SD_EEES6_PiJS6_EEE10hipError_tPvRmT3_T4_T5_T6_T7_T9_mT8_P12ihipStream_tbDpT10_ENKUlT_T0_E_clISt17integral_constantIbLb1EES1A_IbLb0EEEEDaS16_S17_EUlS16_E_NS1_11comp_targetILNS1_3genE2ELNS1_11target_archE906ELNS1_3gpuE6ELNS1_3repE0EEENS1_30default_config_static_selectorELNS0_4arch9wavefront6targetE0EEEvT1_.num_named_barrier, 0
	.set _ZN7rocprim17ROCPRIM_400000_NS6detail17trampoline_kernelINS0_14default_configENS1_25partition_config_selectorILNS1_17partition_subalgoE5ElNS0_10empty_typeEbEEZZNS1_14partition_implILS5_5ELb0ES3_mN6hipcub16HIPCUB_304000_NS21CountingInputIteratorIllEEPS6_NSA_22TransformInputIteratorIbN2at6native12_GLOBAL__N_19NonZeroOpIlEEPKllEENS0_5tupleIJPlS6_EEENSN_IJSD_SD_EEES6_PiJS6_EEE10hipError_tPvRmT3_T4_T5_T6_T7_T9_mT8_P12ihipStream_tbDpT10_ENKUlT_T0_E_clISt17integral_constantIbLb1EES1A_IbLb0EEEEDaS16_S17_EUlS16_E_NS1_11comp_targetILNS1_3genE2ELNS1_11target_archE906ELNS1_3gpuE6ELNS1_3repE0EEENS1_30default_config_static_selectorELNS0_4arch9wavefront6targetE0EEEvT1_.private_seg_size, 0
	.set _ZN7rocprim17ROCPRIM_400000_NS6detail17trampoline_kernelINS0_14default_configENS1_25partition_config_selectorILNS1_17partition_subalgoE5ElNS0_10empty_typeEbEEZZNS1_14partition_implILS5_5ELb0ES3_mN6hipcub16HIPCUB_304000_NS21CountingInputIteratorIllEEPS6_NSA_22TransformInputIteratorIbN2at6native12_GLOBAL__N_19NonZeroOpIlEEPKllEENS0_5tupleIJPlS6_EEENSN_IJSD_SD_EEES6_PiJS6_EEE10hipError_tPvRmT3_T4_T5_T6_T7_T9_mT8_P12ihipStream_tbDpT10_ENKUlT_T0_E_clISt17integral_constantIbLb1EES1A_IbLb0EEEEDaS16_S17_EUlS16_E_NS1_11comp_targetILNS1_3genE2ELNS1_11target_archE906ELNS1_3gpuE6ELNS1_3repE0EEENS1_30default_config_static_selectorELNS0_4arch9wavefront6targetE0EEEvT1_.uses_vcc, 0
	.set _ZN7rocprim17ROCPRIM_400000_NS6detail17trampoline_kernelINS0_14default_configENS1_25partition_config_selectorILNS1_17partition_subalgoE5ElNS0_10empty_typeEbEEZZNS1_14partition_implILS5_5ELb0ES3_mN6hipcub16HIPCUB_304000_NS21CountingInputIteratorIllEEPS6_NSA_22TransformInputIteratorIbN2at6native12_GLOBAL__N_19NonZeroOpIlEEPKllEENS0_5tupleIJPlS6_EEENSN_IJSD_SD_EEES6_PiJS6_EEE10hipError_tPvRmT3_T4_T5_T6_T7_T9_mT8_P12ihipStream_tbDpT10_ENKUlT_T0_E_clISt17integral_constantIbLb1EES1A_IbLb0EEEEDaS16_S17_EUlS16_E_NS1_11comp_targetILNS1_3genE2ELNS1_11target_archE906ELNS1_3gpuE6ELNS1_3repE0EEENS1_30default_config_static_selectorELNS0_4arch9wavefront6targetE0EEEvT1_.uses_flat_scratch, 0
	.set _ZN7rocprim17ROCPRIM_400000_NS6detail17trampoline_kernelINS0_14default_configENS1_25partition_config_selectorILNS1_17partition_subalgoE5ElNS0_10empty_typeEbEEZZNS1_14partition_implILS5_5ELb0ES3_mN6hipcub16HIPCUB_304000_NS21CountingInputIteratorIllEEPS6_NSA_22TransformInputIteratorIbN2at6native12_GLOBAL__N_19NonZeroOpIlEEPKllEENS0_5tupleIJPlS6_EEENSN_IJSD_SD_EEES6_PiJS6_EEE10hipError_tPvRmT3_T4_T5_T6_T7_T9_mT8_P12ihipStream_tbDpT10_ENKUlT_T0_E_clISt17integral_constantIbLb1EES1A_IbLb0EEEEDaS16_S17_EUlS16_E_NS1_11comp_targetILNS1_3genE2ELNS1_11target_archE906ELNS1_3gpuE6ELNS1_3repE0EEENS1_30default_config_static_selectorELNS0_4arch9wavefront6targetE0EEEvT1_.has_dyn_sized_stack, 0
	.set _ZN7rocprim17ROCPRIM_400000_NS6detail17trampoline_kernelINS0_14default_configENS1_25partition_config_selectorILNS1_17partition_subalgoE5ElNS0_10empty_typeEbEEZZNS1_14partition_implILS5_5ELb0ES3_mN6hipcub16HIPCUB_304000_NS21CountingInputIteratorIllEEPS6_NSA_22TransformInputIteratorIbN2at6native12_GLOBAL__N_19NonZeroOpIlEEPKllEENS0_5tupleIJPlS6_EEENSN_IJSD_SD_EEES6_PiJS6_EEE10hipError_tPvRmT3_T4_T5_T6_T7_T9_mT8_P12ihipStream_tbDpT10_ENKUlT_T0_E_clISt17integral_constantIbLb1EES1A_IbLb0EEEEDaS16_S17_EUlS16_E_NS1_11comp_targetILNS1_3genE2ELNS1_11target_archE906ELNS1_3gpuE6ELNS1_3repE0EEENS1_30default_config_static_selectorELNS0_4arch9wavefront6targetE0EEEvT1_.has_recursion, 0
	.set _ZN7rocprim17ROCPRIM_400000_NS6detail17trampoline_kernelINS0_14default_configENS1_25partition_config_selectorILNS1_17partition_subalgoE5ElNS0_10empty_typeEbEEZZNS1_14partition_implILS5_5ELb0ES3_mN6hipcub16HIPCUB_304000_NS21CountingInputIteratorIllEEPS6_NSA_22TransformInputIteratorIbN2at6native12_GLOBAL__N_19NonZeroOpIlEEPKllEENS0_5tupleIJPlS6_EEENSN_IJSD_SD_EEES6_PiJS6_EEE10hipError_tPvRmT3_T4_T5_T6_T7_T9_mT8_P12ihipStream_tbDpT10_ENKUlT_T0_E_clISt17integral_constantIbLb1EES1A_IbLb0EEEEDaS16_S17_EUlS16_E_NS1_11comp_targetILNS1_3genE2ELNS1_11target_archE906ELNS1_3gpuE6ELNS1_3repE0EEENS1_30default_config_static_selectorELNS0_4arch9wavefront6targetE0EEEvT1_.has_indirect_call, 0
	.section	.AMDGPU.csdata,"",@progbits
; Kernel info:
; codeLenInByte = 0
; TotalNumSgprs: 0
; NumVgprs: 0
; ScratchSize: 0
; MemoryBound: 0
; FloatMode: 240
; IeeeMode: 1
; LDSByteSize: 0 bytes/workgroup (compile time only)
; SGPRBlocks: 0
; VGPRBlocks: 0
; NumSGPRsForWavesPerEU: 1
; NumVGPRsForWavesPerEU: 1
; Occupancy: 16
; WaveLimiterHint : 0
; COMPUTE_PGM_RSRC2:SCRATCH_EN: 0
; COMPUTE_PGM_RSRC2:USER_SGPR: 2
; COMPUTE_PGM_RSRC2:TRAP_HANDLER: 0
; COMPUTE_PGM_RSRC2:TGID_X_EN: 1
; COMPUTE_PGM_RSRC2:TGID_Y_EN: 0
; COMPUTE_PGM_RSRC2:TGID_Z_EN: 0
; COMPUTE_PGM_RSRC2:TIDIG_COMP_CNT: 0
	.section	.text._ZN7rocprim17ROCPRIM_400000_NS6detail17trampoline_kernelINS0_14default_configENS1_25partition_config_selectorILNS1_17partition_subalgoE5ElNS0_10empty_typeEbEEZZNS1_14partition_implILS5_5ELb0ES3_mN6hipcub16HIPCUB_304000_NS21CountingInputIteratorIllEEPS6_NSA_22TransformInputIteratorIbN2at6native12_GLOBAL__N_19NonZeroOpIlEEPKllEENS0_5tupleIJPlS6_EEENSN_IJSD_SD_EEES6_PiJS6_EEE10hipError_tPvRmT3_T4_T5_T6_T7_T9_mT8_P12ihipStream_tbDpT10_ENKUlT_T0_E_clISt17integral_constantIbLb1EES1A_IbLb0EEEEDaS16_S17_EUlS16_E_NS1_11comp_targetILNS1_3genE10ELNS1_11target_archE1200ELNS1_3gpuE4ELNS1_3repE0EEENS1_30default_config_static_selectorELNS0_4arch9wavefront6targetE0EEEvT1_,"axG",@progbits,_ZN7rocprim17ROCPRIM_400000_NS6detail17trampoline_kernelINS0_14default_configENS1_25partition_config_selectorILNS1_17partition_subalgoE5ElNS0_10empty_typeEbEEZZNS1_14partition_implILS5_5ELb0ES3_mN6hipcub16HIPCUB_304000_NS21CountingInputIteratorIllEEPS6_NSA_22TransformInputIteratorIbN2at6native12_GLOBAL__N_19NonZeroOpIlEEPKllEENS0_5tupleIJPlS6_EEENSN_IJSD_SD_EEES6_PiJS6_EEE10hipError_tPvRmT3_T4_T5_T6_T7_T9_mT8_P12ihipStream_tbDpT10_ENKUlT_T0_E_clISt17integral_constantIbLb1EES1A_IbLb0EEEEDaS16_S17_EUlS16_E_NS1_11comp_targetILNS1_3genE10ELNS1_11target_archE1200ELNS1_3gpuE4ELNS1_3repE0EEENS1_30default_config_static_selectorELNS0_4arch9wavefront6targetE0EEEvT1_,comdat
	.globl	_ZN7rocprim17ROCPRIM_400000_NS6detail17trampoline_kernelINS0_14default_configENS1_25partition_config_selectorILNS1_17partition_subalgoE5ElNS0_10empty_typeEbEEZZNS1_14partition_implILS5_5ELb0ES3_mN6hipcub16HIPCUB_304000_NS21CountingInputIteratorIllEEPS6_NSA_22TransformInputIteratorIbN2at6native12_GLOBAL__N_19NonZeroOpIlEEPKllEENS0_5tupleIJPlS6_EEENSN_IJSD_SD_EEES6_PiJS6_EEE10hipError_tPvRmT3_T4_T5_T6_T7_T9_mT8_P12ihipStream_tbDpT10_ENKUlT_T0_E_clISt17integral_constantIbLb1EES1A_IbLb0EEEEDaS16_S17_EUlS16_E_NS1_11comp_targetILNS1_3genE10ELNS1_11target_archE1200ELNS1_3gpuE4ELNS1_3repE0EEENS1_30default_config_static_selectorELNS0_4arch9wavefront6targetE0EEEvT1_ ; -- Begin function _ZN7rocprim17ROCPRIM_400000_NS6detail17trampoline_kernelINS0_14default_configENS1_25partition_config_selectorILNS1_17partition_subalgoE5ElNS0_10empty_typeEbEEZZNS1_14partition_implILS5_5ELb0ES3_mN6hipcub16HIPCUB_304000_NS21CountingInputIteratorIllEEPS6_NSA_22TransformInputIteratorIbN2at6native12_GLOBAL__N_19NonZeroOpIlEEPKllEENS0_5tupleIJPlS6_EEENSN_IJSD_SD_EEES6_PiJS6_EEE10hipError_tPvRmT3_T4_T5_T6_T7_T9_mT8_P12ihipStream_tbDpT10_ENKUlT_T0_E_clISt17integral_constantIbLb1EES1A_IbLb0EEEEDaS16_S17_EUlS16_E_NS1_11comp_targetILNS1_3genE10ELNS1_11target_archE1200ELNS1_3gpuE4ELNS1_3repE0EEENS1_30default_config_static_selectorELNS0_4arch9wavefront6targetE0EEEvT1_
	.p2align	8
	.type	_ZN7rocprim17ROCPRIM_400000_NS6detail17trampoline_kernelINS0_14default_configENS1_25partition_config_selectorILNS1_17partition_subalgoE5ElNS0_10empty_typeEbEEZZNS1_14partition_implILS5_5ELb0ES3_mN6hipcub16HIPCUB_304000_NS21CountingInputIteratorIllEEPS6_NSA_22TransformInputIteratorIbN2at6native12_GLOBAL__N_19NonZeroOpIlEEPKllEENS0_5tupleIJPlS6_EEENSN_IJSD_SD_EEES6_PiJS6_EEE10hipError_tPvRmT3_T4_T5_T6_T7_T9_mT8_P12ihipStream_tbDpT10_ENKUlT_T0_E_clISt17integral_constantIbLb1EES1A_IbLb0EEEEDaS16_S17_EUlS16_E_NS1_11comp_targetILNS1_3genE10ELNS1_11target_archE1200ELNS1_3gpuE4ELNS1_3repE0EEENS1_30default_config_static_selectorELNS0_4arch9wavefront6targetE0EEEvT1_,@function
_ZN7rocprim17ROCPRIM_400000_NS6detail17trampoline_kernelINS0_14default_configENS1_25partition_config_selectorILNS1_17partition_subalgoE5ElNS0_10empty_typeEbEEZZNS1_14partition_implILS5_5ELb0ES3_mN6hipcub16HIPCUB_304000_NS21CountingInputIteratorIllEEPS6_NSA_22TransformInputIteratorIbN2at6native12_GLOBAL__N_19NonZeroOpIlEEPKllEENS0_5tupleIJPlS6_EEENSN_IJSD_SD_EEES6_PiJS6_EEE10hipError_tPvRmT3_T4_T5_T6_T7_T9_mT8_P12ihipStream_tbDpT10_ENKUlT_T0_E_clISt17integral_constantIbLb1EES1A_IbLb0EEEEDaS16_S17_EUlS16_E_NS1_11comp_targetILNS1_3genE10ELNS1_11target_archE1200ELNS1_3gpuE4ELNS1_3repE0EEENS1_30default_config_static_selectorELNS0_4arch9wavefront6targetE0EEEvT1_: ; @_ZN7rocprim17ROCPRIM_400000_NS6detail17trampoline_kernelINS0_14default_configENS1_25partition_config_selectorILNS1_17partition_subalgoE5ElNS0_10empty_typeEbEEZZNS1_14partition_implILS5_5ELb0ES3_mN6hipcub16HIPCUB_304000_NS21CountingInputIteratorIllEEPS6_NSA_22TransformInputIteratorIbN2at6native12_GLOBAL__N_19NonZeroOpIlEEPKllEENS0_5tupleIJPlS6_EEENSN_IJSD_SD_EEES6_PiJS6_EEE10hipError_tPvRmT3_T4_T5_T6_T7_T9_mT8_P12ihipStream_tbDpT10_ENKUlT_T0_E_clISt17integral_constantIbLb1EES1A_IbLb0EEEEDaS16_S17_EUlS16_E_NS1_11comp_targetILNS1_3genE10ELNS1_11target_archE1200ELNS1_3gpuE4ELNS1_3repE0EEENS1_30default_config_static_selectorELNS0_4arch9wavefront6targetE0EEEvT1_
; %bb.0:
	s_endpgm
	.section	.rodata,"a",@progbits
	.p2align	6, 0x0
	.amdhsa_kernel _ZN7rocprim17ROCPRIM_400000_NS6detail17trampoline_kernelINS0_14default_configENS1_25partition_config_selectorILNS1_17partition_subalgoE5ElNS0_10empty_typeEbEEZZNS1_14partition_implILS5_5ELb0ES3_mN6hipcub16HIPCUB_304000_NS21CountingInputIteratorIllEEPS6_NSA_22TransformInputIteratorIbN2at6native12_GLOBAL__N_19NonZeroOpIlEEPKllEENS0_5tupleIJPlS6_EEENSN_IJSD_SD_EEES6_PiJS6_EEE10hipError_tPvRmT3_T4_T5_T6_T7_T9_mT8_P12ihipStream_tbDpT10_ENKUlT_T0_E_clISt17integral_constantIbLb1EES1A_IbLb0EEEEDaS16_S17_EUlS16_E_NS1_11comp_targetILNS1_3genE10ELNS1_11target_archE1200ELNS1_3gpuE4ELNS1_3repE0EEENS1_30default_config_static_selectorELNS0_4arch9wavefront6targetE0EEEvT1_
		.amdhsa_group_segment_fixed_size 0
		.amdhsa_private_segment_fixed_size 0
		.amdhsa_kernarg_size 120
		.amdhsa_user_sgpr_count 2
		.amdhsa_user_sgpr_dispatch_ptr 0
		.amdhsa_user_sgpr_queue_ptr 0
		.amdhsa_user_sgpr_kernarg_segment_ptr 1
		.amdhsa_user_sgpr_dispatch_id 0
		.amdhsa_user_sgpr_private_segment_size 0
		.amdhsa_wavefront_size32 1
		.amdhsa_uses_dynamic_stack 0
		.amdhsa_enable_private_segment 0
		.amdhsa_system_sgpr_workgroup_id_x 1
		.amdhsa_system_sgpr_workgroup_id_y 0
		.amdhsa_system_sgpr_workgroup_id_z 0
		.amdhsa_system_sgpr_workgroup_info 0
		.amdhsa_system_vgpr_workitem_id 0
		.amdhsa_next_free_vgpr 1
		.amdhsa_next_free_sgpr 1
		.amdhsa_reserve_vcc 0
		.amdhsa_float_round_mode_32 0
		.amdhsa_float_round_mode_16_64 0
		.amdhsa_float_denorm_mode_32 3
		.amdhsa_float_denorm_mode_16_64 3
		.amdhsa_fp16_overflow 0
		.amdhsa_workgroup_processor_mode 1
		.amdhsa_memory_ordered 1
		.amdhsa_forward_progress 1
		.amdhsa_inst_pref_size 1
		.amdhsa_round_robin_scheduling 0
		.amdhsa_exception_fp_ieee_invalid_op 0
		.amdhsa_exception_fp_denorm_src 0
		.amdhsa_exception_fp_ieee_div_zero 0
		.amdhsa_exception_fp_ieee_overflow 0
		.amdhsa_exception_fp_ieee_underflow 0
		.amdhsa_exception_fp_ieee_inexact 0
		.amdhsa_exception_int_div_zero 0
	.end_amdhsa_kernel
	.section	.text._ZN7rocprim17ROCPRIM_400000_NS6detail17trampoline_kernelINS0_14default_configENS1_25partition_config_selectorILNS1_17partition_subalgoE5ElNS0_10empty_typeEbEEZZNS1_14partition_implILS5_5ELb0ES3_mN6hipcub16HIPCUB_304000_NS21CountingInputIteratorIllEEPS6_NSA_22TransformInputIteratorIbN2at6native12_GLOBAL__N_19NonZeroOpIlEEPKllEENS0_5tupleIJPlS6_EEENSN_IJSD_SD_EEES6_PiJS6_EEE10hipError_tPvRmT3_T4_T5_T6_T7_T9_mT8_P12ihipStream_tbDpT10_ENKUlT_T0_E_clISt17integral_constantIbLb1EES1A_IbLb0EEEEDaS16_S17_EUlS16_E_NS1_11comp_targetILNS1_3genE10ELNS1_11target_archE1200ELNS1_3gpuE4ELNS1_3repE0EEENS1_30default_config_static_selectorELNS0_4arch9wavefront6targetE0EEEvT1_,"axG",@progbits,_ZN7rocprim17ROCPRIM_400000_NS6detail17trampoline_kernelINS0_14default_configENS1_25partition_config_selectorILNS1_17partition_subalgoE5ElNS0_10empty_typeEbEEZZNS1_14partition_implILS5_5ELb0ES3_mN6hipcub16HIPCUB_304000_NS21CountingInputIteratorIllEEPS6_NSA_22TransformInputIteratorIbN2at6native12_GLOBAL__N_19NonZeroOpIlEEPKllEENS0_5tupleIJPlS6_EEENSN_IJSD_SD_EEES6_PiJS6_EEE10hipError_tPvRmT3_T4_T5_T6_T7_T9_mT8_P12ihipStream_tbDpT10_ENKUlT_T0_E_clISt17integral_constantIbLb1EES1A_IbLb0EEEEDaS16_S17_EUlS16_E_NS1_11comp_targetILNS1_3genE10ELNS1_11target_archE1200ELNS1_3gpuE4ELNS1_3repE0EEENS1_30default_config_static_selectorELNS0_4arch9wavefront6targetE0EEEvT1_,comdat
.Lfunc_end275:
	.size	_ZN7rocprim17ROCPRIM_400000_NS6detail17trampoline_kernelINS0_14default_configENS1_25partition_config_selectorILNS1_17partition_subalgoE5ElNS0_10empty_typeEbEEZZNS1_14partition_implILS5_5ELb0ES3_mN6hipcub16HIPCUB_304000_NS21CountingInputIteratorIllEEPS6_NSA_22TransformInputIteratorIbN2at6native12_GLOBAL__N_19NonZeroOpIlEEPKllEENS0_5tupleIJPlS6_EEENSN_IJSD_SD_EEES6_PiJS6_EEE10hipError_tPvRmT3_T4_T5_T6_T7_T9_mT8_P12ihipStream_tbDpT10_ENKUlT_T0_E_clISt17integral_constantIbLb1EES1A_IbLb0EEEEDaS16_S17_EUlS16_E_NS1_11comp_targetILNS1_3genE10ELNS1_11target_archE1200ELNS1_3gpuE4ELNS1_3repE0EEENS1_30default_config_static_selectorELNS0_4arch9wavefront6targetE0EEEvT1_, .Lfunc_end275-_ZN7rocprim17ROCPRIM_400000_NS6detail17trampoline_kernelINS0_14default_configENS1_25partition_config_selectorILNS1_17partition_subalgoE5ElNS0_10empty_typeEbEEZZNS1_14partition_implILS5_5ELb0ES3_mN6hipcub16HIPCUB_304000_NS21CountingInputIteratorIllEEPS6_NSA_22TransformInputIteratorIbN2at6native12_GLOBAL__N_19NonZeroOpIlEEPKllEENS0_5tupleIJPlS6_EEENSN_IJSD_SD_EEES6_PiJS6_EEE10hipError_tPvRmT3_T4_T5_T6_T7_T9_mT8_P12ihipStream_tbDpT10_ENKUlT_T0_E_clISt17integral_constantIbLb1EES1A_IbLb0EEEEDaS16_S17_EUlS16_E_NS1_11comp_targetILNS1_3genE10ELNS1_11target_archE1200ELNS1_3gpuE4ELNS1_3repE0EEENS1_30default_config_static_selectorELNS0_4arch9wavefront6targetE0EEEvT1_
                                        ; -- End function
	.set _ZN7rocprim17ROCPRIM_400000_NS6detail17trampoline_kernelINS0_14default_configENS1_25partition_config_selectorILNS1_17partition_subalgoE5ElNS0_10empty_typeEbEEZZNS1_14partition_implILS5_5ELb0ES3_mN6hipcub16HIPCUB_304000_NS21CountingInputIteratorIllEEPS6_NSA_22TransformInputIteratorIbN2at6native12_GLOBAL__N_19NonZeroOpIlEEPKllEENS0_5tupleIJPlS6_EEENSN_IJSD_SD_EEES6_PiJS6_EEE10hipError_tPvRmT3_T4_T5_T6_T7_T9_mT8_P12ihipStream_tbDpT10_ENKUlT_T0_E_clISt17integral_constantIbLb1EES1A_IbLb0EEEEDaS16_S17_EUlS16_E_NS1_11comp_targetILNS1_3genE10ELNS1_11target_archE1200ELNS1_3gpuE4ELNS1_3repE0EEENS1_30default_config_static_selectorELNS0_4arch9wavefront6targetE0EEEvT1_.num_vgpr, 0
	.set _ZN7rocprim17ROCPRIM_400000_NS6detail17trampoline_kernelINS0_14default_configENS1_25partition_config_selectorILNS1_17partition_subalgoE5ElNS0_10empty_typeEbEEZZNS1_14partition_implILS5_5ELb0ES3_mN6hipcub16HIPCUB_304000_NS21CountingInputIteratorIllEEPS6_NSA_22TransformInputIteratorIbN2at6native12_GLOBAL__N_19NonZeroOpIlEEPKllEENS0_5tupleIJPlS6_EEENSN_IJSD_SD_EEES6_PiJS6_EEE10hipError_tPvRmT3_T4_T5_T6_T7_T9_mT8_P12ihipStream_tbDpT10_ENKUlT_T0_E_clISt17integral_constantIbLb1EES1A_IbLb0EEEEDaS16_S17_EUlS16_E_NS1_11comp_targetILNS1_3genE10ELNS1_11target_archE1200ELNS1_3gpuE4ELNS1_3repE0EEENS1_30default_config_static_selectorELNS0_4arch9wavefront6targetE0EEEvT1_.num_agpr, 0
	.set _ZN7rocprim17ROCPRIM_400000_NS6detail17trampoline_kernelINS0_14default_configENS1_25partition_config_selectorILNS1_17partition_subalgoE5ElNS0_10empty_typeEbEEZZNS1_14partition_implILS5_5ELb0ES3_mN6hipcub16HIPCUB_304000_NS21CountingInputIteratorIllEEPS6_NSA_22TransformInputIteratorIbN2at6native12_GLOBAL__N_19NonZeroOpIlEEPKllEENS0_5tupleIJPlS6_EEENSN_IJSD_SD_EEES6_PiJS6_EEE10hipError_tPvRmT3_T4_T5_T6_T7_T9_mT8_P12ihipStream_tbDpT10_ENKUlT_T0_E_clISt17integral_constantIbLb1EES1A_IbLb0EEEEDaS16_S17_EUlS16_E_NS1_11comp_targetILNS1_3genE10ELNS1_11target_archE1200ELNS1_3gpuE4ELNS1_3repE0EEENS1_30default_config_static_selectorELNS0_4arch9wavefront6targetE0EEEvT1_.numbered_sgpr, 0
	.set _ZN7rocprim17ROCPRIM_400000_NS6detail17trampoline_kernelINS0_14default_configENS1_25partition_config_selectorILNS1_17partition_subalgoE5ElNS0_10empty_typeEbEEZZNS1_14partition_implILS5_5ELb0ES3_mN6hipcub16HIPCUB_304000_NS21CountingInputIteratorIllEEPS6_NSA_22TransformInputIteratorIbN2at6native12_GLOBAL__N_19NonZeroOpIlEEPKllEENS0_5tupleIJPlS6_EEENSN_IJSD_SD_EEES6_PiJS6_EEE10hipError_tPvRmT3_T4_T5_T6_T7_T9_mT8_P12ihipStream_tbDpT10_ENKUlT_T0_E_clISt17integral_constantIbLb1EES1A_IbLb0EEEEDaS16_S17_EUlS16_E_NS1_11comp_targetILNS1_3genE10ELNS1_11target_archE1200ELNS1_3gpuE4ELNS1_3repE0EEENS1_30default_config_static_selectorELNS0_4arch9wavefront6targetE0EEEvT1_.num_named_barrier, 0
	.set _ZN7rocprim17ROCPRIM_400000_NS6detail17trampoline_kernelINS0_14default_configENS1_25partition_config_selectorILNS1_17partition_subalgoE5ElNS0_10empty_typeEbEEZZNS1_14partition_implILS5_5ELb0ES3_mN6hipcub16HIPCUB_304000_NS21CountingInputIteratorIllEEPS6_NSA_22TransformInputIteratorIbN2at6native12_GLOBAL__N_19NonZeroOpIlEEPKllEENS0_5tupleIJPlS6_EEENSN_IJSD_SD_EEES6_PiJS6_EEE10hipError_tPvRmT3_T4_T5_T6_T7_T9_mT8_P12ihipStream_tbDpT10_ENKUlT_T0_E_clISt17integral_constantIbLb1EES1A_IbLb0EEEEDaS16_S17_EUlS16_E_NS1_11comp_targetILNS1_3genE10ELNS1_11target_archE1200ELNS1_3gpuE4ELNS1_3repE0EEENS1_30default_config_static_selectorELNS0_4arch9wavefront6targetE0EEEvT1_.private_seg_size, 0
	.set _ZN7rocprim17ROCPRIM_400000_NS6detail17trampoline_kernelINS0_14default_configENS1_25partition_config_selectorILNS1_17partition_subalgoE5ElNS0_10empty_typeEbEEZZNS1_14partition_implILS5_5ELb0ES3_mN6hipcub16HIPCUB_304000_NS21CountingInputIteratorIllEEPS6_NSA_22TransformInputIteratorIbN2at6native12_GLOBAL__N_19NonZeroOpIlEEPKllEENS0_5tupleIJPlS6_EEENSN_IJSD_SD_EEES6_PiJS6_EEE10hipError_tPvRmT3_T4_T5_T6_T7_T9_mT8_P12ihipStream_tbDpT10_ENKUlT_T0_E_clISt17integral_constantIbLb1EES1A_IbLb0EEEEDaS16_S17_EUlS16_E_NS1_11comp_targetILNS1_3genE10ELNS1_11target_archE1200ELNS1_3gpuE4ELNS1_3repE0EEENS1_30default_config_static_selectorELNS0_4arch9wavefront6targetE0EEEvT1_.uses_vcc, 0
	.set _ZN7rocprim17ROCPRIM_400000_NS6detail17trampoline_kernelINS0_14default_configENS1_25partition_config_selectorILNS1_17partition_subalgoE5ElNS0_10empty_typeEbEEZZNS1_14partition_implILS5_5ELb0ES3_mN6hipcub16HIPCUB_304000_NS21CountingInputIteratorIllEEPS6_NSA_22TransformInputIteratorIbN2at6native12_GLOBAL__N_19NonZeroOpIlEEPKllEENS0_5tupleIJPlS6_EEENSN_IJSD_SD_EEES6_PiJS6_EEE10hipError_tPvRmT3_T4_T5_T6_T7_T9_mT8_P12ihipStream_tbDpT10_ENKUlT_T0_E_clISt17integral_constantIbLb1EES1A_IbLb0EEEEDaS16_S17_EUlS16_E_NS1_11comp_targetILNS1_3genE10ELNS1_11target_archE1200ELNS1_3gpuE4ELNS1_3repE0EEENS1_30default_config_static_selectorELNS0_4arch9wavefront6targetE0EEEvT1_.uses_flat_scratch, 0
	.set _ZN7rocprim17ROCPRIM_400000_NS6detail17trampoline_kernelINS0_14default_configENS1_25partition_config_selectorILNS1_17partition_subalgoE5ElNS0_10empty_typeEbEEZZNS1_14partition_implILS5_5ELb0ES3_mN6hipcub16HIPCUB_304000_NS21CountingInputIteratorIllEEPS6_NSA_22TransformInputIteratorIbN2at6native12_GLOBAL__N_19NonZeroOpIlEEPKllEENS0_5tupleIJPlS6_EEENSN_IJSD_SD_EEES6_PiJS6_EEE10hipError_tPvRmT3_T4_T5_T6_T7_T9_mT8_P12ihipStream_tbDpT10_ENKUlT_T0_E_clISt17integral_constantIbLb1EES1A_IbLb0EEEEDaS16_S17_EUlS16_E_NS1_11comp_targetILNS1_3genE10ELNS1_11target_archE1200ELNS1_3gpuE4ELNS1_3repE0EEENS1_30default_config_static_selectorELNS0_4arch9wavefront6targetE0EEEvT1_.has_dyn_sized_stack, 0
	.set _ZN7rocprim17ROCPRIM_400000_NS6detail17trampoline_kernelINS0_14default_configENS1_25partition_config_selectorILNS1_17partition_subalgoE5ElNS0_10empty_typeEbEEZZNS1_14partition_implILS5_5ELb0ES3_mN6hipcub16HIPCUB_304000_NS21CountingInputIteratorIllEEPS6_NSA_22TransformInputIteratorIbN2at6native12_GLOBAL__N_19NonZeroOpIlEEPKllEENS0_5tupleIJPlS6_EEENSN_IJSD_SD_EEES6_PiJS6_EEE10hipError_tPvRmT3_T4_T5_T6_T7_T9_mT8_P12ihipStream_tbDpT10_ENKUlT_T0_E_clISt17integral_constantIbLb1EES1A_IbLb0EEEEDaS16_S17_EUlS16_E_NS1_11comp_targetILNS1_3genE10ELNS1_11target_archE1200ELNS1_3gpuE4ELNS1_3repE0EEENS1_30default_config_static_selectorELNS0_4arch9wavefront6targetE0EEEvT1_.has_recursion, 0
	.set _ZN7rocprim17ROCPRIM_400000_NS6detail17trampoline_kernelINS0_14default_configENS1_25partition_config_selectorILNS1_17partition_subalgoE5ElNS0_10empty_typeEbEEZZNS1_14partition_implILS5_5ELb0ES3_mN6hipcub16HIPCUB_304000_NS21CountingInputIteratorIllEEPS6_NSA_22TransformInputIteratorIbN2at6native12_GLOBAL__N_19NonZeroOpIlEEPKllEENS0_5tupleIJPlS6_EEENSN_IJSD_SD_EEES6_PiJS6_EEE10hipError_tPvRmT3_T4_T5_T6_T7_T9_mT8_P12ihipStream_tbDpT10_ENKUlT_T0_E_clISt17integral_constantIbLb1EES1A_IbLb0EEEEDaS16_S17_EUlS16_E_NS1_11comp_targetILNS1_3genE10ELNS1_11target_archE1200ELNS1_3gpuE4ELNS1_3repE0EEENS1_30default_config_static_selectorELNS0_4arch9wavefront6targetE0EEEvT1_.has_indirect_call, 0
	.section	.AMDGPU.csdata,"",@progbits
; Kernel info:
; codeLenInByte = 4
; TotalNumSgprs: 0
; NumVgprs: 0
; ScratchSize: 0
; MemoryBound: 0
; FloatMode: 240
; IeeeMode: 1
; LDSByteSize: 0 bytes/workgroup (compile time only)
; SGPRBlocks: 0
; VGPRBlocks: 0
; NumSGPRsForWavesPerEU: 1
; NumVGPRsForWavesPerEU: 1
; Occupancy: 16
; WaveLimiterHint : 0
; COMPUTE_PGM_RSRC2:SCRATCH_EN: 0
; COMPUTE_PGM_RSRC2:USER_SGPR: 2
; COMPUTE_PGM_RSRC2:TRAP_HANDLER: 0
; COMPUTE_PGM_RSRC2:TGID_X_EN: 1
; COMPUTE_PGM_RSRC2:TGID_Y_EN: 0
; COMPUTE_PGM_RSRC2:TGID_Z_EN: 0
; COMPUTE_PGM_RSRC2:TIDIG_COMP_CNT: 0
	.section	.text._ZN7rocprim17ROCPRIM_400000_NS6detail17trampoline_kernelINS0_14default_configENS1_25partition_config_selectorILNS1_17partition_subalgoE5ElNS0_10empty_typeEbEEZZNS1_14partition_implILS5_5ELb0ES3_mN6hipcub16HIPCUB_304000_NS21CountingInputIteratorIllEEPS6_NSA_22TransformInputIteratorIbN2at6native12_GLOBAL__N_19NonZeroOpIlEEPKllEENS0_5tupleIJPlS6_EEENSN_IJSD_SD_EEES6_PiJS6_EEE10hipError_tPvRmT3_T4_T5_T6_T7_T9_mT8_P12ihipStream_tbDpT10_ENKUlT_T0_E_clISt17integral_constantIbLb1EES1A_IbLb0EEEEDaS16_S17_EUlS16_E_NS1_11comp_targetILNS1_3genE9ELNS1_11target_archE1100ELNS1_3gpuE3ELNS1_3repE0EEENS1_30default_config_static_selectorELNS0_4arch9wavefront6targetE0EEEvT1_,"axG",@progbits,_ZN7rocprim17ROCPRIM_400000_NS6detail17trampoline_kernelINS0_14default_configENS1_25partition_config_selectorILNS1_17partition_subalgoE5ElNS0_10empty_typeEbEEZZNS1_14partition_implILS5_5ELb0ES3_mN6hipcub16HIPCUB_304000_NS21CountingInputIteratorIllEEPS6_NSA_22TransformInputIteratorIbN2at6native12_GLOBAL__N_19NonZeroOpIlEEPKllEENS0_5tupleIJPlS6_EEENSN_IJSD_SD_EEES6_PiJS6_EEE10hipError_tPvRmT3_T4_T5_T6_T7_T9_mT8_P12ihipStream_tbDpT10_ENKUlT_T0_E_clISt17integral_constantIbLb1EES1A_IbLb0EEEEDaS16_S17_EUlS16_E_NS1_11comp_targetILNS1_3genE9ELNS1_11target_archE1100ELNS1_3gpuE3ELNS1_3repE0EEENS1_30default_config_static_selectorELNS0_4arch9wavefront6targetE0EEEvT1_,comdat
	.globl	_ZN7rocprim17ROCPRIM_400000_NS6detail17trampoline_kernelINS0_14default_configENS1_25partition_config_selectorILNS1_17partition_subalgoE5ElNS0_10empty_typeEbEEZZNS1_14partition_implILS5_5ELb0ES3_mN6hipcub16HIPCUB_304000_NS21CountingInputIteratorIllEEPS6_NSA_22TransformInputIteratorIbN2at6native12_GLOBAL__N_19NonZeroOpIlEEPKllEENS0_5tupleIJPlS6_EEENSN_IJSD_SD_EEES6_PiJS6_EEE10hipError_tPvRmT3_T4_T5_T6_T7_T9_mT8_P12ihipStream_tbDpT10_ENKUlT_T0_E_clISt17integral_constantIbLb1EES1A_IbLb0EEEEDaS16_S17_EUlS16_E_NS1_11comp_targetILNS1_3genE9ELNS1_11target_archE1100ELNS1_3gpuE3ELNS1_3repE0EEENS1_30default_config_static_selectorELNS0_4arch9wavefront6targetE0EEEvT1_ ; -- Begin function _ZN7rocprim17ROCPRIM_400000_NS6detail17trampoline_kernelINS0_14default_configENS1_25partition_config_selectorILNS1_17partition_subalgoE5ElNS0_10empty_typeEbEEZZNS1_14partition_implILS5_5ELb0ES3_mN6hipcub16HIPCUB_304000_NS21CountingInputIteratorIllEEPS6_NSA_22TransformInputIteratorIbN2at6native12_GLOBAL__N_19NonZeroOpIlEEPKllEENS0_5tupleIJPlS6_EEENSN_IJSD_SD_EEES6_PiJS6_EEE10hipError_tPvRmT3_T4_T5_T6_T7_T9_mT8_P12ihipStream_tbDpT10_ENKUlT_T0_E_clISt17integral_constantIbLb1EES1A_IbLb0EEEEDaS16_S17_EUlS16_E_NS1_11comp_targetILNS1_3genE9ELNS1_11target_archE1100ELNS1_3gpuE3ELNS1_3repE0EEENS1_30default_config_static_selectorELNS0_4arch9wavefront6targetE0EEEvT1_
	.p2align	8
	.type	_ZN7rocprim17ROCPRIM_400000_NS6detail17trampoline_kernelINS0_14default_configENS1_25partition_config_selectorILNS1_17partition_subalgoE5ElNS0_10empty_typeEbEEZZNS1_14partition_implILS5_5ELb0ES3_mN6hipcub16HIPCUB_304000_NS21CountingInputIteratorIllEEPS6_NSA_22TransformInputIteratorIbN2at6native12_GLOBAL__N_19NonZeroOpIlEEPKllEENS0_5tupleIJPlS6_EEENSN_IJSD_SD_EEES6_PiJS6_EEE10hipError_tPvRmT3_T4_T5_T6_T7_T9_mT8_P12ihipStream_tbDpT10_ENKUlT_T0_E_clISt17integral_constantIbLb1EES1A_IbLb0EEEEDaS16_S17_EUlS16_E_NS1_11comp_targetILNS1_3genE9ELNS1_11target_archE1100ELNS1_3gpuE3ELNS1_3repE0EEENS1_30default_config_static_selectorELNS0_4arch9wavefront6targetE0EEEvT1_,@function
_ZN7rocprim17ROCPRIM_400000_NS6detail17trampoline_kernelINS0_14default_configENS1_25partition_config_selectorILNS1_17partition_subalgoE5ElNS0_10empty_typeEbEEZZNS1_14partition_implILS5_5ELb0ES3_mN6hipcub16HIPCUB_304000_NS21CountingInputIteratorIllEEPS6_NSA_22TransformInputIteratorIbN2at6native12_GLOBAL__N_19NonZeroOpIlEEPKllEENS0_5tupleIJPlS6_EEENSN_IJSD_SD_EEES6_PiJS6_EEE10hipError_tPvRmT3_T4_T5_T6_T7_T9_mT8_P12ihipStream_tbDpT10_ENKUlT_T0_E_clISt17integral_constantIbLb1EES1A_IbLb0EEEEDaS16_S17_EUlS16_E_NS1_11comp_targetILNS1_3genE9ELNS1_11target_archE1100ELNS1_3gpuE3ELNS1_3repE0EEENS1_30default_config_static_selectorELNS0_4arch9wavefront6targetE0EEEvT1_: ; @_ZN7rocprim17ROCPRIM_400000_NS6detail17trampoline_kernelINS0_14default_configENS1_25partition_config_selectorILNS1_17partition_subalgoE5ElNS0_10empty_typeEbEEZZNS1_14partition_implILS5_5ELb0ES3_mN6hipcub16HIPCUB_304000_NS21CountingInputIteratorIllEEPS6_NSA_22TransformInputIteratorIbN2at6native12_GLOBAL__N_19NonZeroOpIlEEPKllEENS0_5tupleIJPlS6_EEENSN_IJSD_SD_EEES6_PiJS6_EEE10hipError_tPvRmT3_T4_T5_T6_T7_T9_mT8_P12ihipStream_tbDpT10_ENKUlT_T0_E_clISt17integral_constantIbLb1EES1A_IbLb0EEEEDaS16_S17_EUlS16_E_NS1_11comp_targetILNS1_3genE9ELNS1_11target_archE1100ELNS1_3gpuE3ELNS1_3repE0EEENS1_30default_config_static_selectorELNS0_4arch9wavefront6targetE0EEEvT1_
; %bb.0:
	.section	.rodata,"a",@progbits
	.p2align	6, 0x0
	.amdhsa_kernel _ZN7rocprim17ROCPRIM_400000_NS6detail17trampoline_kernelINS0_14default_configENS1_25partition_config_selectorILNS1_17partition_subalgoE5ElNS0_10empty_typeEbEEZZNS1_14partition_implILS5_5ELb0ES3_mN6hipcub16HIPCUB_304000_NS21CountingInputIteratorIllEEPS6_NSA_22TransformInputIteratorIbN2at6native12_GLOBAL__N_19NonZeroOpIlEEPKllEENS0_5tupleIJPlS6_EEENSN_IJSD_SD_EEES6_PiJS6_EEE10hipError_tPvRmT3_T4_T5_T6_T7_T9_mT8_P12ihipStream_tbDpT10_ENKUlT_T0_E_clISt17integral_constantIbLb1EES1A_IbLb0EEEEDaS16_S17_EUlS16_E_NS1_11comp_targetILNS1_3genE9ELNS1_11target_archE1100ELNS1_3gpuE3ELNS1_3repE0EEENS1_30default_config_static_selectorELNS0_4arch9wavefront6targetE0EEEvT1_
		.amdhsa_group_segment_fixed_size 0
		.amdhsa_private_segment_fixed_size 0
		.amdhsa_kernarg_size 120
		.amdhsa_user_sgpr_count 2
		.amdhsa_user_sgpr_dispatch_ptr 0
		.amdhsa_user_sgpr_queue_ptr 0
		.amdhsa_user_sgpr_kernarg_segment_ptr 1
		.amdhsa_user_sgpr_dispatch_id 0
		.amdhsa_user_sgpr_private_segment_size 0
		.amdhsa_wavefront_size32 1
		.amdhsa_uses_dynamic_stack 0
		.amdhsa_enable_private_segment 0
		.amdhsa_system_sgpr_workgroup_id_x 1
		.amdhsa_system_sgpr_workgroup_id_y 0
		.amdhsa_system_sgpr_workgroup_id_z 0
		.amdhsa_system_sgpr_workgroup_info 0
		.amdhsa_system_vgpr_workitem_id 0
		.amdhsa_next_free_vgpr 1
		.amdhsa_next_free_sgpr 1
		.amdhsa_reserve_vcc 0
		.amdhsa_float_round_mode_32 0
		.amdhsa_float_round_mode_16_64 0
		.amdhsa_float_denorm_mode_32 3
		.amdhsa_float_denorm_mode_16_64 3
		.amdhsa_fp16_overflow 0
		.amdhsa_workgroup_processor_mode 1
		.amdhsa_memory_ordered 1
		.amdhsa_forward_progress 1
		.amdhsa_inst_pref_size 0
		.amdhsa_round_robin_scheduling 0
		.amdhsa_exception_fp_ieee_invalid_op 0
		.amdhsa_exception_fp_denorm_src 0
		.amdhsa_exception_fp_ieee_div_zero 0
		.amdhsa_exception_fp_ieee_overflow 0
		.amdhsa_exception_fp_ieee_underflow 0
		.amdhsa_exception_fp_ieee_inexact 0
		.amdhsa_exception_int_div_zero 0
	.end_amdhsa_kernel
	.section	.text._ZN7rocprim17ROCPRIM_400000_NS6detail17trampoline_kernelINS0_14default_configENS1_25partition_config_selectorILNS1_17partition_subalgoE5ElNS0_10empty_typeEbEEZZNS1_14partition_implILS5_5ELb0ES3_mN6hipcub16HIPCUB_304000_NS21CountingInputIteratorIllEEPS6_NSA_22TransformInputIteratorIbN2at6native12_GLOBAL__N_19NonZeroOpIlEEPKllEENS0_5tupleIJPlS6_EEENSN_IJSD_SD_EEES6_PiJS6_EEE10hipError_tPvRmT3_T4_T5_T6_T7_T9_mT8_P12ihipStream_tbDpT10_ENKUlT_T0_E_clISt17integral_constantIbLb1EES1A_IbLb0EEEEDaS16_S17_EUlS16_E_NS1_11comp_targetILNS1_3genE9ELNS1_11target_archE1100ELNS1_3gpuE3ELNS1_3repE0EEENS1_30default_config_static_selectorELNS0_4arch9wavefront6targetE0EEEvT1_,"axG",@progbits,_ZN7rocprim17ROCPRIM_400000_NS6detail17trampoline_kernelINS0_14default_configENS1_25partition_config_selectorILNS1_17partition_subalgoE5ElNS0_10empty_typeEbEEZZNS1_14partition_implILS5_5ELb0ES3_mN6hipcub16HIPCUB_304000_NS21CountingInputIteratorIllEEPS6_NSA_22TransformInputIteratorIbN2at6native12_GLOBAL__N_19NonZeroOpIlEEPKllEENS0_5tupleIJPlS6_EEENSN_IJSD_SD_EEES6_PiJS6_EEE10hipError_tPvRmT3_T4_T5_T6_T7_T9_mT8_P12ihipStream_tbDpT10_ENKUlT_T0_E_clISt17integral_constantIbLb1EES1A_IbLb0EEEEDaS16_S17_EUlS16_E_NS1_11comp_targetILNS1_3genE9ELNS1_11target_archE1100ELNS1_3gpuE3ELNS1_3repE0EEENS1_30default_config_static_selectorELNS0_4arch9wavefront6targetE0EEEvT1_,comdat
.Lfunc_end276:
	.size	_ZN7rocprim17ROCPRIM_400000_NS6detail17trampoline_kernelINS0_14default_configENS1_25partition_config_selectorILNS1_17partition_subalgoE5ElNS0_10empty_typeEbEEZZNS1_14partition_implILS5_5ELb0ES3_mN6hipcub16HIPCUB_304000_NS21CountingInputIteratorIllEEPS6_NSA_22TransformInputIteratorIbN2at6native12_GLOBAL__N_19NonZeroOpIlEEPKllEENS0_5tupleIJPlS6_EEENSN_IJSD_SD_EEES6_PiJS6_EEE10hipError_tPvRmT3_T4_T5_T6_T7_T9_mT8_P12ihipStream_tbDpT10_ENKUlT_T0_E_clISt17integral_constantIbLb1EES1A_IbLb0EEEEDaS16_S17_EUlS16_E_NS1_11comp_targetILNS1_3genE9ELNS1_11target_archE1100ELNS1_3gpuE3ELNS1_3repE0EEENS1_30default_config_static_selectorELNS0_4arch9wavefront6targetE0EEEvT1_, .Lfunc_end276-_ZN7rocprim17ROCPRIM_400000_NS6detail17trampoline_kernelINS0_14default_configENS1_25partition_config_selectorILNS1_17partition_subalgoE5ElNS0_10empty_typeEbEEZZNS1_14partition_implILS5_5ELb0ES3_mN6hipcub16HIPCUB_304000_NS21CountingInputIteratorIllEEPS6_NSA_22TransformInputIteratorIbN2at6native12_GLOBAL__N_19NonZeroOpIlEEPKllEENS0_5tupleIJPlS6_EEENSN_IJSD_SD_EEES6_PiJS6_EEE10hipError_tPvRmT3_T4_T5_T6_T7_T9_mT8_P12ihipStream_tbDpT10_ENKUlT_T0_E_clISt17integral_constantIbLb1EES1A_IbLb0EEEEDaS16_S17_EUlS16_E_NS1_11comp_targetILNS1_3genE9ELNS1_11target_archE1100ELNS1_3gpuE3ELNS1_3repE0EEENS1_30default_config_static_selectorELNS0_4arch9wavefront6targetE0EEEvT1_
                                        ; -- End function
	.set _ZN7rocprim17ROCPRIM_400000_NS6detail17trampoline_kernelINS0_14default_configENS1_25partition_config_selectorILNS1_17partition_subalgoE5ElNS0_10empty_typeEbEEZZNS1_14partition_implILS5_5ELb0ES3_mN6hipcub16HIPCUB_304000_NS21CountingInputIteratorIllEEPS6_NSA_22TransformInputIteratorIbN2at6native12_GLOBAL__N_19NonZeroOpIlEEPKllEENS0_5tupleIJPlS6_EEENSN_IJSD_SD_EEES6_PiJS6_EEE10hipError_tPvRmT3_T4_T5_T6_T7_T9_mT8_P12ihipStream_tbDpT10_ENKUlT_T0_E_clISt17integral_constantIbLb1EES1A_IbLb0EEEEDaS16_S17_EUlS16_E_NS1_11comp_targetILNS1_3genE9ELNS1_11target_archE1100ELNS1_3gpuE3ELNS1_3repE0EEENS1_30default_config_static_selectorELNS0_4arch9wavefront6targetE0EEEvT1_.num_vgpr, 0
	.set _ZN7rocprim17ROCPRIM_400000_NS6detail17trampoline_kernelINS0_14default_configENS1_25partition_config_selectorILNS1_17partition_subalgoE5ElNS0_10empty_typeEbEEZZNS1_14partition_implILS5_5ELb0ES3_mN6hipcub16HIPCUB_304000_NS21CountingInputIteratorIllEEPS6_NSA_22TransformInputIteratorIbN2at6native12_GLOBAL__N_19NonZeroOpIlEEPKllEENS0_5tupleIJPlS6_EEENSN_IJSD_SD_EEES6_PiJS6_EEE10hipError_tPvRmT3_T4_T5_T6_T7_T9_mT8_P12ihipStream_tbDpT10_ENKUlT_T0_E_clISt17integral_constantIbLb1EES1A_IbLb0EEEEDaS16_S17_EUlS16_E_NS1_11comp_targetILNS1_3genE9ELNS1_11target_archE1100ELNS1_3gpuE3ELNS1_3repE0EEENS1_30default_config_static_selectorELNS0_4arch9wavefront6targetE0EEEvT1_.num_agpr, 0
	.set _ZN7rocprim17ROCPRIM_400000_NS6detail17trampoline_kernelINS0_14default_configENS1_25partition_config_selectorILNS1_17partition_subalgoE5ElNS0_10empty_typeEbEEZZNS1_14partition_implILS5_5ELb0ES3_mN6hipcub16HIPCUB_304000_NS21CountingInputIteratorIllEEPS6_NSA_22TransformInputIteratorIbN2at6native12_GLOBAL__N_19NonZeroOpIlEEPKllEENS0_5tupleIJPlS6_EEENSN_IJSD_SD_EEES6_PiJS6_EEE10hipError_tPvRmT3_T4_T5_T6_T7_T9_mT8_P12ihipStream_tbDpT10_ENKUlT_T0_E_clISt17integral_constantIbLb1EES1A_IbLb0EEEEDaS16_S17_EUlS16_E_NS1_11comp_targetILNS1_3genE9ELNS1_11target_archE1100ELNS1_3gpuE3ELNS1_3repE0EEENS1_30default_config_static_selectorELNS0_4arch9wavefront6targetE0EEEvT1_.numbered_sgpr, 0
	.set _ZN7rocprim17ROCPRIM_400000_NS6detail17trampoline_kernelINS0_14default_configENS1_25partition_config_selectorILNS1_17partition_subalgoE5ElNS0_10empty_typeEbEEZZNS1_14partition_implILS5_5ELb0ES3_mN6hipcub16HIPCUB_304000_NS21CountingInputIteratorIllEEPS6_NSA_22TransformInputIteratorIbN2at6native12_GLOBAL__N_19NonZeroOpIlEEPKllEENS0_5tupleIJPlS6_EEENSN_IJSD_SD_EEES6_PiJS6_EEE10hipError_tPvRmT3_T4_T5_T6_T7_T9_mT8_P12ihipStream_tbDpT10_ENKUlT_T0_E_clISt17integral_constantIbLb1EES1A_IbLb0EEEEDaS16_S17_EUlS16_E_NS1_11comp_targetILNS1_3genE9ELNS1_11target_archE1100ELNS1_3gpuE3ELNS1_3repE0EEENS1_30default_config_static_selectorELNS0_4arch9wavefront6targetE0EEEvT1_.num_named_barrier, 0
	.set _ZN7rocprim17ROCPRIM_400000_NS6detail17trampoline_kernelINS0_14default_configENS1_25partition_config_selectorILNS1_17partition_subalgoE5ElNS0_10empty_typeEbEEZZNS1_14partition_implILS5_5ELb0ES3_mN6hipcub16HIPCUB_304000_NS21CountingInputIteratorIllEEPS6_NSA_22TransformInputIteratorIbN2at6native12_GLOBAL__N_19NonZeroOpIlEEPKllEENS0_5tupleIJPlS6_EEENSN_IJSD_SD_EEES6_PiJS6_EEE10hipError_tPvRmT3_T4_T5_T6_T7_T9_mT8_P12ihipStream_tbDpT10_ENKUlT_T0_E_clISt17integral_constantIbLb1EES1A_IbLb0EEEEDaS16_S17_EUlS16_E_NS1_11comp_targetILNS1_3genE9ELNS1_11target_archE1100ELNS1_3gpuE3ELNS1_3repE0EEENS1_30default_config_static_selectorELNS0_4arch9wavefront6targetE0EEEvT1_.private_seg_size, 0
	.set _ZN7rocprim17ROCPRIM_400000_NS6detail17trampoline_kernelINS0_14default_configENS1_25partition_config_selectorILNS1_17partition_subalgoE5ElNS0_10empty_typeEbEEZZNS1_14partition_implILS5_5ELb0ES3_mN6hipcub16HIPCUB_304000_NS21CountingInputIteratorIllEEPS6_NSA_22TransformInputIteratorIbN2at6native12_GLOBAL__N_19NonZeroOpIlEEPKllEENS0_5tupleIJPlS6_EEENSN_IJSD_SD_EEES6_PiJS6_EEE10hipError_tPvRmT3_T4_T5_T6_T7_T9_mT8_P12ihipStream_tbDpT10_ENKUlT_T0_E_clISt17integral_constantIbLb1EES1A_IbLb0EEEEDaS16_S17_EUlS16_E_NS1_11comp_targetILNS1_3genE9ELNS1_11target_archE1100ELNS1_3gpuE3ELNS1_3repE0EEENS1_30default_config_static_selectorELNS0_4arch9wavefront6targetE0EEEvT1_.uses_vcc, 0
	.set _ZN7rocprim17ROCPRIM_400000_NS6detail17trampoline_kernelINS0_14default_configENS1_25partition_config_selectorILNS1_17partition_subalgoE5ElNS0_10empty_typeEbEEZZNS1_14partition_implILS5_5ELb0ES3_mN6hipcub16HIPCUB_304000_NS21CountingInputIteratorIllEEPS6_NSA_22TransformInputIteratorIbN2at6native12_GLOBAL__N_19NonZeroOpIlEEPKllEENS0_5tupleIJPlS6_EEENSN_IJSD_SD_EEES6_PiJS6_EEE10hipError_tPvRmT3_T4_T5_T6_T7_T9_mT8_P12ihipStream_tbDpT10_ENKUlT_T0_E_clISt17integral_constantIbLb1EES1A_IbLb0EEEEDaS16_S17_EUlS16_E_NS1_11comp_targetILNS1_3genE9ELNS1_11target_archE1100ELNS1_3gpuE3ELNS1_3repE0EEENS1_30default_config_static_selectorELNS0_4arch9wavefront6targetE0EEEvT1_.uses_flat_scratch, 0
	.set _ZN7rocprim17ROCPRIM_400000_NS6detail17trampoline_kernelINS0_14default_configENS1_25partition_config_selectorILNS1_17partition_subalgoE5ElNS0_10empty_typeEbEEZZNS1_14partition_implILS5_5ELb0ES3_mN6hipcub16HIPCUB_304000_NS21CountingInputIteratorIllEEPS6_NSA_22TransformInputIteratorIbN2at6native12_GLOBAL__N_19NonZeroOpIlEEPKllEENS0_5tupleIJPlS6_EEENSN_IJSD_SD_EEES6_PiJS6_EEE10hipError_tPvRmT3_T4_T5_T6_T7_T9_mT8_P12ihipStream_tbDpT10_ENKUlT_T0_E_clISt17integral_constantIbLb1EES1A_IbLb0EEEEDaS16_S17_EUlS16_E_NS1_11comp_targetILNS1_3genE9ELNS1_11target_archE1100ELNS1_3gpuE3ELNS1_3repE0EEENS1_30default_config_static_selectorELNS0_4arch9wavefront6targetE0EEEvT1_.has_dyn_sized_stack, 0
	.set _ZN7rocprim17ROCPRIM_400000_NS6detail17trampoline_kernelINS0_14default_configENS1_25partition_config_selectorILNS1_17partition_subalgoE5ElNS0_10empty_typeEbEEZZNS1_14partition_implILS5_5ELb0ES3_mN6hipcub16HIPCUB_304000_NS21CountingInputIteratorIllEEPS6_NSA_22TransformInputIteratorIbN2at6native12_GLOBAL__N_19NonZeroOpIlEEPKllEENS0_5tupleIJPlS6_EEENSN_IJSD_SD_EEES6_PiJS6_EEE10hipError_tPvRmT3_T4_T5_T6_T7_T9_mT8_P12ihipStream_tbDpT10_ENKUlT_T0_E_clISt17integral_constantIbLb1EES1A_IbLb0EEEEDaS16_S17_EUlS16_E_NS1_11comp_targetILNS1_3genE9ELNS1_11target_archE1100ELNS1_3gpuE3ELNS1_3repE0EEENS1_30default_config_static_selectorELNS0_4arch9wavefront6targetE0EEEvT1_.has_recursion, 0
	.set _ZN7rocprim17ROCPRIM_400000_NS6detail17trampoline_kernelINS0_14default_configENS1_25partition_config_selectorILNS1_17partition_subalgoE5ElNS0_10empty_typeEbEEZZNS1_14partition_implILS5_5ELb0ES3_mN6hipcub16HIPCUB_304000_NS21CountingInputIteratorIllEEPS6_NSA_22TransformInputIteratorIbN2at6native12_GLOBAL__N_19NonZeroOpIlEEPKllEENS0_5tupleIJPlS6_EEENSN_IJSD_SD_EEES6_PiJS6_EEE10hipError_tPvRmT3_T4_T5_T6_T7_T9_mT8_P12ihipStream_tbDpT10_ENKUlT_T0_E_clISt17integral_constantIbLb1EES1A_IbLb0EEEEDaS16_S17_EUlS16_E_NS1_11comp_targetILNS1_3genE9ELNS1_11target_archE1100ELNS1_3gpuE3ELNS1_3repE0EEENS1_30default_config_static_selectorELNS0_4arch9wavefront6targetE0EEEvT1_.has_indirect_call, 0
	.section	.AMDGPU.csdata,"",@progbits
; Kernel info:
; codeLenInByte = 0
; TotalNumSgprs: 0
; NumVgprs: 0
; ScratchSize: 0
; MemoryBound: 0
; FloatMode: 240
; IeeeMode: 1
; LDSByteSize: 0 bytes/workgroup (compile time only)
; SGPRBlocks: 0
; VGPRBlocks: 0
; NumSGPRsForWavesPerEU: 1
; NumVGPRsForWavesPerEU: 1
; Occupancy: 16
; WaveLimiterHint : 0
; COMPUTE_PGM_RSRC2:SCRATCH_EN: 0
; COMPUTE_PGM_RSRC2:USER_SGPR: 2
; COMPUTE_PGM_RSRC2:TRAP_HANDLER: 0
; COMPUTE_PGM_RSRC2:TGID_X_EN: 1
; COMPUTE_PGM_RSRC2:TGID_Y_EN: 0
; COMPUTE_PGM_RSRC2:TGID_Z_EN: 0
; COMPUTE_PGM_RSRC2:TIDIG_COMP_CNT: 0
	.section	.text._ZN7rocprim17ROCPRIM_400000_NS6detail17trampoline_kernelINS0_14default_configENS1_25partition_config_selectorILNS1_17partition_subalgoE5ElNS0_10empty_typeEbEEZZNS1_14partition_implILS5_5ELb0ES3_mN6hipcub16HIPCUB_304000_NS21CountingInputIteratorIllEEPS6_NSA_22TransformInputIteratorIbN2at6native12_GLOBAL__N_19NonZeroOpIlEEPKllEENS0_5tupleIJPlS6_EEENSN_IJSD_SD_EEES6_PiJS6_EEE10hipError_tPvRmT3_T4_T5_T6_T7_T9_mT8_P12ihipStream_tbDpT10_ENKUlT_T0_E_clISt17integral_constantIbLb1EES1A_IbLb0EEEEDaS16_S17_EUlS16_E_NS1_11comp_targetILNS1_3genE8ELNS1_11target_archE1030ELNS1_3gpuE2ELNS1_3repE0EEENS1_30default_config_static_selectorELNS0_4arch9wavefront6targetE0EEEvT1_,"axG",@progbits,_ZN7rocprim17ROCPRIM_400000_NS6detail17trampoline_kernelINS0_14default_configENS1_25partition_config_selectorILNS1_17partition_subalgoE5ElNS0_10empty_typeEbEEZZNS1_14partition_implILS5_5ELb0ES3_mN6hipcub16HIPCUB_304000_NS21CountingInputIteratorIllEEPS6_NSA_22TransformInputIteratorIbN2at6native12_GLOBAL__N_19NonZeroOpIlEEPKllEENS0_5tupleIJPlS6_EEENSN_IJSD_SD_EEES6_PiJS6_EEE10hipError_tPvRmT3_T4_T5_T6_T7_T9_mT8_P12ihipStream_tbDpT10_ENKUlT_T0_E_clISt17integral_constantIbLb1EES1A_IbLb0EEEEDaS16_S17_EUlS16_E_NS1_11comp_targetILNS1_3genE8ELNS1_11target_archE1030ELNS1_3gpuE2ELNS1_3repE0EEENS1_30default_config_static_selectorELNS0_4arch9wavefront6targetE0EEEvT1_,comdat
	.globl	_ZN7rocprim17ROCPRIM_400000_NS6detail17trampoline_kernelINS0_14default_configENS1_25partition_config_selectorILNS1_17partition_subalgoE5ElNS0_10empty_typeEbEEZZNS1_14partition_implILS5_5ELb0ES3_mN6hipcub16HIPCUB_304000_NS21CountingInputIteratorIllEEPS6_NSA_22TransformInputIteratorIbN2at6native12_GLOBAL__N_19NonZeroOpIlEEPKllEENS0_5tupleIJPlS6_EEENSN_IJSD_SD_EEES6_PiJS6_EEE10hipError_tPvRmT3_T4_T5_T6_T7_T9_mT8_P12ihipStream_tbDpT10_ENKUlT_T0_E_clISt17integral_constantIbLb1EES1A_IbLb0EEEEDaS16_S17_EUlS16_E_NS1_11comp_targetILNS1_3genE8ELNS1_11target_archE1030ELNS1_3gpuE2ELNS1_3repE0EEENS1_30default_config_static_selectorELNS0_4arch9wavefront6targetE0EEEvT1_ ; -- Begin function _ZN7rocprim17ROCPRIM_400000_NS6detail17trampoline_kernelINS0_14default_configENS1_25partition_config_selectorILNS1_17partition_subalgoE5ElNS0_10empty_typeEbEEZZNS1_14partition_implILS5_5ELb0ES3_mN6hipcub16HIPCUB_304000_NS21CountingInputIteratorIllEEPS6_NSA_22TransformInputIteratorIbN2at6native12_GLOBAL__N_19NonZeroOpIlEEPKllEENS0_5tupleIJPlS6_EEENSN_IJSD_SD_EEES6_PiJS6_EEE10hipError_tPvRmT3_T4_T5_T6_T7_T9_mT8_P12ihipStream_tbDpT10_ENKUlT_T0_E_clISt17integral_constantIbLb1EES1A_IbLb0EEEEDaS16_S17_EUlS16_E_NS1_11comp_targetILNS1_3genE8ELNS1_11target_archE1030ELNS1_3gpuE2ELNS1_3repE0EEENS1_30default_config_static_selectorELNS0_4arch9wavefront6targetE0EEEvT1_
	.p2align	8
	.type	_ZN7rocprim17ROCPRIM_400000_NS6detail17trampoline_kernelINS0_14default_configENS1_25partition_config_selectorILNS1_17partition_subalgoE5ElNS0_10empty_typeEbEEZZNS1_14partition_implILS5_5ELb0ES3_mN6hipcub16HIPCUB_304000_NS21CountingInputIteratorIllEEPS6_NSA_22TransformInputIteratorIbN2at6native12_GLOBAL__N_19NonZeroOpIlEEPKllEENS0_5tupleIJPlS6_EEENSN_IJSD_SD_EEES6_PiJS6_EEE10hipError_tPvRmT3_T4_T5_T6_T7_T9_mT8_P12ihipStream_tbDpT10_ENKUlT_T0_E_clISt17integral_constantIbLb1EES1A_IbLb0EEEEDaS16_S17_EUlS16_E_NS1_11comp_targetILNS1_3genE8ELNS1_11target_archE1030ELNS1_3gpuE2ELNS1_3repE0EEENS1_30default_config_static_selectorELNS0_4arch9wavefront6targetE0EEEvT1_,@function
_ZN7rocprim17ROCPRIM_400000_NS6detail17trampoline_kernelINS0_14default_configENS1_25partition_config_selectorILNS1_17partition_subalgoE5ElNS0_10empty_typeEbEEZZNS1_14partition_implILS5_5ELb0ES3_mN6hipcub16HIPCUB_304000_NS21CountingInputIteratorIllEEPS6_NSA_22TransformInputIteratorIbN2at6native12_GLOBAL__N_19NonZeroOpIlEEPKllEENS0_5tupleIJPlS6_EEENSN_IJSD_SD_EEES6_PiJS6_EEE10hipError_tPvRmT3_T4_T5_T6_T7_T9_mT8_P12ihipStream_tbDpT10_ENKUlT_T0_E_clISt17integral_constantIbLb1EES1A_IbLb0EEEEDaS16_S17_EUlS16_E_NS1_11comp_targetILNS1_3genE8ELNS1_11target_archE1030ELNS1_3gpuE2ELNS1_3repE0EEENS1_30default_config_static_selectorELNS0_4arch9wavefront6targetE0EEEvT1_: ; @_ZN7rocprim17ROCPRIM_400000_NS6detail17trampoline_kernelINS0_14default_configENS1_25partition_config_selectorILNS1_17partition_subalgoE5ElNS0_10empty_typeEbEEZZNS1_14partition_implILS5_5ELb0ES3_mN6hipcub16HIPCUB_304000_NS21CountingInputIteratorIllEEPS6_NSA_22TransformInputIteratorIbN2at6native12_GLOBAL__N_19NonZeroOpIlEEPKllEENS0_5tupleIJPlS6_EEENSN_IJSD_SD_EEES6_PiJS6_EEE10hipError_tPvRmT3_T4_T5_T6_T7_T9_mT8_P12ihipStream_tbDpT10_ENKUlT_T0_E_clISt17integral_constantIbLb1EES1A_IbLb0EEEEDaS16_S17_EUlS16_E_NS1_11comp_targetILNS1_3genE8ELNS1_11target_archE1030ELNS1_3gpuE2ELNS1_3repE0EEENS1_30default_config_static_selectorELNS0_4arch9wavefront6targetE0EEEvT1_
; %bb.0:
	.section	.rodata,"a",@progbits
	.p2align	6, 0x0
	.amdhsa_kernel _ZN7rocprim17ROCPRIM_400000_NS6detail17trampoline_kernelINS0_14default_configENS1_25partition_config_selectorILNS1_17partition_subalgoE5ElNS0_10empty_typeEbEEZZNS1_14partition_implILS5_5ELb0ES3_mN6hipcub16HIPCUB_304000_NS21CountingInputIteratorIllEEPS6_NSA_22TransformInputIteratorIbN2at6native12_GLOBAL__N_19NonZeroOpIlEEPKllEENS0_5tupleIJPlS6_EEENSN_IJSD_SD_EEES6_PiJS6_EEE10hipError_tPvRmT3_T4_T5_T6_T7_T9_mT8_P12ihipStream_tbDpT10_ENKUlT_T0_E_clISt17integral_constantIbLb1EES1A_IbLb0EEEEDaS16_S17_EUlS16_E_NS1_11comp_targetILNS1_3genE8ELNS1_11target_archE1030ELNS1_3gpuE2ELNS1_3repE0EEENS1_30default_config_static_selectorELNS0_4arch9wavefront6targetE0EEEvT1_
		.amdhsa_group_segment_fixed_size 0
		.amdhsa_private_segment_fixed_size 0
		.amdhsa_kernarg_size 120
		.amdhsa_user_sgpr_count 2
		.amdhsa_user_sgpr_dispatch_ptr 0
		.amdhsa_user_sgpr_queue_ptr 0
		.amdhsa_user_sgpr_kernarg_segment_ptr 1
		.amdhsa_user_sgpr_dispatch_id 0
		.amdhsa_user_sgpr_private_segment_size 0
		.amdhsa_wavefront_size32 1
		.amdhsa_uses_dynamic_stack 0
		.amdhsa_enable_private_segment 0
		.amdhsa_system_sgpr_workgroup_id_x 1
		.amdhsa_system_sgpr_workgroup_id_y 0
		.amdhsa_system_sgpr_workgroup_id_z 0
		.amdhsa_system_sgpr_workgroup_info 0
		.amdhsa_system_vgpr_workitem_id 0
		.amdhsa_next_free_vgpr 1
		.amdhsa_next_free_sgpr 1
		.amdhsa_reserve_vcc 0
		.amdhsa_float_round_mode_32 0
		.amdhsa_float_round_mode_16_64 0
		.amdhsa_float_denorm_mode_32 3
		.amdhsa_float_denorm_mode_16_64 3
		.amdhsa_fp16_overflow 0
		.amdhsa_workgroup_processor_mode 1
		.amdhsa_memory_ordered 1
		.amdhsa_forward_progress 1
		.amdhsa_inst_pref_size 0
		.amdhsa_round_robin_scheduling 0
		.amdhsa_exception_fp_ieee_invalid_op 0
		.amdhsa_exception_fp_denorm_src 0
		.amdhsa_exception_fp_ieee_div_zero 0
		.amdhsa_exception_fp_ieee_overflow 0
		.amdhsa_exception_fp_ieee_underflow 0
		.amdhsa_exception_fp_ieee_inexact 0
		.amdhsa_exception_int_div_zero 0
	.end_amdhsa_kernel
	.section	.text._ZN7rocprim17ROCPRIM_400000_NS6detail17trampoline_kernelINS0_14default_configENS1_25partition_config_selectorILNS1_17partition_subalgoE5ElNS0_10empty_typeEbEEZZNS1_14partition_implILS5_5ELb0ES3_mN6hipcub16HIPCUB_304000_NS21CountingInputIteratorIllEEPS6_NSA_22TransformInputIteratorIbN2at6native12_GLOBAL__N_19NonZeroOpIlEEPKllEENS0_5tupleIJPlS6_EEENSN_IJSD_SD_EEES6_PiJS6_EEE10hipError_tPvRmT3_T4_T5_T6_T7_T9_mT8_P12ihipStream_tbDpT10_ENKUlT_T0_E_clISt17integral_constantIbLb1EES1A_IbLb0EEEEDaS16_S17_EUlS16_E_NS1_11comp_targetILNS1_3genE8ELNS1_11target_archE1030ELNS1_3gpuE2ELNS1_3repE0EEENS1_30default_config_static_selectorELNS0_4arch9wavefront6targetE0EEEvT1_,"axG",@progbits,_ZN7rocprim17ROCPRIM_400000_NS6detail17trampoline_kernelINS0_14default_configENS1_25partition_config_selectorILNS1_17partition_subalgoE5ElNS0_10empty_typeEbEEZZNS1_14partition_implILS5_5ELb0ES3_mN6hipcub16HIPCUB_304000_NS21CountingInputIteratorIllEEPS6_NSA_22TransformInputIteratorIbN2at6native12_GLOBAL__N_19NonZeroOpIlEEPKllEENS0_5tupleIJPlS6_EEENSN_IJSD_SD_EEES6_PiJS6_EEE10hipError_tPvRmT3_T4_T5_T6_T7_T9_mT8_P12ihipStream_tbDpT10_ENKUlT_T0_E_clISt17integral_constantIbLb1EES1A_IbLb0EEEEDaS16_S17_EUlS16_E_NS1_11comp_targetILNS1_3genE8ELNS1_11target_archE1030ELNS1_3gpuE2ELNS1_3repE0EEENS1_30default_config_static_selectorELNS0_4arch9wavefront6targetE0EEEvT1_,comdat
.Lfunc_end277:
	.size	_ZN7rocprim17ROCPRIM_400000_NS6detail17trampoline_kernelINS0_14default_configENS1_25partition_config_selectorILNS1_17partition_subalgoE5ElNS0_10empty_typeEbEEZZNS1_14partition_implILS5_5ELb0ES3_mN6hipcub16HIPCUB_304000_NS21CountingInputIteratorIllEEPS6_NSA_22TransformInputIteratorIbN2at6native12_GLOBAL__N_19NonZeroOpIlEEPKllEENS0_5tupleIJPlS6_EEENSN_IJSD_SD_EEES6_PiJS6_EEE10hipError_tPvRmT3_T4_T5_T6_T7_T9_mT8_P12ihipStream_tbDpT10_ENKUlT_T0_E_clISt17integral_constantIbLb1EES1A_IbLb0EEEEDaS16_S17_EUlS16_E_NS1_11comp_targetILNS1_3genE8ELNS1_11target_archE1030ELNS1_3gpuE2ELNS1_3repE0EEENS1_30default_config_static_selectorELNS0_4arch9wavefront6targetE0EEEvT1_, .Lfunc_end277-_ZN7rocprim17ROCPRIM_400000_NS6detail17trampoline_kernelINS0_14default_configENS1_25partition_config_selectorILNS1_17partition_subalgoE5ElNS0_10empty_typeEbEEZZNS1_14partition_implILS5_5ELb0ES3_mN6hipcub16HIPCUB_304000_NS21CountingInputIteratorIllEEPS6_NSA_22TransformInputIteratorIbN2at6native12_GLOBAL__N_19NonZeroOpIlEEPKllEENS0_5tupleIJPlS6_EEENSN_IJSD_SD_EEES6_PiJS6_EEE10hipError_tPvRmT3_T4_T5_T6_T7_T9_mT8_P12ihipStream_tbDpT10_ENKUlT_T0_E_clISt17integral_constantIbLb1EES1A_IbLb0EEEEDaS16_S17_EUlS16_E_NS1_11comp_targetILNS1_3genE8ELNS1_11target_archE1030ELNS1_3gpuE2ELNS1_3repE0EEENS1_30default_config_static_selectorELNS0_4arch9wavefront6targetE0EEEvT1_
                                        ; -- End function
	.set _ZN7rocprim17ROCPRIM_400000_NS6detail17trampoline_kernelINS0_14default_configENS1_25partition_config_selectorILNS1_17partition_subalgoE5ElNS0_10empty_typeEbEEZZNS1_14partition_implILS5_5ELb0ES3_mN6hipcub16HIPCUB_304000_NS21CountingInputIteratorIllEEPS6_NSA_22TransformInputIteratorIbN2at6native12_GLOBAL__N_19NonZeroOpIlEEPKllEENS0_5tupleIJPlS6_EEENSN_IJSD_SD_EEES6_PiJS6_EEE10hipError_tPvRmT3_T4_T5_T6_T7_T9_mT8_P12ihipStream_tbDpT10_ENKUlT_T0_E_clISt17integral_constantIbLb1EES1A_IbLb0EEEEDaS16_S17_EUlS16_E_NS1_11comp_targetILNS1_3genE8ELNS1_11target_archE1030ELNS1_3gpuE2ELNS1_3repE0EEENS1_30default_config_static_selectorELNS0_4arch9wavefront6targetE0EEEvT1_.num_vgpr, 0
	.set _ZN7rocprim17ROCPRIM_400000_NS6detail17trampoline_kernelINS0_14default_configENS1_25partition_config_selectorILNS1_17partition_subalgoE5ElNS0_10empty_typeEbEEZZNS1_14partition_implILS5_5ELb0ES3_mN6hipcub16HIPCUB_304000_NS21CountingInputIteratorIllEEPS6_NSA_22TransformInputIteratorIbN2at6native12_GLOBAL__N_19NonZeroOpIlEEPKllEENS0_5tupleIJPlS6_EEENSN_IJSD_SD_EEES6_PiJS6_EEE10hipError_tPvRmT3_T4_T5_T6_T7_T9_mT8_P12ihipStream_tbDpT10_ENKUlT_T0_E_clISt17integral_constantIbLb1EES1A_IbLb0EEEEDaS16_S17_EUlS16_E_NS1_11comp_targetILNS1_3genE8ELNS1_11target_archE1030ELNS1_3gpuE2ELNS1_3repE0EEENS1_30default_config_static_selectorELNS0_4arch9wavefront6targetE0EEEvT1_.num_agpr, 0
	.set _ZN7rocprim17ROCPRIM_400000_NS6detail17trampoline_kernelINS0_14default_configENS1_25partition_config_selectorILNS1_17partition_subalgoE5ElNS0_10empty_typeEbEEZZNS1_14partition_implILS5_5ELb0ES3_mN6hipcub16HIPCUB_304000_NS21CountingInputIteratorIllEEPS6_NSA_22TransformInputIteratorIbN2at6native12_GLOBAL__N_19NonZeroOpIlEEPKllEENS0_5tupleIJPlS6_EEENSN_IJSD_SD_EEES6_PiJS6_EEE10hipError_tPvRmT3_T4_T5_T6_T7_T9_mT8_P12ihipStream_tbDpT10_ENKUlT_T0_E_clISt17integral_constantIbLb1EES1A_IbLb0EEEEDaS16_S17_EUlS16_E_NS1_11comp_targetILNS1_3genE8ELNS1_11target_archE1030ELNS1_3gpuE2ELNS1_3repE0EEENS1_30default_config_static_selectorELNS0_4arch9wavefront6targetE0EEEvT1_.numbered_sgpr, 0
	.set _ZN7rocprim17ROCPRIM_400000_NS6detail17trampoline_kernelINS0_14default_configENS1_25partition_config_selectorILNS1_17partition_subalgoE5ElNS0_10empty_typeEbEEZZNS1_14partition_implILS5_5ELb0ES3_mN6hipcub16HIPCUB_304000_NS21CountingInputIteratorIllEEPS6_NSA_22TransformInputIteratorIbN2at6native12_GLOBAL__N_19NonZeroOpIlEEPKllEENS0_5tupleIJPlS6_EEENSN_IJSD_SD_EEES6_PiJS6_EEE10hipError_tPvRmT3_T4_T5_T6_T7_T9_mT8_P12ihipStream_tbDpT10_ENKUlT_T0_E_clISt17integral_constantIbLb1EES1A_IbLb0EEEEDaS16_S17_EUlS16_E_NS1_11comp_targetILNS1_3genE8ELNS1_11target_archE1030ELNS1_3gpuE2ELNS1_3repE0EEENS1_30default_config_static_selectorELNS0_4arch9wavefront6targetE0EEEvT1_.num_named_barrier, 0
	.set _ZN7rocprim17ROCPRIM_400000_NS6detail17trampoline_kernelINS0_14default_configENS1_25partition_config_selectorILNS1_17partition_subalgoE5ElNS0_10empty_typeEbEEZZNS1_14partition_implILS5_5ELb0ES3_mN6hipcub16HIPCUB_304000_NS21CountingInputIteratorIllEEPS6_NSA_22TransformInputIteratorIbN2at6native12_GLOBAL__N_19NonZeroOpIlEEPKllEENS0_5tupleIJPlS6_EEENSN_IJSD_SD_EEES6_PiJS6_EEE10hipError_tPvRmT3_T4_T5_T6_T7_T9_mT8_P12ihipStream_tbDpT10_ENKUlT_T0_E_clISt17integral_constantIbLb1EES1A_IbLb0EEEEDaS16_S17_EUlS16_E_NS1_11comp_targetILNS1_3genE8ELNS1_11target_archE1030ELNS1_3gpuE2ELNS1_3repE0EEENS1_30default_config_static_selectorELNS0_4arch9wavefront6targetE0EEEvT1_.private_seg_size, 0
	.set _ZN7rocprim17ROCPRIM_400000_NS6detail17trampoline_kernelINS0_14default_configENS1_25partition_config_selectorILNS1_17partition_subalgoE5ElNS0_10empty_typeEbEEZZNS1_14partition_implILS5_5ELb0ES3_mN6hipcub16HIPCUB_304000_NS21CountingInputIteratorIllEEPS6_NSA_22TransformInputIteratorIbN2at6native12_GLOBAL__N_19NonZeroOpIlEEPKllEENS0_5tupleIJPlS6_EEENSN_IJSD_SD_EEES6_PiJS6_EEE10hipError_tPvRmT3_T4_T5_T6_T7_T9_mT8_P12ihipStream_tbDpT10_ENKUlT_T0_E_clISt17integral_constantIbLb1EES1A_IbLb0EEEEDaS16_S17_EUlS16_E_NS1_11comp_targetILNS1_3genE8ELNS1_11target_archE1030ELNS1_3gpuE2ELNS1_3repE0EEENS1_30default_config_static_selectorELNS0_4arch9wavefront6targetE0EEEvT1_.uses_vcc, 0
	.set _ZN7rocprim17ROCPRIM_400000_NS6detail17trampoline_kernelINS0_14default_configENS1_25partition_config_selectorILNS1_17partition_subalgoE5ElNS0_10empty_typeEbEEZZNS1_14partition_implILS5_5ELb0ES3_mN6hipcub16HIPCUB_304000_NS21CountingInputIteratorIllEEPS6_NSA_22TransformInputIteratorIbN2at6native12_GLOBAL__N_19NonZeroOpIlEEPKllEENS0_5tupleIJPlS6_EEENSN_IJSD_SD_EEES6_PiJS6_EEE10hipError_tPvRmT3_T4_T5_T6_T7_T9_mT8_P12ihipStream_tbDpT10_ENKUlT_T0_E_clISt17integral_constantIbLb1EES1A_IbLb0EEEEDaS16_S17_EUlS16_E_NS1_11comp_targetILNS1_3genE8ELNS1_11target_archE1030ELNS1_3gpuE2ELNS1_3repE0EEENS1_30default_config_static_selectorELNS0_4arch9wavefront6targetE0EEEvT1_.uses_flat_scratch, 0
	.set _ZN7rocprim17ROCPRIM_400000_NS6detail17trampoline_kernelINS0_14default_configENS1_25partition_config_selectorILNS1_17partition_subalgoE5ElNS0_10empty_typeEbEEZZNS1_14partition_implILS5_5ELb0ES3_mN6hipcub16HIPCUB_304000_NS21CountingInputIteratorIllEEPS6_NSA_22TransformInputIteratorIbN2at6native12_GLOBAL__N_19NonZeroOpIlEEPKllEENS0_5tupleIJPlS6_EEENSN_IJSD_SD_EEES6_PiJS6_EEE10hipError_tPvRmT3_T4_T5_T6_T7_T9_mT8_P12ihipStream_tbDpT10_ENKUlT_T0_E_clISt17integral_constantIbLb1EES1A_IbLb0EEEEDaS16_S17_EUlS16_E_NS1_11comp_targetILNS1_3genE8ELNS1_11target_archE1030ELNS1_3gpuE2ELNS1_3repE0EEENS1_30default_config_static_selectorELNS0_4arch9wavefront6targetE0EEEvT1_.has_dyn_sized_stack, 0
	.set _ZN7rocprim17ROCPRIM_400000_NS6detail17trampoline_kernelINS0_14default_configENS1_25partition_config_selectorILNS1_17partition_subalgoE5ElNS0_10empty_typeEbEEZZNS1_14partition_implILS5_5ELb0ES3_mN6hipcub16HIPCUB_304000_NS21CountingInputIteratorIllEEPS6_NSA_22TransformInputIteratorIbN2at6native12_GLOBAL__N_19NonZeroOpIlEEPKllEENS0_5tupleIJPlS6_EEENSN_IJSD_SD_EEES6_PiJS6_EEE10hipError_tPvRmT3_T4_T5_T6_T7_T9_mT8_P12ihipStream_tbDpT10_ENKUlT_T0_E_clISt17integral_constantIbLb1EES1A_IbLb0EEEEDaS16_S17_EUlS16_E_NS1_11comp_targetILNS1_3genE8ELNS1_11target_archE1030ELNS1_3gpuE2ELNS1_3repE0EEENS1_30default_config_static_selectorELNS0_4arch9wavefront6targetE0EEEvT1_.has_recursion, 0
	.set _ZN7rocprim17ROCPRIM_400000_NS6detail17trampoline_kernelINS0_14default_configENS1_25partition_config_selectorILNS1_17partition_subalgoE5ElNS0_10empty_typeEbEEZZNS1_14partition_implILS5_5ELb0ES3_mN6hipcub16HIPCUB_304000_NS21CountingInputIteratorIllEEPS6_NSA_22TransformInputIteratorIbN2at6native12_GLOBAL__N_19NonZeroOpIlEEPKllEENS0_5tupleIJPlS6_EEENSN_IJSD_SD_EEES6_PiJS6_EEE10hipError_tPvRmT3_T4_T5_T6_T7_T9_mT8_P12ihipStream_tbDpT10_ENKUlT_T0_E_clISt17integral_constantIbLb1EES1A_IbLb0EEEEDaS16_S17_EUlS16_E_NS1_11comp_targetILNS1_3genE8ELNS1_11target_archE1030ELNS1_3gpuE2ELNS1_3repE0EEENS1_30default_config_static_selectorELNS0_4arch9wavefront6targetE0EEEvT1_.has_indirect_call, 0
	.section	.AMDGPU.csdata,"",@progbits
; Kernel info:
; codeLenInByte = 0
; TotalNumSgprs: 0
; NumVgprs: 0
; ScratchSize: 0
; MemoryBound: 0
; FloatMode: 240
; IeeeMode: 1
; LDSByteSize: 0 bytes/workgroup (compile time only)
; SGPRBlocks: 0
; VGPRBlocks: 0
; NumSGPRsForWavesPerEU: 1
; NumVGPRsForWavesPerEU: 1
; Occupancy: 16
; WaveLimiterHint : 0
; COMPUTE_PGM_RSRC2:SCRATCH_EN: 0
; COMPUTE_PGM_RSRC2:USER_SGPR: 2
; COMPUTE_PGM_RSRC2:TRAP_HANDLER: 0
; COMPUTE_PGM_RSRC2:TGID_X_EN: 1
; COMPUTE_PGM_RSRC2:TGID_Y_EN: 0
; COMPUTE_PGM_RSRC2:TGID_Z_EN: 0
; COMPUTE_PGM_RSRC2:TIDIG_COMP_CNT: 0
	.section	.text._ZN7rocprim17ROCPRIM_400000_NS6detail17trampoline_kernelINS0_14default_configENS1_25partition_config_selectorILNS1_17partition_subalgoE5ElNS0_10empty_typeEbEEZZNS1_14partition_implILS5_5ELb0ES3_mN6hipcub16HIPCUB_304000_NS21CountingInputIteratorIllEEPS6_NSA_22TransformInputIteratorIbN2at6native12_GLOBAL__N_19NonZeroOpIlEEPKllEENS0_5tupleIJPlS6_EEENSN_IJSD_SD_EEES6_PiJS6_EEE10hipError_tPvRmT3_T4_T5_T6_T7_T9_mT8_P12ihipStream_tbDpT10_ENKUlT_T0_E_clISt17integral_constantIbLb0EES1A_IbLb1EEEEDaS16_S17_EUlS16_E_NS1_11comp_targetILNS1_3genE0ELNS1_11target_archE4294967295ELNS1_3gpuE0ELNS1_3repE0EEENS1_30default_config_static_selectorELNS0_4arch9wavefront6targetE0EEEvT1_,"axG",@progbits,_ZN7rocprim17ROCPRIM_400000_NS6detail17trampoline_kernelINS0_14default_configENS1_25partition_config_selectorILNS1_17partition_subalgoE5ElNS0_10empty_typeEbEEZZNS1_14partition_implILS5_5ELb0ES3_mN6hipcub16HIPCUB_304000_NS21CountingInputIteratorIllEEPS6_NSA_22TransformInputIteratorIbN2at6native12_GLOBAL__N_19NonZeroOpIlEEPKllEENS0_5tupleIJPlS6_EEENSN_IJSD_SD_EEES6_PiJS6_EEE10hipError_tPvRmT3_T4_T5_T6_T7_T9_mT8_P12ihipStream_tbDpT10_ENKUlT_T0_E_clISt17integral_constantIbLb0EES1A_IbLb1EEEEDaS16_S17_EUlS16_E_NS1_11comp_targetILNS1_3genE0ELNS1_11target_archE4294967295ELNS1_3gpuE0ELNS1_3repE0EEENS1_30default_config_static_selectorELNS0_4arch9wavefront6targetE0EEEvT1_,comdat
	.globl	_ZN7rocprim17ROCPRIM_400000_NS6detail17trampoline_kernelINS0_14default_configENS1_25partition_config_selectorILNS1_17partition_subalgoE5ElNS0_10empty_typeEbEEZZNS1_14partition_implILS5_5ELb0ES3_mN6hipcub16HIPCUB_304000_NS21CountingInputIteratorIllEEPS6_NSA_22TransformInputIteratorIbN2at6native12_GLOBAL__N_19NonZeroOpIlEEPKllEENS0_5tupleIJPlS6_EEENSN_IJSD_SD_EEES6_PiJS6_EEE10hipError_tPvRmT3_T4_T5_T6_T7_T9_mT8_P12ihipStream_tbDpT10_ENKUlT_T0_E_clISt17integral_constantIbLb0EES1A_IbLb1EEEEDaS16_S17_EUlS16_E_NS1_11comp_targetILNS1_3genE0ELNS1_11target_archE4294967295ELNS1_3gpuE0ELNS1_3repE0EEENS1_30default_config_static_selectorELNS0_4arch9wavefront6targetE0EEEvT1_ ; -- Begin function _ZN7rocprim17ROCPRIM_400000_NS6detail17trampoline_kernelINS0_14default_configENS1_25partition_config_selectorILNS1_17partition_subalgoE5ElNS0_10empty_typeEbEEZZNS1_14partition_implILS5_5ELb0ES3_mN6hipcub16HIPCUB_304000_NS21CountingInputIteratorIllEEPS6_NSA_22TransformInputIteratorIbN2at6native12_GLOBAL__N_19NonZeroOpIlEEPKllEENS0_5tupleIJPlS6_EEENSN_IJSD_SD_EEES6_PiJS6_EEE10hipError_tPvRmT3_T4_T5_T6_T7_T9_mT8_P12ihipStream_tbDpT10_ENKUlT_T0_E_clISt17integral_constantIbLb0EES1A_IbLb1EEEEDaS16_S17_EUlS16_E_NS1_11comp_targetILNS1_3genE0ELNS1_11target_archE4294967295ELNS1_3gpuE0ELNS1_3repE0EEENS1_30default_config_static_selectorELNS0_4arch9wavefront6targetE0EEEvT1_
	.p2align	8
	.type	_ZN7rocprim17ROCPRIM_400000_NS6detail17trampoline_kernelINS0_14default_configENS1_25partition_config_selectorILNS1_17partition_subalgoE5ElNS0_10empty_typeEbEEZZNS1_14partition_implILS5_5ELb0ES3_mN6hipcub16HIPCUB_304000_NS21CountingInputIteratorIllEEPS6_NSA_22TransformInputIteratorIbN2at6native12_GLOBAL__N_19NonZeroOpIlEEPKllEENS0_5tupleIJPlS6_EEENSN_IJSD_SD_EEES6_PiJS6_EEE10hipError_tPvRmT3_T4_T5_T6_T7_T9_mT8_P12ihipStream_tbDpT10_ENKUlT_T0_E_clISt17integral_constantIbLb0EES1A_IbLb1EEEEDaS16_S17_EUlS16_E_NS1_11comp_targetILNS1_3genE0ELNS1_11target_archE4294967295ELNS1_3gpuE0ELNS1_3repE0EEENS1_30default_config_static_selectorELNS0_4arch9wavefront6targetE0EEEvT1_,@function
_ZN7rocprim17ROCPRIM_400000_NS6detail17trampoline_kernelINS0_14default_configENS1_25partition_config_selectorILNS1_17partition_subalgoE5ElNS0_10empty_typeEbEEZZNS1_14partition_implILS5_5ELb0ES3_mN6hipcub16HIPCUB_304000_NS21CountingInputIteratorIllEEPS6_NSA_22TransformInputIteratorIbN2at6native12_GLOBAL__N_19NonZeroOpIlEEPKllEENS0_5tupleIJPlS6_EEENSN_IJSD_SD_EEES6_PiJS6_EEE10hipError_tPvRmT3_T4_T5_T6_T7_T9_mT8_P12ihipStream_tbDpT10_ENKUlT_T0_E_clISt17integral_constantIbLb0EES1A_IbLb1EEEEDaS16_S17_EUlS16_E_NS1_11comp_targetILNS1_3genE0ELNS1_11target_archE4294967295ELNS1_3gpuE0ELNS1_3repE0EEENS1_30default_config_static_selectorELNS0_4arch9wavefront6targetE0EEEvT1_: ; @_ZN7rocprim17ROCPRIM_400000_NS6detail17trampoline_kernelINS0_14default_configENS1_25partition_config_selectorILNS1_17partition_subalgoE5ElNS0_10empty_typeEbEEZZNS1_14partition_implILS5_5ELb0ES3_mN6hipcub16HIPCUB_304000_NS21CountingInputIteratorIllEEPS6_NSA_22TransformInputIteratorIbN2at6native12_GLOBAL__N_19NonZeroOpIlEEPKllEENS0_5tupleIJPlS6_EEENSN_IJSD_SD_EEES6_PiJS6_EEE10hipError_tPvRmT3_T4_T5_T6_T7_T9_mT8_P12ihipStream_tbDpT10_ENKUlT_T0_E_clISt17integral_constantIbLb0EES1A_IbLb1EEEEDaS16_S17_EUlS16_E_NS1_11comp_targetILNS1_3genE0ELNS1_11target_archE4294967295ELNS1_3gpuE0ELNS1_3repE0EEENS1_30default_config_static_selectorELNS0_4arch9wavefront6targetE0EEEvT1_
; %bb.0:
	.section	.rodata,"a",@progbits
	.p2align	6, 0x0
	.amdhsa_kernel _ZN7rocprim17ROCPRIM_400000_NS6detail17trampoline_kernelINS0_14default_configENS1_25partition_config_selectorILNS1_17partition_subalgoE5ElNS0_10empty_typeEbEEZZNS1_14partition_implILS5_5ELb0ES3_mN6hipcub16HIPCUB_304000_NS21CountingInputIteratorIllEEPS6_NSA_22TransformInputIteratorIbN2at6native12_GLOBAL__N_19NonZeroOpIlEEPKllEENS0_5tupleIJPlS6_EEENSN_IJSD_SD_EEES6_PiJS6_EEE10hipError_tPvRmT3_T4_T5_T6_T7_T9_mT8_P12ihipStream_tbDpT10_ENKUlT_T0_E_clISt17integral_constantIbLb0EES1A_IbLb1EEEEDaS16_S17_EUlS16_E_NS1_11comp_targetILNS1_3genE0ELNS1_11target_archE4294967295ELNS1_3gpuE0ELNS1_3repE0EEENS1_30default_config_static_selectorELNS0_4arch9wavefront6targetE0EEEvT1_
		.amdhsa_group_segment_fixed_size 0
		.amdhsa_private_segment_fixed_size 0
		.amdhsa_kernarg_size 136
		.amdhsa_user_sgpr_count 2
		.amdhsa_user_sgpr_dispatch_ptr 0
		.amdhsa_user_sgpr_queue_ptr 0
		.amdhsa_user_sgpr_kernarg_segment_ptr 1
		.amdhsa_user_sgpr_dispatch_id 0
		.amdhsa_user_sgpr_private_segment_size 0
		.amdhsa_wavefront_size32 1
		.amdhsa_uses_dynamic_stack 0
		.amdhsa_enable_private_segment 0
		.amdhsa_system_sgpr_workgroup_id_x 1
		.amdhsa_system_sgpr_workgroup_id_y 0
		.amdhsa_system_sgpr_workgroup_id_z 0
		.amdhsa_system_sgpr_workgroup_info 0
		.amdhsa_system_vgpr_workitem_id 0
		.amdhsa_next_free_vgpr 1
		.amdhsa_next_free_sgpr 1
		.amdhsa_reserve_vcc 0
		.amdhsa_float_round_mode_32 0
		.amdhsa_float_round_mode_16_64 0
		.amdhsa_float_denorm_mode_32 3
		.amdhsa_float_denorm_mode_16_64 3
		.amdhsa_fp16_overflow 0
		.amdhsa_workgroup_processor_mode 1
		.amdhsa_memory_ordered 1
		.amdhsa_forward_progress 1
		.amdhsa_inst_pref_size 0
		.amdhsa_round_robin_scheduling 0
		.amdhsa_exception_fp_ieee_invalid_op 0
		.amdhsa_exception_fp_denorm_src 0
		.amdhsa_exception_fp_ieee_div_zero 0
		.amdhsa_exception_fp_ieee_overflow 0
		.amdhsa_exception_fp_ieee_underflow 0
		.amdhsa_exception_fp_ieee_inexact 0
		.amdhsa_exception_int_div_zero 0
	.end_amdhsa_kernel
	.section	.text._ZN7rocprim17ROCPRIM_400000_NS6detail17trampoline_kernelINS0_14default_configENS1_25partition_config_selectorILNS1_17partition_subalgoE5ElNS0_10empty_typeEbEEZZNS1_14partition_implILS5_5ELb0ES3_mN6hipcub16HIPCUB_304000_NS21CountingInputIteratorIllEEPS6_NSA_22TransformInputIteratorIbN2at6native12_GLOBAL__N_19NonZeroOpIlEEPKllEENS0_5tupleIJPlS6_EEENSN_IJSD_SD_EEES6_PiJS6_EEE10hipError_tPvRmT3_T4_T5_T6_T7_T9_mT8_P12ihipStream_tbDpT10_ENKUlT_T0_E_clISt17integral_constantIbLb0EES1A_IbLb1EEEEDaS16_S17_EUlS16_E_NS1_11comp_targetILNS1_3genE0ELNS1_11target_archE4294967295ELNS1_3gpuE0ELNS1_3repE0EEENS1_30default_config_static_selectorELNS0_4arch9wavefront6targetE0EEEvT1_,"axG",@progbits,_ZN7rocprim17ROCPRIM_400000_NS6detail17trampoline_kernelINS0_14default_configENS1_25partition_config_selectorILNS1_17partition_subalgoE5ElNS0_10empty_typeEbEEZZNS1_14partition_implILS5_5ELb0ES3_mN6hipcub16HIPCUB_304000_NS21CountingInputIteratorIllEEPS6_NSA_22TransformInputIteratorIbN2at6native12_GLOBAL__N_19NonZeroOpIlEEPKllEENS0_5tupleIJPlS6_EEENSN_IJSD_SD_EEES6_PiJS6_EEE10hipError_tPvRmT3_T4_T5_T6_T7_T9_mT8_P12ihipStream_tbDpT10_ENKUlT_T0_E_clISt17integral_constantIbLb0EES1A_IbLb1EEEEDaS16_S17_EUlS16_E_NS1_11comp_targetILNS1_3genE0ELNS1_11target_archE4294967295ELNS1_3gpuE0ELNS1_3repE0EEENS1_30default_config_static_selectorELNS0_4arch9wavefront6targetE0EEEvT1_,comdat
.Lfunc_end278:
	.size	_ZN7rocprim17ROCPRIM_400000_NS6detail17trampoline_kernelINS0_14default_configENS1_25partition_config_selectorILNS1_17partition_subalgoE5ElNS0_10empty_typeEbEEZZNS1_14partition_implILS5_5ELb0ES3_mN6hipcub16HIPCUB_304000_NS21CountingInputIteratorIllEEPS6_NSA_22TransformInputIteratorIbN2at6native12_GLOBAL__N_19NonZeroOpIlEEPKllEENS0_5tupleIJPlS6_EEENSN_IJSD_SD_EEES6_PiJS6_EEE10hipError_tPvRmT3_T4_T5_T6_T7_T9_mT8_P12ihipStream_tbDpT10_ENKUlT_T0_E_clISt17integral_constantIbLb0EES1A_IbLb1EEEEDaS16_S17_EUlS16_E_NS1_11comp_targetILNS1_3genE0ELNS1_11target_archE4294967295ELNS1_3gpuE0ELNS1_3repE0EEENS1_30default_config_static_selectorELNS0_4arch9wavefront6targetE0EEEvT1_, .Lfunc_end278-_ZN7rocprim17ROCPRIM_400000_NS6detail17trampoline_kernelINS0_14default_configENS1_25partition_config_selectorILNS1_17partition_subalgoE5ElNS0_10empty_typeEbEEZZNS1_14partition_implILS5_5ELb0ES3_mN6hipcub16HIPCUB_304000_NS21CountingInputIteratorIllEEPS6_NSA_22TransformInputIteratorIbN2at6native12_GLOBAL__N_19NonZeroOpIlEEPKllEENS0_5tupleIJPlS6_EEENSN_IJSD_SD_EEES6_PiJS6_EEE10hipError_tPvRmT3_T4_T5_T6_T7_T9_mT8_P12ihipStream_tbDpT10_ENKUlT_T0_E_clISt17integral_constantIbLb0EES1A_IbLb1EEEEDaS16_S17_EUlS16_E_NS1_11comp_targetILNS1_3genE0ELNS1_11target_archE4294967295ELNS1_3gpuE0ELNS1_3repE0EEENS1_30default_config_static_selectorELNS0_4arch9wavefront6targetE0EEEvT1_
                                        ; -- End function
	.set _ZN7rocprim17ROCPRIM_400000_NS6detail17trampoline_kernelINS0_14default_configENS1_25partition_config_selectorILNS1_17partition_subalgoE5ElNS0_10empty_typeEbEEZZNS1_14partition_implILS5_5ELb0ES3_mN6hipcub16HIPCUB_304000_NS21CountingInputIteratorIllEEPS6_NSA_22TransformInputIteratorIbN2at6native12_GLOBAL__N_19NonZeroOpIlEEPKllEENS0_5tupleIJPlS6_EEENSN_IJSD_SD_EEES6_PiJS6_EEE10hipError_tPvRmT3_T4_T5_T6_T7_T9_mT8_P12ihipStream_tbDpT10_ENKUlT_T0_E_clISt17integral_constantIbLb0EES1A_IbLb1EEEEDaS16_S17_EUlS16_E_NS1_11comp_targetILNS1_3genE0ELNS1_11target_archE4294967295ELNS1_3gpuE0ELNS1_3repE0EEENS1_30default_config_static_selectorELNS0_4arch9wavefront6targetE0EEEvT1_.num_vgpr, 0
	.set _ZN7rocprim17ROCPRIM_400000_NS6detail17trampoline_kernelINS0_14default_configENS1_25partition_config_selectorILNS1_17partition_subalgoE5ElNS0_10empty_typeEbEEZZNS1_14partition_implILS5_5ELb0ES3_mN6hipcub16HIPCUB_304000_NS21CountingInputIteratorIllEEPS6_NSA_22TransformInputIteratorIbN2at6native12_GLOBAL__N_19NonZeroOpIlEEPKllEENS0_5tupleIJPlS6_EEENSN_IJSD_SD_EEES6_PiJS6_EEE10hipError_tPvRmT3_T4_T5_T6_T7_T9_mT8_P12ihipStream_tbDpT10_ENKUlT_T0_E_clISt17integral_constantIbLb0EES1A_IbLb1EEEEDaS16_S17_EUlS16_E_NS1_11comp_targetILNS1_3genE0ELNS1_11target_archE4294967295ELNS1_3gpuE0ELNS1_3repE0EEENS1_30default_config_static_selectorELNS0_4arch9wavefront6targetE0EEEvT1_.num_agpr, 0
	.set _ZN7rocprim17ROCPRIM_400000_NS6detail17trampoline_kernelINS0_14default_configENS1_25partition_config_selectorILNS1_17partition_subalgoE5ElNS0_10empty_typeEbEEZZNS1_14partition_implILS5_5ELb0ES3_mN6hipcub16HIPCUB_304000_NS21CountingInputIteratorIllEEPS6_NSA_22TransformInputIteratorIbN2at6native12_GLOBAL__N_19NonZeroOpIlEEPKllEENS0_5tupleIJPlS6_EEENSN_IJSD_SD_EEES6_PiJS6_EEE10hipError_tPvRmT3_T4_T5_T6_T7_T9_mT8_P12ihipStream_tbDpT10_ENKUlT_T0_E_clISt17integral_constantIbLb0EES1A_IbLb1EEEEDaS16_S17_EUlS16_E_NS1_11comp_targetILNS1_3genE0ELNS1_11target_archE4294967295ELNS1_3gpuE0ELNS1_3repE0EEENS1_30default_config_static_selectorELNS0_4arch9wavefront6targetE0EEEvT1_.numbered_sgpr, 0
	.set _ZN7rocprim17ROCPRIM_400000_NS6detail17trampoline_kernelINS0_14default_configENS1_25partition_config_selectorILNS1_17partition_subalgoE5ElNS0_10empty_typeEbEEZZNS1_14partition_implILS5_5ELb0ES3_mN6hipcub16HIPCUB_304000_NS21CountingInputIteratorIllEEPS6_NSA_22TransformInputIteratorIbN2at6native12_GLOBAL__N_19NonZeroOpIlEEPKllEENS0_5tupleIJPlS6_EEENSN_IJSD_SD_EEES6_PiJS6_EEE10hipError_tPvRmT3_T4_T5_T6_T7_T9_mT8_P12ihipStream_tbDpT10_ENKUlT_T0_E_clISt17integral_constantIbLb0EES1A_IbLb1EEEEDaS16_S17_EUlS16_E_NS1_11comp_targetILNS1_3genE0ELNS1_11target_archE4294967295ELNS1_3gpuE0ELNS1_3repE0EEENS1_30default_config_static_selectorELNS0_4arch9wavefront6targetE0EEEvT1_.num_named_barrier, 0
	.set _ZN7rocprim17ROCPRIM_400000_NS6detail17trampoline_kernelINS0_14default_configENS1_25partition_config_selectorILNS1_17partition_subalgoE5ElNS0_10empty_typeEbEEZZNS1_14partition_implILS5_5ELb0ES3_mN6hipcub16HIPCUB_304000_NS21CountingInputIteratorIllEEPS6_NSA_22TransformInputIteratorIbN2at6native12_GLOBAL__N_19NonZeroOpIlEEPKllEENS0_5tupleIJPlS6_EEENSN_IJSD_SD_EEES6_PiJS6_EEE10hipError_tPvRmT3_T4_T5_T6_T7_T9_mT8_P12ihipStream_tbDpT10_ENKUlT_T0_E_clISt17integral_constantIbLb0EES1A_IbLb1EEEEDaS16_S17_EUlS16_E_NS1_11comp_targetILNS1_3genE0ELNS1_11target_archE4294967295ELNS1_3gpuE0ELNS1_3repE0EEENS1_30default_config_static_selectorELNS0_4arch9wavefront6targetE0EEEvT1_.private_seg_size, 0
	.set _ZN7rocprim17ROCPRIM_400000_NS6detail17trampoline_kernelINS0_14default_configENS1_25partition_config_selectorILNS1_17partition_subalgoE5ElNS0_10empty_typeEbEEZZNS1_14partition_implILS5_5ELb0ES3_mN6hipcub16HIPCUB_304000_NS21CountingInputIteratorIllEEPS6_NSA_22TransformInputIteratorIbN2at6native12_GLOBAL__N_19NonZeroOpIlEEPKllEENS0_5tupleIJPlS6_EEENSN_IJSD_SD_EEES6_PiJS6_EEE10hipError_tPvRmT3_T4_T5_T6_T7_T9_mT8_P12ihipStream_tbDpT10_ENKUlT_T0_E_clISt17integral_constantIbLb0EES1A_IbLb1EEEEDaS16_S17_EUlS16_E_NS1_11comp_targetILNS1_3genE0ELNS1_11target_archE4294967295ELNS1_3gpuE0ELNS1_3repE0EEENS1_30default_config_static_selectorELNS0_4arch9wavefront6targetE0EEEvT1_.uses_vcc, 0
	.set _ZN7rocprim17ROCPRIM_400000_NS6detail17trampoline_kernelINS0_14default_configENS1_25partition_config_selectorILNS1_17partition_subalgoE5ElNS0_10empty_typeEbEEZZNS1_14partition_implILS5_5ELb0ES3_mN6hipcub16HIPCUB_304000_NS21CountingInputIteratorIllEEPS6_NSA_22TransformInputIteratorIbN2at6native12_GLOBAL__N_19NonZeroOpIlEEPKllEENS0_5tupleIJPlS6_EEENSN_IJSD_SD_EEES6_PiJS6_EEE10hipError_tPvRmT3_T4_T5_T6_T7_T9_mT8_P12ihipStream_tbDpT10_ENKUlT_T0_E_clISt17integral_constantIbLb0EES1A_IbLb1EEEEDaS16_S17_EUlS16_E_NS1_11comp_targetILNS1_3genE0ELNS1_11target_archE4294967295ELNS1_3gpuE0ELNS1_3repE0EEENS1_30default_config_static_selectorELNS0_4arch9wavefront6targetE0EEEvT1_.uses_flat_scratch, 0
	.set _ZN7rocprim17ROCPRIM_400000_NS6detail17trampoline_kernelINS0_14default_configENS1_25partition_config_selectorILNS1_17partition_subalgoE5ElNS0_10empty_typeEbEEZZNS1_14partition_implILS5_5ELb0ES3_mN6hipcub16HIPCUB_304000_NS21CountingInputIteratorIllEEPS6_NSA_22TransformInputIteratorIbN2at6native12_GLOBAL__N_19NonZeroOpIlEEPKllEENS0_5tupleIJPlS6_EEENSN_IJSD_SD_EEES6_PiJS6_EEE10hipError_tPvRmT3_T4_T5_T6_T7_T9_mT8_P12ihipStream_tbDpT10_ENKUlT_T0_E_clISt17integral_constantIbLb0EES1A_IbLb1EEEEDaS16_S17_EUlS16_E_NS1_11comp_targetILNS1_3genE0ELNS1_11target_archE4294967295ELNS1_3gpuE0ELNS1_3repE0EEENS1_30default_config_static_selectorELNS0_4arch9wavefront6targetE0EEEvT1_.has_dyn_sized_stack, 0
	.set _ZN7rocprim17ROCPRIM_400000_NS6detail17trampoline_kernelINS0_14default_configENS1_25partition_config_selectorILNS1_17partition_subalgoE5ElNS0_10empty_typeEbEEZZNS1_14partition_implILS5_5ELb0ES3_mN6hipcub16HIPCUB_304000_NS21CountingInputIteratorIllEEPS6_NSA_22TransformInputIteratorIbN2at6native12_GLOBAL__N_19NonZeroOpIlEEPKllEENS0_5tupleIJPlS6_EEENSN_IJSD_SD_EEES6_PiJS6_EEE10hipError_tPvRmT3_T4_T5_T6_T7_T9_mT8_P12ihipStream_tbDpT10_ENKUlT_T0_E_clISt17integral_constantIbLb0EES1A_IbLb1EEEEDaS16_S17_EUlS16_E_NS1_11comp_targetILNS1_3genE0ELNS1_11target_archE4294967295ELNS1_3gpuE0ELNS1_3repE0EEENS1_30default_config_static_selectorELNS0_4arch9wavefront6targetE0EEEvT1_.has_recursion, 0
	.set _ZN7rocprim17ROCPRIM_400000_NS6detail17trampoline_kernelINS0_14default_configENS1_25partition_config_selectorILNS1_17partition_subalgoE5ElNS0_10empty_typeEbEEZZNS1_14partition_implILS5_5ELb0ES3_mN6hipcub16HIPCUB_304000_NS21CountingInputIteratorIllEEPS6_NSA_22TransformInputIteratorIbN2at6native12_GLOBAL__N_19NonZeroOpIlEEPKllEENS0_5tupleIJPlS6_EEENSN_IJSD_SD_EEES6_PiJS6_EEE10hipError_tPvRmT3_T4_T5_T6_T7_T9_mT8_P12ihipStream_tbDpT10_ENKUlT_T0_E_clISt17integral_constantIbLb0EES1A_IbLb1EEEEDaS16_S17_EUlS16_E_NS1_11comp_targetILNS1_3genE0ELNS1_11target_archE4294967295ELNS1_3gpuE0ELNS1_3repE0EEENS1_30default_config_static_selectorELNS0_4arch9wavefront6targetE0EEEvT1_.has_indirect_call, 0
	.section	.AMDGPU.csdata,"",@progbits
; Kernel info:
; codeLenInByte = 0
; TotalNumSgprs: 0
; NumVgprs: 0
; ScratchSize: 0
; MemoryBound: 0
; FloatMode: 240
; IeeeMode: 1
; LDSByteSize: 0 bytes/workgroup (compile time only)
; SGPRBlocks: 0
; VGPRBlocks: 0
; NumSGPRsForWavesPerEU: 1
; NumVGPRsForWavesPerEU: 1
; Occupancy: 16
; WaveLimiterHint : 0
; COMPUTE_PGM_RSRC2:SCRATCH_EN: 0
; COMPUTE_PGM_RSRC2:USER_SGPR: 2
; COMPUTE_PGM_RSRC2:TRAP_HANDLER: 0
; COMPUTE_PGM_RSRC2:TGID_X_EN: 1
; COMPUTE_PGM_RSRC2:TGID_Y_EN: 0
; COMPUTE_PGM_RSRC2:TGID_Z_EN: 0
; COMPUTE_PGM_RSRC2:TIDIG_COMP_CNT: 0
	.section	.text._ZN7rocprim17ROCPRIM_400000_NS6detail17trampoline_kernelINS0_14default_configENS1_25partition_config_selectorILNS1_17partition_subalgoE5ElNS0_10empty_typeEbEEZZNS1_14partition_implILS5_5ELb0ES3_mN6hipcub16HIPCUB_304000_NS21CountingInputIteratorIllEEPS6_NSA_22TransformInputIteratorIbN2at6native12_GLOBAL__N_19NonZeroOpIlEEPKllEENS0_5tupleIJPlS6_EEENSN_IJSD_SD_EEES6_PiJS6_EEE10hipError_tPvRmT3_T4_T5_T6_T7_T9_mT8_P12ihipStream_tbDpT10_ENKUlT_T0_E_clISt17integral_constantIbLb0EES1A_IbLb1EEEEDaS16_S17_EUlS16_E_NS1_11comp_targetILNS1_3genE5ELNS1_11target_archE942ELNS1_3gpuE9ELNS1_3repE0EEENS1_30default_config_static_selectorELNS0_4arch9wavefront6targetE0EEEvT1_,"axG",@progbits,_ZN7rocprim17ROCPRIM_400000_NS6detail17trampoline_kernelINS0_14default_configENS1_25partition_config_selectorILNS1_17partition_subalgoE5ElNS0_10empty_typeEbEEZZNS1_14partition_implILS5_5ELb0ES3_mN6hipcub16HIPCUB_304000_NS21CountingInputIteratorIllEEPS6_NSA_22TransformInputIteratorIbN2at6native12_GLOBAL__N_19NonZeroOpIlEEPKllEENS0_5tupleIJPlS6_EEENSN_IJSD_SD_EEES6_PiJS6_EEE10hipError_tPvRmT3_T4_T5_T6_T7_T9_mT8_P12ihipStream_tbDpT10_ENKUlT_T0_E_clISt17integral_constantIbLb0EES1A_IbLb1EEEEDaS16_S17_EUlS16_E_NS1_11comp_targetILNS1_3genE5ELNS1_11target_archE942ELNS1_3gpuE9ELNS1_3repE0EEENS1_30default_config_static_selectorELNS0_4arch9wavefront6targetE0EEEvT1_,comdat
	.globl	_ZN7rocprim17ROCPRIM_400000_NS6detail17trampoline_kernelINS0_14default_configENS1_25partition_config_selectorILNS1_17partition_subalgoE5ElNS0_10empty_typeEbEEZZNS1_14partition_implILS5_5ELb0ES3_mN6hipcub16HIPCUB_304000_NS21CountingInputIteratorIllEEPS6_NSA_22TransformInputIteratorIbN2at6native12_GLOBAL__N_19NonZeroOpIlEEPKllEENS0_5tupleIJPlS6_EEENSN_IJSD_SD_EEES6_PiJS6_EEE10hipError_tPvRmT3_T4_T5_T6_T7_T9_mT8_P12ihipStream_tbDpT10_ENKUlT_T0_E_clISt17integral_constantIbLb0EES1A_IbLb1EEEEDaS16_S17_EUlS16_E_NS1_11comp_targetILNS1_3genE5ELNS1_11target_archE942ELNS1_3gpuE9ELNS1_3repE0EEENS1_30default_config_static_selectorELNS0_4arch9wavefront6targetE0EEEvT1_ ; -- Begin function _ZN7rocprim17ROCPRIM_400000_NS6detail17trampoline_kernelINS0_14default_configENS1_25partition_config_selectorILNS1_17partition_subalgoE5ElNS0_10empty_typeEbEEZZNS1_14partition_implILS5_5ELb0ES3_mN6hipcub16HIPCUB_304000_NS21CountingInputIteratorIllEEPS6_NSA_22TransformInputIteratorIbN2at6native12_GLOBAL__N_19NonZeroOpIlEEPKllEENS0_5tupleIJPlS6_EEENSN_IJSD_SD_EEES6_PiJS6_EEE10hipError_tPvRmT3_T4_T5_T6_T7_T9_mT8_P12ihipStream_tbDpT10_ENKUlT_T0_E_clISt17integral_constantIbLb0EES1A_IbLb1EEEEDaS16_S17_EUlS16_E_NS1_11comp_targetILNS1_3genE5ELNS1_11target_archE942ELNS1_3gpuE9ELNS1_3repE0EEENS1_30default_config_static_selectorELNS0_4arch9wavefront6targetE0EEEvT1_
	.p2align	8
	.type	_ZN7rocprim17ROCPRIM_400000_NS6detail17trampoline_kernelINS0_14default_configENS1_25partition_config_selectorILNS1_17partition_subalgoE5ElNS0_10empty_typeEbEEZZNS1_14partition_implILS5_5ELb0ES3_mN6hipcub16HIPCUB_304000_NS21CountingInputIteratorIllEEPS6_NSA_22TransformInputIteratorIbN2at6native12_GLOBAL__N_19NonZeroOpIlEEPKllEENS0_5tupleIJPlS6_EEENSN_IJSD_SD_EEES6_PiJS6_EEE10hipError_tPvRmT3_T4_T5_T6_T7_T9_mT8_P12ihipStream_tbDpT10_ENKUlT_T0_E_clISt17integral_constantIbLb0EES1A_IbLb1EEEEDaS16_S17_EUlS16_E_NS1_11comp_targetILNS1_3genE5ELNS1_11target_archE942ELNS1_3gpuE9ELNS1_3repE0EEENS1_30default_config_static_selectorELNS0_4arch9wavefront6targetE0EEEvT1_,@function
_ZN7rocprim17ROCPRIM_400000_NS6detail17trampoline_kernelINS0_14default_configENS1_25partition_config_selectorILNS1_17partition_subalgoE5ElNS0_10empty_typeEbEEZZNS1_14partition_implILS5_5ELb0ES3_mN6hipcub16HIPCUB_304000_NS21CountingInputIteratorIllEEPS6_NSA_22TransformInputIteratorIbN2at6native12_GLOBAL__N_19NonZeroOpIlEEPKllEENS0_5tupleIJPlS6_EEENSN_IJSD_SD_EEES6_PiJS6_EEE10hipError_tPvRmT3_T4_T5_T6_T7_T9_mT8_P12ihipStream_tbDpT10_ENKUlT_T0_E_clISt17integral_constantIbLb0EES1A_IbLb1EEEEDaS16_S17_EUlS16_E_NS1_11comp_targetILNS1_3genE5ELNS1_11target_archE942ELNS1_3gpuE9ELNS1_3repE0EEENS1_30default_config_static_selectorELNS0_4arch9wavefront6targetE0EEEvT1_: ; @_ZN7rocprim17ROCPRIM_400000_NS6detail17trampoline_kernelINS0_14default_configENS1_25partition_config_selectorILNS1_17partition_subalgoE5ElNS0_10empty_typeEbEEZZNS1_14partition_implILS5_5ELb0ES3_mN6hipcub16HIPCUB_304000_NS21CountingInputIteratorIllEEPS6_NSA_22TransformInputIteratorIbN2at6native12_GLOBAL__N_19NonZeroOpIlEEPKllEENS0_5tupleIJPlS6_EEENSN_IJSD_SD_EEES6_PiJS6_EEE10hipError_tPvRmT3_T4_T5_T6_T7_T9_mT8_P12ihipStream_tbDpT10_ENKUlT_T0_E_clISt17integral_constantIbLb0EES1A_IbLb1EEEEDaS16_S17_EUlS16_E_NS1_11comp_targetILNS1_3genE5ELNS1_11target_archE942ELNS1_3gpuE9ELNS1_3repE0EEENS1_30default_config_static_selectorELNS0_4arch9wavefront6targetE0EEEvT1_
; %bb.0:
	.section	.rodata,"a",@progbits
	.p2align	6, 0x0
	.amdhsa_kernel _ZN7rocprim17ROCPRIM_400000_NS6detail17trampoline_kernelINS0_14default_configENS1_25partition_config_selectorILNS1_17partition_subalgoE5ElNS0_10empty_typeEbEEZZNS1_14partition_implILS5_5ELb0ES3_mN6hipcub16HIPCUB_304000_NS21CountingInputIteratorIllEEPS6_NSA_22TransformInputIteratorIbN2at6native12_GLOBAL__N_19NonZeroOpIlEEPKllEENS0_5tupleIJPlS6_EEENSN_IJSD_SD_EEES6_PiJS6_EEE10hipError_tPvRmT3_T4_T5_T6_T7_T9_mT8_P12ihipStream_tbDpT10_ENKUlT_T0_E_clISt17integral_constantIbLb0EES1A_IbLb1EEEEDaS16_S17_EUlS16_E_NS1_11comp_targetILNS1_3genE5ELNS1_11target_archE942ELNS1_3gpuE9ELNS1_3repE0EEENS1_30default_config_static_selectorELNS0_4arch9wavefront6targetE0EEEvT1_
		.amdhsa_group_segment_fixed_size 0
		.amdhsa_private_segment_fixed_size 0
		.amdhsa_kernarg_size 136
		.amdhsa_user_sgpr_count 2
		.amdhsa_user_sgpr_dispatch_ptr 0
		.amdhsa_user_sgpr_queue_ptr 0
		.amdhsa_user_sgpr_kernarg_segment_ptr 1
		.amdhsa_user_sgpr_dispatch_id 0
		.amdhsa_user_sgpr_private_segment_size 0
		.amdhsa_wavefront_size32 1
		.amdhsa_uses_dynamic_stack 0
		.amdhsa_enable_private_segment 0
		.amdhsa_system_sgpr_workgroup_id_x 1
		.amdhsa_system_sgpr_workgroup_id_y 0
		.amdhsa_system_sgpr_workgroup_id_z 0
		.amdhsa_system_sgpr_workgroup_info 0
		.amdhsa_system_vgpr_workitem_id 0
		.amdhsa_next_free_vgpr 1
		.amdhsa_next_free_sgpr 1
		.amdhsa_reserve_vcc 0
		.amdhsa_float_round_mode_32 0
		.amdhsa_float_round_mode_16_64 0
		.amdhsa_float_denorm_mode_32 3
		.amdhsa_float_denorm_mode_16_64 3
		.amdhsa_fp16_overflow 0
		.amdhsa_workgroup_processor_mode 1
		.amdhsa_memory_ordered 1
		.amdhsa_forward_progress 1
		.amdhsa_inst_pref_size 0
		.amdhsa_round_robin_scheduling 0
		.amdhsa_exception_fp_ieee_invalid_op 0
		.amdhsa_exception_fp_denorm_src 0
		.amdhsa_exception_fp_ieee_div_zero 0
		.amdhsa_exception_fp_ieee_overflow 0
		.amdhsa_exception_fp_ieee_underflow 0
		.amdhsa_exception_fp_ieee_inexact 0
		.amdhsa_exception_int_div_zero 0
	.end_amdhsa_kernel
	.section	.text._ZN7rocprim17ROCPRIM_400000_NS6detail17trampoline_kernelINS0_14default_configENS1_25partition_config_selectorILNS1_17partition_subalgoE5ElNS0_10empty_typeEbEEZZNS1_14partition_implILS5_5ELb0ES3_mN6hipcub16HIPCUB_304000_NS21CountingInputIteratorIllEEPS6_NSA_22TransformInputIteratorIbN2at6native12_GLOBAL__N_19NonZeroOpIlEEPKllEENS0_5tupleIJPlS6_EEENSN_IJSD_SD_EEES6_PiJS6_EEE10hipError_tPvRmT3_T4_T5_T6_T7_T9_mT8_P12ihipStream_tbDpT10_ENKUlT_T0_E_clISt17integral_constantIbLb0EES1A_IbLb1EEEEDaS16_S17_EUlS16_E_NS1_11comp_targetILNS1_3genE5ELNS1_11target_archE942ELNS1_3gpuE9ELNS1_3repE0EEENS1_30default_config_static_selectorELNS0_4arch9wavefront6targetE0EEEvT1_,"axG",@progbits,_ZN7rocprim17ROCPRIM_400000_NS6detail17trampoline_kernelINS0_14default_configENS1_25partition_config_selectorILNS1_17partition_subalgoE5ElNS0_10empty_typeEbEEZZNS1_14partition_implILS5_5ELb0ES3_mN6hipcub16HIPCUB_304000_NS21CountingInputIteratorIllEEPS6_NSA_22TransformInputIteratorIbN2at6native12_GLOBAL__N_19NonZeroOpIlEEPKllEENS0_5tupleIJPlS6_EEENSN_IJSD_SD_EEES6_PiJS6_EEE10hipError_tPvRmT3_T4_T5_T6_T7_T9_mT8_P12ihipStream_tbDpT10_ENKUlT_T0_E_clISt17integral_constantIbLb0EES1A_IbLb1EEEEDaS16_S17_EUlS16_E_NS1_11comp_targetILNS1_3genE5ELNS1_11target_archE942ELNS1_3gpuE9ELNS1_3repE0EEENS1_30default_config_static_selectorELNS0_4arch9wavefront6targetE0EEEvT1_,comdat
.Lfunc_end279:
	.size	_ZN7rocprim17ROCPRIM_400000_NS6detail17trampoline_kernelINS0_14default_configENS1_25partition_config_selectorILNS1_17partition_subalgoE5ElNS0_10empty_typeEbEEZZNS1_14partition_implILS5_5ELb0ES3_mN6hipcub16HIPCUB_304000_NS21CountingInputIteratorIllEEPS6_NSA_22TransformInputIteratorIbN2at6native12_GLOBAL__N_19NonZeroOpIlEEPKllEENS0_5tupleIJPlS6_EEENSN_IJSD_SD_EEES6_PiJS6_EEE10hipError_tPvRmT3_T4_T5_T6_T7_T9_mT8_P12ihipStream_tbDpT10_ENKUlT_T0_E_clISt17integral_constantIbLb0EES1A_IbLb1EEEEDaS16_S17_EUlS16_E_NS1_11comp_targetILNS1_3genE5ELNS1_11target_archE942ELNS1_3gpuE9ELNS1_3repE0EEENS1_30default_config_static_selectorELNS0_4arch9wavefront6targetE0EEEvT1_, .Lfunc_end279-_ZN7rocprim17ROCPRIM_400000_NS6detail17trampoline_kernelINS0_14default_configENS1_25partition_config_selectorILNS1_17partition_subalgoE5ElNS0_10empty_typeEbEEZZNS1_14partition_implILS5_5ELb0ES3_mN6hipcub16HIPCUB_304000_NS21CountingInputIteratorIllEEPS6_NSA_22TransformInputIteratorIbN2at6native12_GLOBAL__N_19NonZeroOpIlEEPKllEENS0_5tupleIJPlS6_EEENSN_IJSD_SD_EEES6_PiJS6_EEE10hipError_tPvRmT3_T4_T5_T6_T7_T9_mT8_P12ihipStream_tbDpT10_ENKUlT_T0_E_clISt17integral_constantIbLb0EES1A_IbLb1EEEEDaS16_S17_EUlS16_E_NS1_11comp_targetILNS1_3genE5ELNS1_11target_archE942ELNS1_3gpuE9ELNS1_3repE0EEENS1_30default_config_static_selectorELNS0_4arch9wavefront6targetE0EEEvT1_
                                        ; -- End function
	.set _ZN7rocprim17ROCPRIM_400000_NS6detail17trampoline_kernelINS0_14default_configENS1_25partition_config_selectorILNS1_17partition_subalgoE5ElNS0_10empty_typeEbEEZZNS1_14partition_implILS5_5ELb0ES3_mN6hipcub16HIPCUB_304000_NS21CountingInputIteratorIllEEPS6_NSA_22TransformInputIteratorIbN2at6native12_GLOBAL__N_19NonZeroOpIlEEPKllEENS0_5tupleIJPlS6_EEENSN_IJSD_SD_EEES6_PiJS6_EEE10hipError_tPvRmT3_T4_T5_T6_T7_T9_mT8_P12ihipStream_tbDpT10_ENKUlT_T0_E_clISt17integral_constantIbLb0EES1A_IbLb1EEEEDaS16_S17_EUlS16_E_NS1_11comp_targetILNS1_3genE5ELNS1_11target_archE942ELNS1_3gpuE9ELNS1_3repE0EEENS1_30default_config_static_selectorELNS0_4arch9wavefront6targetE0EEEvT1_.num_vgpr, 0
	.set _ZN7rocprim17ROCPRIM_400000_NS6detail17trampoline_kernelINS0_14default_configENS1_25partition_config_selectorILNS1_17partition_subalgoE5ElNS0_10empty_typeEbEEZZNS1_14partition_implILS5_5ELb0ES3_mN6hipcub16HIPCUB_304000_NS21CountingInputIteratorIllEEPS6_NSA_22TransformInputIteratorIbN2at6native12_GLOBAL__N_19NonZeroOpIlEEPKllEENS0_5tupleIJPlS6_EEENSN_IJSD_SD_EEES6_PiJS6_EEE10hipError_tPvRmT3_T4_T5_T6_T7_T9_mT8_P12ihipStream_tbDpT10_ENKUlT_T0_E_clISt17integral_constantIbLb0EES1A_IbLb1EEEEDaS16_S17_EUlS16_E_NS1_11comp_targetILNS1_3genE5ELNS1_11target_archE942ELNS1_3gpuE9ELNS1_3repE0EEENS1_30default_config_static_selectorELNS0_4arch9wavefront6targetE0EEEvT1_.num_agpr, 0
	.set _ZN7rocprim17ROCPRIM_400000_NS6detail17trampoline_kernelINS0_14default_configENS1_25partition_config_selectorILNS1_17partition_subalgoE5ElNS0_10empty_typeEbEEZZNS1_14partition_implILS5_5ELb0ES3_mN6hipcub16HIPCUB_304000_NS21CountingInputIteratorIllEEPS6_NSA_22TransformInputIteratorIbN2at6native12_GLOBAL__N_19NonZeroOpIlEEPKllEENS0_5tupleIJPlS6_EEENSN_IJSD_SD_EEES6_PiJS6_EEE10hipError_tPvRmT3_T4_T5_T6_T7_T9_mT8_P12ihipStream_tbDpT10_ENKUlT_T0_E_clISt17integral_constantIbLb0EES1A_IbLb1EEEEDaS16_S17_EUlS16_E_NS1_11comp_targetILNS1_3genE5ELNS1_11target_archE942ELNS1_3gpuE9ELNS1_3repE0EEENS1_30default_config_static_selectorELNS0_4arch9wavefront6targetE0EEEvT1_.numbered_sgpr, 0
	.set _ZN7rocprim17ROCPRIM_400000_NS6detail17trampoline_kernelINS0_14default_configENS1_25partition_config_selectorILNS1_17partition_subalgoE5ElNS0_10empty_typeEbEEZZNS1_14partition_implILS5_5ELb0ES3_mN6hipcub16HIPCUB_304000_NS21CountingInputIteratorIllEEPS6_NSA_22TransformInputIteratorIbN2at6native12_GLOBAL__N_19NonZeroOpIlEEPKllEENS0_5tupleIJPlS6_EEENSN_IJSD_SD_EEES6_PiJS6_EEE10hipError_tPvRmT3_T4_T5_T6_T7_T9_mT8_P12ihipStream_tbDpT10_ENKUlT_T0_E_clISt17integral_constantIbLb0EES1A_IbLb1EEEEDaS16_S17_EUlS16_E_NS1_11comp_targetILNS1_3genE5ELNS1_11target_archE942ELNS1_3gpuE9ELNS1_3repE0EEENS1_30default_config_static_selectorELNS0_4arch9wavefront6targetE0EEEvT1_.num_named_barrier, 0
	.set _ZN7rocprim17ROCPRIM_400000_NS6detail17trampoline_kernelINS0_14default_configENS1_25partition_config_selectorILNS1_17partition_subalgoE5ElNS0_10empty_typeEbEEZZNS1_14partition_implILS5_5ELb0ES3_mN6hipcub16HIPCUB_304000_NS21CountingInputIteratorIllEEPS6_NSA_22TransformInputIteratorIbN2at6native12_GLOBAL__N_19NonZeroOpIlEEPKllEENS0_5tupleIJPlS6_EEENSN_IJSD_SD_EEES6_PiJS6_EEE10hipError_tPvRmT3_T4_T5_T6_T7_T9_mT8_P12ihipStream_tbDpT10_ENKUlT_T0_E_clISt17integral_constantIbLb0EES1A_IbLb1EEEEDaS16_S17_EUlS16_E_NS1_11comp_targetILNS1_3genE5ELNS1_11target_archE942ELNS1_3gpuE9ELNS1_3repE0EEENS1_30default_config_static_selectorELNS0_4arch9wavefront6targetE0EEEvT1_.private_seg_size, 0
	.set _ZN7rocprim17ROCPRIM_400000_NS6detail17trampoline_kernelINS0_14default_configENS1_25partition_config_selectorILNS1_17partition_subalgoE5ElNS0_10empty_typeEbEEZZNS1_14partition_implILS5_5ELb0ES3_mN6hipcub16HIPCUB_304000_NS21CountingInputIteratorIllEEPS6_NSA_22TransformInputIteratorIbN2at6native12_GLOBAL__N_19NonZeroOpIlEEPKllEENS0_5tupleIJPlS6_EEENSN_IJSD_SD_EEES6_PiJS6_EEE10hipError_tPvRmT3_T4_T5_T6_T7_T9_mT8_P12ihipStream_tbDpT10_ENKUlT_T0_E_clISt17integral_constantIbLb0EES1A_IbLb1EEEEDaS16_S17_EUlS16_E_NS1_11comp_targetILNS1_3genE5ELNS1_11target_archE942ELNS1_3gpuE9ELNS1_3repE0EEENS1_30default_config_static_selectorELNS0_4arch9wavefront6targetE0EEEvT1_.uses_vcc, 0
	.set _ZN7rocprim17ROCPRIM_400000_NS6detail17trampoline_kernelINS0_14default_configENS1_25partition_config_selectorILNS1_17partition_subalgoE5ElNS0_10empty_typeEbEEZZNS1_14partition_implILS5_5ELb0ES3_mN6hipcub16HIPCUB_304000_NS21CountingInputIteratorIllEEPS6_NSA_22TransformInputIteratorIbN2at6native12_GLOBAL__N_19NonZeroOpIlEEPKllEENS0_5tupleIJPlS6_EEENSN_IJSD_SD_EEES6_PiJS6_EEE10hipError_tPvRmT3_T4_T5_T6_T7_T9_mT8_P12ihipStream_tbDpT10_ENKUlT_T0_E_clISt17integral_constantIbLb0EES1A_IbLb1EEEEDaS16_S17_EUlS16_E_NS1_11comp_targetILNS1_3genE5ELNS1_11target_archE942ELNS1_3gpuE9ELNS1_3repE0EEENS1_30default_config_static_selectorELNS0_4arch9wavefront6targetE0EEEvT1_.uses_flat_scratch, 0
	.set _ZN7rocprim17ROCPRIM_400000_NS6detail17trampoline_kernelINS0_14default_configENS1_25partition_config_selectorILNS1_17partition_subalgoE5ElNS0_10empty_typeEbEEZZNS1_14partition_implILS5_5ELb0ES3_mN6hipcub16HIPCUB_304000_NS21CountingInputIteratorIllEEPS6_NSA_22TransformInputIteratorIbN2at6native12_GLOBAL__N_19NonZeroOpIlEEPKllEENS0_5tupleIJPlS6_EEENSN_IJSD_SD_EEES6_PiJS6_EEE10hipError_tPvRmT3_T4_T5_T6_T7_T9_mT8_P12ihipStream_tbDpT10_ENKUlT_T0_E_clISt17integral_constantIbLb0EES1A_IbLb1EEEEDaS16_S17_EUlS16_E_NS1_11comp_targetILNS1_3genE5ELNS1_11target_archE942ELNS1_3gpuE9ELNS1_3repE0EEENS1_30default_config_static_selectorELNS0_4arch9wavefront6targetE0EEEvT1_.has_dyn_sized_stack, 0
	.set _ZN7rocprim17ROCPRIM_400000_NS6detail17trampoline_kernelINS0_14default_configENS1_25partition_config_selectorILNS1_17partition_subalgoE5ElNS0_10empty_typeEbEEZZNS1_14partition_implILS5_5ELb0ES3_mN6hipcub16HIPCUB_304000_NS21CountingInputIteratorIllEEPS6_NSA_22TransformInputIteratorIbN2at6native12_GLOBAL__N_19NonZeroOpIlEEPKllEENS0_5tupleIJPlS6_EEENSN_IJSD_SD_EEES6_PiJS6_EEE10hipError_tPvRmT3_T4_T5_T6_T7_T9_mT8_P12ihipStream_tbDpT10_ENKUlT_T0_E_clISt17integral_constantIbLb0EES1A_IbLb1EEEEDaS16_S17_EUlS16_E_NS1_11comp_targetILNS1_3genE5ELNS1_11target_archE942ELNS1_3gpuE9ELNS1_3repE0EEENS1_30default_config_static_selectorELNS0_4arch9wavefront6targetE0EEEvT1_.has_recursion, 0
	.set _ZN7rocprim17ROCPRIM_400000_NS6detail17trampoline_kernelINS0_14default_configENS1_25partition_config_selectorILNS1_17partition_subalgoE5ElNS0_10empty_typeEbEEZZNS1_14partition_implILS5_5ELb0ES3_mN6hipcub16HIPCUB_304000_NS21CountingInputIteratorIllEEPS6_NSA_22TransformInputIteratorIbN2at6native12_GLOBAL__N_19NonZeroOpIlEEPKllEENS0_5tupleIJPlS6_EEENSN_IJSD_SD_EEES6_PiJS6_EEE10hipError_tPvRmT3_T4_T5_T6_T7_T9_mT8_P12ihipStream_tbDpT10_ENKUlT_T0_E_clISt17integral_constantIbLb0EES1A_IbLb1EEEEDaS16_S17_EUlS16_E_NS1_11comp_targetILNS1_3genE5ELNS1_11target_archE942ELNS1_3gpuE9ELNS1_3repE0EEENS1_30default_config_static_selectorELNS0_4arch9wavefront6targetE0EEEvT1_.has_indirect_call, 0
	.section	.AMDGPU.csdata,"",@progbits
; Kernel info:
; codeLenInByte = 0
; TotalNumSgprs: 0
; NumVgprs: 0
; ScratchSize: 0
; MemoryBound: 0
; FloatMode: 240
; IeeeMode: 1
; LDSByteSize: 0 bytes/workgroup (compile time only)
; SGPRBlocks: 0
; VGPRBlocks: 0
; NumSGPRsForWavesPerEU: 1
; NumVGPRsForWavesPerEU: 1
; Occupancy: 16
; WaveLimiterHint : 0
; COMPUTE_PGM_RSRC2:SCRATCH_EN: 0
; COMPUTE_PGM_RSRC2:USER_SGPR: 2
; COMPUTE_PGM_RSRC2:TRAP_HANDLER: 0
; COMPUTE_PGM_RSRC2:TGID_X_EN: 1
; COMPUTE_PGM_RSRC2:TGID_Y_EN: 0
; COMPUTE_PGM_RSRC2:TGID_Z_EN: 0
; COMPUTE_PGM_RSRC2:TIDIG_COMP_CNT: 0
	.section	.text._ZN7rocprim17ROCPRIM_400000_NS6detail17trampoline_kernelINS0_14default_configENS1_25partition_config_selectorILNS1_17partition_subalgoE5ElNS0_10empty_typeEbEEZZNS1_14partition_implILS5_5ELb0ES3_mN6hipcub16HIPCUB_304000_NS21CountingInputIteratorIllEEPS6_NSA_22TransformInputIteratorIbN2at6native12_GLOBAL__N_19NonZeroOpIlEEPKllEENS0_5tupleIJPlS6_EEENSN_IJSD_SD_EEES6_PiJS6_EEE10hipError_tPvRmT3_T4_T5_T6_T7_T9_mT8_P12ihipStream_tbDpT10_ENKUlT_T0_E_clISt17integral_constantIbLb0EES1A_IbLb1EEEEDaS16_S17_EUlS16_E_NS1_11comp_targetILNS1_3genE4ELNS1_11target_archE910ELNS1_3gpuE8ELNS1_3repE0EEENS1_30default_config_static_selectorELNS0_4arch9wavefront6targetE0EEEvT1_,"axG",@progbits,_ZN7rocprim17ROCPRIM_400000_NS6detail17trampoline_kernelINS0_14default_configENS1_25partition_config_selectorILNS1_17partition_subalgoE5ElNS0_10empty_typeEbEEZZNS1_14partition_implILS5_5ELb0ES3_mN6hipcub16HIPCUB_304000_NS21CountingInputIteratorIllEEPS6_NSA_22TransformInputIteratorIbN2at6native12_GLOBAL__N_19NonZeroOpIlEEPKllEENS0_5tupleIJPlS6_EEENSN_IJSD_SD_EEES6_PiJS6_EEE10hipError_tPvRmT3_T4_T5_T6_T7_T9_mT8_P12ihipStream_tbDpT10_ENKUlT_T0_E_clISt17integral_constantIbLb0EES1A_IbLb1EEEEDaS16_S17_EUlS16_E_NS1_11comp_targetILNS1_3genE4ELNS1_11target_archE910ELNS1_3gpuE8ELNS1_3repE0EEENS1_30default_config_static_selectorELNS0_4arch9wavefront6targetE0EEEvT1_,comdat
	.globl	_ZN7rocprim17ROCPRIM_400000_NS6detail17trampoline_kernelINS0_14default_configENS1_25partition_config_selectorILNS1_17partition_subalgoE5ElNS0_10empty_typeEbEEZZNS1_14partition_implILS5_5ELb0ES3_mN6hipcub16HIPCUB_304000_NS21CountingInputIteratorIllEEPS6_NSA_22TransformInputIteratorIbN2at6native12_GLOBAL__N_19NonZeroOpIlEEPKllEENS0_5tupleIJPlS6_EEENSN_IJSD_SD_EEES6_PiJS6_EEE10hipError_tPvRmT3_T4_T5_T6_T7_T9_mT8_P12ihipStream_tbDpT10_ENKUlT_T0_E_clISt17integral_constantIbLb0EES1A_IbLb1EEEEDaS16_S17_EUlS16_E_NS1_11comp_targetILNS1_3genE4ELNS1_11target_archE910ELNS1_3gpuE8ELNS1_3repE0EEENS1_30default_config_static_selectorELNS0_4arch9wavefront6targetE0EEEvT1_ ; -- Begin function _ZN7rocprim17ROCPRIM_400000_NS6detail17trampoline_kernelINS0_14default_configENS1_25partition_config_selectorILNS1_17partition_subalgoE5ElNS0_10empty_typeEbEEZZNS1_14partition_implILS5_5ELb0ES3_mN6hipcub16HIPCUB_304000_NS21CountingInputIteratorIllEEPS6_NSA_22TransformInputIteratorIbN2at6native12_GLOBAL__N_19NonZeroOpIlEEPKllEENS0_5tupleIJPlS6_EEENSN_IJSD_SD_EEES6_PiJS6_EEE10hipError_tPvRmT3_T4_T5_T6_T7_T9_mT8_P12ihipStream_tbDpT10_ENKUlT_T0_E_clISt17integral_constantIbLb0EES1A_IbLb1EEEEDaS16_S17_EUlS16_E_NS1_11comp_targetILNS1_3genE4ELNS1_11target_archE910ELNS1_3gpuE8ELNS1_3repE0EEENS1_30default_config_static_selectorELNS0_4arch9wavefront6targetE0EEEvT1_
	.p2align	8
	.type	_ZN7rocprim17ROCPRIM_400000_NS6detail17trampoline_kernelINS0_14default_configENS1_25partition_config_selectorILNS1_17partition_subalgoE5ElNS0_10empty_typeEbEEZZNS1_14partition_implILS5_5ELb0ES3_mN6hipcub16HIPCUB_304000_NS21CountingInputIteratorIllEEPS6_NSA_22TransformInputIteratorIbN2at6native12_GLOBAL__N_19NonZeroOpIlEEPKllEENS0_5tupleIJPlS6_EEENSN_IJSD_SD_EEES6_PiJS6_EEE10hipError_tPvRmT3_T4_T5_T6_T7_T9_mT8_P12ihipStream_tbDpT10_ENKUlT_T0_E_clISt17integral_constantIbLb0EES1A_IbLb1EEEEDaS16_S17_EUlS16_E_NS1_11comp_targetILNS1_3genE4ELNS1_11target_archE910ELNS1_3gpuE8ELNS1_3repE0EEENS1_30default_config_static_selectorELNS0_4arch9wavefront6targetE0EEEvT1_,@function
_ZN7rocprim17ROCPRIM_400000_NS6detail17trampoline_kernelINS0_14default_configENS1_25partition_config_selectorILNS1_17partition_subalgoE5ElNS0_10empty_typeEbEEZZNS1_14partition_implILS5_5ELb0ES3_mN6hipcub16HIPCUB_304000_NS21CountingInputIteratorIllEEPS6_NSA_22TransformInputIteratorIbN2at6native12_GLOBAL__N_19NonZeroOpIlEEPKllEENS0_5tupleIJPlS6_EEENSN_IJSD_SD_EEES6_PiJS6_EEE10hipError_tPvRmT3_T4_T5_T6_T7_T9_mT8_P12ihipStream_tbDpT10_ENKUlT_T0_E_clISt17integral_constantIbLb0EES1A_IbLb1EEEEDaS16_S17_EUlS16_E_NS1_11comp_targetILNS1_3genE4ELNS1_11target_archE910ELNS1_3gpuE8ELNS1_3repE0EEENS1_30default_config_static_selectorELNS0_4arch9wavefront6targetE0EEEvT1_: ; @_ZN7rocprim17ROCPRIM_400000_NS6detail17trampoline_kernelINS0_14default_configENS1_25partition_config_selectorILNS1_17partition_subalgoE5ElNS0_10empty_typeEbEEZZNS1_14partition_implILS5_5ELb0ES3_mN6hipcub16HIPCUB_304000_NS21CountingInputIteratorIllEEPS6_NSA_22TransformInputIteratorIbN2at6native12_GLOBAL__N_19NonZeroOpIlEEPKllEENS0_5tupleIJPlS6_EEENSN_IJSD_SD_EEES6_PiJS6_EEE10hipError_tPvRmT3_T4_T5_T6_T7_T9_mT8_P12ihipStream_tbDpT10_ENKUlT_T0_E_clISt17integral_constantIbLb0EES1A_IbLb1EEEEDaS16_S17_EUlS16_E_NS1_11comp_targetILNS1_3genE4ELNS1_11target_archE910ELNS1_3gpuE8ELNS1_3repE0EEENS1_30default_config_static_selectorELNS0_4arch9wavefront6targetE0EEEvT1_
; %bb.0:
	.section	.rodata,"a",@progbits
	.p2align	6, 0x0
	.amdhsa_kernel _ZN7rocprim17ROCPRIM_400000_NS6detail17trampoline_kernelINS0_14default_configENS1_25partition_config_selectorILNS1_17partition_subalgoE5ElNS0_10empty_typeEbEEZZNS1_14partition_implILS5_5ELb0ES3_mN6hipcub16HIPCUB_304000_NS21CountingInputIteratorIllEEPS6_NSA_22TransformInputIteratorIbN2at6native12_GLOBAL__N_19NonZeroOpIlEEPKllEENS0_5tupleIJPlS6_EEENSN_IJSD_SD_EEES6_PiJS6_EEE10hipError_tPvRmT3_T4_T5_T6_T7_T9_mT8_P12ihipStream_tbDpT10_ENKUlT_T0_E_clISt17integral_constantIbLb0EES1A_IbLb1EEEEDaS16_S17_EUlS16_E_NS1_11comp_targetILNS1_3genE4ELNS1_11target_archE910ELNS1_3gpuE8ELNS1_3repE0EEENS1_30default_config_static_selectorELNS0_4arch9wavefront6targetE0EEEvT1_
		.amdhsa_group_segment_fixed_size 0
		.amdhsa_private_segment_fixed_size 0
		.amdhsa_kernarg_size 136
		.amdhsa_user_sgpr_count 2
		.amdhsa_user_sgpr_dispatch_ptr 0
		.amdhsa_user_sgpr_queue_ptr 0
		.amdhsa_user_sgpr_kernarg_segment_ptr 1
		.amdhsa_user_sgpr_dispatch_id 0
		.amdhsa_user_sgpr_private_segment_size 0
		.amdhsa_wavefront_size32 1
		.amdhsa_uses_dynamic_stack 0
		.amdhsa_enable_private_segment 0
		.amdhsa_system_sgpr_workgroup_id_x 1
		.amdhsa_system_sgpr_workgroup_id_y 0
		.amdhsa_system_sgpr_workgroup_id_z 0
		.amdhsa_system_sgpr_workgroup_info 0
		.amdhsa_system_vgpr_workitem_id 0
		.amdhsa_next_free_vgpr 1
		.amdhsa_next_free_sgpr 1
		.amdhsa_reserve_vcc 0
		.amdhsa_float_round_mode_32 0
		.amdhsa_float_round_mode_16_64 0
		.amdhsa_float_denorm_mode_32 3
		.amdhsa_float_denorm_mode_16_64 3
		.amdhsa_fp16_overflow 0
		.amdhsa_workgroup_processor_mode 1
		.amdhsa_memory_ordered 1
		.amdhsa_forward_progress 1
		.amdhsa_inst_pref_size 0
		.amdhsa_round_robin_scheduling 0
		.amdhsa_exception_fp_ieee_invalid_op 0
		.amdhsa_exception_fp_denorm_src 0
		.amdhsa_exception_fp_ieee_div_zero 0
		.amdhsa_exception_fp_ieee_overflow 0
		.amdhsa_exception_fp_ieee_underflow 0
		.amdhsa_exception_fp_ieee_inexact 0
		.amdhsa_exception_int_div_zero 0
	.end_amdhsa_kernel
	.section	.text._ZN7rocprim17ROCPRIM_400000_NS6detail17trampoline_kernelINS0_14default_configENS1_25partition_config_selectorILNS1_17partition_subalgoE5ElNS0_10empty_typeEbEEZZNS1_14partition_implILS5_5ELb0ES3_mN6hipcub16HIPCUB_304000_NS21CountingInputIteratorIllEEPS6_NSA_22TransformInputIteratorIbN2at6native12_GLOBAL__N_19NonZeroOpIlEEPKllEENS0_5tupleIJPlS6_EEENSN_IJSD_SD_EEES6_PiJS6_EEE10hipError_tPvRmT3_T4_T5_T6_T7_T9_mT8_P12ihipStream_tbDpT10_ENKUlT_T0_E_clISt17integral_constantIbLb0EES1A_IbLb1EEEEDaS16_S17_EUlS16_E_NS1_11comp_targetILNS1_3genE4ELNS1_11target_archE910ELNS1_3gpuE8ELNS1_3repE0EEENS1_30default_config_static_selectorELNS0_4arch9wavefront6targetE0EEEvT1_,"axG",@progbits,_ZN7rocprim17ROCPRIM_400000_NS6detail17trampoline_kernelINS0_14default_configENS1_25partition_config_selectorILNS1_17partition_subalgoE5ElNS0_10empty_typeEbEEZZNS1_14partition_implILS5_5ELb0ES3_mN6hipcub16HIPCUB_304000_NS21CountingInputIteratorIllEEPS6_NSA_22TransformInputIteratorIbN2at6native12_GLOBAL__N_19NonZeroOpIlEEPKllEENS0_5tupleIJPlS6_EEENSN_IJSD_SD_EEES6_PiJS6_EEE10hipError_tPvRmT3_T4_T5_T6_T7_T9_mT8_P12ihipStream_tbDpT10_ENKUlT_T0_E_clISt17integral_constantIbLb0EES1A_IbLb1EEEEDaS16_S17_EUlS16_E_NS1_11comp_targetILNS1_3genE4ELNS1_11target_archE910ELNS1_3gpuE8ELNS1_3repE0EEENS1_30default_config_static_selectorELNS0_4arch9wavefront6targetE0EEEvT1_,comdat
.Lfunc_end280:
	.size	_ZN7rocprim17ROCPRIM_400000_NS6detail17trampoline_kernelINS0_14default_configENS1_25partition_config_selectorILNS1_17partition_subalgoE5ElNS0_10empty_typeEbEEZZNS1_14partition_implILS5_5ELb0ES3_mN6hipcub16HIPCUB_304000_NS21CountingInputIteratorIllEEPS6_NSA_22TransformInputIteratorIbN2at6native12_GLOBAL__N_19NonZeroOpIlEEPKllEENS0_5tupleIJPlS6_EEENSN_IJSD_SD_EEES6_PiJS6_EEE10hipError_tPvRmT3_T4_T5_T6_T7_T9_mT8_P12ihipStream_tbDpT10_ENKUlT_T0_E_clISt17integral_constantIbLb0EES1A_IbLb1EEEEDaS16_S17_EUlS16_E_NS1_11comp_targetILNS1_3genE4ELNS1_11target_archE910ELNS1_3gpuE8ELNS1_3repE0EEENS1_30default_config_static_selectorELNS0_4arch9wavefront6targetE0EEEvT1_, .Lfunc_end280-_ZN7rocprim17ROCPRIM_400000_NS6detail17trampoline_kernelINS0_14default_configENS1_25partition_config_selectorILNS1_17partition_subalgoE5ElNS0_10empty_typeEbEEZZNS1_14partition_implILS5_5ELb0ES3_mN6hipcub16HIPCUB_304000_NS21CountingInputIteratorIllEEPS6_NSA_22TransformInputIteratorIbN2at6native12_GLOBAL__N_19NonZeroOpIlEEPKllEENS0_5tupleIJPlS6_EEENSN_IJSD_SD_EEES6_PiJS6_EEE10hipError_tPvRmT3_T4_T5_T6_T7_T9_mT8_P12ihipStream_tbDpT10_ENKUlT_T0_E_clISt17integral_constantIbLb0EES1A_IbLb1EEEEDaS16_S17_EUlS16_E_NS1_11comp_targetILNS1_3genE4ELNS1_11target_archE910ELNS1_3gpuE8ELNS1_3repE0EEENS1_30default_config_static_selectorELNS0_4arch9wavefront6targetE0EEEvT1_
                                        ; -- End function
	.set _ZN7rocprim17ROCPRIM_400000_NS6detail17trampoline_kernelINS0_14default_configENS1_25partition_config_selectorILNS1_17partition_subalgoE5ElNS0_10empty_typeEbEEZZNS1_14partition_implILS5_5ELb0ES3_mN6hipcub16HIPCUB_304000_NS21CountingInputIteratorIllEEPS6_NSA_22TransformInputIteratorIbN2at6native12_GLOBAL__N_19NonZeroOpIlEEPKllEENS0_5tupleIJPlS6_EEENSN_IJSD_SD_EEES6_PiJS6_EEE10hipError_tPvRmT3_T4_T5_T6_T7_T9_mT8_P12ihipStream_tbDpT10_ENKUlT_T0_E_clISt17integral_constantIbLb0EES1A_IbLb1EEEEDaS16_S17_EUlS16_E_NS1_11comp_targetILNS1_3genE4ELNS1_11target_archE910ELNS1_3gpuE8ELNS1_3repE0EEENS1_30default_config_static_selectorELNS0_4arch9wavefront6targetE0EEEvT1_.num_vgpr, 0
	.set _ZN7rocprim17ROCPRIM_400000_NS6detail17trampoline_kernelINS0_14default_configENS1_25partition_config_selectorILNS1_17partition_subalgoE5ElNS0_10empty_typeEbEEZZNS1_14partition_implILS5_5ELb0ES3_mN6hipcub16HIPCUB_304000_NS21CountingInputIteratorIllEEPS6_NSA_22TransformInputIteratorIbN2at6native12_GLOBAL__N_19NonZeroOpIlEEPKllEENS0_5tupleIJPlS6_EEENSN_IJSD_SD_EEES6_PiJS6_EEE10hipError_tPvRmT3_T4_T5_T6_T7_T9_mT8_P12ihipStream_tbDpT10_ENKUlT_T0_E_clISt17integral_constantIbLb0EES1A_IbLb1EEEEDaS16_S17_EUlS16_E_NS1_11comp_targetILNS1_3genE4ELNS1_11target_archE910ELNS1_3gpuE8ELNS1_3repE0EEENS1_30default_config_static_selectorELNS0_4arch9wavefront6targetE0EEEvT1_.num_agpr, 0
	.set _ZN7rocprim17ROCPRIM_400000_NS6detail17trampoline_kernelINS0_14default_configENS1_25partition_config_selectorILNS1_17partition_subalgoE5ElNS0_10empty_typeEbEEZZNS1_14partition_implILS5_5ELb0ES3_mN6hipcub16HIPCUB_304000_NS21CountingInputIteratorIllEEPS6_NSA_22TransformInputIteratorIbN2at6native12_GLOBAL__N_19NonZeroOpIlEEPKllEENS0_5tupleIJPlS6_EEENSN_IJSD_SD_EEES6_PiJS6_EEE10hipError_tPvRmT3_T4_T5_T6_T7_T9_mT8_P12ihipStream_tbDpT10_ENKUlT_T0_E_clISt17integral_constantIbLb0EES1A_IbLb1EEEEDaS16_S17_EUlS16_E_NS1_11comp_targetILNS1_3genE4ELNS1_11target_archE910ELNS1_3gpuE8ELNS1_3repE0EEENS1_30default_config_static_selectorELNS0_4arch9wavefront6targetE0EEEvT1_.numbered_sgpr, 0
	.set _ZN7rocprim17ROCPRIM_400000_NS6detail17trampoline_kernelINS0_14default_configENS1_25partition_config_selectorILNS1_17partition_subalgoE5ElNS0_10empty_typeEbEEZZNS1_14partition_implILS5_5ELb0ES3_mN6hipcub16HIPCUB_304000_NS21CountingInputIteratorIllEEPS6_NSA_22TransformInputIteratorIbN2at6native12_GLOBAL__N_19NonZeroOpIlEEPKllEENS0_5tupleIJPlS6_EEENSN_IJSD_SD_EEES6_PiJS6_EEE10hipError_tPvRmT3_T4_T5_T6_T7_T9_mT8_P12ihipStream_tbDpT10_ENKUlT_T0_E_clISt17integral_constantIbLb0EES1A_IbLb1EEEEDaS16_S17_EUlS16_E_NS1_11comp_targetILNS1_3genE4ELNS1_11target_archE910ELNS1_3gpuE8ELNS1_3repE0EEENS1_30default_config_static_selectorELNS0_4arch9wavefront6targetE0EEEvT1_.num_named_barrier, 0
	.set _ZN7rocprim17ROCPRIM_400000_NS6detail17trampoline_kernelINS0_14default_configENS1_25partition_config_selectorILNS1_17partition_subalgoE5ElNS0_10empty_typeEbEEZZNS1_14partition_implILS5_5ELb0ES3_mN6hipcub16HIPCUB_304000_NS21CountingInputIteratorIllEEPS6_NSA_22TransformInputIteratorIbN2at6native12_GLOBAL__N_19NonZeroOpIlEEPKllEENS0_5tupleIJPlS6_EEENSN_IJSD_SD_EEES6_PiJS6_EEE10hipError_tPvRmT3_T4_T5_T6_T7_T9_mT8_P12ihipStream_tbDpT10_ENKUlT_T0_E_clISt17integral_constantIbLb0EES1A_IbLb1EEEEDaS16_S17_EUlS16_E_NS1_11comp_targetILNS1_3genE4ELNS1_11target_archE910ELNS1_3gpuE8ELNS1_3repE0EEENS1_30default_config_static_selectorELNS0_4arch9wavefront6targetE0EEEvT1_.private_seg_size, 0
	.set _ZN7rocprim17ROCPRIM_400000_NS6detail17trampoline_kernelINS0_14default_configENS1_25partition_config_selectorILNS1_17partition_subalgoE5ElNS0_10empty_typeEbEEZZNS1_14partition_implILS5_5ELb0ES3_mN6hipcub16HIPCUB_304000_NS21CountingInputIteratorIllEEPS6_NSA_22TransformInputIteratorIbN2at6native12_GLOBAL__N_19NonZeroOpIlEEPKllEENS0_5tupleIJPlS6_EEENSN_IJSD_SD_EEES6_PiJS6_EEE10hipError_tPvRmT3_T4_T5_T6_T7_T9_mT8_P12ihipStream_tbDpT10_ENKUlT_T0_E_clISt17integral_constantIbLb0EES1A_IbLb1EEEEDaS16_S17_EUlS16_E_NS1_11comp_targetILNS1_3genE4ELNS1_11target_archE910ELNS1_3gpuE8ELNS1_3repE0EEENS1_30default_config_static_selectorELNS0_4arch9wavefront6targetE0EEEvT1_.uses_vcc, 0
	.set _ZN7rocprim17ROCPRIM_400000_NS6detail17trampoline_kernelINS0_14default_configENS1_25partition_config_selectorILNS1_17partition_subalgoE5ElNS0_10empty_typeEbEEZZNS1_14partition_implILS5_5ELb0ES3_mN6hipcub16HIPCUB_304000_NS21CountingInputIteratorIllEEPS6_NSA_22TransformInputIteratorIbN2at6native12_GLOBAL__N_19NonZeroOpIlEEPKllEENS0_5tupleIJPlS6_EEENSN_IJSD_SD_EEES6_PiJS6_EEE10hipError_tPvRmT3_T4_T5_T6_T7_T9_mT8_P12ihipStream_tbDpT10_ENKUlT_T0_E_clISt17integral_constantIbLb0EES1A_IbLb1EEEEDaS16_S17_EUlS16_E_NS1_11comp_targetILNS1_3genE4ELNS1_11target_archE910ELNS1_3gpuE8ELNS1_3repE0EEENS1_30default_config_static_selectorELNS0_4arch9wavefront6targetE0EEEvT1_.uses_flat_scratch, 0
	.set _ZN7rocprim17ROCPRIM_400000_NS6detail17trampoline_kernelINS0_14default_configENS1_25partition_config_selectorILNS1_17partition_subalgoE5ElNS0_10empty_typeEbEEZZNS1_14partition_implILS5_5ELb0ES3_mN6hipcub16HIPCUB_304000_NS21CountingInputIteratorIllEEPS6_NSA_22TransformInputIteratorIbN2at6native12_GLOBAL__N_19NonZeroOpIlEEPKllEENS0_5tupleIJPlS6_EEENSN_IJSD_SD_EEES6_PiJS6_EEE10hipError_tPvRmT3_T4_T5_T6_T7_T9_mT8_P12ihipStream_tbDpT10_ENKUlT_T0_E_clISt17integral_constantIbLb0EES1A_IbLb1EEEEDaS16_S17_EUlS16_E_NS1_11comp_targetILNS1_3genE4ELNS1_11target_archE910ELNS1_3gpuE8ELNS1_3repE0EEENS1_30default_config_static_selectorELNS0_4arch9wavefront6targetE0EEEvT1_.has_dyn_sized_stack, 0
	.set _ZN7rocprim17ROCPRIM_400000_NS6detail17trampoline_kernelINS0_14default_configENS1_25partition_config_selectorILNS1_17partition_subalgoE5ElNS0_10empty_typeEbEEZZNS1_14partition_implILS5_5ELb0ES3_mN6hipcub16HIPCUB_304000_NS21CountingInputIteratorIllEEPS6_NSA_22TransformInputIteratorIbN2at6native12_GLOBAL__N_19NonZeroOpIlEEPKllEENS0_5tupleIJPlS6_EEENSN_IJSD_SD_EEES6_PiJS6_EEE10hipError_tPvRmT3_T4_T5_T6_T7_T9_mT8_P12ihipStream_tbDpT10_ENKUlT_T0_E_clISt17integral_constantIbLb0EES1A_IbLb1EEEEDaS16_S17_EUlS16_E_NS1_11comp_targetILNS1_3genE4ELNS1_11target_archE910ELNS1_3gpuE8ELNS1_3repE0EEENS1_30default_config_static_selectorELNS0_4arch9wavefront6targetE0EEEvT1_.has_recursion, 0
	.set _ZN7rocprim17ROCPRIM_400000_NS6detail17trampoline_kernelINS0_14default_configENS1_25partition_config_selectorILNS1_17partition_subalgoE5ElNS0_10empty_typeEbEEZZNS1_14partition_implILS5_5ELb0ES3_mN6hipcub16HIPCUB_304000_NS21CountingInputIteratorIllEEPS6_NSA_22TransformInputIteratorIbN2at6native12_GLOBAL__N_19NonZeroOpIlEEPKllEENS0_5tupleIJPlS6_EEENSN_IJSD_SD_EEES6_PiJS6_EEE10hipError_tPvRmT3_T4_T5_T6_T7_T9_mT8_P12ihipStream_tbDpT10_ENKUlT_T0_E_clISt17integral_constantIbLb0EES1A_IbLb1EEEEDaS16_S17_EUlS16_E_NS1_11comp_targetILNS1_3genE4ELNS1_11target_archE910ELNS1_3gpuE8ELNS1_3repE0EEENS1_30default_config_static_selectorELNS0_4arch9wavefront6targetE0EEEvT1_.has_indirect_call, 0
	.section	.AMDGPU.csdata,"",@progbits
; Kernel info:
; codeLenInByte = 0
; TotalNumSgprs: 0
; NumVgprs: 0
; ScratchSize: 0
; MemoryBound: 0
; FloatMode: 240
; IeeeMode: 1
; LDSByteSize: 0 bytes/workgroup (compile time only)
; SGPRBlocks: 0
; VGPRBlocks: 0
; NumSGPRsForWavesPerEU: 1
; NumVGPRsForWavesPerEU: 1
; Occupancy: 16
; WaveLimiterHint : 0
; COMPUTE_PGM_RSRC2:SCRATCH_EN: 0
; COMPUTE_PGM_RSRC2:USER_SGPR: 2
; COMPUTE_PGM_RSRC2:TRAP_HANDLER: 0
; COMPUTE_PGM_RSRC2:TGID_X_EN: 1
; COMPUTE_PGM_RSRC2:TGID_Y_EN: 0
; COMPUTE_PGM_RSRC2:TGID_Z_EN: 0
; COMPUTE_PGM_RSRC2:TIDIG_COMP_CNT: 0
	.section	.text._ZN7rocprim17ROCPRIM_400000_NS6detail17trampoline_kernelINS0_14default_configENS1_25partition_config_selectorILNS1_17partition_subalgoE5ElNS0_10empty_typeEbEEZZNS1_14partition_implILS5_5ELb0ES3_mN6hipcub16HIPCUB_304000_NS21CountingInputIteratorIllEEPS6_NSA_22TransformInputIteratorIbN2at6native12_GLOBAL__N_19NonZeroOpIlEEPKllEENS0_5tupleIJPlS6_EEENSN_IJSD_SD_EEES6_PiJS6_EEE10hipError_tPvRmT3_T4_T5_T6_T7_T9_mT8_P12ihipStream_tbDpT10_ENKUlT_T0_E_clISt17integral_constantIbLb0EES1A_IbLb1EEEEDaS16_S17_EUlS16_E_NS1_11comp_targetILNS1_3genE3ELNS1_11target_archE908ELNS1_3gpuE7ELNS1_3repE0EEENS1_30default_config_static_selectorELNS0_4arch9wavefront6targetE0EEEvT1_,"axG",@progbits,_ZN7rocprim17ROCPRIM_400000_NS6detail17trampoline_kernelINS0_14default_configENS1_25partition_config_selectorILNS1_17partition_subalgoE5ElNS0_10empty_typeEbEEZZNS1_14partition_implILS5_5ELb0ES3_mN6hipcub16HIPCUB_304000_NS21CountingInputIteratorIllEEPS6_NSA_22TransformInputIteratorIbN2at6native12_GLOBAL__N_19NonZeroOpIlEEPKllEENS0_5tupleIJPlS6_EEENSN_IJSD_SD_EEES6_PiJS6_EEE10hipError_tPvRmT3_T4_T5_T6_T7_T9_mT8_P12ihipStream_tbDpT10_ENKUlT_T0_E_clISt17integral_constantIbLb0EES1A_IbLb1EEEEDaS16_S17_EUlS16_E_NS1_11comp_targetILNS1_3genE3ELNS1_11target_archE908ELNS1_3gpuE7ELNS1_3repE0EEENS1_30default_config_static_selectorELNS0_4arch9wavefront6targetE0EEEvT1_,comdat
	.globl	_ZN7rocprim17ROCPRIM_400000_NS6detail17trampoline_kernelINS0_14default_configENS1_25partition_config_selectorILNS1_17partition_subalgoE5ElNS0_10empty_typeEbEEZZNS1_14partition_implILS5_5ELb0ES3_mN6hipcub16HIPCUB_304000_NS21CountingInputIteratorIllEEPS6_NSA_22TransformInputIteratorIbN2at6native12_GLOBAL__N_19NonZeroOpIlEEPKllEENS0_5tupleIJPlS6_EEENSN_IJSD_SD_EEES6_PiJS6_EEE10hipError_tPvRmT3_T4_T5_T6_T7_T9_mT8_P12ihipStream_tbDpT10_ENKUlT_T0_E_clISt17integral_constantIbLb0EES1A_IbLb1EEEEDaS16_S17_EUlS16_E_NS1_11comp_targetILNS1_3genE3ELNS1_11target_archE908ELNS1_3gpuE7ELNS1_3repE0EEENS1_30default_config_static_selectorELNS0_4arch9wavefront6targetE0EEEvT1_ ; -- Begin function _ZN7rocprim17ROCPRIM_400000_NS6detail17trampoline_kernelINS0_14default_configENS1_25partition_config_selectorILNS1_17partition_subalgoE5ElNS0_10empty_typeEbEEZZNS1_14partition_implILS5_5ELb0ES3_mN6hipcub16HIPCUB_304000_NS21CountingInputIteratorIllEEPS6_NSA_22TransformInputIteratorIbN2at6native12_GLOBAL__N_19NonZeroOpIlEEPKllEENS0_5tupleIJPlS6_EEENSN_IJSD_SD_EEES6_PiJS6_EEE10hipError_tPvRmT3_T4_T5_T6_T7_T9_mT8_P12ihipStream_tbDpT10_ENKUlT_T0_E_clISt17integral_constantIbLb0EES1A_IbLb1EEEEDaS16_S17_EUlS16_E_NS1_11comp_targetILNS1_3genE3ELNS1_11target_archE908ELNS1_3gpuE7ELNS1_3repE0EEENS1_30default_config_static_selectorELNS0_4arch9wavefront6targetE0EEEvT1_
	.p2align	8
	.type	_ZN7rocprim17ROCPRIM_400000_NS6detail17trampoline_kernelINS0_14default_configENS1_25partition_config_selectorILNS1_17partition_subalgoE5ElNS0_10empty_typeEbEEZZNS1_14partition_implILS5_5ELb0ES3_mN6hipcub16HIPCUB_304000_NS21CountingInputIteratorIllEEPS6_NSA_22TransformInputIteratorIbN2at6native12_GLOBAL__N_19NonZeroOpIlEEPKllEENS0_5tupleIJPlS6_EEENSN_IJSD_SD_EEES6_PiJS6_EEE10hipError_tPvRmT3_T4_T5_T6_T7_T9_mT8_P12ihipStream_tbDpT10_ENKUlT_T0_E_clISt17integral_constantIbLb0EES1A_IbLb1EEEEDaS16_S17_EUlS16_E_NS1_11comp_targetILNS1_3genE3ELNS1_11target_archE908ELNS1_3gpuE7ELNS1_3repE0EEENS1_30default_config_static_selectorELNS0_4arch9wavefront6targetE0EEEvT1_,@function
_ZN7rocprim17ROCPRIM_400000_NS6detail17trampoline_kernelINS0_14default_configENS1_25partition_config_selectorILNS1_17partition_subalgoE5ElNS0_10empty_typeEbEEZZNS1_14partition_implILS5_5ELb0ES3_mN6hipcub16HIPCUB_304000_NS21CountingInputIteratorIllEEPS6_NSA_22TransformInputIteratorIbN2at6native12_GLOBAL__N_19NonZeroOpIlEEPKllEENS0_5tupleIJPlS6_EEENSN_IJSD_SD_EEES6_PiJS6_EEE10hipError_tPvRmT3_T4_T5_T6_T7_T9_mT8_P12ihipStream_tbDpT10_ENKUlT_T0_E_clISt17integral_constantIbLb0EES1A_IbLb1EEEEDaS16_S17_EUlS16_E_NS1_11comp_targetILNS1_3genE3ELNS1_11target_archE908ELNS1_3gpuE7ELNS1_3repE0EEENS1_30default_config_static_selectorELNS0_4arch9wavefront6targetE0EEEvT1_: ; @_ZN7rocprim17ROCPRIM_400000_NS6detail17trampoline_kernelINS0_14default_configENS1_25partition_config_selectorILNS1_17partition_subalgoE5ElNS0_10empty_typeEbEEZZNS1_14partition_implILS5_5ELb0ES3_mN6hipcub16HIPCUB_304000_NS21CountingInputIteratorIllEEPS6_NSA_22TransformInputIteratorIbN2at6native12_GLOBAL__N_19NonZeroOpIlEEPKllEENS0_5tupleIJPlS6_EEENSN_IJSD_SD_EEES6_PiJS6_EEE10hipError_tPvRmT3_T4_T5_T6_T7_T9_mT8_P12ihipStream_tbDpT10_ENKUlT_T0_E_clISt17integral_constantIbLb0EES1A_IbLb1EEEEDaS16_S17_EUlS16_E_NS1_11comp_targetILNS1_3genE3ELNS1_11target_archE908ELNS1_3gpuE7ELNS1_3repE0EEENS1_30default_config_static_selectorELNS0_4arch9wavefront6targetE0EEEvT1_
; %bb.0:
	.section	.rodata,"a",@progbits
	.p2align	6, 0x0
	.amdhsa_kernel _ZN7rocprim17ROCPRIM_400000_NS6detail17trampoline_kernelINS0_14default_configENS1_25partition_config_selectorILNS1_17partition_subalgoE5ElNS0_10empty_typeEbEEZZNS1_14partition_implILS5_5ELb0ES3_mN6hipcub16HIPCUB_304000_NS21CountingInputIteratorIllEEPS6_NSA_22TransformInputIteratorIbN2at6native12_GLOBAL__N_19NonZeroOpIlEEPKllEENS0_5tupleIJPlS6_EEENSN_IJSD_SD_EEES6_PiJS6_EEE10hipError_tPvRmT3_T4_T5_T6_T7_T9_mT8_P12ihipStream_tbDpT10_ENKUlT_T0_E_clISt17integral_constantIbLb0EES1A_IbLb1EEEEDaS16_S17_EUlS16_E_NS1_11comp_targetILNS1_3genE3ELNS1_11target_archE908ELNS1_3gpuE7ELNS1_3repE0EEENS1_30default_config_static_selectorELNS0_4arch9wavefront6targetE0EEEvT1_
		.amdhsa_group_segment_fixed_size 0
		.amdhsa_private_segment_fixed_size 0
		.amdhsa_kernarg_size 136
		.amdhsa_user_sgpr_count 2
		.amdhsa_user_sgpr_dispatch_ptr 0
		.amdhsa_user_sgpr_queue_ptr 0
		.amdhsa_user_sgpr_kernarg_segment_ptr 1
		.amdhsa_user_sgpr_dispatch_id 0
		.amdhsa_user_sgpr_private_segment_size 0
		.amdhsa_wavefront_size32 1
		.amdhsa_uses_dynamic_stack 0
		.amdhsa_enable_private_segment 0
		.amdhsa_system_sgpr_workgroup_id_x 1
		.amdhsa_system_sgpr_workgroup_id_y 0
		.amdhsa_system_sgpr_workgroup_id_z 0
		.amdhsa_system_sgpr_workgroup_info 0
		.amdhsa_system_vgpr_workitem_id 0
		.amdhsa_next_free_vgpr 1
		.amdhsa_next_free_sgpr 1
		.amdhsa_reserve_vcc 0
		.amdhsa_float_round_mode_32 0
		.amdhsa_float_round_mode_16_64 0
		.amdhsa_float_denorm_mode_32 3
		.amdhsa_float_denorm_mode_16_64 3
		.amdhsa_fp16_overflow 0
		.amdhsa_workgroup_processor_mode 1
		.amdhsa_memory_ordered 1
		.amdhsa_forward_progress 1
		.amdhsa_inst_pref_size 0
		.amdhsa_round_robin_scheduling 0
		.amdhsa_exception_fp_ieee_invalid_op 0
		.amdhsa_exception_fp_denorm_src 0
		.amdhsa_exception_fp_ieee_div_zero 0
		.amdhsa_exception_fp_ieee_overflow 0
		.amdhsa_exception_fp_ieee_underflow 0
		.amdhsa_exception_fp_ieee_inexact 0
		.amdhsa_exception_int_div_zero 0
	.end_amdhsa_kernel
	.section	.text._ZN7rocprim17ROCPRIM_400000_NS6detail17trampoline_kernelINS0_14default_configENS1_25partition_config_selectorILNS1_17partition_subalgoE5ElNS0_10empty_typeEbEEZZNS1_14partition_implILS5_5ELb0ES3_mN6hipcub16HIPCUB_304000_NS21CountingInputIteratorIllEEPS6_NSA_22TransformInputIteratorIbN2at6native12_GLOBAL__N_19NonZeroOpIlEEPKllEENS0_5tupleIJPlS6_EEENSN_IJSD_SD_EEES6_PiJS6_EEE10hipError_tPvRmT3_T4_T5_T6_T7_T9_mT8_P12ihipStream_tbDpT10_ENKUlT_T0_E_clISt17integral_constantIbLb0EES1A_IbLb1EEEEDaS16_S17_EUlS16_E_NS1_11comp_targetILNS1_3genE3ELNS1_11target_archE908ELNS1_3gpuE7ELNS1_3repE0EEENS1_30default_config_static_selectorELNS0_4arch9wavefront6targetE0EEEvT1_,"axG",@progbits,_ZN7rocprim17ROCPRIM_400000_NS6detail17trampoline_kernelINS0_14default_configENS1_25partition_config_selectorILNS1_17partition_subalgoE5ElNS0_10empty_typeEbEEZZNS1_14partition_implILS5_5ELb0ES3_mN6hipcub16HIPCUB_304000_NS21CountingInputIteratorIllEEPS6_NSA_22TransformInputIteratorIbN2at6native12_GLOBAL__N_19NonZeroOpIlEEPKllEENS0_5tupleIJPlS6_EEENSN_IJSD_SD_EEES6_PiJS6_EEE10hipError_tPvRmT3_T4_T5_T6_T7_T9_mT8_P12ihipStream_tbDpT10_ENKUlT_T0_E_clISt17integral_constantIbLb0EES1A_IbLb1EEEEDaS16_S17_EUlS16_E_NS1_11comp_targetILNS1_3genE3ELNS1_11target_archE908ELNS1_3gpuE7ELNS1_3repE0EEENS1_30default_config_static_selectorELNS0_4arch9wavefront6targetE0EEEvT1_,comdat
.Lfunc_end281:
	.size	_ZN7rocprim17ROCPRIM_400000_NS6detail17trampoline_kernelINS0_14default_configENS1_25partition_config_selectorILNS1_17partition_subalgoE5ElNS0_10empty_typeEbEEZZNS1_14partition_implILS5_5ELb0ES3_mN6hipcub16HIPCUB_304000_NS21CountingInputIteratorIllEEPS6_NSA_22TransformInputIteratorIbN2at6native12_GLOBAL__N_19NonZeroOpIlEEPKllEENS0_5tupleIJPlS6_EEENSN_IJSD_SD_EEES6_PiJS6_EEE10hipError_tPvRmT3_T4_T5_T6_T7_T9_mT8_P12ihipStream_tbDpT10_ENKUlT_T0_E_clISt17integral_constantIbLb0EES1A_IbLb1EEEEDaS16_S17_EUlS16_E_NS1_11comp_targetILNS1_3genE3ELNS1_11target_archE908ELNS1_3gpuE7ELNS1_3repE0EEENS1_30default_config_static_selectorELNS0_4arch9wavefront6targetE0EEEvT1_, .Lfunc_end281-_ZN7rocprim17ROCPRIM_400000_NS6detail17trampoline_kernelINS0_14default_configENS1_25partition_config_selectorILNS1_17partition_subalgoE5ElNS0_10empty_typeEbEEZZNS1_14partition_implILS5_5ELb0ES3_mN6hipcub16HIPCUB_304000_NS21CountingInputIteratorIllEEPS6_NSA_22TransformInputIteratorIbN2at6native12_GLOBAL__N_19NonZeroOpIlEEPKllEENS0_5tupleIJPlS6_EEENSN_IJSD_SD_EEES6_PiJS6_EEE10hipError_tPvRmT3_T4_T5_T6_T7_T9_mT8_P12ihipStream_tbDpT10_ENKUlT_T0_E_clISt17integral_constantIbLb0EES1A_IbLb1EEEEDaS16_S17_EUlS16_E_NS1_11comp_targetILNS1_3genE3ELNS1_11target_archE908ELNS1_3gpuE7ELNS1_3repE0EEENS1_30default_config_static_selectorELNS0_4arch9wavefront6targetE0EEEvT1_
                                        ; -- End function
	.set _ZN7rocprim17ROCPRIM_400000_NS6detail17trampoline_kernelINS0_14default_configENS1_25partition_config_selectorILNS1_17partition_subalgoE5ElNS0_10empty_typeEbEEZZNS1_14partition_implILS5_5ELb0ES3_mN6hipcub16HIPCUB_304000_NS21CountingInputIteratorIllEEPS6_NSA_22TransformInputIteratorIbN2at6native12_GLOBAL__N_19NonZeroOpIlEEPKllEENS0_5tupleIJPlS6_EEENSN_IJSD_SD_EEES6_PiJS6_EEE10hipError_tPvRmT3_T4_T5_T6_T7_T9_mT8_P12ihipStream_tbDpT10_ENKUlT_T0_E_clISt17integral_constantIbLb0EES1A_IbLb1EEEEDaS16_S17_EUlS16_E_NS1_11comp_targetILNS1_3genE3ELNS1_11target_archE908ELNS1_3gpuE7ELNS1_3repE0EEENS1_30default_config_static_selectorELNS0_4arch9wavefront6targetE0EEEvT1_.num_vgpr, 0
	.set _ZN7rocprim17ROCPRIM_400000_NS6detail17trampoline_kernelINS0_14default_configENS1_25partition_config_selectorILNS1_17partition_subalgoE5ElNS0_10empty_typeEbEEZZNS1_14partition_implILS5_5ELb0ES3_mN6hipcub16HIPCUB_304000_NS21CountingInputIteratorIllEEPS6_NSA_22TransformInputIteratorIbN2at6native12_GLOBAL__N_19NonZeroOpIlEEPKllEENS0_5tupleIJPlS6_EEENSN_IJSD_SD_EEES6_PiJS6_EEE10hipError_tPvRmT3_T4_T5_T6_T7_T9_mT8_P12ihipStream_tbDpT10_ENKUlT_T0_E_clISt17integral_constantIbLb0EES1A_IbLb1EEEEDaS16_S17_EUlS16_E_NS1_11comp_targetILNS1_3genE3ELNS1_11target_archE908ELNS1_3gpuE7ELNS1_3repE0EEENS1_30default_config_static_selectorELNS0_4arch9wavefront6targetE0EEEvT1_.num_agpr, 0
	.set _ZN7rocprim17ROCPRIM_400000_NS6detail17trampoline_kernelINS0_14default_configENS1_25partition_config_selectorILNS1_17partition_subalgoE5ElNS0_10empty_typeEbEEZZNS1_14partition_implILS5_5ELb0ES3_mN6hipcub16HIPCUB_304000_NS21CountingInputIteratorIllEEPS6_NSA_22TransformInputIteratorIbN2at6native12_GLOBAL__N_19NonZeroOpIlEEPKllEENS0_5tupleIJPlS6_EEENSN_IJSD_SD_EEES6_PiJS6_EEE10hipError_tPvRmT3_T4_T5_T6_T7_T9_mT8_P12ihipStream_tbDpT10_ENKUlT_T0_E_clISt17integral_constantIbLb0EES1A_IbLb1EEEEDaS16_S17_EUlS16_E_NS1_11comp_targetILNS1_3genE3ELNS1_11target_archE908ELNS1_3gpuE7ELNS1_3repE0EEENS1_30default_config_static_selectorELNS0_4arch9wavefront6targetE0EEEvT1_.numbered_sgpr, 0
	.set _ZN7rocprim17ROCPRIM_400000_NS6detail17trampoline_kernelINS0_14default_configENS1_25partition_config_selectorILNS1_17partition_subalgoE5ElNS0_10empty_typeEbEEZZNS1_14partition_implILS5_5ELb0ES3_mN6hipcub16HIPCUB_304000_NS21CountingInputIteratorIllEEPS6_NSA_22TransformInputIteratorIbN2at6native12_GLOBAL__N_19NonZeroOpIlEEPKllEENS0_5tupleIJPlS6_EEENSN_IJSD_SD_EEES6_PiJS6_EEE10hipError_tPvRmT3_T4_T5_T6_T7_T9_mT8_P12ihipStream_tbDpT10_ENKUlT_T0_E_clISt17integral_constantIbLb0EES1A_IbLb1EEEEDaS16_S17_EUlS16_E_NS1_11comp_targetILNS1_3genE3ELNS1_11target_archE908ELNS1_3gpuE7ELNS1_3repE0EEENS1_30default_config_static_selectorELNS0_4arch9wavefront6targetE0EEEvT1_.num_named_barrier, 0
	.set _ZN7rocprim17ROCPRIM_400000_NS6detail17trampoline_kernelINS0_14default_configENS1_25partition_config_selectorILNS1_17partition_subalgoE5ElNS0_10empty_typeEbEEZZNS1_14partition_implILS5_5ELb0ES3_mN6hipcub16HIPCUB_304000_NS21CountingInputIteratorIllEEPS6_NSA_22TransformInputIteratorIbN2at6native12_GLOBAL__N_19NonZeroOpIlEEPKllEENS0_5tupleIJPlS6_EEENSN_IJSD_SD_EEES6_PiJS6_EEE10hipError_tPvRmT3_T4_T5_T6_T7_T9_mT8_P12ihipStream_tbDpT10_ENKUlT_T0_E_clISt17integral_constantIbLb0EES1A_IbLb1EEEEDaS16_S17_EUlS16_E_NS1_11comp_targetILNS1_3genE3ELNS1_11target_archE908ELNS1_3gpuE7ELNS1_3repE0EEENS1_30default_config_static_selectorELNS0_4arch9wavefront6targetE0EEEvT1_.private_seg_size, 0
	.set _ZN7rocprim17ROCPRIM_400000_NS6detail17trampoline_kernelINS0_14default_configENS1_25partition_config_selectorILNS1_17partition_subalgoE5ElNS0_10empty_typeEbEEZZNS1_14partition_implILS5_5ELb0ES3_mN6hipcub16HIPCUB_304000_NS21CountingInputIteratorIllEEPS6_NSA_22TransformInputIteratorIbN2at6native12_GLOBAL__N_19NonZeroOpIlEEPKllEENS0_5tupleIJPlS6_EEENSN_IJSD_SD_EEES6_PiJS6_EEE10hipError_tPvRmT3_T4_T5_T6_T7_T9_mT8_P12ihipStream_tbDpT10_ENKUlT_T0_E_clISt17integral_constantIbLb0EES1A_IbLb1EEEEDaS16_S17_EUlS16_E_NS1_11comp_targetILNS1_3genE3ELNS1_11target_archE908ELNS1_3gpuE7ELNS1_3repE0EEENS1_30default_config_static_selectorELNS0_4arch9wavefront6targetE0EEEvT1_.uses_vcc, 0
	.set _ZN7rocprim17ROCPRIM_400000_NS6detail17trampoline_kernelINS0_14default_configENS1_25partition_config_selectorILNS1_17partition_subalgoE5ElNS0_10empty_typeEbEEZZNS1_14partition_implILS5_5ELb0ES3_mN6hipcub16HIPCUB_304000_NS21CountingInputIteratorIllEEPS6_NSA_22TransformInputIteratorIbN2at6native12_GLOBAL__N_19NonZeroOpIlEEPKllEENS0_5tupleIJPlS6_EEENSN_IJSD_SD_EEES6_PiJS6_EEE10hipError_tPvRmT3_T4_T5_T6_T7_T9_mT8_P12ihipStream_tbDpT10_ENKUlT_T0_E_clISt17integral_constantIbLb0EES1A_IbLb1EEEEDaS16_S17_EUlS16_E_NS1_11comp_targetILNS1_3genE3ELNS1_11target_archE908ELNS1_3gpuE7ELNS1_3repE0EEENS1_30default_config_static_selectorELNS0_4arch9wavefront6targetE0EEEvT1_.uses_flat_scratch, 0
	.set _ZN7rocprim17ROCPRIM_400000_NS6detail17trampoline_kernelINS0_14default_configENS1_25partition_config_selectorILNS1_17partition_subalgoE5ElNS0_10empty_typeEbEEZZNS1_14partition_implILS5_5ELb0ES3_mN6hipcub16HIPCUB_304000_NS21CountingInputIteratorIllEEPS6_NSA_22TransformInputIteratorIbN2at6native12_GLOBAL__N_19NonZeroOpIlEEPKllEENS0_5tupleIJPlS6_EEENSN_IJSD_SD_EEES6_PiJS6_EEE10hipError_tPvRmT3_T4_T5_T6_T7_T9_mT8_P12ihipStream_tbDpT10_ENKUlT_T0_E_clISt17integral_constantIbLb0EES1A_IbLb1EEEEDaS16_S17_EUlS16_E_NS1_11comp_targetILNS1_3genE3ELNS1_11target_archE908ELNS1_3gpuE7ELNS1_3repE0EEENS1_30default_config_static_selectorELNS0_4arch9wavefront6targetE0EEEvT1_.has_dyn_sized_stack, 0
	.set _ZN7rocprim17ROCPRIM_400000_NS6detail17trampoline_kernelINS0_14default_configENS1_25partition_config_selectorILNS1_17partition_subalgoE5ElNS0_10empty_typeEbEEZZNS1_14partition_implILS5_5ELb0ES3_mN6hipcub16HIPCUB_304000_NS21CountingInputIteratorIllEEPS6_NSA_22TransformInputIteratorIbN2at6native12_GLOBAL__N_19NonZeroOpIlEEPKllEENS0_5tupleIJPlS6_EEENSN_IJSD_SD_EEES6_PiJS6_EEE10hipError_tPvRmT3_T4_T5_T6_T7_T9_mT8_P12ihipStream_tbDpT10_ENKUlT_T0_E_clISt17integral_constantIbLb0EES1A_IbLb1EEEEDaS16_S17_EUlS16_E_NS1_11comp_targetILNS1_3genE3ELNS1_11target_archE908ELNS1_3gpuE7ELNS1_3repE0EEENS1_30default_config_static_selectorELNS0_4arch9wavefront6targetE0EEEvT1_.has_recursion, 0
	.set _ZN7rocprim17ROCPRIM_400000_NS6detail17trampoline_kernelINS0_14default_configENS1_25partition_config_selectorILNS1_17partition_subalgoE5ElNS0_10empty_typeEbEEZZNS1_14partition_implILS5_5ELb0ES3_mN6hipcub16HIPCUB_304000_NS21CountingInputIteratorIllEEPS6_NSA_22TransformInputIteratorIbN2at6native12_GLOBAL__N_19NonZeroOpIlEEPKllEENS0_5tupleIJPlS6_EEENSN_IJSD_SD_EEES6_PiJS6_EEE10hipError_tPvRmT3_T4_T5_T6_T7_T9_mT8_P12ihipStream_tbDpT10_ENKUlT_T0_E_clISt17integral_constantIbLb0EES1A_IbLb1EEEEDaS16_S17_EUlS16_E_NS1_11comp_targetILNS1_3genE3ELNS1_11target_archE908ELNS1_3gpuE7ELNS1_3repE0EEENS1_30default_config_static_selectorELNS0_4arch9wavefront6targetE0EEEvT1_.has_indirect_call, 0
	.section	.AMDGPU.csdata,"",@progbits
; Kernel info:
; codeLenInByte = 0
; TotalNumSgprs: 0
; NumVgprs: 0
; ScratchSize: 0
; MemoryBound: 0
; FloatMode: 240
; IeeeMode: 1
; LDSByteSize: 0 bytes/workgroup (compile time only)
; SGPRBlocks: 0
; VGPRBlocks: 0
; NumSGPRsForWavesPerEU: 1
; NumVGPRsForWavesPerEU: 1
; Occupancy: 16
; WaveLimiterHint : 0
; COMPUTE_PGM_RSRC2:SCRATCH_EN: 0
; COMPUTE_PGM_RSRC2:USER_SGPR: 2
; COMPUTE_PGM_RSRC2:TRAP_HANDLER: 0
; COMPUTE_PGM_RSRC2:TGID_X_EN: 1
; COMPUTE_PGM_RSRC2:TGID_Y_EN: 0
; COMPUTE_PGM_RSRC2:TGID_Z_EN: 0
; COMPUTE_PGM_RSRC2:TIDIG_COMP_CNT: 0
	.section	.text._ZN7rocprim17ROCPRIM_400000_NS6detail17trampoline_kernelINS0_14default_configENS1_25partition_config_selectorILNS1_17partition_subalgoE5ElNS0_10empty_typeEbEEZZNS1_14partition_implILS5_5ELb0ES3_mN6hipcub16HIPCUB_304000_NS21CountingInputIteratorIllEEPS6_NSA_22TransformInputIteratorIbN2at6native12_GLOBAL__N_19NonZeroOpIlEEPKllEENS0_5tupleIJPlS6_EEENSN_IJSD_SD_EEES6_PiJS6_EEE10hipError_tPvRmT3_T4_T5_T6_T7_T9_mT8_P12ihipStream_tbDpT10_ENKUlT_T0_E_clISt17integral_constantIbLb0EES1A_IbLb1EEEEDaS16_S17_EUlS16_E_NS1_11comp_targetILNS1_3genE2ELNS1_11target_archE906ELNS1_3gpuE6ELNS1_3repE0EEENS1_30default_config_static_selectorELNS0_4arch9wavefront6targetE0EEEvT1_,"axG",@progbits,_ZN7rocprim17ROCPRIM_400000_NS6detail17trampoline_kernelINS0_14default_configENS1_25partition_config_selectorILNS1_17partition_subalgoE5ElNS0_10empty_typeEbEEZZNS1_14partition_implILS5_5ELb0ES3_mN6hipcub16HIPCUB_304000_NS21CountingInputIteratorIllEEPS6_NSA_22TransformInputIteratorIbN2at6native12_GLOBAL__N_19NonZeroOpIlEEPKllEENS0_5tupleIJPlS6_EEENSN_IJSD_SD_EEES6_PiJS6_EEE10hipError_tPvRmT3_T4_T5_T6_T7_T9_mT8_P12ihipStream_tbDpT10_ENKUlT_T0_E_clISt17integral_constantIbLb0EES1A_IbLb1EEEEDaS16_S17_EUlS16_E_NS1_11comp_targetILNS1_3genE2ELNS1_11target_archE906ELNS1_3gpuE6ELNS1_3repE0EEENS1_30default_config_static_selectorELNS0_4arch9wavefront6targetE0EEEvT1_,comdat
	.globl	_ZN7rocprim17ROCPRIM_400000_NS6detail17trampoline_kernelINS0_14default_configENS1_25partition_config_selectorILNS1_17partition_subalgoE5ElNS0_10empty_typeEbEEZZNS1_14partition_implILS5_5ELb0ES3_mN6hipcub16HIPCUB_304000_NS21CountingInputIteratorIllEEPS6_NSA_22TransformInputIteratorIbN2at6native12_GLOBAL__N_19NonZeroOpIlEEPKllEENS0_5tupleIJPlS6_EEENSN_IJSD_SD_EEES6_PiJS6_EEE10hipError_tPvRmT3_T4_T5_T6_T7_T9_mT8_P12ihipStream_tbDpT10_ENKUlT_T0_E_clISt17integral_constantIbLb0EES1A_IbLb1EEEEDaS16_S17_EUlS16_E_NS1_11comp_targetILNS1_3genE2ELNS1_11target_archE906ELNS1_3gpuE6ELNS1_3repE0EEENS1_30default_config_static_selectorELNS0_4arch9wavefront6targetE0EEEvT1_ ; -- Begin function _ZN7rocprim17ROCPRIM_400000_NS6detail17trampoline_kernelINS0_14default_configENS1_25partition_config_selectorILNS1_17partition_subalgoE5ElNS0_10empty_typeEbEEZZNS1_14partition_implILS5_5ELb0ES3_mN6hipcub16HIPCUB_304000_NS21CountingInputIteratorIllEEPS6_NSA_22TransformInputIteratorIbN2at6native12_GLOBAL__N_19NonZeroOpIlEEPKllEENS0_5tupleIJPlS6_EEENSN_IJSD_SD_EEES6_PiJS6_EEE10hipError_tPvRmT3_T4_T5_T6_T7_T9_mT8_P12ihipStream_tbDpT10_ENKUlT_T0_E_clISt17integral_constantIbLb0EES1A_IbLb1EEEEDaS16_S17_EUlS16_E_NS1_11comp_targetILNS1_3genE2ELNS1_11target_archE906ELNS1_3gpuE6ELNS1_3repE0EEENS1_30default_config_static_selectorELNS0_4arch9wavefront6targetE0EEEvT1_
	.p2align	8
	.type	_ZN7rocprim17ROCPRIM_400000_NS6detail17trampoline_kernelINS0_14default_configENS1_25partition_config_selectorILNS1_17partition_subalgoE5ElNS0_10empty_typeEbEEZZNS1_14partition_implILS5_5ELb0ES3_mN6hipcub16HIPCUB_304000_NS21CountingInputIteratorIllEEPS6_NSA_22TransformInputIteratorIbN2at6native12_GLOBAL__N_19NonZeroOpIlEEPKllEENS0_5tupleIJPlS6_EEENSN_IJSD_SD_EEES6_PiJS6_EEE10hipError_tPvRmT3_T4_T5_T6_T7_T9_mT8_P12ihipStream_tbDpT10_ENKUlT_T0_E_clISt17integral_constantIbLb0EES1A_IbLb1EEEEDaS16_S17_EUlS16_E_NS1_11comp_targetILNS1_3genE2ELNS1_11target_archE906ELNS1_3gpuE6ELNS1_3repE0EEENS1_30default_config_static_selectorELNS0_4arch9wavefront6targetE0EEEvT1_,@function
_ZN7rocprim17ROCPRIM_400000_NS6detail17trampoline_kernelINS0_14default_configENS1_25partition_config_selectorILNS1_17partition_subalgoE5ElNS0_10empty_typeEbEEZZNS1_14partition_implILS5_5ELb0ES3_mN6hipcub16HIPCUB_304000_NS21CountingInputIteratorIllEEPS6_NSA_22TransformInputIteratorIbN2at6native12_GLOBAL__N_19NonZeroOpIlEEPKllEENS0_5tupleIJPlS6_EEENSN_IJSD_SD_EEES6_PiJS6_EEE10hipError_tPvRmT3_T4_T5_T6_T7_T9_mT8_P12ihipStream_tbDpT10_ENKUlT_T0_E_clISt17integral_constantIbLb0EES1A_IbLb1EEEEDaS16_S17_EUlS16_E_NS1_11comp_targetILNS1_3genE2ELNS1_11target_archE906ELNS1_3gpuE6ELNS1_3repE0EEENS1_30default_config_static_selectorELNS0_4arch9wavefront6targetE0EEEvT1_: ; @_ZN7rocprim17ROCPRIM_400000_NS6detail17trampoline_kernelINS0_14default_configENS1_25partition_config_selectorILNS1_17partition_subalgoE5ElNS0_10empty_typeEbEEZZNS1_14partition_implILS5_5ELb0ES3_mN6hipcub16HIPCUB_304000_NS21CountingInputIteratorIllEEPS6_NSA_22TransformInputIteratorIbN2at6native12_GLOBAL__N_19NonZeroOpIlEEPKllEENS0_5tupleIJPlS6_EEENSN_IJSD_SD_EEES6_PiJS6_EEE10hipError_tPvRmT3_T4_T5_T6_T7_T9_mT8_P12ihipStream_tbDpT10_ENKUlT_T0_E_clISt17integral_constantIbLb0EES1A_IbLb1EEEEDaS16_S17_EUlS16_E_NS1_11comp_targetILNS1_3genE2ELNS1_11target_archE906ELNS1_3gpuE6ELNS1_3repE0EEENS1_30default_config_static_selectorELNS0_4arch9wavefront6targetE0EEEvT1_
; %bb.0:
	.section	.rodata,"a",@progbits
	.p2align	6, 0x0
	.amdhsa_kernel _ZN7rocprim17ROCPRIM_400000_NS6detail17trampoline_kernelINS0_14default_configENS1_25partition_config_selectorILNS1_17partition_subalgoE5ElNS0_10empty_typeEbEEZZNS1_14partition_implILS5_5ELb0ES3_mN6hipcub16HIPCUB_304000_NS21CountingInputIteratorIllEEPS6_NSA_22TransformInputIteratorIbN2at6native12_GLOBAL__N_19NonZeroOpIlEEPKllEENS0_5tupleIJPlS6_EEENSN_IJSD_SD_EEES6_PiJS6_EEE10hipError_tPvRmT3_T4_T5_T6_T7_T9_mT8_P12ihipStream_tbDpT10_ENKUlT_T0_E_clISt17integral_constantIbLb0EES1A_IbLb1EEEEDaS16_S17_EUlS16_E_NS1_11comp_targetILNS1_3genE2ELNS1_11target_archE906ELNS1_3gpuE6ELNS1_3repE0EEENS1_30default_config_static_selectorELNS0_4arch9wavefront6targetE0EEEvT1_
		.amdhsa_group_segment_fixed_size 0
		.amdhsa_private_segment_fixed_size 0
		.amdhsa_kernarg_size 136
		.amdhsa_user_sgpr_count 2
		.amdhsa_user_sgpr_dispatch_ptr 0
		.amdhsa_user_sgpr_queue_ptr 0
		.amdhsa_user_sgpr_kernarg_segment_ptr 1
		.amdhsa_user_sgpr_dispatch_id 0
		.amdhsa_user_sgpr_private_segment_size 0
		.amdhsa_wavefront_size32 1
		.amdhsa_uses_dynamic_stack 0
		.amdhsa_enable_private_segment 0
		.amdhsa_system_sgpr_workgroup_id_x 1
		.amdhsa_system_sgpr_workgroup_id_y 0
		.amdhsa_system_sgpr_workgroup_id_z 0
		.amdhsa_system_sgpr_workgroup_info 0
		.amdhsa_system_vgpr_workitem_id 0
		.amdhsa_next_free_vgpr 1
		.amdhsa_next_free_sgpr 1
		.amdhsa_reserve_vcc 0
		.amdhsa_float_round_mode_32 0
		.amdhsa_float_round_mode_16_64 0
		.amdhsa_float_denorm_mode_32 3
		.amdhsa_float_denorm_mode_16_64 3
		.amdhsa_fp16_overflow 0
		.amdhsa_workgroup_processor_mode 1
		.amdhsa_memory_ordered 1
		.amdhsa_forward_progress 1
		.amdhsa_inst_pref_size 0
		.amdhsa_round_robin_scheduling 0
		.amdhsa_exception_fp_ieee_invalid_op 0
		.amdhsa_exception_fp_denorm_src 0
		.amdhsa_exception_fp_ieee_div_zero 0
		.amdhsa_exception_fp_ieee_overflow 0
		.amdhsa_exception_fp_ieee_underflow 0
		.amdhsa_exception_fp_ieee_inexact 0
		.amdhsa_exception_int_div_zero 0
	.end_amdhsa_kernel
	.section	.text._ZN7rocprim17ROCPRIM_400000_NS6detail17trampoline_kernelINS0_14default_configENS1_25partition_config_selectorILNS1_17partition_subalgoE5ElNS0_10empty_typeEbEEZZNS1_14partition_implILS5_5ELb0ES3_mN6hipcub16HIPCUB_304000_NS21CountingInputIteratorIllEEPS6_NSA_22TransformInputIteratorIbN2at6native12_GLOBAL__N_19NonZeroOpIlEEPKllEENS0_5tupleIJPlS6_EEENSN_IJSD_SD_EEES6_PiJS6_EEE10hipError_tPvRmT3_T4_T5_T6_T7_T9_mT8_P12ihipStream_tbDpT10_ENKUlT_T0_E_clISt17integral_constantIbLb0EES1A_IbLb1EEEEDaS16_S17_EUlS16_E_NS1_11comp_targetILNS1_3genE2ELNS1_11target_archE906ELNS1_3gpuE6ELNS1_3repE0EEENS1_30default_config_static_selectorELNS0_4arch9wavefront6targetE0EEEvT1_,"axG",@progbits,_ZN7rocprim17ROCPRIM_400000_NS6detail17trampoline_kernelINS0_14default_configENS1_25partition_config_selectorILNS1_17partition_subalgoE5ElNS0_10empty_typeEbEEZZNS1_14partition_implILS5_5ELb0ES3_mN6hipcub16HIPCUB_304000_NS21CountingInputIteratorIllEEPS6_NSA_22TransformInputIteratorIbN2at6native12_GLOBAL__N_19NonZeroOpIlEEPKllEENS0_5tupleIJPlS6_EEENSN_IJSD_SD_EEES6_PiJS6_EEE10hipError_tPvRmT3_T4_T5_T6_T7_T9_mT8_P12ihipStream_tbDpT10_ENKUlT_T0_E_clISt17integral_constantIbLb0EES1A_IbLb1EEEEDaS16_S17_EUlS16_E_NS1_11comp_targetILNS1_3genE2ELNS1_11target_archE906ELNS1_3gpuE6ELNS1_3repE0EEENS1_30default_config_static_selectorELNS0_4arch9wavefront6targetE0EEEvT1_,comdat
.Lfunc_end282:
	.size	_ZN7rocprim17ROCPRIM_400000_NS6detail17trampoline_kernelINS0_14default_configENS1_25partition_config_selectorILNS1_17partition_subalgoE5ElNS0_10empty_typeEbEEZZNS1_14partition_implILS5_5ELb0ES3_mN6hipcub16HIPCUB_304000_NS21CountingInputIteratorIllEEPS6_NSA_22TransformInputIteratorIbN2at6native12_GLOBAL__N_19NonZeroOpIlEEPKllEENS0_5tupleIJPlS6_EEENSN_IJSD_SD_EEES6_PiJS6_EEE10hipError_tPvRmT3_T4_T5_T6_T7_T9_mT8_P12ihipStream_tbDpT10_ENKUlT_T0_E_clISt17integral_constantIbLb0EES1A_IbLb1EEEEDaS16_S17_EUlS16_E_NS1_11comp_targetILNS1_3genE2ELNS1_11target_archE906ELNS1_3gpuE6ELNS1_3repE0EEENS1_30default_config_static_selectorELNS0_4arch9wavefront6targetE0EEEvT1_, .Lfunc_end282-_ZN7rocprim17ROCPRIM_400000_NS6detail17trampoline_kernelINS0_14default_configENS1_25partition_config_selectorILNS1_17partition_subalgoE5ElNS0_10empty_typeEbEEZZNS1_14partition_implILS5_5ELb0ES3_mN6hipcub16HIPCUB_304000_NS21CountingInputIteratorIllEEPS6_NSA_22TransformInputIteratorIbN2at6native12_GLOBAL__N_19NonZeroOpIlEEPKllEENS0_5tupleIJPlS6_EEENSN_IJSD_SD_EEES6_PiJS6_EEE10hipError_tPvRmT3_T4_T5_T6_T7_T9_mT8_P12ihipStream_tbDpT10_ENKUlT_T0_E_clISt17integral_constantIbLb0EES1A_IbLb1EEEEDaS16_S17_EUlS16_E_NS1_11comp_targetILNS1_3genE2ELNS1_11target_archE906ELNS1_3gpuE6ELNS1_3repE0EEENS1_30default_config_static_selectorELNS0_4arch9wavefront6targetE0EEEvT1_
                                        ; -- End function
	.set _ZN7rocprim17ROCPRIM_400000_NS6detail17trampoline_kernelINS0_14default_configENS1_25partition_config_selectorILNS1_17partition_subalgoE5ElNS0_10empty_typeEbEEZZNS1_14partition_implILS5_5ELb0ES3_mN6hipcub16HIPCUB_304000_NS21CountingInputIteratorIllEEPS6_NSA_22TransformInputIteratorIbN2at6native12_GLOBAL__N_19NonZeroOpIlEEPKllEENS0_5tupleIJPlS6_EEENSN_IJSD_SD_EEES6_PiJS6_EEE10hipError_tPvRmT3_T4_T5_T6_T7_T9_mT8_P12ihipStream_tbDpT10_ENKUlT_T0_E_clISt17integral_constantIbLb0EES1A_IbLb1EEEEDaS16_S17_EUlS16_E_NS1_11comp_targetILNS1_3genE2ELNS1_11target_archE906ELNS1_3gpuE6ELNS1_3repE0EEENS1_30default_config_static_selectorELNS0_4arch9wavefront6targetE0EEEvT1_.num_vgpr, 0
	.set _ZN7rocprim17ROCPRIM_400000_NS6detail17trampoline_kernelINS0_14default_configENS1_25partition_config_selectorILNS1_17partition_subalgoE5ElNS0_10empty_typeEbEEZZNS1_14partition_implILS5_5ELb0ES3_mN6hipcub16HIPCUB_304000_NS21CountingInputIteratorIllEEPS6_NSA_22TransformInputIteratorIbN2at6native12_GLOBAL__N_19NonZeroOpIlEEPKllEENS0_5tupleIJPlS6_EEENSN_IJSD_SD_EEES6_PiJS6_EEE10hipError_tPvRmT3_T4_T5_T6_T7_T9_mT8_P12ihipStream_tbDpT10_ENKUlT_T0_E_clISt17integral_constantIbLb0EES1A_IbLb1EEEEDaS16_S17_EUlS16_E_NS1_11comp_targetILNS1_3genE2ELNS1_11target_archE906ELNS1_3gpuE6ELNS1_3repE0EEENS1_30default_config_static_selectorELNS0_4arch9wavefront6targetE0EEEvT1_.num_agpr, 0
	.set _ZN7rocprim17ROCPRIM_400000_NS6detail17trampoline_kernelINS0_14default_configENS1_25partition_config_selectorILNS1_17partition_subalgoE5ElNS0_10empty_typeEbEEZZNS1_14partition_implILS5_5ELb0ES3_mN6hipcub16HIPCUB_304000_NS21CountingInputIteratorIllEEPS6_NSA_22TransformInputIteratorIbN2at6native12_GLOBAL__N_19NonZeroOpIlEEPKllEENS0_5tupleIJPlS6_EEENSN_IJSD_SD_EEES6_PiJS6_EEE10hipError_tPvRmT3_T4_T5_T6_T7_T9_mT8_P12ihipStream_tbDpT10_ENKUlT_T0_E_clISt17integral_constantIbLb0EES1A_IbLb1EEEEDaS16_S17_EUlS16_E_NS1_11comp_targetILNS1_3genE2ELNS1_11target_archE906ELNS1_3gpuE6ELNS1_3repE0EEENS1_30default_config_static_selectorELNS0_4arch9wavefront6targetE0EEEvT1_.numbered_sgpr, 0
	.set _ZN7rocprim17ROCPRIM_400000_NS6detail17trampoline_kernelINS0_14default_configENS1_25partition_config_selectorILNS1_17partition_subalgoE5ElNS0_10empty_typeEbEEZZNS1_14partition_implILS5_5ELb0ES3_mN6hipcub16HIPCUB_304000_NS21CountingInputIteratorIllEEPS6_NSA_22TransformInputIteratorIbN2at6native12_GLOBAL__N_19NonZeroOpIlEEPKllEENS0_5tupleIJPlS6_EEENSN_IJSD_SD_EEES6_PiJS6_EEE10hipError_tPvRmT3_T4_T5_T6_T7_T9_mT8_P12ihipStream_tbDpT10_ENKUlT_T0_E_clISt17integral_constantIbLb0EES1A_IbLb1EEEEDaS16_S17_EUlS16_E_NS1_11comp_targetILNS1_3genE2ELNS1_11target_archE906ELNS1_3gpuE6ELNS1_3repE0EEENS1_30default_config_static_selectorELNS0_4arch9wavefront6targetE0EEEvT1_.num_named_barrier, 0
	.set _ZN7rocprim17ROCPRIM_400000_NS6detail17trampoline_kernelINS0_14default_configENS1_25partition_config_selectorILNS1_17partition_subalgoE5ElNS0_10empty_typeEbEEZZNS1_14partition_implILS5_5ELb0ES3_mN6hipcub16HIPCUB_304000_NS21CountingInputIteratorIllEEPS6_NSA_22TransformInputIteratorIbN2at6native12_GLOBAL__N_19NonZeroOpIlEEPKllEENS0_5tupleIJPlS6_EEENSN_IJSD_SD_EEES6_PiJS6_EEE10hipError_tPvRmT3_T4_T5_T6_T7_T9_mT8_P12ihipStream_tbDpT10_ENKUlT_T0_E_clISt17integral_constantIbLb0EES1A_IbLb1EEEEDaS16_S17_EUlS16_E_NS1_11comp_targetILNS1_3genE2ELNS1_11target_archE906ELNS1_3gpuE6ELNS1_3repE0EEENS1_30default_config_static_selectorELNS0_4arch9wavefront6targetE0EEEvT1_.private_seg_size, 0
	.set _ZN7rocprim17ROCPRIM_400000_NS6detail17trampoline_kernelINS0_14default_configENS1_25partition_config_selectorILNS1_17partition_subalgoE5ElNS0_10empty_typeEbEEZZNS1_14partition_implILS5_5ELb0ES3_mN6hipcub16HIPCUB_304000_NS21CountingInputIteratorIllEEPS6_NSA_22TransformInputIteratorIbN2at6native12_GLOBAL__N_19NonZeroOpIlEEPKllEENS0_5tupleIJPlS6_EEENSN_IJSD_SD_EEES6_PiJS6_EEE10hipError_tPvRmT3_T4_T5_T6_T7_T9_mT8_P12ihipStream_tbDpT10_ENKUlT_T0_E_clISt17integral_constantIbLb0EES1A_IbLb1EEEEDaS16_S17_EUlS16_E_NS1_11comp_targetILNS1_3genE2ELNS1_11target_archE906ELNS1_3gpuE6ELNS1_3repE0EEENS1_30default_config_static_selectorELNS0_4arch9wavefront6targetE0EEEvT1_.uses_vcc, 0
	.set _ZN7rocprim17ROCPRIM_400000_NS6detail17trampoline_kernelINS0_14default_configENS1_25partition_config_selectorILNS1_17partition_subalgoE5ElNS0_10empty_typeEbEEZZNS1_14partition_implILS5_5ELb0ES3_mN6hipcub16HIPCUB_304000_NS21CountingInputIteratorIllEEPS6_NSA_22TransformInputIteratorIbN2at6native12_GLOBAL__N_19NonZeroOpIlEEPKllEENS0_5tupleIJPlS6_EEENSN_IJSD_SD_EEES6_PiJS6_EEE10hipError_tPvRmT3_T4_T5_T6_T7_T9_mT8_P12ihipStream_tbDpT10_ENKUlT_T0_E_clISt17integral_constantIbLb0EES1A_IbLb1EEEEDaS16_S17_EUlS16_E_NS1_11comp_targetILNS1_3genE2ELNS1_11target_archE906ELNS1_3gpuE6ELNS1_3repE0EEENS1_30default_config_static_selectorELNS0_4arch9wavefront6targetE0EEEvT1_.uses_flat_scratch, 0
	.set _ZN7rocprim17ROCPRIM_400000_NS6detail17trampoline_kernelINS0_14default_configENS1_25partition_config_selectorILNS1_17partition_subalgoE5ElNS0_10empty_typeEbEEZZNS1_14partition_implILS5_5ELb0ES3_mN6hipcub16HIPCUB_304000_NS21CountingInputIteratorIllEEPS6_NSA_22TransformInputIteratorIbN2at6native12_GLOBAL__N_19NonZeroOpIlEEPKllEENS0_5tupleIJPlS6_EEENSN_IJSD_SD_EEES6_PiJS6_EEE10hipError_tPvRmT3_T4_T5_T6_T7_T9_mT8_P12ihipStream_tbDpT10_ENKUlT_T0_E_clISt17integral_constantIbLb0EES1A_IbLb1EEEEDaS16_S17_EUlS16_E_NS1_11comp_targetILNS1_3genE2ELNS1_11target_archE906ELNS1_3gpuE6ELNS1_3repE0EEENS1_30default_config_static_selectorELNS0_4arch9wavefront6targetE0EEEvT1_.has_dyn_sized_stack, 0
	.set _ZN7rocprim17ROCPRIM_400000_NS6detail17trampoline_kernelINS0_14default_configENS1_25partition_config_selectorILNS1_17partition_subalgoE5ElNS0_10empty_typeEbEEZZNS1_14partition_implILS5_5ELb0ES3_mN6hipcub16HIPCUB_304000_NS21CountingInputIteratorIllEEPS6_NSA_22TransformInputIteratorIbN2at6native12_GLOBAL__N_19NonZeroOpIlEEPKllEENS0_5tupleIJPlS6_EEENSN_IJSD_SD_EEES6_PiJS6_EEE10hipError_tPvRmT3_T4_T5_T6_T7_T9_mT8_P12ihipStream_tbDpT10_ENKUlT_T0_E_clISt17integral_constantIbLb0EES1A_IbLb1EEEEDaS16_S17_EUlS16_E_NS1_11comp_targetILNS1_3genE2ELNS1_11target_archE906ELNS1_3gpuE6ELNS1_3repE0EEENS1_30default_config_static_selectorELNS0_4arch9wavefront6targetE0EEEvT1_.has_recursion, 0
	.set _ZN7rocprim17ROCPRIM_400000_NS6detail17trampoline_kernelINS0_14default_configENS1_25partition_config_selectorILNS1_17partition_subalgoE5ElNS0_10empty_typeEbEEZZNS1_14partition_implILS5_5ELb0ES3_mN6hipcub16HIPCUB_304000_NS21CountingInputIteratorIllEEPS6_NSA_22TransformInputIteratorIbN2at6native12_GLOBAL__N_19NonZeroOpIlEEPKllEENS0_5tupleIJPlS6_EEENSN_IJSD_SD_EEES6_PiJS6_EEE10hipError_tPvRmT3_T4_T5_T6_T7_T9_mT8_P12ihipStream_tbDpT10_ENKUlT_T0_E_clISt17integral_constantIbLb0EES1A_IbLb1EEEEDaS16_S17_EUlS16_E_NS1_11comp_targetILNS1_3genE2ELNS1_11target_archE906ELNS1_3gpuE6ELNS1_3repE0EEENS1_30default_config_static_selectorELNS0_4arch9wavefront6targetE0EEEvT1_.has_indirect_call, 0
	.section	.AMDGPU.csdata,"",@progbits
; Kernel info:
; codeLenInByte = 0
; TotalNumSgprs: 0
; NumVgprs: 0
; ScratchSize: 0
; MemoryBound: 0
; FloatMode: 240
; IeeeMode: 1
; LDSByteSize: 0 bytes/workgroup (compile time only)
; SGPRBlocks: 0
; VGPRBlocks: 0
; NumSGPRsForWavesPerEU: 1
; NumVGPRsForWavesPerEU: 1
; Occupancy: 16
; WaveLimiterHint : 0
; COMPUTE_PGM_RSRC2:SCRATCH_EN: 0
; COMPUTE_PGM_RSRC2:USER_SGPR: 2
; COMPUTE_PGM_RSRC2:TRAP_HANDLER: 0
; COMPUTE_PGM_RSRC2:TGID_X_EN: 1
; COMPUTE_PGM_RSRC2:TGID_Y_EN: 0
; COMPUTE_PGM_RSRC2:TGID_Z_EN: 0
; COMPUTE_PGM_RSRC2:TIDIG_COMP_CNT: 0
	.section	.text._ZN7rocprim17ROCPRIM_400000_NS6detail17trampoline_kernelINS0_14default_configENS1_25partition_config_selectorILNS1_17partition_subalgoE5ElNS0_10empty_typeEbEEZZNS1_14partition_implILS5_5ELb0ES3_mN6hipcub16HIPCUB_304000_NS21CountingInputIteratorIllEEPS6_NSA_22TransformInputIteratorIbN2at6native12_GLOBAL__N_19NonZeroOpIlEEPKllEENS0_5tupleIJPlS6_EEENSN_IJSD_SD_EEES6_PiJS6_EEE10hipError_tPvRmT3_T4_T5_T6_T7_T9_mT8_P12ihipStream_tbDpT10_ENKUlT_T0_E_clISt17integral_constantIbLb0EES1A_IbLb1EEEEDaS16_S17_EUlS16_E_NS1_11comp_targetILNS1_3genE10ELNS1_11target_archE1200ELNS1_3gpuE4ELNS1_3repE0EEENS1_30default_config_static_selectorELNS0_4arch9wavefront6targetE0EEEvT1_,"axG",@progbits,_ZN7rocprim17ROCPRIM_400000_NS6detail17trampoline_kernelINS0_14default_configENS1_25partition_config_selectorILNS1_17partition_subalgoE5ElNS0_10empty_typeEbEEZZNS1_14partition_implILS5_5ELb0ES3_mN6hipcub16HIPCUB_304000_NS21CountingInputIteratorIllEEPS6_NSA_22TransformInputIteratorIbN2at6native12_GLOBAL__N_19NonZeroOpIlEEPKllEENS0_5tupleIJPlS6_EEENSN_IJSD_SD_EEES6_PiJS6_EEE10hipError_tPvRmT3_T4_T5_T6_T7_T9_mT8_P12ihipStream_tbDpT10_ENKUlT_T0_E_clISt17integral_constantIbLb0EES1A_IbLb1EEEEDaS16_S17_EUlS16_E_NS1_11comp_targetILNS1_3genE10ELNS1_11target_archE1200ELNS1_3gpuE4ELNS1_3repE0EEENS1_30default_config_static_selectorELNS0_4arch9wavefront6targetE0EEEvT1_,comdat
	.globl	_ZN7rocprim17ROCPRIM_400000_NS6detail17trampoline_kernelINS0_14default_configENS1_25partition_config_selectorILNS1_17partition_subalgoE5ElNS0_10empty_typeEbEEZZNS1_14partition_implILS5_5ELb0ES3_mN6hipcub16HIPCUB_304000_NS21CountingInputIteratorIllEEPS6_NSA_22TransformInputIteratorIbN2at6native12_GLOBAL__N_19NonZeroOpIlEEPKllEENS0_5tupleIJPlS6_EEENSN_IJSD_SD_EEES6_PiJS6_EEE10hipError_tPvRmT3_T4_T5_T6_T7_T9_mT8_P12ihipStream_tbDpT10_ENKUlT_T0_E_clISt17integral_constantIbLb0EES1A_IbLb1EEEEDaS16_S17_EUlS16_E_NS1_11comp_targetILNS1_3genE10ELNS1_11target_archE1200ELNS1_3gpuE4ELNS1_3repE0EEENS1_30default_config_static_selectorELNS0_4arch9wavefront6targetE0EEEvT1_ ; -- Begin function _ZN7rocprim17ROCPRIM_400000_NS6detail17trampoline_kernelINS0_14default_configENS1_25partition_config_selectorILNS1_17partition_subalgoE5ElNS0_10empty_typeEbEEZZNS1_14partition_implILS5_5ELb0ES3_mN6hipcub16HIPCUB_304000_NS21CountingInputIteratorIllEEPS6_NSA_22TransformInputIteratorIbN2at6native12_GLOBAL__N_19NonZeroOpIlEEPKllEENS0_5tupleIJPlS6_EEENSN_IJSD_SD_EEES6_PiJS6_EEE10hipError_tPvRmT3_T4_T5_T6_T7_T9_mT8_P12ihipStream_tbDpT10_ENKUlT_T0_E_clISt17integral_constantIbLb0EES1A_IbLb1EEEEDaS16_S17_EUlS16_E_NS1_11comp_targetILNS1_3genE10ELNS1_11target_archE1200ELNS1_3gpuE4ELNS1_3repE0EEENS1_30default_config_static_selectorELNS0_4arch9wavefront6targetE0EEEvT1_
	.p2align	8
	.type	_ZN7rocprim17ROCPRIM_400000_NS6detail17trampoline_kernelINS0_14default_configENS1_25partition_config_selectorILNS1_17partition_subalgoE5ElNS0_10empty_typeEbEEZZNS1_14partition_implILS5_5ELb0ES3_mN6hipcub16HIPCUB_304000_NS21CountingInputIteratorIllEEPS6_NSA_22TransformInputIteratorIbN2at6native12_GLOBAL__N_19NonZeroOpIlEEPKllEENS0_5tupleIJPlS6_EEENSN_IJSD_SD_EEES6_PiJS6_EEE10hipError_tPvRmT3_T4_T5_T6_T7_T9_mT8_P12ihipStream_tbDpT10_ENKUlT_T0_E_clISt17integral_constantIbLb0EES1A_IbLb1EEEEDaS16_S17_EUlS16_E_NS1_11comp_targetILNS1_3genE10ELNS1_11target_archE1200ELNS1_3gpuE4ELNS1_3repE0EEENS1_30default_config_static_selectorELNS0_4arch9wavefront6targetE0EEEvT1_,@function
_ZN7rocprim17ROCPRIM_400000_NS6detail17trampoline_kernelINS0_14default_configENS1_25partition_config_selectorILNS1_17partition_subalgoE5ElNS0_10empty_typeEbEEZZNS1_14partition_implILS5_5ELb0ES3_mN6hipcub16HIPCUB_304000_NS21CountingInputIteratorIllEEPS6_NSA_22TransformInputIteratorIbN2at6native12_GLOBAL__N_19NonZeroOpIlEEPKllEENS0_5tupleIJPlS6_EEENSN_IJSD_SD_EEES6_PiJS6_EEE10hipError_tPvRmT3_T4_T5_T6_T7_T9_mT8_P12ihipStream_tbDpT10_ENKUlT_T0_E_clISt17integral_constantIbLb0EES1A_IbLb1EEEEDaS16_S17_EUlS16_E_NS1_11comp_targetILNS1_3genE10ELNS1_11target_archE1200ELNS1_3gpuE4ELNS1_3repE0EEENS1_30default_config_static_selectorELNS0_4arch9wavefront6targetE0EEEvT1_: ; @_ZN7rocprim17ROCPRIM_400000_NS6detail17trampoline_kernelINS0_14default_configENS1_25partition_config_selectorILNS1_17partition_subalgoE5ElNS0_10empty_typeEbEEZZNS1_14partition_implILS5_5ELb0ES3_mN6hipcub16HIPCUB_304000_NS21CountingInputIteratorIllEEPS6_NSA_22TransformInputIteratorIbN2at6native12_GLOBAL__N_19NonZeroOpIlEEPKllEENS0_5tupleIJPlS6_EEENSN_IJSD_SD_EEES6_PiJS6_EEE10hipError_tPvRmT3_T4_T5_T6_T7_T9_mT8_P12ihipStream_tbDpT10_ENKUlT_T0_E_clISt17integral_constantIbLb0EES1A_IbLb1EEEEDaS16_S17_EUlS16_E_NS1_11comp_targetILNS1_3genE10ELNS1_11target_archE1200ELNS1_3gpuE4ELNS1_3repE0EEENS1_30default_config_static_selectorELNS0_4arch9wavefront6targetE0EEEvT1_
; %bb.0:
	s_clause 0x3
	s_load_b64 s[12:13], s[0:1], 0x30
	s_load_b128 s[4:7], s[0:1], 0x48
	s_load_b64 s[18:19], s[0:1], 0x58
	s_load_b64 s[14:15], s[0:1], 0x68
	v_cmp_eq_u32_e64 s2, 0, v0
	s_and_saveexec_b32 s3, s2
	s_cbranch_execz .LBB283_4
; %bb.1:
	s_mov_b32 s9, exec_lo
	s_mov_b32 s8, exec_lo
	v_mbcnt_lo_u32_b32 v1, s9, 0
                                        ; implicit-def: $vgpr2
	s_delay_alu instid0(VALU_DEP_1)
	v_cmpx_eq_u32_e32 0, v1
	s_cbranch_execz .LBB283_3
; %bb.2:
	s_load_b64 s[10:11], s[0:1], 0x78
	s_bcnt1_i32_b32 s9, s9
	s_wait_alu 0xfffe
	v_dual_mov_b32 v2, 0 :: v_dual_mov_b32 v3, s9
	s_wait_kmcnt 0x0
	global_atomic_add_u32 v2, v2, v3, s[10:11] th:TH_ATOMIC_RETURN scope:SCOPE_DEV
.LBB283_3:
	s_or_b32 exec_lo, exec_lo, s8
	s_wait_loadcnt 0x0
	v_readfirstlane_b32 s8, v2
	s_wait_alu 0xf1ff
	s_delay_alu instid0(VALU_DEP_1)
	v_dual_mov_b32 v2, 0 :: v_dual_add_nc_u32 v1, s8, v1
	ds_store_b32 v2, v1
.LBB283_4:
	s_or_b32 exec_lo, exec_lo, s3
	v_mov_b32_e32 v1, 0
	s_clause 0x2
	s_load_b128 s[8:11], s[0:1], 0x8
	s_load_b64 s[16:17], s[0:1], 0x20
	s_load_b32 s0, s[0:1], 0x70
	s_wait_dscnt 0x0
	s_barrier_signal -1
	s_barrier_wait -1
	global_inv scope:SCOPE_SE
	ds_load_b32 v2, v1
	s_wait_loadcnt_dscnt 0x0
	s_barrier_signal -1
	s_barrier_wait -1
	global_inv scope:SCOPE_SE
	s_wait_kmcnt 0x0
	global_load_b64 v[17:18], v1, s[6:7]
	s_mov_b32 s7, 0
	v_lshrrev_b32_e32 v1, 2, v0
	v_or_b32_e32 v10, 0x200, v0
	v_or_b32_e32 v9, 0x300, v0
	s_add_nc_u64 s[8:9], s[10:11], s[8:9]
	s_lshl_b32 s6, s0, 10
	s_add_co_i32 s20, s0, -1
	s_add_nc_u64 s[0:1], s[10:11], s[6:7]
	s_lshl_b32 s6, s20, 10
	v_cmp_le_u64_e64 s1, s[18:19], s[0:1]
	v_readfirstlane_b32 s21, v2
	s_add_co_i32 s0, s10, s6
	s_lshl_b32 s3, s21, 10
	s_cmp_eq_u32 s21, s20
	s_mov_b32 s6, s3
	s_cselect_b32 s19, -1, 0
	s_wait_alu 0xfffe
	s_and_b32 s1, s1, s19
	s_wait_alu 0xfffe
	s_xor_b32 s20, s1, -1
	s_mov_b32 s1, -1
	s_and_b32 vcc_lo, exec_lo, s20
	s_cbranch_vccz .LBB283_6
; %bb.5:
	v_or_b32_e32 v8, 0x100, v0
	s_add_nc_u64 s[22:23], s[6:7], s[8:9]
	v_lshrrev_b32_e32 v11, 2, v10
	v_add_co_u32 v2, s1, s22, v0
	s_delay_alu instid0(VALU_DEP_3)
	v_lshrrev_b32_e32 v8, 2, v8
	v_lshrrev_b32_e32 v12, 2, v9
	s_wait_alu 0xf1fe
	v_add_co_ci_u32_e64 v3, null, s23, 0, s1
	v_and_b32_e32 v13, 56, v1
	v_lshlrev_b32_e32 v14, 3, v0
	v_and_b32_e32 v8, 0x78, v8
	v_add_co_u32 v4, vcc_lo, 0x100, v2
	v_and_b32_e32 v15, 0xb8, v11
	v_and_b32_e32 v16, 0xf8, v12
	v_add_co_ci_u32_e64 v5, null, 0, v3, vcc_lo
	v_add_co_u32 v6, vcc_lo, 0x200, v2
	v_add_nc_u32_e32 v13, v13, v14
	s_wait_alu 0xfffd
	v_add_co_ci_u32_e64 v7, null, 0, v3, vcc_lo
	v_add_co_u32 v11, vcc_lo, 0x300, v2
	v_add_nc_u32_e32 v8, v8, v14
	v_add_nc_u32_e32 v15, v15, v14
	s_wait_alu 0xfffd
	v_add_co_ci_u32_e64 v12, null, 0, v3, vcc_lo
	v_add_nc_u32_e32 v14, v16, v14
	ds_store_b64 v13, v[2:3]
	ds_store_b64 v8, v[4:5] offset:2048
	ds_store_b64 v15, v[6:7] offset:4096
	;; [unrolled: 1-line block ×3, first 2 shown]
	s_wait_loadcnt_dscnt 0x0
	s_barrier_signal -1
	s_mov_b32 s1, s7
	s_barrier_wait -1
.LBB283_6:
	s_sub_co_i32 s3, s18, s0
	s_wait_alu 0xfffe
	s_and_not1_b32 vcc_lo, exec_lo, s1
	v_cmp_gt_u32_e64 s0, s3, v0
	s_wait_alu 0xfffe
	s_cbranch_vccnz .LBB283_8
; %bb.7:
	v_or_b32_e32 v8, 0x100, v0
	s_add_nc_u64 s[8:9], s[8:9], s[6:7]
	v_lshrrev_b32_e32 v13, 2, v10
	s_wait_alu 0xfffe
	v_add_co_u32 v2, s1, s8, v0
	s_wait_alu 0xf1ff
	v_add_co_ci_u32_e64 v3, null, s9, 0, s1
	v_add_co_u32 v4, s1, s8, v8
	s_wait_alu 0xf1ff
	v_add_co_ci_u32_e64 v5, null, s9, 0, s1
	v_cmp_gt_u32_e32 vcc_lo, s3, v8
	v_add_co_u32 v11, s1, s8, v9
	s_wait_alu 0xf1ff
	v_add_co_ci_u32_e64 v12, null, s9, 0, s1
	s_wait_alu 0xfffd
	v_dual_cndmask_b32 v5, 0, v5 :: v_dual_cndmask_b32 v4, 0, v4
	v_cmp_gt_u32_e32 vcc_lo, s3, v9
	v_lshrrev_b32_e32 v8, 2, v8
	v_lshrrev_b32_e32 v14, 2, v9
	v_cndmask_b32_e64 v3, 0, v3, s0
	v_cndmask_b32_e64 v2, 0, v2, s0
	v_add_co_u32 v6, s0, s8, v10
	s_wait_alu 0xfffd
	v_dual_cndmask_b32 v12, 0, v12 :: v_dual_and_b32 v1, 56, v1
	v_lshlrev_b32_e32 v15, 3, v0
	v_dual_cndmask_b32 v11, 0, v11 :: v_dual_and_b32 v8, 0x78, v8
	s_wait_alu 0xf1ff
	v_add_co_ci_u32_e64 v7, null, s9, 0, s0
	v_cmp_gt_u32_e64 s0, s3, v10
	v_and_b32_e32 v13, 0xb8, v13
	v_and_b32_e32 v14, 0xf8, v14
	v_add_nc_u32_e32 v1, v1, v15
	v_add_nc_u32_e32 v8, v8, v15
	s_wait_alu 0xf1ff
	v_cndmask_b32_e64 v7, 0, v7, s0
	v_cndmask_b32_e64 v6, 0, v6, s0
	v_add_nc_u32_e32 v13, v13, v15
	v_add_nc_u32_e32 v14, v14, v15
	ds_store_b64 v1, v[2:3]
	ds_store_b64 v8, v[4:5] offset:2048
	ds_store_b64 v13, v[6:7] offset:4096
	;; [unrolled: 1-line block ×3, first 2 shown]
	s_wait_loadcnt_dscnt 0x0
	s_barrier_signal -1
	s_barrier_wait -1
.LBB283_8:
	v_and_b32_e32 v1, 0xf8, v0
	s_wait_loadcnt 0x0
	global_inv scope:SCOPE_SE
	s_lshl_b64 s[0:1], s[10:11], 3
	v_lshrrev_b32_e32 v28, 5, v0
	s_wait_alu 0xfffe
	s_add_nc_u64 s[0:1], s[16:17], s[0:1]
	v_lshl_add_u32 v1, v0, 5, v1
	s_lshl_b64 s[6:7], s[6:7], 3
	s_and_b32 vcc_lo, exec_lo, s20
	s_wait_alu 0xfffe
	s_add_nc_u64 s[0:1], s[0:1], s[6:7]
	s_mov_b32 s6, -1
	ds_load_2addr_b64 v[5:8], v1 offset1:1
	ds_load_2addr_b64 v[1:4], v1 offset0:2 offset1:3
	s_wait_loadcnt_dscnt 0x0
	s_barrier_signal -1
	s_barrier_wait -1
	global_inv scope:SCOPE_SE
	s_cbranch_vccz .LBB283_10
; %bb.9:
	v_lshlrev_b32_e32 v19, 3, v0
	v_or_b32_e32 v21, 0x100, v0
	v_lshrrev_b32_e32 v22, 5, v10
	v_lshrrev_b32_e32 v23, 5, v9
	v_and_b32_e32 v24, 4, v28
	s_clause 0x3
	global_load_b64 v[11:12], v19, s[0:1]
	global_load_b64 v[13:14], v19, s[0:1] offset:2048
	global_load_b64 v[15:16], v19, s[0:1] offset:4096
	;; [unrolled: 1-line block ×3, first 2 shown]
	v_lshrrev_b32_e32 v21, 5, v21
	v_and_b32_e32 v22, 20, v22
	v_and_b32_e32 v23, 28, v23
	v_add_nc_u32_e32 v24, v24, v0
	s_mov_b32 s6, 0
	v_and_b32_e32 v21, 12, v21
	v_add_nc_u32_e32 v22, v22, v0
	v_add_nc_u32_e32 v23, v23, v0
	s_delay_alu instid0(VALU_DEP_3)
	v_add_nc_u32_e32 v21, v21, v0
	s_wait_loadcnt 0x3
	v_cmp_ne_u64_e32 vcc_lo, 0, v[11:12]
	s_wait_alu 0xfffd
	v_cndmask_b32_e64 v11, 0, 1, vcc_lo
	s_wait_loadcnt 0x2
	v_cmp_ne_u64_e32 vcc_lo, 0, v[13:14]
	s_wait_alu 0xfffd
	v_cndmask_b32_e64 v12, 0, 1, vcc_lo
	s_wait_loadcnt 0x1
	v_cmp_ne_u64_e32 vcc_lo, 0, v[15:16]
	s_wait_alu 0xfffd
	v_cndmask_b32_e64 v13, 0, 1, vcc_lo
	s_wait_loadcnt 0x0
	v_cmp_ne_u64_e32 vcc_lo, 0, v[19:20]
	s_wait_alu 0xfffd
	v_cndmask_b32_e64 v14, 0, 1, vcc_lo
	ds_store_b8 v24, v11
	ds_store_b8 v21, v12 offset:256
	ds_store_b8 v22, v13 offset:512
	;; [unrolled: 1-line block ×3, first 2 shown]
	s_wait_dscnt 0x0
	s_barrier_signal -1
	s_barrier_wait -1
.LBB283_10:
	v_lshlrev_b32_e32 v11, 2, v0
	v_lshrrev_b32_e32 v12, 3, v0
	s_and_not1_b32 vcc_lo, exec_lo, s6
	s_wait_alu 0xfffe
	s_cbranch_vccnz .LBB283_18
; %bb.11:
	v_dual_mov_b32 v13, 0 :: v_dual_mov_b32 v14, 0
	s_mov_b32 s6, exec_lo
	v_cmpx_gt_u32_e64 s3, v0
	s_cbranch_execz .LBB283_13
; %bb.12:
	v_lshlrev_b32_e32 v13, 3, v0
	global_load_b64 v[13:14], v13, s[0:1]
	s_wait_loadcnt 0x0
	v_cmp_ne_u64_e32 vcc_lo, 0, v[13:14]
	s_wait_alu 0xfffd
	v_cndmask_b32_e64 v13, 0, 1, vcc_lo
	v_cndmask_b32_e64 v14, 0, 1, vcc_lo
.LBB283_13:
	s_or_b32 exec_lo, exec_lo, s6
	v_or_b32_e32 v15, 0x100, v0
	s_mov_b32 s6, exec_lo
	s_delay_alu instid0(VALU_DEP_1)
	v_cmpx_gt_u32_e64 s3, v15
	s_cbranch_execnz .LBB283_132
; %bb.14:
	s_or_b32 exec_lo, exec_lo, s6
	s_delay_alu instid0(SALU_CYCLE_1)
	s_mov_b32 s6, exec_lo
	v_cmpx_gt_u32_e64 s3, v10
	s_cbranch_execnz .LBB283_133
.LBB283_15:
	s_or_b32 exec_lo, exec_lo, s6
	v_cmp_gt_u32_e32 vcc_lo, s3, v9
	s_and_saveexec_b32 s3, vcc_lo
	s_cbranch_execz .LBB283_17
.LBB283_16:
	v_lshlrev_b32_e32 v16, 3, v0
	global_load_b64 v[19:20], v16, s[0:1] offset:6144
	s_wait_loadcnt 0x0
	v_cmp_ne_u64_e32 vcc_lo, 0, v[19:20]
	v_lshrrev_b32_e32 v19, 16, v14
	s_wait_alu 0xfffd
	v_cndmask_b32_e64 v16, 0, 1, vcc_lo
	s_delay_alu instid0(VALU_DEP_1) | instskip(NEXT) | instid1(VALU_DEP_1)
	v_lshlrev_b16 v16, 8, v16
	v_or_b32_e32 v16, v19, v16
	s_delay_alu instid0(VALU_DEP_1) | instskip(NEXT) | instid1(VALU_DEP_1)
	v_lshlrev_b32_e32 v16, 16, v16
	v_and_or_b32 v14, 0xffff, v14, v16
.LBB283_17:
	s_wait_alu 0xfffe
	s_or_b32 exec_lo, exec_lo, s3
	v_lshrrev_b32_e32 v15, 5, v15
	v_lshrrev_b32_e32 v10, 5, v10
	;; [unrolled: 1-line block ×3, first 2 shown]
	v_and_b32_e32 v16, 4, v28
	v_lshrrev_b32_e32 v19, 8, v14
	v_and_b32_e32 v15, 12, v15
	v_and_b32_e32 v10, 28, v10
	;; [unrolled: 1-line block ×3, first 2 shown]
	v_add_nc_u32_e32 v16, v16, v0
	v_lshrrev_b32_e32 v20, 24, v14
	v_add_nc_u32_e32 v15, v15, v0
	v_add_nc_u32_e32 v10, v10, v0
	v_add_nc_u32_e32 v9, v9, v0
	ds_store_b8 v16, v13
	ds_store_b8 v15, v19 offset:256
	ds_store_b8_d16_hi v10, v14 offset:512
	ds_store_b8 v9, v20 offset:768
	s_wait_loadcnt_dscnt 0x0
	s_barrier_signal -1
	s_barrier_wait -1
.LBB283_18:
	s_delay_alu instid0(VALU_DEP_1)
	v_dual_mov_b32 v10, 0 :: v_dual_and_b32 v9, 28, v12
	s_wait_loadcnt 0x0
	global_inv scope:SCOPE_SE
	v_mbcnt_lo_u32_b32 v33, -1, 0
	s_cmp_lg_u32 s21, 0
	v_add_nc_u32_e32 v9, v9, v11
	s_mov_b32 s1, -1
	s_delay_alu instid0(VALU_DEP_2)
	v_and_b32_e32 v34, 15, v33
	ds_load_b32 v29, v9
	s_wait_loadcnt_dscnt 0x0
	s_barrier_signal -1
	s_barrier_wait -1
	global_inv scope:SCOPE_SE
	v_and_b32_e32 v32, 0xff, v29
	v_bfe_u32 v31, v29, 8, 8
	v_bfe_u32 v30, v29, 16, 8
	v_lshrrev_b32_e32 v27, 24, v29
	s_delay_alu instid0(VALU_DEP_2) | instskip(NEXT) | instid1(VALU_DEP_1)
	v_add3_u32 v9, v31, v32, v30
	v_add_co_u32 v19, s0, v9, v27
	s_wait_alu 0xf1ff
	v_add_co_ci_u32_e64 v20, null, 0, 0, s0
	v_cmp_ne_u32_e64 s0, 0, v34
	s_cbranch_scc0 .LBB283_75
; %bb.19:
	v_mov_b32_e32 v11, v19
	v_mov_b32_dpp v9, v19 row_shr:1 row_mask:0xf bank_mask:0xf
	v_mov_b32_dpp v14, v10 row_shr:1 row_mask:0xf bank_mask:0xf
	v_dual_mov_b32 v13, v19 :: v_dual_mov_b32 v12, v20
	s_and_saveexec_b32 s1, s0
; %bb.20:
	s_delay_alu instid0(VALU_DEP_3) | instskip(SKIP_2) | instid1(VALU_DEP_2)
	v_add_co_u32 v13, vcc_lo, v19, v9
	s_wait_alu 0xfffd
	v_add_co_ci_u32_e64 v10, null, 0, v20, vcc_lo
	v_add_co_u32 v9, vcc_lo, 0, v13
	s_wait_alu 0xfffd
	s_delay_alu instid0(VALU_DEP_2) | instskip(NEXT) | instid1(VALU_DEP_1)
	v_add_co_ci_u32_e64 v10, null, v14, v10, vcc_lo
	v_dual_mov_b32 v12, v10 :: v_dual_mov_b32 v11, v9
; %bb.21:
	s_wait_alu 0xfffe
	s_or_b32 exec_lo, exec_lo, s1
	v_mov_b32_dpp v9, v13 row_shr:2 row_mask:0xf bank_mask:0xf
	v_mov_b32_dpp v14, v10 row_shr:2 row_mask:0xf bank_mask:0xf
	s_mov_b32 s1, exec_lo
	v_cmpx_lt_u32_e32 1, v34
; %bb.22:
	s_delay_alu instid0(VALU_DEP_3) | instskip(SKIP_2) | instid1(VALU_DEP_2)
	v_add_co_u32 v13, vcc_lo, v11, v9
	s_wait_alu 0xfffd
	v_add_co_ci_u32_e64 v10, null, 0, v12, vcc_lo
	v_add_co_u32 v9, vcc_lo, 0, v13
	s_wait_alu 0xfffd
	s_delay_alu instid0(VALU_DEP_2) | instskip(NEXT) | instid1(VALU_DEP_1)
	v_add_co_ci_u32_e64 v10, null, v14, v10, vcc_lo
	v_dual_mov_b32 v12, v10 :: v_dual_mov_b32 v11, v9
; %bb.23:
	s_wait_alu 0xfffe
	s_or_b32 exec_lo, exec_lo, s1
	v_mov_b32_dpp v9, v13 row_shr:4 row_mask:0xf bank_mask:0xf
	v_mov_b32_dpp v14, v10 row_shr:4 row_mask:0xf bank_mask:0xf
	s_mov_b32 s1, exec_lo
	v_cmpx_lt_u32_e32 3, v34
	;; [unrolled: 17-line block ×3, first 2 shown]
; %bb.26:
	s_delay_alu instid0(VALU_DEP_3) | instskip(SKIP_2) | instid1(VALU_DEP_2)
	v_add_co_u32 v13, vcc_lo, v11, v14
	s_wait_alu 0xfffd
	v_add_co_ci_u32_e64 v10, null, 0, v12, vcc_lo
	v_add_co_u32 v11, vcc_lo, 0, v13
	s_wait_alu 0xfffd
	s_delay_alu instid0(VALU_DEP_2) | instskip(NEXT) | instid1(VALU_DEP_1)
	v_add_co_ci_u32_e64 v12, null, v9, v10, vcc_lo
	v_mov_b32_e32 v10, v12
; %bb.27:
	s_wait_alu 0xfffe
	s_or_b32 exec_lo, exec_lo, s1
	ds_swizzle_b32 v9, v13 offset:swizzle(BROADCAST,32,15)
	ds_swizzle_b32 v14, v10 offset:swizzle(BROADCAST,32,15)
	v_and_b32_e32 v15, 16, v33
	s_mov_b32 s1, exec_lo
	s_delay_alu instid0(VALU_DEP_1)
	v_cmpx_ne_u32_e32 0, v15
	s_cbranch_execz .LBB283_29
; %bb.28:
	s_wait_dscnt 0x1
	v_add_co_u32 v13, vcc_lo, v11, v9
	s_wait_alu 0xfffd
	v_add_co_ci_u32_e64 v10, null, 0, v12, vcc_lo
	s_delay_alu instid0(VALU_DEP_2) | instskip(SKIP_2) | instid1(VALU_DEP_2)
	v_add_co_u32 v9, vcc_lo, 0, v13
	s_wait_dscnt 0x0
	s_wait_alu 0xfffd
	v_add_co_ci_u32_e64 v10, null, v14, v10, vcc_lo
	s_delay_alu instid0(VALU_DEP_1)
	v_dual_mov_b32 v12, v10 :: v_dual_mov_b32 v11, v9
.LBB283_29:
	s_wait_alu 0xfffe
	s_or_b32 exec_lo, exec_lo, s1
	s_wait_dscnt 0x1
	v_or_b32_e32 v9, 31, v0
	s_mov_b32 s1, exec_lo
	s_delay_alu instid0(VALU_DEP_1)
	v_cmpx_eq_u32_e64 v0, v9
; %bb.30:
	v_lshlrev_b32_e32 v9, 3, v28
	ds_store_b64 v9, v[11:12]
; %bb.31:
	s_wait_alu 0xfffe
	s_or_b32 exec_lo, exec_lo, s1
	s_delay_alu instid0(SALU_CYCLE_1)
	s_mov_b32 s1, exec_lo
	s_wait_loadcnt_dscnt 0x0
	s_barrier_signal -1
	s_barrier_wait -1
	global_inv scope:SCOPE_SE
	v_cmpx_gt_u32_e32 8, v0
	s_cbranch_execz .LBB283_39
; %bb.32:
	v_lshlrev_b32_e32 v9, 3, v0
	s_mov_b32 s3, exec_lo
	ds_load_b64 v[11:12], v9
	s_wait_dscnt 0x0
	v_dual_mov_b32 v15, v11 :: v_dual_and_b32 v14, 7, v33
	v_mov_b32_dpp v21, v11 row_shr:1 row_mask:0xf bank_mask:0xf
	v_mov_b32_dpp v16, v12 row_shr:1 row_mask:0xf bank_mask:0xf
	s_delay_alu instid0(VALU_DEP_3)
	v_cmpx_ne_u32_e32 0, v14
; %bb.33:
	s_delay_alu instid0(VALU_DEP_3) | instskip(SKIP_2) | instid1(VALU_DEP_2)
	v_add_co_u32 v15, vcc_lo, v11, v21
	s_wait_alu 0xfffd
	v_add_co_ci_u32_e64 v12, null, 0, v12, vcc_lo
	v_add_co_u32 v11, vcc_lo, 0, v15
	s_wait_alu 0xfffd
	s_delay_alu instid0(VALU_DEP_2)
	v_add_co_ci_u32_e64 v12, null, v16, v12, vcc_lo
; %bb.34:
	s_wait_alu 0xfffe
	s_or_b32 exec_lo, exec_lo, s3
	v_mov_b32_dpp v21, v15 row_shr:2 row_mask:0xf bank_mask:0xf
	s_delay_alu instid0(VALU_DEP_2)
	v_mov_b32_dpp v16, v12 row_shr:2 row_mask:0xf bank_mask:0xf
	s_mov_b32 s3, exec_lo
	v_cmpx_lt_u32_e32 1, v14
; %bb.35:
	s_delay_alu instid0(VALU_DEP_3) | instskip(SKIP_2) | instid1(VALU_DEP_2)
	v_add_co_u32 v15, vcc_lo, v11, v21
	s_wait_alu 0xfffd
	v_add_co_ci_u32_e64 v12, null, 0, v12, vcc_lo
	v_add_co_u32 v11, vcc_lo, 0, v15
	s_wait_alu 0xfffd
	s_delay_alu instid0(VALU_DEP_2)
	v_add_co_ci_u32_e64 v12, null, v16, v12, vcc_lo
; %bb.36:
	s_wait_alu 0xfffe
	s_or_b32 exec_lo, exec_lo, s3
	v_mov_b32_dpp v16, v15 row_shr:4 row_mask:0xf bank_mask:0xf
	s_delay_alu instid0(VALU_DEP_2)
	v_mov_b32_dpp v15, v12 row_shr:4 row_mask:0xf bank_mask:0xf
	s_mov_b32 s3, exec_lo
	v_cmpx_lt_u32_e32 3, v14
; %bb.37:
	s_delay_alu instid0(VALU_DEP_3) | instskip(SKIP_2) | instid1(VALU_DEP_2)
	v_add_co_u32 v11, vcc_lo, v11, v16
	s_wait_alu 0xfffd
	v_add_co_ci_u32_e64 v12, null, 0, v12, vcc_lo
	v_add_co_u32 v11, vcc_lo, v11, 0
	s_wait_alu 0xfffd
	s_delay_alu instid0(VALU_DEP_2)
	v_add_co_ci_u32_e64 v12, null, v12, v15, vcc_lo
; %bb.38:
	s_wait_alu 0xfffe
	s_or_b32 exec_lo, exec_lo, s3
	ds_store_b64 v9, v[11:12]
.LBB283_39:
	s_wait_alu 0xfffe
	s_or_b32 exec_lo, exec_lo, s1
	s_delay_alu instid0(SALU_CYCLE_1)
	s_mov_b32 s3, exec_lo
	v_cmp_gt_u32_e32 vcc_lo, 32, v0
	s_wait_loadcnt_dscnt 0x0
	s_barrier_signal -1
	s_barrier_wait -1
	global_inv scope:SCOPE_SE
                                        ; implicit-def: $vgpr21_vgpr22
	v_cmpx_lt_u32_e32 31, v0
	s_cbranch_execz .LBB283_41
; %bb.40:
	v_lshl_add_u32 v9, v28, 3, -8
	ds_load_b64 v[21:22], v9
	s_wait_dscnt 0x0
	v_add_co_u32 v13, s1, v13, v21
	s_wait_alu 0xf1ff
	v_add_co_ci_u32_e64 v10, null, v10, v22, s1
.LBB283_41:
	s_wait_alu 0xfffe
	s_or_b32 exec_lo, exec_lo, s3
	v_sub_co_u32 v9, s1, v33, 1
	s_delay_alu instid0(VALU_DEP_1) | instskip(SKIP_1) | instid1(VALU_DEP_1)
	v_cmp_gt_i32_e64 s3, 0, v9
	s_wait_alu 0xf1ff
	v_cndmask_b32_e64 v9, v9, v33, s3
	s_delay_alu instid0(VALU_DEP_1)
	v_lshlrev_b32_e32 v9, 2, v9
	ds_bpermute_b32 v35, v9, v13
	ds_bpermute_b32 v36, v9, v10
	s_and_saveexec_b32 s3, vcc_lo
	s_cbranch_execz .LBB283_80
; %bb.42:
	v_mov_b32_e32 v12, 0
	ds_load_b64 v[9:10], v12 offset:56
	s_and_saveexec_b32 s6, s1
	s_cbranch_execz .LBB283_44
; %bb.43:
	s_add_co_i32 s8, s21, 32
	s_mov_b32 s9, 0
	s_wait_alu 0xfffe
	s_lshl_b64 s[8:9], s[8:9], 4
	s_wait_alu 0xfffe
	s_add_nc_u64 s[8:9], s[14:15], s[8:9]
	s_wait_alu 0xfffe
	v_dual_mov_b32 v11, 1 :: v_dual_mov_b32 v14, s9
	v_mov_b32_e32 v13, s8
	s_wait_dscnt 0x0
	;;#ASMSTART
	global_store_b128 v[13:14], v[9:12] off scope:SCOPE_DEV	
s_wait_storecnt 0x0
	;;#ASMEND
.LBB283_44:
	s_or_b32 exec_lo, exec_lo, s6
	v_xad_u32 v23, v33, -1, s21
	s_mov_b32 s7, 0
	s_mov_b32 s6, exec_lo
	s_delay_alu instid0(VALU_DEP_1) | instskip(NEXT) | instid1(VALU_DEP_1)
	v_add_nc_u32_e32 v11, 32, v23
	v_lshlrev_b64_e32 v[11:12], 4, v[11:12]
	s_delay_alu instid0(VALU_DEP_1) | instskip(SKIP_1) | instid1(VALU_DEP_2)
	v_add_co_u32 v11, vcc_lo, s14, v11
	s_wait_alu 0xfffd
	v_add_co_ci_u32_e64 v12, null, s15, v12, vcc_lo
	;;#ASMSTART
	global_load_b128 v[13:16], v[11:12] off scope:SCOPE_DEV	
s_wait_loadcnt 0x0
	;;#ASMEND
	v_and_b32_e32 v16, 0xff, v15
	s_delay_alu instid0(VALU_DEP_1)
	v_cmpx_eq_u16_e32 0, v16
	s_cbranch_execz .LBB283_47
.LBB283_45:                             ; =>This Inner Loop Header: Depth=1
	;;#ASMSTART
	global_load_b128 v[13:16], v[11:12] off scope:SCOPE_DEV	
s_wait_loadcnt 0x0
	;;#ASMEND
	v_and_b32_e32 v16, 0xff, v15
	s_delay_alu instid0(VALU_DEP_1) | instskip(SKIP_1) | instid1(SALU_CYCLE_1)
	v_cmp_ne_u16_e32 vcc_lo, 0, v16
	s_or_b32 s7, vcc_lo, s7
	s_and_not1_b32 exec_lo, exec_lo, s7
	s_cbranch_execnz .LBB283_45
; %bb.46:
	s_or_b32 exec_lo, exec_lo, s7
.LBB283_47:
	s_delay_alu instid0(SALU_CYCLE_1)
	s_or_b32 exec_lo, exec_lo, s6
	v_cmp_ne_u32_e32 vcc_lo, 31, v33
	v_and_b32_e32 v12, 0xff, v15
	v_lshlrev_b32_e64 v38, v33, -1
	s_mov_b32 s6, exec_lo
	s_wait_alu 0xfffd
	v_add_co_ci_u32_e64 v11, null, 0, v33, vcc_lo
	v_cmp_eq_u16_e32 vcc_lo, 2, v12
	s_delay_alu instid0(VALU_DEP_2)
	v_dual_mov_b32 v12, v13 :: v_dual_lshlrev_b32 v37, 2, v11
	s_wait_alu 0xfffd
	v_and_or_b32 v11, vcc_lo, v38, 0x80000000
	ds_bpermute_b32 v24, v37, v13
	ds_bpermute_b32 v16, v37, v14
	v_ctz_i32_b32_e32 v11, v11
	s_delay_alu instid0(VALU_DEP_1)
	v_cmpx_lt_u32_e64 v33, v11
	s_cbranch_execz .LBB283_49
; %bb.48:
	s_wait_dscnt 0x1
	v_add_co_u32 v12, vcc_lo, v13, v24
	s_wait_alu 0xfffd
	v_add_co_ci_u32_e64 v14, null, 0, v14, vcc_lo
	s_delay_alu instid0(VALU_DEP_2) | instskip(SKIP_2) | instid1(VALU_DEP_2)
	v_add_co_u32 v13, vcc_lo, 0, v12
	s_wait_dscnt 0x0
	s_wait_alu 0xfffd
	v_add_co_ci_u32_e64 v14, null, v16, v14, vcc_lo
.LBB283_49:
	s_or_b32 exec_lo, exec_lo, s6
	v_cmp_gt_u32_e32 vcc_lo, 30, v33
	v_add_nc_u32_e32 v40, 2, v33
	s_mov_b32 s6, exec_lo
	s_wait_dscnt 0x0
	s_wait_alu 0xfffd
	v_cndmask_b32_e64 v16, 0, 2, vcc_lo
	s_delay_alu instid0(VALU_DEP_1)
	v_add_lshl_u32 v39, v16, v33, 2
	ds_bpermute_b32 v24, v39, v12
	ds_bpermute_b32 v16, v39, v14
	v_cmpx_le_u32_e64 v40, v11
	s_cbranch_execz .LBB283_51
; %bb.50:
	s_wait_dscnt 0x1
	v_add_co_u32 v12, vcc_lo, v13, v24
	s_wait_alu 0xfffd
	v_add_co_ci_u32_e64 v14, null, 0, v14, vcc_lo
	s_delay_alu instid0(VALU_DEP_2) | instskip(SKIP_2) | instid1(VALU_DEP_2)
	v_add_co_u32 v13, vcc_lo, 0, v12
	s_wait_dscnt 0x0
	s_wait_alu 0xfffd
	v_add_co_ci_u32_e64 v14, null, v16, v14, vcc_lo
.LBB283_51:
	s_or_b32 exec_lo, exec_lo, s6
	v_cmp_gt_u32_e32 vcc_lo, 28, v33
	v_add_nc_u32_e32 v42, 4, v33
	s_mov_b32 s6, exec_lo
	s_wait_dscnt 0x0
	s_wait_alu 0xfffd
	v_cndmask_b32_e64 v16, 0, 4, vcc_lo
	s_delay_alu instid0(VALU_DEP_1)
	v_add_lshl_u32 v41, v16, v33, 2
	ds_bpermute_b32 v24, v41, v12
	ds_bpermute_b32 v16, v41, v14
	v_cmpx_le_u32_e64 v42, v11
	;; [unrolled: 24-line block ×3, first 2 shown]
	s_cbranch_execz .LBB283_55
; %bb.54:
	s_wait_dscnt 0x1
	v_add_co_u32 v12, vcc_lo, v13, v24
	s_wait_alu 0xfffd
	v_add_co_ci_u32_e64 v14, null, 0, v14, vcc_lo
	s_delay_alu instid0(VALU_DEP_2) | instskip(SKIP_2) | instid1(VALU_DEP_2)
	v_add_co_u32 v13, vcc_lo, 0, v12
	s_wait_dscnt 0x0
	s_wait_alu 0xfffd
	v_add_co_ci_u32_e64 v14, null, v16, v14, vcc_lo
.LBB283_55:
	s_or_b32 exec_lo, exec_lo, s6
	v_lshl_or_b32 v45, v33, 2, 64
	v_add_nc_u32_e32 v46, 16, v33
	s_mov_b32 s6, exec_lo
	s_wait_dscnt 0x0
	ds_bpermute_b32 v16, v45, v12
	ds_bpermute_b32 v12, v45, v14
	v_cmpx_le_u32_e64 v46, v11
	s_cbranch_execz .LBB283_57
; %bb.56:
	s_wait_dscnt 0x1
	v_add_co_u32 v11, vcc_lo, v13, v16
	s_wait_alu 0xfffd
	v_add_co_ci_u32_e64 v14, null, 0, v14, vcc_lo
	s_delay_alu instid0(VALU_DEP_2) | instskip(SKIP_2) | instid1(VALU_DEP_2)
	v_add_co_u32 v13, vcc_lo, v11, 0
	s_wait_dscnt 0x0
	s_wait_alu 0xfffd
	v_add_co_ci_u32_e64 v14, null, v14, v12, vcc_lo
.LBB283_57:
	s_or_b32 exec_lo, exec_lo, s6
	v_mov_b32_e32 v24, 0
	s_branch .LBB283_60
.LBB283_58:                             ;   in Loop: Header=BB283_60 Depth=1
	s_or_b32 exec_lo, exec_lo, s6
	v_add_co_u32 v13, vcc_lo, v13, v11
	v_subrev_nc_u32_e32 v23, 32, v23
	s_wait_alu 0xfffd
	v_add_co_ci_u32_e64 v14, null, v14, v12, vcc_lo
	s_mov_b32 s6, 0
.LBB283_59:                             ;   in Loop: Header=BB283_60 Depth=1
	s_delay_alu instid0(SALU_CYCLE_1)
	s_and_b32 vcc_lo, exec_lo, s6
	s_wait_alu 0xfffe
	s_cbranch_vccnz .LBB283_76
.LBB283_60:                             ; =>This Loop Header: Depth=1
                                        ;     Child Loop BB283_63 Depth 2
	v_and_b32_e32 v11, 0xff, v15
	s_mov_b32 s6, -1
	s_delay_alu instid0(VALU_DEP_1)
	v_cmp_ne_u16_e32 vcc_lo, 2, v11
	s_wait_dscnt 0x0
	v_dual_mov_b32 v11, v13 :: v_dual_mov_b32 v12, v14
                                        ; implicit-def: $vgpr13_vgpr14
	s_cmp_lg_u32 vcc_lo, exec_lo
	s_cbranch_scc1 .LBB283_59
; %bb.61:                               ;   in Loop: Header=BB283_60 Depth=1
	v_lshlrev_b64_e32 v[13:14], 4, v[23:24]
	s_mov_b32 s6, exec_lo
	s_delay_alu instid0(VALU_DEP_1) | instskip(SKIP_1) | instid1(VALU_DEP_2)
	v_add_co_u32 v25, vcc_lo, s14, v13
	s_wait_alu 0xfffd
	v_add_co_ci_u32_e64 v26, null, s15, v14, vcc_lo
	;;#ASMSTART
	global_load_b128 v[13:16], v[25:26] off scope:SCOPE_DEV	
s_wait_loadcnt 0x0
	;;#ASMEND
	v_and_b32_e32 v16, 0xff, v15
	s_delay_alu instid0(VALU_DEP_1)
	v_cmpx_eq_u16_e32 0, v16
	s_cbranch_execz .LBB283_65
; %bb.62:                               ;   in Loop: Header=BB283_60 Depth=1
	s_mov_b32 s7, 0
.LBB283_63:                             ;   Parent Loop BB283_60 Depth=1
                                        ; =>  This Inner Loop Header: Depth=2
	;;#ASMSTART
	global_load_b128 v[13:16], v[25:26] off scope:SCOPE_DEV	
s_wait_loadcnt 0x0
	;;#ASMEND
	v_and_b32_e32 v16, 0xff, v15
	s_delay_alu instid0(VALU_DEP_1) | instskip(SKIP_1) | instid1(SALU_CYCLE_1)
	v_cmp_ne_u16_e32 vcc_lo, 0, v16
	s_or_b32 s7, vcc_lo, s7
	s_and_not1_b32 exec_lo, exec_lo, s7
	s_cbranch_execnz .LBB283_63
; %bb.64:                               ;   in Loop: Header=BB283_60 Depth=1
	s_or_b32 exec_lo, exec_lo, s7
.LBB283_65:                             ;   in Loop: Header=BB283_60 Depth=1
	s_delay_alu instid0(SALU_CYCLE_1)
	s_or_b32 exec_lo, exec_lo, s6
	v_dual_mov_b32 v25, v13 :: v_dual_and_b32 v16, 0xff, v15
	ds_bpermute_b32 v47, v37, v13
	ds_bpermute_b32 v26, v37, v14
	s_mov_b32 s6, exec_lo
	v_cmp_eq_u16_e32 vcc_lo, 2, v16
	s_wait_alu 0xfffd
	v_and_or_b32 v16, vcc_lo, v38, 0x80000000
	s_delay_alu instid0(VALU_DEP_1) | instskip(NEXT) | instid1(VALU_DEP_1)
	v_ctz_i32_b32_e32 v16, v16
	v_cmpx_lt_u32_e64 v33, v16
	s_cbranch_execz .LBB283_67
; %bb.66:                               ;   in Loop: Header=BB283_60 Depth=1
	s_wait_dscnt 0x1
	v_add_co_u32 v25, vcc_lo, v13, v47
	s_wait_alu 0xfffd
	v_add_co_ci_u32_e64 v14, null, 0, v14, vcc_lo
	s_delay_alu instid0(VALU_DEP_2) | instskip(SKIP_2) | instid1(VALU_DEP_2)
	v_add_co_u32 v13, vcc_lo, 0, v25
	s_wait_dscnt 0x0
	s_wait_alu 0xfffd
	v_add_co_ci_u32_e64 v14, null, v26, v14, vcc_lo
.LBB283_67:                             ;   in Loop: Header=BB283_60 Depth=1
	s_or_b32 exec_lo, exec_lo, s6
	s_wait_dscnt 0x1
	ds_bpermute_b32 v47, v39, v25
	s_wait_dscnt 0x1
	ds_bpermute_b32 v26, v39, v14
	s_mov_b32 s6, exec_lo
	v_cmpx_le_u32_e64 v40, v16
	s_cbranch_execz .LBB283_69
; %bb.68:                               ;   in Loop: Header=BB283_60 Depth=1
	s_wait_dscnt 0x1
	v_add_co_u32 v25, vcc_lo, v13, v47
	s_wait_alu 0xfffd
	v_add_co_ci_u32_e64 v14, null, 0, v14, vcc_lo
	s_delay_alu instid0(VALU_DEP_2) | instskip(SKIP_2) | instid1(VALU_DEP_2)
	v_add_co_u32 v13, vcc_lo, 0, v25
	s_wait_dscnt 0x0
	s_wait_alu 0xfffd
	v_add_co_ci_u32_e64 v14, null, v26, v14, vcc_lo
.LBB283_69:                             ;   in Loop: Header=BB283_60 Depth=1
	s_or_b32 exec_lo, exec_lo, s6
	s_wait_dscnt 0x1
	ds_bpermute_b32 v47, v41, v25
	s_wait_dscnt 0x1
	ds_bpermute_b32 v26, v41, v14
	s_mov_b32 s6, exec_lo
	v_cmpx_le_u32_e64 v42, v16
	;; [unrolled: 19-line block ×3, first 2 shown]
	s_cbranch_execz .LBB283_73
; %bb.72:                               ;   in Loop: Header=BB283_60 Depth=1
	s_wait_dscnt 0x1
	v_add_co_u32 v25, vcc_lo, v13, v47
	s_wait_alu 0xfffd
	v_add_co_ci_u32_e64 v14, null, 0, v14, vcc_lo
	s_delay_alu instid0(VALU_DEP_2) | instskip(SKIP_2) | instid1(VALU_DEP_2)
	v_add_co_u32 v13, vcc_lo, 0, v25
	s_wait_dscnt 0x0
	s_wait_alu 0xfffd
	v_add_co_ci_u32_e64 v14, null, v26, v14, vcc_lo
.LBB283_73:                             ;   in Loop: Header=BB283_60 Depth=1
	s_or_b32 exec_lo, exec_lo, s6
	s_wait_dscnt 0x0
	ds_bpermute_b32 v26, v45, v25
	ds_bpermute_b32 v25, v45, v14
	s_mov_b32 s6, exec_lo
	v_cmpx_le_u32_e64 v46, v16
	s_cbranch_execz .LBB283_58
; %bb.74:                               ;   in Loop: Header=BB283_60 Depth=1
	s_wait_dscnt 0x1
	v_add_co_u32 v13, vcc_lo, v13, v26
	s_wait_alu 0xfffd
	v_add_co_ci_u32_e64 v14, null, 0, v14, vcc_lo
	s_delay_alu instid0(VALU_DEP_2) | instskip(SKIP_2) | instid1(VALU_DEP_2)
	v_add_co_u32 v13, vcc_lo, v13, 0
	s_wait_dscnt 0x0
	s_wait_alu 0xfffd
	v_add_co_ci_u32_e64 v14, null, v14, v25, vcc_lo
	s_branch .LBB283_58
.LBB283_75:
                                        ; implicit-def: $vgpr15_vgpr16
                                        ; implicit-def: $vgpr13_vgpr14
                                        ; implicit-def: $vgpr21_vgpr22
                                        ; implicit-def: $vgpr23_vgpr24
                                        ; implicit-def: $vgpr11_vgpr12
	s_wait_alu 0xfffe
	s_and_b32 vcc_lo, exec_lo, s1
	s_wait_alu 0xfffe
	s_cbranch_vccnz .LBB283_81
	s_branch .LBB283_106
.LBB283_76:
	s_and_saveexec_b32 s6, s1
	s_cbranch_execz .LBB283_78
; %bb.77:
	s_add_co_i32 s8, s21, 32
	s_mov_b32 s9, 0
	v_add_co_u32 v13, vcc_lo, v11, v9
	s_wait_alu 0xfffe
	s_lshl_b64 s[8:9], s[8:9], 4
	v_dual_mov_b32 v15, 2 :: v_dual_mov_b32 v16, 0
	s_wait_alu 0xfffe
	s_add_nc_u64 s[8:9], s[14:15], s[8:9]
	s_wait_alu 0xfffd
	v_add_co_ci_u32_e64 v14, null, v12, v10, vcc_lo
	s_wait_alu 0xfffe
	v_dual_mov_b32 v24, s9 :: v_dual_mov_b32 v23, s8
	;;#ASMSTART
	global_store_b128 v[23:24], v[13:16] off scope:SCOPE_DEV	
s_wait_storecnt 0x0
	;;#ASMEND
	ds_store_b128 v16, v[9:12] offset:8448
.LBB283_78:
	s_or_b32 exec_lo, exec_lo, s6
	s_delay_alu instid0(SALU_CYCLE_1)
	s_and_b32 exec_lo, exec_lo, s2
; %bb.79:
	v_mov_b32_e32 v9, 0
	ds_store_b64 v9, v[11:12] offset:56
.LBB283_80:
	s_wait_alu 0xfffe
	s_or_b32 exec_lo, exec_lo, s3
	v_mov_b32_e32 v9, 0
	s_wait_loadcnt_dscnt 0x0
	s_barrier_signal -1
	s_barrier_wait -1
	global_inv scope:SCOPE_SE
	ds_load_b64 v[13:14], v9 offset:56
	v_cndmask_b32_e64 v11, v35, v21, s1
	v_cndmask_b32_e64 v10, v36, v22, s1
	s_wait_loadcnt_dscnt 0x0
	s_barrier_signal -1
	s_barrier_wait -1
	v_cndmask_b32_e64 v16, v11, 0, s2
	v_cndmask_b32_e64 v15, v10, 0, s2
	global_inv scope:SCOPE_SE
	ds_load_b128 v[9:12], v9 offset:8448
	v_add_co_u32 v23, vcc_lo, v13, v16
	s_wait_alu 0xfffd
	v_add_co_ci_u32_e64 v24, null, v14, v15, vcc_lo
	s_delay_alu instid0(VALU_DEP_2) | instskip(SKIP_1) | instid1(VALU_DEP_2)
	v_add_co_u32 v21, vcc_lo, v23, v32
	s_wait_alu 0xfffd
	v_add_co_ci_u32_e64 v22, null, 0, v24, vcc_lo
	s_delay_alu instid0(VALU_DEP_2) | instskip(SKIP_1) | instid1(VALU_DEP_2)
	;; [unrolled: 4-line block ×3, first 2 shown]
	v_add_co_u32 v15, vcc_lo, v13, v30
	s_wait_alu 0xfffd
	v_add_co_ci_u32_e64 v16, null, 0, v14, vcc_lo
	s_branch .LBB283_106
.LBB283_81:
	s_wait_dscnt 0x0
	v_dual_mov_b32 v10, 0 :: v_dual_mov_b32 v11, v19
	v_mov_b32_dpp v12, v19 row_shr:1 row_mask:0xf bank_mask:0xf
	s_delay_alu instid0(VALU_DEP_2)
	v_mov_b32_dpp v9, v10 row_shr:1 row_mask:0xf bank_mask:0xf
	s_and_saveexec_b32 s1, s0
; %bb.82:
	s_delay_alu instid0(VALU_DEP_2) | instskip(SKIP_2) | instid1(VALU_DEP_2)
	v_add_co_u32 v11, vcc_lo, v19, v12
	s_wait_alu 0xfffd
	v_add_co_ci_u32_e64 v10, null, 0, v20, vcc_lo
	v_add_co_u32 v19, vcc_lo, 0, v11
	s_wait_alu 0xfffd
	s_delay_alu instid0(VALU_DEP_2) | instskip(NEXT) | instid1(VALU_DEP_1)
	v_add_co_ci_u32_e64 v20, null, v9, v10, vcc_lo
	v_mov_b32_e32 v10, v20
; %bb.83:
	s_wait_alu 0xfffe
	s_or_b32 exec_lo, exec_lo, s1
	v_mov_b32_dpp v9, v11 row_shr:2 row_mask:0xf bank_mask:0xf
	s_delay_alu instid0(VALU_DEP_2)
	v_mov_b32_dpp v12, v10 row_shr:2 row_mask:0xf bank_mask:0xf
	s_mov_b32 s0, exec_lo
	v_cmpx_lt_u32_e32 1, v34
; %bb.84:
	s_delay_alu instid0(VALU_DEP_3) | instskip(SKIP_2) | instid1(VALU_DEP_2)
	v_add_co_u32 v11, vcc_lo, v19, v9
	s_wait_alu 0xfffd
	v_add_co_ci_u32_e64 v10, null, 0, v20, vcc_lo
	v_add_co_u32 v9, vcc_lo, 0, v11
	s_wait_alu 0xfffd
	s_delay_alu instid0(VALU_DEP_2) | instskip(NEXT) | instid1(VALU_DEP_1)
	v_add_co_ci_u32_e64 v10, null, v12, v10, vcc_lo
	v_dual_mov_b32 v20, v10 :: v_dual_mov_b32 v19, v9
; %bb.85:
	s_wait_alu 0xfffe
	s_or_b32 exec_lo, exec_lo, s0
	v_mov_b32_dpp v9, v11 row_shr:4 row_mask:0xf bank_mask:0xf
	v_mov_b32_dpp v12, v10 row_shr:4 row_mask:0xf bank_mask:0xf
	s_mov_b32 s0, exec_lo
	v_cmpx_lt_u32_e32 3, v34
; %bb.86:
	s_delay_alu instid0(VALU_DEP_3) | instskip(SKIP_2) | instid1(VALU_DEP_2)
	v_add_co_u32 v11, vcc_lo, v19, v9
	s_wait_alu 0xfffd
	v_add_co_ci_u32_e64 v10, null, 0, v20, vcc_lo
	v_add_co_u32 v9, vcc_lo, 0, v11
	s_wait_alu 0xfffd
	s_delay_alu instid0(VALU_DEP_2) | instskip(NEXT) | instid1(VALU_DEP_1)
	v_add_co_ci_u32_e64 v10, null, v12, v10, vcc_lo
	v_dual_mov_b32 v20, v10 :: v_dual_mov_b32 v19, v9
; %bb.87:
	s_wait_alu 0xfffe
	s_or_b32 exec_lo, exec_lo, s0
	v_mov_b32_dpp v12, v11 row_shr:8 row_mask:0xf bank_mask:0xf
	v_mov_b32_dpp v9, v10 row_shr:8 row_mask:0xf bank_mask:0xf
	s_mov_b32 s0, exec_lo
	v_cmpx_lt_u32_e32 7, v34
; %bb.88:
	s_delay_alu instid0(VALU_DEP_3) | instskip(SKIP_2) | instid1(VALU_DEP_2)
	v_add_co_u32 v11, vcc_lo, v19, v12
	s_wait_alu 0xfffd
	v_add_co_ci_u32_e64 v10, null, 0, v20, vcc_lo
	v_add_co_u32 v19, vcc_lo, 0, v11
	s_wait_alu 0xfffd
	s_delay_alu instid0(VALU_DEP_2) | instskip(NEXT) | instid1(VALU_DEP_1)
	v_add_co_ci_u32_e64 v20, null, v9, v10, vcc_lo
	v_mov_b32_e32 v10, v20
; %bb.89:
	s_wait_alu 0xfffe
	s_or_b32 exec_lo, exec_lo, s0
	ds_swizzle_b32 v11, v11 offset:swizzle(BROADCAST,32,15)
	ds_swizzle_b32 v9, v10 offset:swizzle(BROADCAST,32,15)
	v_and_b32_e32 v10, 16, v33
	s_mov_b32 s0, exec_lo
	s_delay_alu instid0(VALU_DEP_1)
	v_cmpx_ne_u32_e32 0, v10
	s_cbranch_execz .LBB283_91
; %bb.90:
	s_wait_dscnt 0x1
	v_add_co_u32 v10, vcc_lo, v19, v11
	s_wait_alu 0xfffd
	v_add_co_ci_u32_e64 v11, null, 0, v20, vcc_lo
	s_delay_alu instid0(VALU_DEP_2) | instskip(SKIP_2) | instid1(VALU_DEP_2)
	v_add_co_u32 v19, vcc_lo, v10, 0
	s_wait_dscnt 0x0
	s_wait_alu 0xfffd
	v_add_co_ci_u32_e64 v20, null, v11, v9, vcc_lo
.LBB283_91:
	s_wait_alu 0xfffe
	s_or_b32 exec_lo, exec_lo, s0
	s_wait_dscnt 0x0
	v_or_b32_e32 v9, 31, v0
	s_mov_b32 s0, exec_lo
	s_delay_alu instid0(VALU_DEP_1)
	v_cmpx_eq_u32_e64 v0, v9
; %bb.92:
	v_lshlrev_b32_e32 v9, 3, v28
	ds_store_b64 v9, v[19:20]
; %bb.93:
	s_wait_alu 0xfffe
	s_or_b32 exec_lo, exec_lo, s0
	s_delay_alu instid0(SALU_CYCLE_1)
	s_mov_b32 s0, exec_lo
	s_wait_loadcnt_dscnt 0x0
	s_barrier_signal -1
	s_barrier_wait -1
	global_inv scope:SCOPE_SE
	v_cmpx_gt_u32_e32 8, v0
	s_cbranch_execz .LBB283_101
; %bb.94:
	v_lshlrev_b32_e32 v11, 3, v0
	s_mov_b32 s1, exec_lo
	ds_load_b64 v[9:10], v11
	s_wait_dscnt 0x0
	v_dual_mov_b32 v13, v9 :: v_dual_and_b32 v12, 7, v33
	v_mov_b32_dpp v15, v9 row_shr:1 row_mask:0xf bank_mask:0xf
	v_mov_b32_dpp v14, v10 row_shr:1 row_mask:0xf bank_mask:0xf
	s_delay_alu instid0(VALU_DEP_3)
	v_cmpx_ne_u32_e32 0, v12
; %bb.95:
	s_delay_alu instid0(VALU_DEP_3) | instskip(SKIP_2) | instid1(VALU_DEP_2)
	v_add_co_u32 v13, vcc_lo, v9, v15
	s_wait_alu 0xfffd
	v_add_co_ci_u32_e64 v10, null, 0, v10, vcc_lo
	v_add_co_u32 v9, vcc_lo, 0, v13
	s_wait_alu 0xfffd
	s_delay_alu instid0(VALU_DEP_2)
	v_add_co_ci_u32_e64 v10, null, v14, v10, vcc_lo
; %bb.96:
	s_wait_alu 0xfffe
	s_or_b32 exec_lo, exec_lo, s1
	v_mov_b32_dpp v15, v13 row_shr:2 row_mask:0xf bank_mask:0xf
	s_delay_alu instid0(VALU_DEP_2)
	v_mov_b32_dpp v14, v10 row_shr:2 row_mask:0xf bank_mask:0xf
	s_mov_b32 s1, exec_lo
	v_cmpx_lt_u32_e32 1, v12
; %bb.97:
	s_delay_alu instid0(VALU_DEP_3) | instskip(SKIP_2) | instid1(VALU_DEP_2)
	v_add_co_u32 v13, vcc_lo, v9, v15
	s_wait_alu 0xfffd
	v_add_co_ci_u32_e64 v10, null, 0, v10, vcc_lo
	v_add_co_u32 v9, vcc_lo, 0, v13
	s_wait_alu 0xfffd
	s_delay_alu instid0(VALU_DEP_2)
	v_add_co_ci_u32_e64 v10, null, v14, v10, vcc_lo
; %bb.98:
	s_wait_alu 0xfffe
	s_or_b32 exec_lo, exec_lo, s1
	v_mov_b32_dpp v14, v13 row_shr:4 row_mask:0xf bank_mask:0xf
	s_delay_alu instid0(VALU_DEP_2)
	v_mov_b32_dpp v13, v10 row_shr:4 row_mask:0xf bank_mask:0xf
	s_mov_b32 s1, exec_lo
	v_cmpx_lt_u32_e32 3, v12
; %bb.99:
	s_delay_alu instid0(VALU_DEP_3) | instskip(SKIP_2) | instid1(VALU_DEP_2)
	v_add_co_u32 v9, vcc_lo, v9, v14
	s_wait_alu 0xfffd
	v_add_co_ci_u32_e64 v10, null, 0, v10, vcc_lo
	v_add_co_u32 v9, vcc_lo, v9, 0
	s_wait_alu 0xfffd
	s_delay_alu instid0(VALU_DEP_2)
	v_add_co_ci_u32_e64 v10, null, v10, v13, vcc_lo
; %bb.100:
	s_wait_alu 0xfffe
	s_or_b32 exec_lo, exec_lo, s1
	ds_store_b64 v11, v[9:10]
.LBB283_101:
	s_wait_alu 0xfffe
	s_or_b32 exec_lo, exec_lo, s0
	v_mov_b32_e32 v13, 0
	v_mov_b32_e32 v14, 0
	s_mov_b32 s0, exec_lo
	s_wait_loadcnt_dscnt 0x0
	s_barrier_signal -1
	s_barrier_wait -1
	global_inv scope:SCOPE_SE
	v_cmpx_lt_u32_e32 31, v0
; %bb.102:
	v_lshl_add_u32 v9, v28, 3, -8
	ds_load_b64 v[13:14], v9
; %bb.103:
	s_wait_alu 0xfffe
	s_or_b32 exec_lo, exec_lo, s0
	v_sub_co_u32 v9, vcc_lo, v33, 1
	v_mov_b32_e32 v12, 0
	s_delay_alu instid0(VALU_DEP_2) | instskip(SKIP_1) | instid1(VALU_DEP_1)
	v_cmp_gt_i32_e64 s0, 0, v9
	s_wait_alu 0xf1ff
	v_cndmask_b32_e64 v9, v9, v33, s0
	s_wait_dscnt 0x0
	v_add_co_u32 v10, s0, v13, v19
	s_wait_alu 0xf1ff
	v_add_co_ci_u32_e64 v11, null, v14, v20, s0
	v_lshlrev_b32_e32 v9, 2, v9
	ds_bpermute_b32 v15, v9, v10
	ds_bpermute_b32 v16, v9, v11
	ds_load_b64 v[9:10], v12 offset:56
	s_and_saveexec_b32 s0, s2
	s_cbranch_execz .LBB283_105
; %bb.104:
	s_add_nc_u64 s[6:7], s[14:15], 0x200
	s_delay_alu instid0(SALU_CYCLE_1)
	v_dual_mov_b32 v11, 2 :: v_dual_mov_b32 v20, s7
	v_mov_b32_e32 v19, s6
	s_wait_dscnt 0x0
	;;#ASMSTART
	global_store_b128 v[19:20], v[9:12] off scope:SCOPE_DEV	
s_wait_storecnt 0x0
	;;#ASMEND
.LBB283_105:
	s_wait_alu 0xfffe
	s_or_b32 exec_lo, exec_lo, s0
	s_wait_dscnt 0x1
	s_wait_alu 0xfffd
	v_dual_cndmask_b32 v11, v15, v13 :: v_dual_cndmask_b32 v12, v16, v14
	s_wait_loadcnt_dscnt 0x0
	s_barrier_signal -1
	s_barrier_wait -1
	s_delay_alu instid0(VALU_DEP_1)
	v_cndmask_b32_e64 v23, v11, 0, s2
	v_cndmask_b32_e64 v24, v12, 0, s2
	v_mov_b32_e32 v11, 0
	v_mov_b32_e32 v12, 0
	global_inv scope:SCOPE_SE
	v_add_co_u32 v21, vcc_lo, v23, v32
	s_wait_alu 0xfffd
	v_add_co_ci_u32_e64 v22, null, 0, v24, vcc_lo
	s_delay_alu instid0(VALU_DEP_2) | instskip(SKIP_1) | instid1(VALU_DEP_2)
	v_add_co_u32 v13, vcc_lo, v21, v31
	s_wait_alu 0xfffd
	v_add_co_ci_u32_e64 v14, null, 0, v22, vcc_lo
	s_delay_alu instid0(VALU_DEP_2) | instskip(SKIP_1) | instid1(VALU_DEP_2)
	v_add_co_u32 v15, vcc_lo, v13, v30
	s_wait_alu 0xfffd
	v_add_co_ci_u32_e64 v16, null, 0, v14, vcc_lo
.LBB283_106:
	v_and_b32_e32 v28, 1, v29
	s_wait_dscnt 0x0
	v_cmp_gt_u64_e32 vcc_lo, 0x101, v[9:10]
	v_lshrrev_b32_e32 v25, 16, v29
	v_lshrrev_b32_e32 v26, 8, v29
	s_mov_b32 s1, -1
	v_cmp_eq_u32_e64 s0, 1, v28
	s_cbranch_vccnz .LBB283_110
; %bb.107:
	s_wait_alu 0xfffe
	s_and_b32 vcc_lo, exec_lo, s1
	s_wait_alu 0xfffe
	s_cbranch_vccnz .LBB283_119
.LBB283_108:
	s_and_b32 s0, s2, s19
	s_wait_alu 0xfffe
	s_and_saveexec_b32 s1, s0
	s_cbranch_execnz .LBB283_131
.LBB283_109:
	s_endpgm
.LBB283_110:
	v_add_co_u32 v19, vcc_lo, v11, v9
	s_wait_alu 0xfffd
	v_add_co_ci_u32_e64 v20, null, v12, v10, vcc_lo
	s_delay_alu instid0(VALU_DEP_1)
	v_cmp_lt_u64_e32 vcc_lo, v[23:24], v[19:20]
	s_or_b32 s1, s20, vcc_lo
	s_wait_alu 0xfffe
	s_and_b32 s1, s1, s0
	s_wait_alu 0xfffe
	s_and_saveexec_b32 s0, s1
	s_cbranch_execz .LBB283_112
; %bb.111:
	v_lshlrev_b64_e32 v[29:30], 3, v[17:18]
	v_lshlrev_b64_e32 v[31:32], 3, v[23:24]
	s_delay_alu instid0(VALU_DEP_2) | instskip(SKIP_1) | instid1(VALU_DEP_3)
	v_add_co_u32 v24, vcc_lo, s12, v29
	s_wait_alu 0xfffd
	v_add_co_ci_u32_e64 v30, null, s13, v30, vcc_lo
	s_delay_alu instid0(VALU_DEP_2) | instskip(SKIP_1) | instid1(VALU_DEP_2)
	v_add_co_u32 v29, vcc_lo, v24, v31
	s_wait_alu 0xfffd
	v_add_co_ci_u32_e64 v30, null, v30, v32, vcc_lo
	global_store_b64 v[29:30], v[5:6], off
.LBB283_112:
	s_wait_alu 0xfffe
	s_or_b32 exec_lo, exec_lo, s0
	v_and_b32_e32 v24, 1, v26
	v_cmp_lt_u64_e32 vcc_lo, v[21:22], v[19:20]
	s_delay_alu instid0(VALU_DEP_2)
	v_cmp_eq_u32_e64 s0, 1, v24
	s_or_b32 s1, s20, vcc_lo
	s_wait_alu 0xfffe
	s_and_b32 s1, s1, s0
	s_wait_alu 0xfffe
	s_and_saveexec_b32 s0, s1
	s_cbranch_execz .LBB283_114
; %bb.113:
	v_lshlrev_b64_e32 v[29:30], 3, v[17:18]
	v_lshlrev_b64_e32 v[31:32], 3, v[21:22]
	s_delay_alu instid0(VALU_DEP_2) | instskip(SKIP_1) | instid1(VALU_DEP_3)
	v_add_co_u32 v22, vcc_lo, s12, v29
	s_wait_alu 0xfffd
	v_add_co_ci_u32_e64 v24, null, s13, v30, vcc_lo
	s_delay_alu instid0(VALU_DEP_2) | instskip(SKIP_1) | instid1(VALU_DEP_2)
	v_add_co_u32 v29, vcc_lo, v22, v31
	s_wait_alu 0xfffd
	v_add_co_ci_u32_e64 v30, null, v24, v32, vcc_lo
	global_store_b64 v[29:30], v[7:8], off
.LBB283_114:
	s_wait_alu 0xfffe
	s_or_b32 exec_lo, exec_lo, s0
	v_and_b32_e32 v22, 1, v25
	v_cmp_lt_u64_e32 vcc_lo, v[13:14], v[19:20]
	s_delay_alu instid0(VALU_DEP_2)
	v_cmp_eq_u32_e64 s0, 1, v22
	s_or_b32 s1, s20, vcc_lo
	s_wait_alu 0xfffe
	s_and_b32 s1, s1, s0
	s_wait_alu 0xfffe
	s_and_saveexec_b32 s0, s1
	s_cbranch_execz .LBB283_116
; %bb.115:
	v_lshlrev_b64_e32 v[29:30], 3, v[17:18]
	v_lshlrev_b64_e32 v[31:32], 3, v[13:14]
	s_delay_alu instid0(VALU_DEP_2) | instskip(SKIP_1) | instid1(VALU_DEP_3)
	v_add_co_u32 v14, vcc_lo, s12, v29
	s_wait_alu 0xfffd
	v_add_co_ci_u32_e64 v22, null, s13, v30, vcc_lo
	s_delay_alu instid0(VALU_DEP_2) | instskip(SKIP_1) | instid1(VALU_DEP_2)
	v_add_co_u32 v29, vcc_lo, v14, v31
	s_wait_alu 0xfffd
	v_add_co_ci_u32_e64 v30, null, v22, v32, vcc_lo
	global_store_b64 v[29:30], v[1:2], off
.LBB283_116:
	s_wait_alu 0xfffe
	s_or_b32 exec_lo, exec_lo, s0
	v_and_b32_e32 v14, 1, v27
	v_cmp_lt_u64_e32 vcc_lo, v[15:16], v[19:20]
	s_delay_alu instid0(VALU_DEP_2)
	v_cmp_eq_u32_e64 s0, 1, v14
	s_or_b32 s1, s20, vcc_lo
	s_wait_alu 0xfffe
	s_and_b32 s1, s1, s0
	s_wait_alu 0xfffe
	s_and_saveexec_b32 s0, s1
	s_cbranch_execz .LBB283_118
; %bb.117:
	v_lshlrev_b64_e32 v[19:20], 3, v[17:18]
	v_lshlrev_b64_e32 v[29:30], 3, v[15:16]
	s_delay_alu instid0(VALU_DEP_2) | instskip(SKIP_1) | instid1(VALU_DEP_3)
	v_add_co_u32 v14, vcc_lo, s12, v19
	s_wait_alu 0xfffd
	v_add_co_ci_u32_e64 v16, null, s13, v20, vcc_lo
	s_delay_alu instid0(VALU_DEP_2) | instskip(SKIP_1) | instid1(VALU_DEP_2)
	v_add_co_u32 v19, vcc_lo, v14, v29
	s_wait_alu 0xfffd
	v_add_co_ci_u32_e64 v20, null, v16, v30, vcc_lo
	global_store_b64 v[19:20], v[3:4], off
.LBB283_118:
	s_wait_alu 0xfffe
	s_or_b32 exec_lo, exec_lo, s0
	s_branch .LBB283_108
.LBB283_119:
	s_mov_b32 s0, exec_lo
	v_cmpx_eq_u32_e32 1, v28
; %bb.120:
	v_sub_nc_u32_e32 v14, v23, v11
	s_delay_alu instid0(VALU_DEP_1)
	v_lshlrev_b32_e32 v14, 3, v14
	ds_store_b64 v14, v[5:6]
; %bb.121:
	s_wait_alu 0xfffe
	s_or_b32 exec_lo, exec_lo, s0
	v_and_b32_e32 v5, 1, v26
	s_mov_b32 s0, exec_lo
	s_delay_alu instid0(VALU_DEP_1)
	v_cmpx_eq_u32_e32 1, v5
; %bb.122:
	v_sub_nc_u32_e32 v5, v21, v11
	s_delay_alu instid0(VALU_DEP_1)
	v_lshlrev_b32_e32 v5, 3, v5
	ds_store_b64 v5, v[7:8]
; %bb.123:
	s_wait_alu 0xfffe
	s_or_b32 exec_lo, exec_lo, s0
	v_and_b32_e32 v5, 1, v25
	s_mov_b32 s0, exec_lo
	s_delay_alu instid0(VALU_DEP_1)
	;; [unrolled: 12-line block ×3, first 2 shown]
	v_cmpx_eq_u32_e32 1, v1
; %bb.126:
	v_sub_nc_u32_e32 v1, v15, v11
	s_delay_alu instid0(VALU_DEP_1)
	v_lshlrev_b32_e32 v1, 3, v1
	ds_store_b64 v1, v[3:4]
; %bb.127:
	s_wait_alu 0xfffe
	s_or_b32 exec_lo, exec_lo, s0
	v_mov_b32_e32 v1, 0
	s_mov_b32 s1, exec_lo
	s_wait_storecnt 0x0
	s_wait_loadcnt_dscnt 0x0
	s_barrier_signal -1
	s_barrier_wait -1
	global_inv scope:SCOPE_SE
	v_cmpx_gt_u64_e64 v[9:10], v[0:1]
	s_cbranch_execz .LBB283_130
; %bb.128:
	v_lshlrev_b64_e32 v[2:3], 3, v[11:12]
	v_lshlrev_b64_e32 v[4:5], 3, v[17:18]
	s_mov_b32 s3, 0
	s_delay_alu instid0(VALU_DEP_2) | instskip(SKIP_1) | instid1(VALU_DEP_3)
	v_add_co_u32 v6, vcc_lo, s12, v2
	s_wait_alu 0xfffd
	v_add_co_ci_u32_e64 v7, null, s13, v3, vcc_lo
	v_dual_mov_b32 v3, v1 :: v_dual_mov_b32 v2, v0
	s_delay_alu instid0(VALU_DEP_3) | instskip(SKIP_1) | instid1(VALU_DEP_3)
	v_add_co_u32 v4, vcc_lo, v6, v4
	s_wait_alu 0xfffd
	v_add_co_ci_u32_e64 v5, null, v7, v5, vcc_lo
	v_or_b32_e32 v0, 0x100, v0
.LBB283_129:                            ; =>This Inner Loop Header: Depth=1
	v_lshlrev_b32_e32 v6, 3, v2
	v_lshlrev_b64_e32 v[13:14], 3, v[2:3]
	v_mov_b32_e32 v3, v1
	s_delay_alu instid0(VALU_DEP_4)
	v_cmp_le_u64_e32 vcc_lo, v[9:10], v[0:1]
	v_mov_b32_e32 v2, v0
	ds_load_b64 v[6:7], v6
	v_add_nc_u32_e32 v0, 0x100, v0
	v_add_co_u32 v13, s0, v4, v13
	s_wait_alu 0xf1ff
	v_add_co_ci_u32_e64 v14, null, v5, v14, s0
	s_wait_alu 0xfffe
	s_or_b32 s3, vcc_lo, s3
	s_wait_dscnt 0x0
	global_store_b64 v[13:14], v[6:7], off
	s_wait_alu 0xfffe
	s_and_not1_b32 exec_lo, exec_lo, s3
	s_cbranch_execnz .LBB283_129
.LBB283_130:
	s_wait_alu 0xfffe
	s_or_b32 exec_lo, exec_lo, s1
	s_and_b32 s0, s2, s19
	s_wait_alu 0xfffe
	s_and_saveexec_b32 s1, s0
	s_cbranch_execz .LBB283_109
.LBB283_131:
	v_add_co_u32 v0, vcc_lo, v11, v9
	s_wait_alu 0xfffd
	v_add_co_ci_u32_e64 v1, null, v12, v10, vcc_lo
	v_mov_b32_e32 v2, 0
	s_delay_alu instid0(VALU_DEP_3) | instskip(SKIP_1) | instid1(VALU_DEP_3)
	v_add_co_u32 v0, vcc_lo, v0, v17
	s_wait_alu 0xfffd
	v_add_co_ci_u32_e64 v1, null, v1, v18, vcc_lo
	global_store_b64 v2, v[0:1], s[4:5]
	s_endpgm
.LBB283_132:
	v_lshlrev_b32_e32 v16, 3, v0
	global_load_b64 v[19:20], v16, s[0:1] offset:2048
	s_wait_loadcnt 0x0
	v_cmp_ne_u64_e32 vcc_lo, 0, v[19:20]
	s_wait_alu 0xfffd
	v_cndmask_b32_e64 v16, 0, 1, vcc_lo
	s_delay_alu instid0(VALU_DEP_1) | instskip(NEXT) | instid1(VALU_DEP_1)
	v_lshlrev_b16 v16, 8, v16
	v_or_b32_e32 v14, v14, v16
	s_delay_alu instid0(VALU_DEP_1) | instskip(SKIP_1) | instid1(SALU_CYCLE_1)
	v_and_b32_e32 v14, 0xffff, v14
	s_or_b32 exec_lo, exec_lo, s6
	s_mov_b32 s6, exec_lo
	v_cmpx_gt_u32_e64 s3, v10
	s_cbranch_execz .LBB283_15
.LBB283_133:
	v_lshlrev_b32_e32 v16, 3, v0
	global_load_b64 v[19:20], v16, s[0:1] offset:4096
	s_wait_loadcnt 0x0
	v_cmp_ne_u64_e32 vcc_lo, 0, v[19:20]
	s_wait_alu 0xfffd
	v_cndmask_b32_e64 v16, 0, 1, vcc_lo
	s_delay_alu instid0(VALU_DEP_1)
	v_lshl_or_b32 v14, v16, 16, v14
	s_or_b32 exec_lo, exec_lo, s6
	v_cmp_gt_u32_e32 vcc_lo, s3, v9
	s_and_saveexec_b32 s3, vcc_lo
	s_cbranch_execnz .LBB283_16
	s_branch .LBB283_17
	.section	.rodata,"a",@progbits
	.p2align	6, 0x0
	.amdhsa_kernel _ZN7rocprim17ROCPRIM_400000_NS6detail17trampoline_kernelINS0_14default_configENS1_25partition_config_selectorILNS1_17partition_subalgoE5ElNS0_10empty_typeEbEEZZNS1_14partition_implILS5_5ELb0ES3_mN6hipcub16HIPCUB_304000_NS21CountingInputIteratorIllEEPS6_NSA_22TransformInputIteratorIbN2at6native12_GLOBAL__N_19NonZeroOpIlEEPKllEENS0_5tupleIJPlS6_EEENSN_IJSD_SD_EEES6_PiJS6_EEE10hipError_tPvRmT3_T4_T5_T6_T7_T9_mT8_P12ihipStream_tbDpT10_ENKUlT_T0_E_clISt17integral_constantIbLb0EES1A_IbLb1EEEEDaS16_S17_EUlS16_E_NS1_11comp_targetILNS1_3genE10ELNS1_11target_archE1200ELNS1_3gpuE4ELNS1_3repE0EEENS1_30default_config_static_selectorELNS0_4arch9wavefront6targetE0EEEvT1_
		.amdhsa_group_segment_fixed_size 8464
		.amdhsa_private_segment_fixed_size 0
		.amdhsa_kernarg_size 136
		.amdhsa_user_sgpr_count 2
		.amdhsa_user_sgpr_dispatch_ptr 0
		.amdhsa_user_sgpr_queue_ptr 0
		.amdhsa_user_sgpr_kernarg_segment_ptr 1
		.amdhsa_user_sgpr_dispatch_id 0
		.amdhsa_user_sgpr_private_segment_size 0
		.amdhsa_wavefront_size32 1
		.amdhsa_uses_dynamic_stack 0
		.amdhsa_enable_private_segment 0
		.amdhsa_system_sgpr_workgroup_id_x 1
		.amdhsa_system_sgpr_workgroup_id_y 0
		.amdhsa_system_sgpr_workgroup_id_z 0
		.amdhsa_system_sgpr_workgroup_info 0
		.amdhsa_system_vgpr_workitem_id 0
		.amdhsa_next_free_vgpr 48
		.amdhsa_next_free_sgpr 24
		.amdhsa_reserve_vcc 1
		.amdhsa_float_round_mode_32 0
		.amdhsa_float_round_mode_16_64 0
		.amdhsa_float_denorm_mode_32 3
		.amdhsa_float_denorm_mode_16_64 3
		.amdhsa_fp16_overflow 0
		.amdhsa_workgroup_processor_mode 1
		.amdhsa_memory_ordered 1
		.amdhsa_forward_progress 1
		.amdhsa_inst_pref_size 55
		.amdhsa_round_robin_scheduling 0
		.amdhsa_exception_fp_ieee_invalid_op 0
		.amdhsa_exception_fp_denorm_src 0
		.amdhsa_exception_fp_ieee_div_zero 0
		.amdhsa_exception_fp_ieee_overflow 0
		.amdhsa_exception_fp_ieee_underflow 0
		.amdhsa_exception_fp_ieee_inexact 0
		.amdhsa_exception_int_div_zero 0
	.end_amdhsa_kernel
	.section	.text._ZN7rocprim17ROCPRIM_400000_NS6detail17trampoline_kernelINS0_14default_configENS1_25partition_config_selectorILNS1_17partition_subalgoE5ElNS0_10empty_typeEbEEZZNS1_14partition_implILS5_5ELb0ES3_mN6hipcub16HIPCUB_304000_NS21CountingInputIteratorIllEEPS6_NSA_22TransformInputIteratorIbN2at6native12_GLOBAL__N_19NonZeroOpIlEEPKllEENS0_5tupleIJPlS6_EEENSN_IJSD_SD_EEES6_PiJS6_EEE10hipError_tPvRmT3_T4_T5_T6_T7_T9_mT8_P12ihipStream_tbDpT10_ENKUlT_T0_E_clISt17integral_constantIbLb0EES1A_IbLb1EEEEDaS16_S17_EUlS16_E_NS1_11comp_targetILNS1_3genE10ELNS1_11target_archE1200ELNS1_3gpuE4ELNS1_3repE0EEENS1_30default_config_static_selectorELNS0_4arch9wavefront6targetE0EEEvT1_,"axG",@progbits,_ZN7rocprim17ROCPRIM_400000_NS6detail17trampoline_kernelINS0_14default_configENS1_25partition_config_selectorILNS1_17partition_subalgoE5ElNS0_10empty_typeEbEEZZNS1_14partition_implILS5_5ELb0ES3_mN6hipcub16HIPCUB_304000_NS21CountingInputIteratorIllEEPS6_NSA_22TransformInputIteratorIbN2at6native12_GLOBAL__N_19NonZeroOpIlEEPKllEENS0_5tupleIJPlS6_EEENSN_IJSD_SD_EEES6_PiJS6_EEE10hipError_tPvRmT3_T4_T5_T6_T7_T9_mT8_P12ihipStream_tbDpT10_ENKUlT_T0_E_clISt17integral_constantIbLb0EES1A_IbLb1EEEEDaS16_S17_EUlS16_E_NS1_11comp_targetILNS1_3genE10ELNS1_11target_archE1200ELNS1_3gpuE4ELNS1_3repE0EEENS1_30default_config_static_selectorELNS0_4arch9wavefront6targetE0EEEvT1_,comdat
.Lfunc_end283:
	.size	_ZN7rocprim17ROCPRIM_400000_NS6detail17trampoline_kernelINS0_14default_configENS1_25partition_config_selectorILNS1_17partition_subalgoE5ElNS0_10empty_typeEbEEZZNS1_14partition_implILS5_5ELb0ES3_mN6hipcub16HIPCUB_304000_NS21CountingInputIteratorIllEEPS6_NSA_22TransformInputIteratorIbN2at6native12_GLOBAL__N_19NonZeroOpIlEEPKllEENS0_5tupleIJPlS6_EEENSN_IJSD_SD_EEES6_PiJS6_EEE10hipError_tPvRmT3_T4_T5_T6_T7_T9_mT8_P12ihipStream_tbDpT10_ENKUlT_T0_E_clISt17integral_constantIbLb0EES1A_IbLb1EEEEDaS16_S17_EUlS16_E_NS1_11comp_targetILNS1_3genE10ELNS1_11target_archE1200ELNS1_3gpuE4ELNS1_3repE0EEENS1_30default_config_static_selectorELNS0_4arch9wavefront6targetE0EEEvT1_, .Lfunc_end283-_ZN7rocprim17ROCPRIM_400000_NS6detail17trampoline_kernelINS0_14default_configENS1_25partition_config_selectorILNS1_17partition_subalgoE5ElNS0_10empty_typeEbEEZZNS1_14partition_implILS5_5ELb0ES3_mN6hipcub16HIPCUB_304000_NS21CountingInputIteratorIllEEPS6_NSA_22TransformInputIteratorIbN2at6native12_GLOBAL__N_19NonZeroOpIlEEPKllEENS0_5tupleIJPlS6_EEENSN_IJSD_SD_EEES6_PiJS6_EEE10hipError_tPvRmT3_T4_T5_T6_T7_T9_mT8_P12ihipStream_tbDpT10_ENKUlT_T0_E_clISt17integral_constantIbLb0EES1A_IbLb1EEEEDaS16_S17_EUlS16_E_NS1_11comp_targetILNS1_3genE10ELNS1_11target_archE1200ELNS1_3gpuE4ELNS1_3repE0EEENS1_30default_config_static_selectorELNS0_4arch9wavefront6targetE0EEEvT1_
                                        ; -- End function
	.set _ZN7rocprim17ROCPRIM_400000_NS6detail17trampoline_kernelINS0_14default_configENS1_25partition_config_selectorILNS1_17partition_subalgoE5ElNS0_10empty_typeEbEEZZNS1_14partition_implILS5_5ELb0ES3_mN6hipcub16HIPCUB_304000_NS21CountingInputIteratorIllEEPS6_NSA_22TransformInputIteratorIbN2at6native12_GLOBAL__N_19NonZeroOpIlEEPKllEENS0_5tupleIJPlS6_EEENSN_IJSD_SD_EEES6_PiJS6_EEE10hipError_tPvRmT3_T4_T5_T6_T7_T9_mT8_P12ihipStream_tbDpT10_ENKUlT_T0_E_clISt17integral_constantIbLb0EES1A_IbLb1EEEEDaS16_S17_EUlS16_E_NS1_11comp_targetILNS1_3genE10ELNS1_11target_archE1200ELNS1_3gpuE4ELNS1_3repE0EEENS1_30default_config_static_selectorELNS0_4arch9wavefront6targetE0EEEvT1_.num_vgpr, 48
	.set _ZN7rocprim17ROCPRIM_400000_NS6detail17trampoline_kernelINS0_14default_configENS1_25partition_config_selectorILNS1_17partition_subalgoE5ElNS0_10empty_typeEbEEZZNS1_14partition_implILS5_5ELb0ES3_mN6hipcub16HIPCUB_304000_NS21CountingInputIteratorIllEEPS6_NSA_22TransformInputIteratorIbN2at6native12_GLOBAL__N_19NonZeroOpIlEEPKllEENS0_5tupleIJPlS6_EEENSN_IJSD_SD_EEES6_PiJS6_EEE10hipError_tPvRmT3_T4_T5_T6_T7_T9_mT8_P12ihipStream_tbDpT10_ENKUlT_T0_E_clISt17integral_constantIbLb0EES1A_IbLb1EEEEDaS16_S17_EUlS16_E_NS1_11comp_targetILNS1_3genE10ELNS1_11target_archE1200ELNS1_3gpuE4ELNS1_3repE0EEENS1_30default_config_static_selectorELNS0_4arch9wavefront6targetE0EEEvT1_.num_agpr, 0
	.set _ZN7rocprim17ROCPRIM_400000_NS6detail17trampoline_kernelINS0_14default_configENS1_25partition_config_selectorILNS1_17partition_subalgoE5ElNS0_10empty_typeEbEEZZNS1_14partition_implILS5_5ELb0ES3_mN6hipcub16HIPCUB_304000_NS21CountingInputIteratorIllEEPS6_NSA_22TransformInputIteratorIbN2at6native12_GLOBAL__N_19NonZeroOpIlEEPKllEENS0_5tupleIJPlS6_EEENSN_IJSD_SD_EEES6_PiJS6_EEE10hipError_tPvRmT3_T4_T5_T6_T7_T9_mT8_P12ihipStream_tbDpT10_ENKUlT_T0_E_clISt17integral_constantIbLb0EES1A_IbLb1EEEEDaS16_S17_EUlS16_E_NS1_11comp_targetILNS1_3genE10ELNS1_11target_archE1200ELNS1_3gpuE4ELNS1_3repE0EEENS1_30default_config_static_selectorELNS0_4arch9wavefront6targetE0EEEvT1_.numbered_sgpr, 24
	.set _ZN7rocprim17ROCPRIM_400000_NS6detail17trampoline_kernelINS0_14default_configENS1_25partition_config_selectorILNS1_17partition_subalgoE5ElNS0_10empty_typeEbEEZZNS1_14partition_implILS5_5ELb0ES3_mN6hipcub16HIPCUB_304000_NS21CountingInputIteratorIllEEPS6_NSA_22TransformInputIteratorIbN2at6native12_GLOBAL__N_19NonZeroOpIlEEPKllEENS0_5tupleIJPlS6_EEENSN_IJSD_SD_EEES6_PiJS6_EEE10hipError_tPvRmT3_T4_T5_T6_T7_T9_mT8_P12ihipStream_tbDpT10_ENKUlT_T0_E_clISt17integral_constantIbLb0EES1A_IbLb1EEEEDaS16_S17_EUlS16_E_NS1_11comp_targetILNS1_3genE10ELNS1_11target_archE1200ELNS1_3gpuE4ELNS1_3repE0EEENS1_30default_config_static_selectorELNS0_4arch9wavefront6targetE0EEEvT1_.num_named_barrier, 0
	.set _ZN7rocprim17ROCPRIM_400000_NS6detail17trampoline_kernelINS0_14default_configENS1_25partition_config_selectorILNS1_17partition_subalgoE5ElNS0_10empty_typeEbEEZZNS1_14partition_implILS5_5ELb0ES3_mN6hipcub16HIPCUB_304000_NS21CountingInputIteratorIllEEPS6_NSA_22TransformInputIteratorIbN2at6native12_GLOBAL__N_19NonZeroOpIlEEPKllEENS0_5tupleIJPlS6_EEENSN_IJSD_SD_EEES6_PiJS6_EEE10hipError_tPvRmT3_T4_T5_T6_T7_T9_mT8_P12ihipStream_tbDpT10_ENKUlT_T0_E_clISt17integral_constantIbLb0EES1A_IbLb1EEEEDaS16_S17_EUlS16_E_NS1_11comp_targetILNS1_3genE10ELNS1_11target_archE1200ELNS1_3gpuE4ELNS1_3repE0EEENS1_30default_config_static_selectorELNS0_4arch9wavefront6targetE0EEEvT1_.private_seg_size, 0
	.set _ZN7rocprim17ROCPRIM_400000_NS6detail17trampoline_kernelINS0_14default_configENS1_25partition_config_selectorILNS1_17partition_subalgoE5ElNS0_10empty_typeEbEEZZNS1_14partition_implILS5_5ELb0ES3_mN6hipcub16HIPCUB_304000_NS21CountingInputIteratorIllEEPS6_NSA_22TransformInputIteratorIbN2at6native12_GLOBAL__N_19NonZeroOpIlEEPKllEENS0_5tupleIJPlS6_EEENSN_IJSD_SD_EEES6_PiJS6_EEE10hipError_tPvRmT3_T4_T5_T6_T7_T9_mT8_P12ihipStream_tbDpT10_ENKUlT_T0_E_clISt17integral_constantIbLb0EES1A_IbLb1EEEEDaS16_S17_EUlS16_E_NS1_11comp_targetILNS1_3genE10ELNS1_11target_archE1200ELNS1_3gpuE4ELNS1_3repE0EEENS1_30default_config_static_selectorELNS0_4arch9wavefront6targetE0EEEvT1_.uses_vcc, 1
	.set _ZN7rocprim17ROCPRIM_400000_NS6detail17trampoline_kernelINS0_14default_configENS1_25partition_config_selectorILNS1_17partition_subalgoE5ElNS0_10empty_typeEbEEZZNS1_14partition_implILS5_5ELb0ES3_mN6hipcub16HIPCUB_304000_NS21CountingInputIteratorIllEEPS6_NSA_22TransformInputIteratorIbN2at6native12_GLOBAL__N_19NonZeroOpIlEEPKllEENS0_5tupleIJPlS6_EEENSN_IJSD_SD_EEES6_PiJS6_EEE10hipError_tPvRmT3_T4_T5_T6_T7_T9_mT8_P12ihipStream_tbDpT10_ENKUlT_T0_E_clISt17integral_constantIbLb0EES1A_IbLb1EEEEDaS16_S17_EUlS16_E_NS1_11comp_targetILNS1_3genE10ELNS1_11target_archE1200ELNS1_3gpuE4ELNS1_3repE0EEENS1_30default_config_static_selectorELNS0_4arch9wavefront6targetE0EEEvT1_.uses_flat_scratch, 0
	.set _ZN7rocprim17ROCPRIM_400000_NS6detail17trampoline_kernelINS0_14default_configENS1_25partition_config_selectorILNS1_17partition_subalgoE5ElNS0_10empty_typeEbEEZZNS1_14partition_implILS5_5ELb0ES3_mN6hipcub16HIPCUB_304000_NS21CountingInputIteratorIllEEPS6_NSA_22TransformInputIteratorIbN2at6native12_GLOBAL__N_19NonZeroOpIlEEPKllEENS0_5tupleIJPlS6_EEENSN_IJSD_SD_EEES6_PiJS6_EEE10hipError_tPvRmT3_T4_T5_T6_T7_T9_mT8_P12ihipStream_tbDpT10_ENKUlT_T0_E_clISt17integral_constantIbLb0EES1A_IbLb1EEEEDaS16_S17_EUlS16_E_NS1_11comp_targetILNS1_3genE10ELNS1_11target_archE1200ELNS1_3gpuE4ELNS1_3repE0EEENS1_30default_config_static_selectorELNS0_4arch9wavefront6targetE0EEEvT1_.has_dyn_sized_stack, 0
	.set _ZN7rocprim17ROCPRIM_400000_NS6detail17trampoline_kernelINS0_14default_configENS1_25partition_config_selectorILNS1_17partition_subalgoE5ElNS0_10empty_typeEbEEZZNS1_14partition_implILS5_5ELb0ES3_mN6hipcub16HIPCUB_304000_NS21CountingInputIteratorIllEEPS6_NSA_22TransformInputIteratorIbN2at6native12_GLOBAL__N_19NonZeroOpIlEEPKllEENS0_5tupleIJPlS6_EEENSN_IJSD_SD_EEES6_PiJS6_EEE10hipError_tPvRmT3_T4_T5_T6_T7_T9_mT8_P12ihipStream_tbDpT10_ENKUlT_T0_E_clISt17integral_constantIbLb0EES1A_IbLb1EEEEDaS16_S17_EUlS16_E_NS1_11comp_targetILNS1_3genE10ELNS1_11target_archE1200ELNS1_3gpuE4ELNS1_3repE0EEENS1_30default_config_static_selectorELNS0_4arch9wavefront6targetE0EEEvT1_.has_recursion, 0
	.set _ZN7rocprim17ROCPRIM_400000_NS6detail17trampoline_kernelINS0_14default_configENS1_25partition_config_selectorILNS1_17partition_subalgoE5ElNS0_10empty_typeEbEEZZNS1_14partition_implILS5_5ELb0ES3_mN6hipcub16HIPCUB_304000_NS21CountingInputIteratorIllEEPS6_NSA_22TransformInputIteratorIbN2at6native12_GLOBAL__N_19NonZeroOpIlEEPKllEENS0_5tupleIJPlS6_EEENSN_IJSD_SD_EEES6_PiJS6_EEE10hipError_tPvRmT3_T4_T5_T6_T7_T9_mT8_P12ihipStream_tbDpT10_ENKUlT_T0_E_clISt17integral_constantIbLb0EES1A_IbLb1EEEEDaS16_S17_EUlS16_E_NS1_11comp_targetILNS1_3genE10ELNS1_11target_archE1200ELNS1_3gpuE4ELNS1_3repE0EEENS1_30default_config_static_selectorELNS0_4arch9wavefront6targetE0EEEvT1_.has_indirect_call, 0
	.section	.AMDGPU.csdata,"",@progbits
; Kernel info:
; codeLenInByte = 6936
; TotalNumSgprs: 26
; NumVgprs: 48
; ScratchSize: 0
; MemoryBound: 0
; FloatMode: 240
; IeeeMode: 1
; LDSByteSize: 8464 bytes/workgroup (compile time only)
; SGPRBlocks: 0
; VGPRBlocks: 5
; NumSGPRsForWavesPerEU: 26
; NumVGPRsForWavesPerEU: 48
; Occupancy: 16
; WaveLimiterHint : 1
; COMPUTE_PGM_RSRC2:SCRATCH_EN: 0
; COMPUTE_PGM_RSRC2:USER_SGPR: 2
; COMPUTE_PGM_RSRC2:TRAP_HANDLER: 0
; COMPUTE_PGM_RSRC2:TGID_X_EN: 1
; COMPUTE_PGM_RSRC2:TGID_Y_EN: 0
; COMPUTE_PGM_RSRC2:TGID_Z_EN: 0
; COMPUTE_PGM_RSRC2:TIDIG_COMP_CNT: 0
	.section	.text._ZN7rocprim17ROCPRIM_400000_NS6detail17trampoline_kernelINS0_14default_configENS1_25partition_config_selectorILNS1_17partition_subalgoE5ElNS0_10empty_typeEbEEZZNS1_14partition_implILS5_5ELb0ES3_mN6hipcub16HIPCUB_304000_NS21CountingInputIteratorIllEEPS6_NSA_22TransformInputIteratorIbN2at6native12_GLOBAL__N_19NonZeroOpIlEEPKllEENS0_5tupleIJPlS6_EEENSN_IJSD_SD_EEES6_PiJS6_EEE10hipError_tPvRmT3_T4_T5_T6_T7_T9_mT8_P12ihipStream_tbDpT10_ENKUlT_T0_E_clISt17integral_constantIbLb0EES1A_IbLb1EEEEDaS16_S17_EUlS16_E_NS1_11comp_targetILNS1_3genE9ELNS1_11target_archE1100ELNS1_3gpuE3ELNS1_3repE0EEENS1_30default_config_static_selectorELNS0_4arch9wavefront6targetE0EEEvT1_,"axG",@progbits,_ZN7rocprim17ROCPRIM_400000_NS6detail17trampoline_kernelINS0_14default_configENS1_25partition_config_selectorILNS1_17partition_subalgoE5ElNS0_10empty_typeEbEEZZNS1_14partition_implILS5_5ELb0ES3_mN6hipcub16HIPCUB_304000_NS21CountingInputIteratorIllEEPS6_NSA_22TransformInputIteratorIbN2at6native12_GLOBAL__N_19NonZeroOpIlEEPKllEENS0_5tupleIJPlS6_EEENSN_IJSD_SD_EEES6_PiJS6_EEE10hipError_tPvRmT3_T4_T5_T6_T7_T9_mT8_P12ihipStream_tbDpT10_ENKUlT_T0_E_clISt17integral_constantIbLb0EES1A_IbLb1EEEEDaS16_S17_EUlS16_E_NS1_11comp_targetILNS1_3genE9ELNS1_11target_archE1100ELNS1_3gpuE3ELNS1_3repE0EEENS1_30default_config_static_selectorELNS0_4arch9wavefront6targetE0EEEvT1_,comdat
	.globl	_ZN7rocprim17ROCPRIM_400000_NS6detail17trampoline_kernelINS0_14default_configENS1_25partition_config_selectorILNS1_17partition_subalgoE5ElNS0_10empty_typeEbEEZZNS1_14partition_implILS5_5ELb0ES3_mN6hipcub16HIPCUB_304000_NS21CountingInputIteratorIllEEPS6_NSA_22TransformInputIteratorIbN2at6native12_GLOBAL__N_19NonZeroOpIlEEPKllEENS0_5tupleIJPlS6_EEENSN_IJSD_SD_EEES6_PiJS6_EEE10hipError_tPvRmT3_T4_T5_T6_T7_T9_mT8_P12ihipStream_tbDpT10_ENKUlT_T0_E_clISt17integral_constantIbLb0EES1A_IbLb1EEEEDaS16_S17_EUlS16_E_NS1_11comp_targetILNS1_3genE9ELNS1_11target_archE1100ELNS1_3gpuE3ELNS1_3repE0EEENS1_30default_config_static_selectorELNS0_4arch9wavefront6targetE0EEEvT1_ ; -- Begin function _ZN7rocprim17ROCPRIM_400000_NS6detail17trampoline_kernelINS0_14default_configENS1_25partition_config_selectorILNS1_17partition_subalgoE5ElNS0_10empty_typeEbEEZZNS1_14partition_implILS5_5ELb0ES3_mN6hipcub16HIPCUB_304000_NS21CountingInputIteratorIllEEPS6_NSA_22TransformInputIteratorIbN2at6native12_GLOBAL__N_19NonZeroOpIlEEPKllEENS0_5tupleIJPlS6_EEENSN_IJSD_SD_EEES6_PiJS6_EEE10hipError_tPvRmT3_T4_T5_T6_T7_T9_mT8_P12ihipStream_tbDpT10_ENKUlT_T0_E_clISt17integral_constantIbLb0EES1A_IbLb1EEEEDaS16_S17_EUlS16_E_NS1_11comp_targetILNS1_3genE9ELNS1_11target_archE1100ELNS1_3gpuE3ELNS1_3repE0EEENS1_30default_config_static_selectorELNS0_4arch9wavefront6targetE0EEEvT1_
	.p2align	8
	.type	_ZN7rocprim17ROCPRIM_400000_NS6detail17trampoline_kernelINS0_14default_configENS1_25partition_config_selectorILNS1_17partition_subalgoE5ElNS0_10empty_typeEbEEZZNS1_14partition_implILS5_5ELb0ES3_mN6hipcub16HIPCUB_304000_NS21CountingInputIteratorIllEEPS6_NSA_22TransformInputIteratorIbN2at6native12_GLOBAL__N_19NonZeroOpIlEEPKllEENS0_5tupleIJPlS6_EEENSN_IJSD_SD_EEES6_PiJS6_EEE10hipError_tPvRmT3_T4_T5_T6_T7_T9_mT8_P12ihipStream_tbDpT10_ENKUlT_T0_E_clISt17integral_constantIbLb0EES1A_IbLb1EEEEDaS16_S17_EUlS16_E_NS1_11comp_targetILNS1_3genE9ELNS1_11target_archE1100ELNS1_3gpuE3ELNS1_3repE0EEENS1_30default_config_static_selectorELNS0_4arch9wavefront6targetE0EEEvT1_,@function
_ZN7rocprim17ROCPRIM_400000_NS6detail17trampoline_kernelINS0_14default_configENS1_25partition_config_selectorILNS1_17partition_subalgoE5ElNS0_10empty_typeEbEEZZNS1_14partition_implILS5_5ELb0ES3_mN6hipcub16HIPCUB_304000_NS21CountingInputIteratorIllEEPS6_NSA_22TransformInputIteratorIbN2at6native12_GLOBAL__N_19NonZeroOpIlEEPKllEENS0_5tupleIJPlS6_EEENSN_IJSD_SD_EEES6_PiJS6_EEE10hipError_tPvRmT3_T4_T5_T6_T7_T9_mT8_P12ihipStream_tbDpT10_ENKUlT_T0_E_clISt17integral_constantIbLb0EES1A_IbLb1EEEEDaS16_S17_EUlS16_E_NS1_11comp_targetILNS1_3genE9ELNS1_11target_archE1100ELNS1_3gpuE3ELNS1_3repE0EEENS1_30default_config_static_selectorELNS0_4arch9wavefront6targetE0EEEvT1_: ; @_ZN7rocprim17ROCPRIM_400000_NS6detail17trampoline_kernelINS0_14default_configENS1_25partition_config_selectorILNS1_17partition_subalgoE5ElNS0_10empty_typeEbEEZZNS1_14partition_implILS5_5ELb0ES3_mN6hipcub16HIPCUB_304000_NS21CountingInputIteratorIllEEPS6_NSA_22TransformInputIteratorIbN2at6native12_GLOBAL__N_19NonZeroOpIlEEPKllEENS0_5tupleIJPlS6_EEENSN_IJSD_SD_EEES6_PiJS6_EEE10hipError_tPvRmT3_T4_T5_T6_T7_T9_mT8_P12ihipStream_tbDpT10_ENKUlT_T0_E_clISt17integral_constantIbLb0EES1A_IbLb1EEEEDaS16_S17_EUlS16_E_NS1_11comp_targetILNS1_3genE9ELNS1_11target_archE1100ELNS1_3gpuE3ELNS1_3repE0EEENS1_30default_config_static_selectorELNS0_4arch9wavefront6targetE0EEEvT1_
; %bb.0:
	.section	.rodata,"a",@progbits
	.p2align	6, 0x0
	.amdhsa_kernel _ZN7rocprim17ROCPRIM_400000_NS6detail17trampoline_kernelINS0_14default_configENS1_25partition_config_selectorILNS1_17partition_subalgoE5ElNS0_10empty_typeEbEEZZNS1_14partition_implILS5_5ELb0ES3_mN6hipcub16HIPCUB_304000_NS21CountingInputIteratorIllEEPS6_NSA_22TransformInputIteratorIbN2at6native12_GLOBAL__N_19NonZeroOpIlEEPKllEENS0_5tupleIJPlS6_EEENSN_IJSD_SD_EEES6_PiJS6_EEE10hipError_tPvRmT3_T4_T5_T6_T7_T9_mT8_P12ihipStream_tbDpT10_ENKUlT_T0_E_clISt17integral_constantIbLb0EES1A_IbLb1EEEEDaS16_S17_EUlS16_E_NS1_11comp_targetILNS1_3genE9ELNS1_11target_archE1100ELNS1_3gpuE3ELNS1_3repE0EEENS1_30default_config_static_selectorELNS0_4arch9wavefront6targetE0EEEvT1_
		.amdhsa_group_segment_fixed_size 0
		.amdhsa_private_segment_fixed_size 0
		.amdhsa_kernarg_size 136
		.amdhsa_user_sgpr_count 2
		.amdhsa_user_sgpr_dispatch_ptr 0
		.amdhsa_user_sgpr_queue_ptr 0
		.amdhsa_user_sgpr_kernarg_segment_ptr 1
		.amdhsa_user_sgpr_dispatch_id 0
		.amdhsa_user_sgpr_private_segment_size 0
		.amdhsa_wavefront_size32 1
		.amdhsa_uses_dynamic_stack 0
		.amdhsa_enable_private_segment 0
		.amdhsa_system_sgpr_workgroup_id_x 1
		.amdhsa_system_sgpr_workgroup_id_y 0
		.amdhsa_system_sgpr_workgroup_id_z 0
		.amdhsa_system_sgpr_workgroup_info 0
		.amdhsa_system_vgpr_workitem_id 0
		.amdhsa_next_free_vgpr 1
		.amdhsa_next_free_sgpr 1
		.amdhsa_reserve_vcc 0
		.amdhsa_float_round_mode_32 0
		.amdhsa_float_round_mode_16_64 0
		.amdhsa_float_denorm_mode_32 3
		.amdhsa_float_denorm_mode_16_64 3
		.amdhsa_fp16_overflow 0
		.amdhsa_workgroup_processor_mode 1
		.amdhsa_memory_ordered 1
		.amdhsa_forward_progress 1
		.amdhsa_inst_pref_size 0
		.amdhsa_round_robin_scheduling 0
		.amdhsa_exception_fp_ieee_invalid_op 0
		.amdhsa_exception_fp_denorm_src 0
		.amdhsa_exception_fp_ieee_div_zero 0
		.amdhsa_exception_fp_ieee_overflow 0
		.amdhsa_exception_fp_ieee_underflow 0
		.amdhsa_exception_fp_ieee_inexact 0
		.amdhsa_exception_int_div_zero 0
	.end_amdhsa_kernel
	.section	.text._ZN7rocprim17ROCPRIM_400000_NS6detail17trampoline_kernelINS0_14default_configENS1_25partition_config_selectorILNS1_17partition_subalgoE5ElNS0_10empty_typeEbEEZZNS1_14partition_implILS5_5ELb0ES3_mN6hipcub16HIPCUB_304000_NS21CountingInputIteratorIllEEPS6_NSA_22TransformInputIteratorIbN2at6native12_GLOBAL__N_19NonZeroOpIlEEPKllEENS0_5tupleIJPlS6_EEENSN_IJSD_SD_EEES6_PiJS6_EEE10hipError_tPvRmT3_T4_T5_T6_T7_T9_mT8_P12ihipStream_tbDpT10_ENKUlT_T0_E_clISt17integral_constantIbLb0EES1A_IbLb1EEEEDaS16_S17_EUlS16_E_NS1_11comp_targetILNS1_3genE9ELNS1_11target_archE1100ELNS1_3gpuE3ELNS1_3repE0EEENS1_30default_config_static_selectorELNS0_4arch9wavefront6targetE0EEEvT1_,"axG",@progbits,_ZN7rocprim17ROCPRIM_400000_NS6detail17trampoline_kernelINS0_14default_configENS1_25partition_config_selectorILNS1_17partition_subalgoE5ElNS0_10empty_typeEbEEZZNS1_14partition_implILS5_5ELb0ES3_mN6hipcub16HIPCUB_304000_NS21CountingInputIteratorIllEEPS6_NSA_22TransformInputIteratorIbN2at6native12_GLOBAL__N_19NonZeroOpIlEEPKllEENS0_5tupleIJPlS6_EEENSN_IJSD_SD_EEES6_PiJS6_EEE10hipError_tPvRmT3_T4_T5_T6_T7_T9_mT8_P12ihipStream_tbDpT10_ENKUlT_T0_E_clISt17integral_constantIbLb0EES1A_IbLb1EEEEDaS16_S17_EUlS16_E_NS1_11comp_targetILNS1_3genE9ELNS1_11target_archE1100ELNS1_3gpuE3ELNS1_3repE0EEENS1_30default_config_static_selectorELNS0_4arch9wavefront6targetE0EEEvT1_,comdat
.Lfunc_end284:
	.size	_ZN7rocprim17ROCPRIM_400000_NS6detail17trampoline_kernelINS0_14default_configENS1_25partition_config_selectorILNS1_17partition_subalgoE5ElNS0_10empty_typeEbEEZZNS1_14partition_implILS5_5ELb0ES3_mN6hipcub16HIPCUB_304000_NS21CountingInputIteratorIllEEPS6_NSA_22TransformInputIteratorIbN2at6native12_GLOBAL__N_19NonZeroOpIlEEPKllEENS0_5tupleIJPlS6_EEENSN_IJSD_SD_EEES6_PiJS6_EEE10hipError_tPvRmT3_T4_T5_T6_T7_T9_mT8_P12ihipStream_tbDpT10_ENKUlT_T0_E_clISt17integral_constantIbLb0EES1A_IbLb1EEEEDaS16_S17_EUlS16_E_NS1_11comp_targetILNS1_3genE9ELNS1_11target_archE1100ELNS1_3gpuE3ELNS1_3repE0EEENS1_30default_config_static_selectorELNS0_4arch9wavefront6targetE0EEEvT1_, .Lfunc_end284-_ZN7rocprim17ROCPRIM_400000_NS6detail17trampoline_kernelINS0_14default_configENS1_25partition_config_selectorILNS1_17partition_subalgoE5ElNS0_10empty_typeEbEEZZNS1_14partition_implILS5_5ELb0ES3_mN6hipcub16HIPCUB_304000_NS21CountingInputIteratorIllEEPS6_NSA_22TransformInputIteratorIbN2at6native12_GLOBAL__N_19NonZeroOpIlEEPKllEENS0_5tupleIJPlS6_EEENSN_IJSD_SD_EEES6_PiJS6_EEE10hipError_tPvRmT3_T4_T5_T6_T7_T9_mT8_P12ihipStream_tbDpT10_ENKUlT_T0_E_clISt17integral_constantIbLb0EES1A_IbLb1EEEEDaS16_S17_EUlS16_E_NS1_11comp_targetILNS1_3genE9ELNS1_11target_archE1100ELNS1_3gpuE3ELNS1_3repE0EEENS1_30default_config_static_selectorELNS0_4arch9wavefront6targetE0EEEvT1_
                                        ; -- End function
	.set _ZN7rocprim17ROCPRIM_400000_NS6detail17trampoline_kernelINS0_14default_configENS1_25partition_config_selectorILNS1_17partition_subalgoE5ElNS0_10empty_typeEbEEZZNS1_14partition_implILS5_5ELb0ES3_mN6hipcub16HIPCUB_304000_NS21CountingInputIteratorIllEEPS6_NSA_22TransformInputIteratorIbN2at6native12_GLOBAL__N_19NonZeroOpIlEEPKllEENS0_5tupleIJPlS6_EEENSN_IJSD_SD_EEES6_PiJS6_EEE10hipError_tPvRmT3_T4_T5_T6_T7_T9_mT8_P12ihipStream_tbDpT10_ENKUlT_T0_E_clISt17integral_constantIbLb0EES1A_IbLb1EEEEDaS16_S17_EUlS16_E_NS1_11comp_targetILNS1_3genE9ELNS1_11target_archE1100ELNS1_3gpuE3ELNS1_3repE0EEENS1_30default_config_static_selectorELNS0_4arch9wavefront6targetE0EEEvT1_.num_vgpr, 0
	.set _ZN7rocprim17ROCPRIM_400000_NS6detail17trampoline_kernelINS0_14default_configENS1_25partition_config_selectorILNS1_17partition_subalgoE5ElNS0_10empty_typeEbEEZZNS1_14partition_implILS5_5ELb0ES3_mN6hipcub16HIPCUB_304000_NS21CountingInputIteratorIllEEPS6_NSA_22TransformInputIteratorIbN2at6native12_GLOBAL__N_19NonZeroOpIlEEPKllEENS0_5tupleIJPlS6_EEENSN_IJSD_SD_EEES6_PiJS6_EEE10hipError_tPvRmT3_T4_T5_T6_T7_T9_mT8_P12ihipStream_tbDpT10_ENKUlT_T0_E_clISt17integral_constantIbLb0EES1A_IbLb1EEEEDaS16_S17_EUlS16_E_NS1_11comp_targetILNS1_3genE9ELNS1_11target_archE1100ELNS1_3gpuE3ELNS1_3repE0EEENS1_30default_config_static_selectorELNS0_4arch9wavefront6targetE0EEEvT1_.num_agpr, 0
	.set _ZN7rocprim17ROCPRIM_400000_NS6detail17trampoline_kernelINS0_14default_configENS1_25partition_config_selectorILNS1_17partition_subalgoE5ElNS0_10empty_typeEbEEZZNS1_14partition_implILS5_5ELb0ES3_mN6hipcub16HIPCUB_304000_NS21CountingInputIteratorIllEEPS6_NSA_22TransformInputIteratorIbN2at6native12_GLOBAL__N_19NonZeroOpIlEEPKllEENS0_5tupleIJPlS6_EEENSN_IJSD_SD_EEES6_PiJS6_EEE10hipError_tPvRmT3_T4_T5_T6_T7_T9_mT8_P12ihipStream_tbDpT10_ENKUlT_T0_E_clISt17integral_constantIbLb0EES1A_IbLb1EEEEDaS16_S17_EUlS16_E_NS1_11comp_targetILNS1_3genE9ELNS1_11target_archE1100ELNS1_3gpuE3ELNS1_3repE0EEENS1_30default_config_static_selectorELNS0_4arch9wavefront6targetE0EEEvT1_.numbered_sgpr, 0
	.set _ZN7rocprim17ROCPRIM_400000_NS6detail17trampoline_kernelINS0_14default_configENS1_25partition_config_selectorILNS1_17partition_subalgoE5ElNS0_10empty_typeEbEEZZNS1_14partition_implILS5_5ELb0ES3_mN6hipcub16HIPCUB_304000_NS21CountingInputIteratorIllEEPS6_NSA_22TransformInputIteratorIbN2at6native12_GLOBAL__N_19NonZeroOpIlEEPKllEENS0_5tupleIJPlS6_EEENSN_IJSD_SD_EEES6_PiJS6_EEE10hipError_tPvRmT3_T4_T5_T6_T7_T9_mT8_P12ihipStream_tbDpT10_ENKUlT_T0_E_clISt17integral_constantIbLb0EES1A_IbLb1EEEEDaS16_S17_EUlS16_E_NS1_11comp_targetILNS1_3genE9ELNS1_11target_archE1100ELNS1_3gpuE3ELNS1_3repE0EEENS1_30default_config_static_selectorELNS0_4arch9wavefront6targetE0EEEvT1_.num_named_barrier, 0
	.set _ZN7rocprim17ROCPRIM_400000_NS6detail17trampoline_kernelINS0_14default_configENS1_25partition_config_selectorILNS1_17partition_subalgoE5ElNS0_10empty_typeEbEEZZNS1_14partition_implILS5_5ELb0ES3_mN6hipcub16HIPCUB_304000_NS21CountingInputIteratorIllEEPS6_NSA_22TransformInputIteratorIbN2at6native12_GLOBAL__N_19NonZeroOpIlEEPKllEENS0_5tupleIJPlS6_EEENSN_IJSD_SD_EEES6_PiJS6_EEE10hipError_tPvRmT3_T4_T5_T6_T7_T9_mT8_P12ihipStream_tbDpT10_ENKUlT_T0_E_clISt17integral_constantIbLb0EES1A_IbLb1EEEEDaS16_S17_EUlS16_E_NS1_11comp_targetILNS1_3genE9ELNS1_11target_archE1100ELNS1_3gpuE3ELNS1_3repE0EEENS1_30default_config_static_selectorELNS0_4arch9wavefront6targetE0EEEvT1_.private_seg_size, 0
	.set _ZN7rocprim17ROCPRIM_400000_NS6detail17trampoline_kernelINS0_14default_configENS1_25partition_config_selectorILNS1_17partition_subalgoE5ElNS0_10empty_typeEbEEZZNS1_14partition_implILS5_5ELb0ES3_mN6hipcub16HIPCUB_304000_NS21CountingInputIteratorIllEEPS6_NSA_22TransformInputIteratorIbN2at6native12_GLOBAL__N_19NonZeroOpIlEEPKllEENS0_5tupleIJPlS6_EEENSN_IJSD_SD_EEES6_PiJS6_EEE10hipError_tPvRmT3_T4_T5_T6_T7_T9_mT8_P12ihipStream_tbDpT10_ENKUlT_T0_E_clISt17integral_constantIbLb0EES1A_IbLb1EEEEDaS16_S17_EUlS16_E_NS1_11comp_targetILNS1_3genE9ELNS1_11target_archE1100ELNS1_3gpuE3ELNS1_3repE0EEENS1_30default_config_static_selectorELNS0_4arch9wavefront6targetE0EEEvT1_.uses_vcc, 0
	.set _ZN7rocprim17ROCPRIM_400000_NS6detail17trampoline_kernelINS0_14default_configENS1_25partition_config_selectorILNS1_17partition_subalgoE5ElNS0_10empty_typeEbEEZZNS1_14partition_implILS5_5ELb0ES3_mN6hipcub16HIPCUB_304000_NS21CountingInputIteratorIllEEPS6_NSA_22TransformInputIteratorIbN2at6native12_GLOBAL__N_19NonZeroOpIlEEPKllEENS0_5tupleIJPlS6_EEENSN_IJSD_SD_EEES6_PiJS6_EEE10hipError_tPvRmT3_T4_T5_T6_T7_T9_mT8_P12ihipStream_tbDpT10_ENKUlT_T0_E_clISt17integral_constantIbLb0EES1A_IbLb1EEEEDaS16_S17_EUlS16_E_NS1_11comp_targetILNS1_3genE9ELNS1_11target_archE1100ELNS1_3gpuE3ELNS1_3repE0EEENS1_30default_config_static_selectorELNS0_4arch9wavefront6targetE0EEEvT1_.uses_flat_scratch, 0
	.set _ZN7rocprim17ROCPRIM_400000_NS6detail17trampoline_kernelINS0_14default_configENS1_25partition_config_selectorILNS1_17partition_subalgoE5ElNS0_10empty_typeEbEEZZNS1_14partition_implILS5_5ELb0ES3_mN6hipcub16HIPCUB_304000_NS21CountingInputIteratorIllEEPS6_NSA_22TransformInputIteratorIbN2at6native12_GLOBAL__N_19NonZeroOpIlEEPKllEENS0_5tupleIJPlS6_EEENSN_IJSD_SD_EEES6_PiJS6_EEE10hipError_tPvRmT3_T4_T5_T6_T7_T9_mT8_P12ihipStream_tbDpT10_ENKUlT_T0_E_clISt17integral_constantIbLb0EES1A_IbLb1EEEEDaS16_S17_EUlS16_E_NS1_11comp_targetILNS1_3genE9ELNS1_11target_archE1100ELNS1_3gpuE3ELNS1_3repE0EEENS1_30default_config_static_selectorELNS0_4arch9wavefront6targetE0EEEvT1_.has_dyn_sized_stack, 0
	.set _ZN7rocprim17ROCPRIM_400000_NS6detail17trampoline_kernelINS0_14default_configENS1_25partition_config_selectorILNS1_17partition_subalgoE5ElNS0_10empty_typeEbEEZZNS1_14partition_implILS5_5ELb0ES3_mN6hipcub16HIPCUB_304000_NS21CountingInputIteratorIllEEPS6_NSA_22TransformInputIteratorIbN2at6native12_GLOBAL__N_19NonZeroOpIlEEPKllEENS0_5tupleIJPlS6_EEENSN_IJSD_SD_EEES6_PiJS6_EEE10hipError_tPvRmT3_T4_T5_T6_T7_T9_mT8_P12ihipStream_tbDpT10_ENKUlT_T0_E_clISt17integral_constantIbLb0EES1A_IbLb1EEEEDaS16_S17_EUlS16_E_NS1_11comp_targetILNS1_3genE9ELNS1_11target_archE1100ELNS1_3gpuE3ELNS1_3repE0EEENS1_30default_config_static_selectorELNS0_4arch9wavefront6targetE0EEEvT1_.has_recursion, 0
	.set _ZN7rocprim17ROCPRIM_400000_NS6detail17trampoline_kernelINS0_14default_configENS1_25partition_config_selectorILNS1_17partition_subalgoE5ElNS0_10empty_typeEbEEZZNS1_14partition_implILS5_5ELb0ES3_mN6hipcub16HIPCUB_304000_NS21CountingInputIteratorIllEEPS6_NSA_22TransformInputIteratorIbN2at6native12_GLOBAL__N_19NonZeroOpIlEEPKllEENS0_5tupleIJPlS6_EEENSN_IJSD_SD_EEES6_PiJS6_EEE10hipError_tPvRmT3_T4_T5_T6_T7_T9_mT8_P12ihipStream_tbDpT10_ENKUlT_T0_E_clISt17integral_constantIbLb0EES1A_IbLb1EEEEDaS16_S17_EUlS16_E_NS1_11comp_targetILNS1_3genE9ELNS1_11target_archE1100ELNS1_3gpuE3ELNS1_3repE0EEENS1_30default_config_static_selectorELNS0_4arch9wavefront6targetE0EEEvT1_.has_indirect_call, 0
	.section	.AMDGPU.csdata,"",@progbits
; Kernel info:
; codeLenInByte = 0
; TotalNumSgprs: 0
; NumVgprs: 0
; ScratchSize: 0
; MemoryBound: 0
; FloatMode: 240
; IeeeMode: 1
; LDSByteSize: 0 bytes/workgroup (compile time only)
; SGPRBlocks: 0
; VGPRBlocks: 0
; NumSGPRsForWavesPerEU: 1
; NumVGPRsForWavesPerEU: 1
; Occupancy: 16
; WaveLimiterHint : 0
; COMPUTE_PGM_RSRC2:SCRATCH_EN: 0
; COMPUTE_PGM_RSRC2:USER_SGPR: 2
; COMPUTE_PGM_RSRC2:TRAP_HANDLER: 0
; COMPUTE_PGM_RSRC2:TGID_X_EN: 1
; COMPUTE_PGM_RSRC2:TGID_Y_EN: 0
; COMPUTE_PGM_RSRC2:TGID_Z_EN: 0
; COMPUTE_PGM_RSRC2:TIDIG_COMP_CNT: 0
	.section	.text._ZN7rocprim17ROCPRIM_400000_NS6detail17trampoline_kernelINS0_14default_configENS1_25partition_config_selectorILNS1_17partition_subalgoE5ElNS0_10empty_typeEbEEZZNS1_14partition_implILS5_5ELb0ES3_mN6hipcub16HIPCUB_304000_NS21CountingInputIteratorIllEEPS6_NSA_22TransformInputIteratorIbN2at6native12_GLOBAL__N_19NonZeroOpIlEEPKllEENS0_5tupleIJPlS6_EEENSN_IJSD_SD_EEES6_PiJS6_EEE10hipError_tPvRmT3_T4_T5_T6_T7_T9_mT8_P12ihipStream_tbDpT10_ENKUlT_T0_E_clISt17integral_constantIbLb0EES1A_IbLb1EEEEDaS16_S17_EUlS16_E_NS1_11comp_targetILNS1_3genE8ELNS1_11target_archE1030ELNS1_3gpuE2ELNS1_3repE0EEENS1_30default_config_static_selectorELNS0_4arch9wavefront6targetE0EEEvT1_,"axG",@progbits,_ZN7rocprim17ROCPRIM_400000_NS6detail17trampoline_kernelINS0_14default_configENS1_25partition_config_selectorILNS1_17partition_subalgoE5ElNS0_10empty_typeEbEEZZNS1_14partition_implILS5_5ELb0ES3_mN6hipcub16HIPCUB_304000_NS21CountingInputIteratorIllEEPS6_NSA_22TransformInputIteratorIbN2at6native12_GLOBAL__N_19NonZeroOpIlEEPKllEENS0_5tupleIJPlS6_EEENSN_IJSD_SD_EEES6_PiJS6_EEE10hipError_tPvRmT3_T4_T5_T6_T7_T9_mT8_P12ihipStream_tbDpT10_ENKUlT_T0_E_clISt17integral_constantIbLb0EES1A_IbLb1EEEEDaS16_S17_EUlS16_E_NS1_11comp_targetILNS1_3genE8ELNS1_11target_archE1030ELNS1_3gpuE2ELNS1_3repE0EEENS1_30default_config_static_selectorELNS0_4arch9wavefront6targetE0EEEvT1_,comdat
	.globl	_ZN7rocprim17ROCPRIM_400000_NS6detail17trampoline_kernelINS0_14default_configENS1_25partition_config_selectorILNS1_17partition_subalgoE5ElNS0_10empty_typeEbEEZZNS1_14partition_implILS5_5ELb0ES3_mN6hipcub16HIPCUB_304000_NS21CountingInputIteratorIllEEPS6_NSA_22TransformInputIteratorIbN2at6native12_GLOBAL__N_19NonZeroOpIlEEPKllEENS0_5tupleIJPlS6_EEENSN_IJSD_SD_EEES6_PiJS6_EEE10hipError_tPvRmT3_T4_T5_T6_T7_T9_mT8_P12ihipStream_tbDpT10_ENKUlT_T0_E_clISt17integral_constantIbLb0EES1A_IbLb1EEEEDaS16_S17_EUlS16_E_NS1_11comp_targetILNS1_3genE8ELNS1_11target_archE1030ELNS1_3gpuE2ELNS1_3repE0EEENS1_30default_config_static_selectorELNS0_4arch9wavefront6targetE0EEEvT1_ ; -- Begin function _ZN7rocprim17ROCPRIM_400000_NS6detail17trampoline_kernelINS0_14default_configENS1_25partition_config_selectorILNS1_17partition_subalgoE5ElNS0_10empty_typeEbEEZZNS1_14partition_implILS5_5ELb0ES3_mN6hipcub16HIPCUB_304000_NS21CountingInputIteratorIllEEPS6_NSA_22TransformInputIteratorIbN2at6native12_GLOBAL__N_19NonZeroOpIlEEPKllEENS0_5tupleIJPlS6_EEENSN_IJSD_SD_EEES6_PiJS6_EEE10hipError_tPvRmT3_T4_T5_T6_T7_T9_mT8_P12ihipStream_tbDpT10_ENKUlT_T0_E_clISt17integral_constantIbLb0EES1A_IbLb1EEEEDaS16_S17_EUlS16_E_NS1_11comp_targetILNS1_3genE8ELNS1_11target_archE1030ELNS1_3gpuE2ELNS1_3repE0EEENS1_30default_config_static_selectorELNS0_4arch9wavefront6targetE0EEEvT1_
	.p2align	8
	.type	_ZN7rocprim17ROCPRIM_400000_NS6detail17trampoline_kernelINS0_14default_configENS1_25partition_config_selectorILNS1_17partition_subalgoE5ElNS0_10empty_typeEbEEZZNS1_14partition_implILS5_5ELb0ES3_mN6hipcub16HIPCUB_304000_NS21CountingInputIteratorIllEEPS6_NSA_22TransformInputIteratorIbN2at6native12_GLOBAL__N_19NonZeroOpIlEEPKllEENS0_5tupleIJPlS6_EEENSN_IJSD_SD_EEES6_PiJS6_EEE10hipError_tPvRmT3_T4_T5_T6_T7_T9_mT8_P12ihipStream_tbDpT10_ENKUlT_T0_E_clISt17integral_constantIbLb0EES1A_IbLb1EEEEDaS16_S17_EUlS16_E_NS1_11comp_targetILNS1_3genE8ELNS1_11target_archE1030ELNS1_3gpuE2ELNS1_3repE0EEENS1_30default_config_static_selectorELNS0_4arch9wavefront6targetE0EEEvT1_,@function
_ZN7rocprim17ROCPRIM_400000_NS6detail17trampoline_kernelINS0_14default_configENS1_25partition_config_selectorILNS1_17partition_subalgoE5ElNS0_10empty_typeEbEEZZNS1_14partition_implILS5_5ELb0ES3_mN6hipcub16HIPCUB_304000_NS21CountingInputIteratorIllEEPS6_NSA_22TransformInputIteratorIbN2at6native12_GLOBAL__N_19NonZeroOpIlEEPKllEENS0_5tupleIJPlS6_EEENSN_IJSD_SD_EEES6_PiJS6_EEE10hipError_tPvRmT3_T4_T5_T6_T7_T9_mT8_P12ihipStream_tbDpT10_ENKUlT_T0_E_clISt17integral_constantIbLb0EES1A_IbLb1EEEEDaS16_S17_EUlS16_E_NS1_11comp_targetILNS1_3genE8ELNS1_11target_archE1030ELNS1_3gpuE2ELNS1_3repE0EEENS1_30default_config_static_selectorELNS0_4arch9wavefront6targetE0EEEvT1_: ; @_ZN7rocprim17ROCPRIM_400000_NS6detail17trampoline_kernelINS0_14default_configENS1_25partition_config_selectorILNS1_17partition_subalgoE5ElNS0_10empty_typeEbEEZZNS1_14partition_implILS5_5ELb0ES3_mN6hipcub16HIPCUB_304000_NS21CountingInputIteratorIllEEPS6_NSA_22TransformInputIteratorIbN2at6native12_GLOBAL__N_19NonZeroOpIlEEPKllEENS0_5tupleIJPlS6_EEENSN_IJSD_SD_EEES6_PiJS6_EEE10hipError_tPvRmT3_T4_T5_T6_T7_T9_mT8_P12ihipStream_tbDpT10_ENKUlT_T0_E_clISt17integral_constantIbLb0EES1A_IbLb1EEEEDaS16_S17_EUlS16_E_NS1_11comp_targetILNS1_3genE8ELNS1_11target_archE1030ELNS1_3gpuE2ELNS1_3repE0EEENS1_30default_config_static_selectorELNS0_4arch9wavefront6targetE0EEEvT1_
; %bb.0:
	.section	.rodata,"a",@progbits
	.p2align	6, 0x0
	.amdhsa_kernel _ZN7rocprim17ROCPRIM_400000_NS6detail17trampoline_kernelINS0_14default_configENS1_25partition_config_selectorILNS1_17partition_subalgoE5ElNS0_10empty_typeEbEEZZNS1_14partition_implILS5_5ELb0ES3_mN6hipcub16HIPCUB_304000_NS21CountingInputIteratorIllEEPS6_NSA_22TransformInputIteratorIbN2at6native12_GLOBAL__N_19NonZeroOpIlEEPKllEENS0_5tupleIJPlS6_EEENSN_IJSD_SD_EEES6_PiJS6_EEE10hipError_tPvRmT3_T4_T5_T6_T7_T9_mT8_P12ihipStream_tbDpT10_ENKUlT_T0_E_clISt17integral_constantIbLb0EES1A_IbLb1EEEEDaS16_S17_EUlS16_E_NS1_11comp_targetILNS1_3genE8ELNS1_11target_archE1030ELNS1_3gpuE2ELNS1_3repE0EEENS1_30default_config_static_selectorELNS0_4arch9wavefront6targetE0EEEvT1_
		.amdhsa_group_segment_fixed_size 0
		.amdhsa_private_segment_fixed_size 0
		.amdhsa_kernarg_size 136
		.amdhsa_user_sgpr_count 2
		.amdhsa_user_sgpr_dispatch_ptr 0
		.amdhsa_user_sgpr_queue_ptr 0
		.amdhsa_user_sgpr_kernarg_segment_ptr 1
		.amdhsa_user_sgpr_dispatch_id 0
		.amdhsa_user_sgpr_private_segment_size 0
		.amdhsa_wavefront_size32 1
		.amdhsa_uses_dynamic_stack 0
		.amdhsa_enable_private_segment 0
		.amdhsa_system_sgpr_workgroup_id_x 1
		.amdhsa_system_sgpr_workgroup_id_y 0
		.amdhsa_system_sgpr_workgroup_id_z 0
		.amdhsa_system_sgpr_workgroup_info 0
		.amdhsa_system_vgpr_workitem_id 0
		.amdhsa_next_free_vgpr 1
		.amdhsa_next_free_sgpr 1
		.amdhsa_reserve_vcc 0
		.amdhsa_float_round_mode_32 0
		.amdhsa_float_round_mode_16_64 0
		.amdhsa_float_denorm_mode_32 3
		.amdhsa_float_denorm_mode_16_64 3
		.amdhsa_fp16_overflow 0
		.amdhsa_workgroup_processor_mode 1
		.amdhsa_memory_ordered 1
		.amdhsa_forward_progress 1
		.amdhsa_inst_pref_size 0
		.amdhsa_round_robin_scheduling 0
		.amdhsa_exception_fp_ieee_invalid_op 0
		.amdhsa_exception_fp_denorm_src 0
		.amdhsa_exception_fp_ieee_div_zero 0
		.amdhsa_exception_fp_ieee_overflow 0
		.amdhsa_exception_fp_ieee_underflow 0
		.amdhsa_exception_fp_ieee_inexact 0
		.amdhsa_exception_int_div_zero 0
	.end_amdhsa_kernel
	.section	.text._ZN7rocprim17ROCPRIM_400000_NS6detail17trampoline_kernelINS0_14default_configENS1_25partition_config_selectorILNS1_17partition_subalgoE5ElNS0_10empty_typeEbEEZZNS1_14partition_implILS5_5ELb0ES3_mN6hipcub16HIPCUB_304000_NS21CountingInputIteratorIllEEPS6_NSA_22TransformInputIteratorIbN2at6native12_GLOBAL__N_19NonZeroOpIlEEPKllEENS0_5tupleIJPlS6_EEENSN_IJSD_SD_EEES6_PiJS6_EEE10hipError_tPvRmT3_T4_T5_T6_T7_T9_mT8_P12ihipStream_tbDpT10_ENKUlT_T0_E_clISt17integral_constantIbLb0EES1A_IbLb1EEEEDaS16_S17_EUlS16_E_NS1_11comp_targetILNS1_3genE8ELNS1_11target_archE1030ELNS1_3gpuE2ELNS1_3repE0EEENS1_30default_config_static_selectorELNS0_4arch9wavefront6targetE0EEEvT1_,"axG",@progbits,_ZN7rocprim17ROCPRIM_400000_NS6detail17trampoline_kernelINS0_14default_configENS1_25partition_config_selectorILNS1_17partition_subalgoE5ElNS0_10empty_typeEbEEZZNS1_14partition_implILS5_5ELb0ES3_mN6hipcub16HIPCUB_304000_NS21CountingInputIteratorIllEEPS6_NSA_22TransformInputIteratorIbN2at6native12_GLOBAL__N_19NonZeroOpIlEEPKllEENS0_5tupleIJPlS6_EEENSN_IJSD_SD_EEES6_PiJS6_EEE10hipError_tPvRmT3_T4_T5_T6_T7_T9_mT8_P12ihipStream_tbDpT10_ENKUlT_T0_E_clISt17integral_constantIbLb0EES1A_IbLb1EEEEDaS16_S17_EUlS16_E_NS1_11comp_targetILNS1_3genE8ELNS1_11target_archE1030ELNS1_3gpuE2ELNS1_3repE0EEENS1_30default_config_static_selectorELNS0_4arch9wavefront6targetE0EEEvT1_,comdat
.Lfunc_end285:
	.size	_ZN7rocprim17ROCPRIM_400000_NS6detail17trampoline_kernelINS0_14default_configENS1_25partition_config_selectorILNS1_17partition_subalgoE5ElNS0_10empty_typeEbEEZZNS1_14partition_implILS5_5ELb0ES3_mN6hipcub16HIPCUB_304000_NS21CountingInputIteratorIllEEPS6_NSA_22TransformInputIteratorIbN2at6native12_GLOBAL__N_19NonZeroOpIlEEPKllEENS0_5tupleIJPlS6_EEENSN_IJSD_SD_EEES6_PiJS6_EEE10hipError_tPvRmT3_T4_T5_T6_T7_T9_mT8_P12ihipStream_tbDpT10_ENKUlT_T0_E_clISt17integral_constantIbLb0EES1A_IbLb1EEEEDaS16_S17_EUlS16_E_NS1_11comp_targetILNS1_3genE8ELNS1_11target_archE1030ELNS1_3gpuE2ELNS1_3repE0EEENS1_30default_config_static_selectorELNS0_4arch9wavefront6targetE0EEEvT1_, .Lfunc_end285-_ZN7rocprim17ROCPRIM_400000_NS6detail17trampoline_kernelINS0_14default_configENS1_25partition_config_selectorILNS1_17partition_subalgoE5ElNS0_10empty_typeEbEEZZNS1_14partition_implILS5_5ELb0ES3_mN6hipcub16HIPCUB_304000_NS21CountingInputIteratorIllEEPS6_NSA_22TransformInputIteratorIbN2at6native12_GLOBAL__N_19NonZeroOpIlEEPKllEENS0_5tupleIJPlS6_EEENSN_IJSD_SD_EEES6_PiJS6_EEE10hipError_tPvRmT3_T4_T5_T6_T7_T9_mT8_P12ihipStream_tbDpT10_ENKUlT_T0_E_clISt17integral_constantIbLb0EES1A_IbLb1EEEEDaS16_S17_EUlS16_E_NS1_11comp_targetILNS1_3genE8ELNS1_11target_archE1030ELNS1_3gpuE2ELNS1_3repE0EEENS1_30default_config_static_selectorELNS0_4arch9wavefront6targetE0EEEvT1_
                                        ; -- End function
	.set _ZN7rocprim17ROCPRIM_400000_NS6detail17trampoline_kernelINS0_14default_configENS1_25partition_config_selectorILNS1_17partition_subalgoE5ElNS0_10empty_typeEbEEZZNS1_14partition_implILS5_5ELb0ES3_mN6hipcub16HIPCUB_304000_NS21CountingInputIteratorIllEEPS6_NSA_22TransformInputIteratorIbN2at6native12_GLOBAL__N_19NonZeroOpIlEEPKllEENS0_5tupleIJPlS6_EEENSN_IJSD_SD_EEES6_PiJS6_EEE10hipError_tPvRmT3_T4_T5_T6_T7_T9_mT8_P12ihipStream_tbDpT10_ENKUlT_T0_E_clISt17integral_constantIbLb0EES1A_IbLb1EEEEDaS16_S17_EUlS16_E_NS1_11comp_targetILNS1_3genE8ELNS1_11target_archE1030ELNS1_3gpuE2ELNS1_3repE0EEENS1_30default_config_static_selectorELNS0_4arch9wavefront6targetE0EEEvT1_.num_vgpr, 0
	.set _ZN7rocprim17ROCPRIM_400000_NS6detail17trampoline_kernelINS0_14default_configENS1_25partition_config_selectorILNS1_17partition_subalgoE5ElNS0_10empty_typeEbEEZZNS1_14partition_implILS5_5ELb0ES3_mN6hipcub16HIPCUB_304000_NS21CountingInputIteratorIllEEPS6_NSA_22TransformInputIteratorIbN2at6native12_GLOBAL__N_19NonZeroOpIlEEPKllEENS0_5tupleIJPlS6_EEENSN_IJSD_SD_EEES6_PiJS6_EEE10hipError_tPvRmT3_T4_T5_T6_T7_T9_mT8_P12ihipStream_tbDpT10_ENKUlT_T0_E_clISt17integral_constantIbLb0EES1A_IbLb1EEEEDaS16_S17_EUlS16_E_NS1_11comp_targetILNS1_3genE8ELNS1_11target_archE1030ELNS1_3gpuE2ELNS1_3repE0EEENS1_30default_config_static_selectorELNS0_4arch9wavefront6targetE0EEEvT1_.num_agpr, 0
	.set _ZN7rocprim17ROCPRIM_400000_NS6detail17trampoline_kernelINS0_14default_configENS1_25partition_config_selectorILNS1_17partition_subalgoE5ElNS0_10empty_typeEbEEZZNS1_14partition_implILS5_5ELb0ES3_mN6hipcub16HIPCUB_304000_NS21CountingInputIteratorIllEEPS6_NSA_22TransformInputIteratorIbN2at6native12_GLOBAL__N_19NonZeroOpIlEEPKllEENS0_5tupleIJPlS6_EEENSN_IJSD_SD_EEES6_PiJS6_EEE10hipError_tPvRmT3_T4_T5_T6_T7_T9_mT8_P12ihipStream_tbDpT10_ENKUlT_T0_E_clISt17integral_constantIbLb0EES1A_IbLb1EEEEDaS16_S17_EUlS16_E_NS1_11comp_targetILNS1_3genE8ELNS1_11target_archE1030ELNS1_3gpuE2ELNS1_3repE0EEENS1_30default_config_static_selectorELNS0_4arch9wavefront6targetE0EEEvT1_.numbered_sgpr, 0
	.set _ZN7rocprim17ROCPRIM_400000_NS6detail17trampoline_kernelINS0_14default_configENS1_25partition_config_selectorILNS1_17partition_subalgoE5ElNS0_10empty_typeEbEEZZNS1_14partition_implILS5_5ELb0ES3_mN6hipcub16HIPCUB_304000_NS21CountingInputIteratorIllEEPS6_NSA_22TransformInputIteratorIbN2at6native12_GLOBAL__N_19NonZeroOpIlEEPKllEENS0_5tupleIJPlS6_EEENSN_IJSD_SD_EEES6_PiJS6_EEE10hipError_tPvRmT3_T4_T5_T6_T7_T9_mT8_P12ihipStream_tbDpT10_ENKUlT_T0_E_clISt17integral_constantIbLb0EES1A_IbLb1EEEEDaS16_S17_EUlS16_E_NS1_11comp_targetILNS1_3genE8ELNS1_11target_archE1030ELNS1_3gpuE2ELNS1_3repE0EEENS1_30default_config_static_selectorELNS0_4arch9wavefront6targetE0EEEvT1_.num_named_barrier, 0
	.set _ZN7rocprim17ROCPRIM_400000_NS6detail17trampoline_kernelINS0_14default_configENS1_25partition_config_selectorILNS1_17partition_subalgoE5ElNS0_10empty_typeEbEEZZNS1_14partition_implILS5_5ELb0ES3_mN6hipcub16HIPCUB_304000_NS21CountingInputIteratorIllEEPS6_NSA_22TransformInputIteratorIbN2at6native12_GLOBAL__N_19NonZeroOpIlEEPKllEENS0_5tupleIJPlS6_EEENSN_IJSD_SD_EEES6_PiJS6_EEE10hipError_tPvRmT3_T4_T5_T6_T7_T9_mT8_P12ihipStream_tbDpT10_ENKUlT_T0_E_clISt17integral_constantIbLb0EES1A_IbLb1EEEEDaS16_S17_EUlS16_E_NS1_11comp_targetILNS1_3genE8ELNS1_11target_archE1030ELNS1_3gpuE2ELNS1_3repE0EEENS1_30default_config_static_selectorELNS0_4arch9wavefront6targetE0EEEvT1_.private_seg_size, 0
	.set _ZN7rocprim17ROCPRIM_400000_NS6detail17trampoline_kernelINS0_14default_configENS1_25partition_config_selectorILNS1_17partition_subalgoE5ElNS0_10empty_typeEbEEZZNS1_14partition_implILS5_5ELb0ES3_mN6hipcub16HIPCUB_304000_NS21CountingInputIteratorIllEEPS6_NSA_22TransformInputIteratorIbN2at6native12_GLOBAL__N_19NonZeroOpIlEEPKllEENS0_5tupleIJPlS6_EEENSN_IJSD_SD_EEES6_PiJS6_EEE10hipError_tPvRmT3_T4_T5_T6_T7_T9_mT8_P12ihipStream_tbDpT10_ENKUlT_T0_E_clISt17integral_constantIbLb0EES1A_IbLb1EEEEDaS16_S17_EUlS16_E_NS1_11comp_targetILNS1_3genE8ELNS1_11target_archE1030ELNS1_3gpuE2ELNS1_3repE0EEENS1_30default_config_static_selectorELNS0_4arch9wavefront6targetE0EEEvT1_.uses_vcc, 0
	.set _ZN7rocprim17ROCPRIM_400000_NS6detail17trampoline_kernelINS0_14default_configENS1_25partition_config_selectorILNS1_17partition_subalgoE5ElNS0_10empty_typeEbEEZZNS1_14partition_implILS5_5ELb0ES3_mN6hipcub16HIPCUB_304000_NS21CountingInputIteratorIllEEPS6_NSA_22TransformInputIteratorIbN2at6native12_GLOBAL__N_19NonZeroOpIlEEPKllEENS0_5tupleIJPlS6_EEENSN_IJSD_SD_EEES6_PiJS6_EEE10hipError_tPvRmT3_T4_T5_T6_T7_T9_mT8_P12ihipStream_tbDpT10_ENKUlT_T0_E_clISt17integral_constantIbLb0EES1A_IbLb1EEEEDaS16_S17_EUlS16_E_NS1_11comp_targetILNS1_3genE8ELNS1_11target_archE1030ELNS1_3gpuE2ELNS1_3repE0EEENS1_30default_config_static_selectorELNS0_4arch9wavefront6targetE0EEEvT1_.uses_flat_scratch, 0
	.set _ZN7rocprim17ROCPRIM_400000_NS6detail17trampoline_kernelINS0_14default_configENS1_25partition_config_selectorILNS1_17partition_subalgoE5ElNS0_10empty_typeEbEEZZNS1_14partition_implILS5_5ELb0ES3_mN6hipcub16HIPCUB_304000_NS21CountingInputIteratorIllEEPS6_NSA_22TransformInputIteratorIbN2at6native12_GLOBAL__N_19NonZeroOpIlEEPKllEENS0_5tupleIJPlS6_EEENSN_IJSD_SD_EEES6_PiJS6_EEE10hipError_tPvRmT3_T4_T5_T6_T7_T9_mT8_P12ihipStream_tbDpT10_ENKUlT_T0_E_clISt17integral_constantIbLb0EES1A_IbLb1EEEEDaS16_S17_EUlS16_E_NS1_11comp_targetILNS1_3genE8ELNS1_11target_archE1030ELNS1_3gpuE2ELNS1_3repE0EEENS1_30default_config_static_selectorELNS0_4arch9wavefront6targetE0EEEvT1_.has_dyn_sized_stack, 0
	.set _ZN7rocprim17ROCPRIM_400000_NS6detail17trampoline_kernelINS0_14default_configENS1_25partition_config_selectorILNS1_17partition_subalgoE5ElNS0_10empty_typeEbEEZZNS1_14partition_implILS5_5ELb0ES3_mN6hipcub16HIPCUB_304000_NS21CountingInputIteratorIllEEPS6_NSA_22TransformInputIteratorIbN2at6native12_GLOBAL__N_19NonZeroOpIlEEPKllEENS0_5tupleIJPlS6_EEENSN_IJSD_SD_EEES6_PiJS6_EEE10hipError_tPvRmT3_T4_T5_T6_T7_T9_mT8_P12ihipStream_tbDpT10_ENKUlT_T0_E_clISt17integral_constantIbLb0EES1A_IbLb1EEEEDaS16_S17_EUlS16_E_NS1_11comp_targetILNS1_3genE8ELNS1_11target_archE1030ELNS1_3gpuE2ELNS1_3repE0EEENS1_30default_config_static_selectorELNS0_4arch9wavefront6targetE0EEEvT1_.has_recursion, 0
	.set _ZN7rocprim17ROCPRIM_400000_NS6detail17trampoline_kernelINS0_14default_configENS1_25partition_config_selectorILNS1_17partition_subalgoE5ElNS0_10empty_typeEbEEZZNS1_14partition_implILS5_5ELb0ES3_mN6hipcub16HIPCUB_304000_NS21CountingInputIteratorIllEEPS6_NSA_22TransformInputIteratorIbN2at6native12_GLOBAL__N_19NonZeroOpIlEEPKllEENS0_5tupleIJPlS6_EEENSN_IJSD_SD_EEES6_PiJS6_EEE10hipError_tPvRmT3_T4_T5_T6_T7_T9_mT8_P12ihipStream_tbDpT10_ENKUlT_T0_E_clISt17integral_constantIbLb0EES1A_IbLb1EEEEDaS16_S17_EUlS16_E_NS1_11comp_targetILNS1_3genE8ELNS1_11target_archE1030ELNS1_3gpuE2ELNS1_3repE0EEENS1_30default_config_static_selectorELNS0_4arch9wavefront6targetE0EEEvT1_.has_indirect_call, 0
	.section	.AMDGPU.csdata,"",@progbits
; Kernel info:
; codeLenInByte = 0
; TotalNumSgprs: 0
; NumVgprs: 0
; ScratchSize: 0
; MemoryBound: 0
; FloatMode: 240
; IeeeMode: 1
; LDSByteSize: 0 bytes/workgroup (compile time only)
; SGPRBlocks: 0
; VGPRBlocks: 0
; NumSGPRsForWavesPerEU: 1
; NumVGPRsForWavesPerEU: 1
; Occupancy: 16
; WaveLimiterHint : 0
; COMPUTE_PGM_RSRC2:SCRATCH_EN: 0
; COMPUTE_PGM_RSRC2:USER_SGPR: 2
; COMPUTE_PGM_RSRC2:TRAP_HANDLER: 0
; COMPUTE_PGM_RSRC2:TGID_X_EN: 1
; COMPUTE_PGM_RSRC2:TGID_Y_EN: 0
; COMPUTE_PGM_RSRC2:TGID_Z_EN: 0
; COMPUTE_PGM_RSRC2:TIDIG_COMP_CNT: 0
	.section	.text._ZN7rocprim17ROCPRIM_400000_NS6detail17trampoline_kernelINS0_14default_configENS1_22reduce_config_selectorIiEEZNS1_11reduce_implILb1ES3_PiS7_iN6hipcub16HIPCUB_304000_NS6detail34convert_binary_result_type_wrapperINS9_3SumENS9_22TransformInputIteratorIbN2at6native12_GLOBAL__N_19NonZeroOpIsEEPKslEEiEEEE10hipError_tPvRmT1_T2_T3_mT4_P12ihipStream_tbEUlT_E0_NS1_11comp_targetILNS1_3genE0ELNS1_11target_archE4294967295ELNS1_3gpuE0ELNS1_3repE0EEENS1_30default_config_static_selectorELNS0_4arch9wavefront6targetE0EEEvSQ_,"axG",@progbits,_ZN7rocprim17ROCPRIM_400000_NS6detail17trampoline_kernelINS0_14default_configENS1_22reduce_config_selectorIiEEZNS1_11reduce_implILb1ES3_PiS7_iN6hipcub16HIPCUB_304000_NS6detail34convert_binary_result_type_wrapperINS9_3SumENS9_22TransformInputIteratorIbN2at6native12_GLOBAL__N_19NonZeroOpIsEEPKslEEiEEEE10hipError_tPvRmT1_T2_T3_mT4_P12ihipStream_tbEUlT_E0_NS1_11comp_targetILNS1_3genE0ELNS1_11target_archE4294967295ELNS1_3gpuE0ELNS1_3repE0EEENS1_30default_config_static_selectorELNS0_4arch9wavefront6targetE0EEEvSQ_,comdat
	.globl	_ZN7rocprim17ROCPRIM_400000_NS6detail17trampoline_kernelINS0_14default_configENS1_22reduce_config_selectorIiEEZNS1_11reduce_implILb1ES3_PiS7_iN6hipcub16HIPCUB_304000_NS6detail34convert_binary_result_type_wrapperINS9_3SumENS9_22TransformInputIteratorIbN2at6native12_GLOBAL__N_19NonZeroOpIsEEPKslEEiEEEE10hipError_tPvRmT1_T2_T3_mT4_P12ihipStream_tbEUlT_E0_NS1_11comp_targetILNS1_3genE0ELNS1_11target_archE4294967295ELNS1_3gpuE0ELNS1_3repE0EEENS1_30default_config_static_selectorELNS0_4arch9wavefront6targetE0EEEvSQ_ ; -- Begin function _ZN7rocprim17ROCPRIM_400000_NS6detail17trampoline_kernelINS0_14default_configENS1_22reduce_config_selectorIiEEZNS1_11reduce_implILb1ES3_PiS7_iN6hipcub16HIPCUB_304000_NS6detail34convert_binary_result_type_wrapperINS9_3SumENS9_22TransformInputIteratorIbN2at6native12_GLOBAL__N_19NonZeroOpIsEEPKslEEiEEEE10hipError_tPvRmT1_T2_T3_mT4_P12ihipStream_tbEUlT_E0_NS1_11comp_targetILNS1_3genE0ELNS1_11target_archE4294967295ELNS1_3gpuE0ELNS1_3repE0EEENS1_30default_config_static_selectorELNS0_4arch9wavefront6targetE0EEEvSQ_
	.p2align	8
	.type	_ZN7rocprim17ROCPRIM_400000_NS6detail17trampoline_kernelINS0_14default_configENS1_22reduce_config_selectorIiEEZNS1_11reduce_implILb1ES3_PiS7_iN6hipcub16HIPCUB_304000_NS6detail34convert_binary_result_type_wrapperINS9_3SumENS9_22TransformInputIteratorIbN2at6native12_GLOBAL__N_19NonZeroOpIsEEPKslEEiEEEE10hipError_tPvRmT1_T2_T3_mT4_P12ihipStream_tbEUlT_E0_NS1_11comp_targetILNS1_3genE0ELNS1_11target_archE4294967295ELNS1_3gpuE0ELNS1_3repE0EEENS1_30default_config_static_selectorELNS0_4arch9wavefront6targetE0EEEvSQ_,@function
_ZN7rocprim17ROCPRIM_400000_NS6detail17trampoline_kernelINS0_14default_configENS1_22reduce_config_selectorIiEEZNS1_11reduce_implILb1ES3_PiS7_iN6hipcub16HIPCUB_304000_NS6detail34convert_binary_result_type_wrapperINS9_3SumENS9_22TransformInputIteratorIbN2at6native12_GLOBAL__N_19NonZeroOpIsEEPKslEEiEEEE10hipError_tPvRmT1_T2_T3_mT4_P12ihipStream_tbEUlT_E0_NS1_11comp_targetILNS1_3genE0ELNS1_11target_archE4294967295ELNS1_3gpuE0ELNS1_3repE0EEENS1_30default_config_static_selectorELNS0_4arch9wavefront6targetE0EEEvSQ_: ; @_ZN7rocprim17ROCPRIM_400000_NS6detail17trampoline_kernelINS0_14default_configENS1_22reduce_config_selectorIiEEZNS1_11reduce_implILb1ES3_PiS7_iN6hipcub16HIPCUB_304000_NS6detail34convert_binary_result_type_wrapperINS9_3SumENS9_22TransformInputIteratorIbN2at6native12_GLOBAL__N_19NonZeroOpIsEEPKslEEiEEEE10hipError_tPvRmT1_T2_T3_mT4_P12ihipStream_tbEUlT_E0_NS1_11comp_targetILNS1_3genE0ELNS1_11target_archE4294967295ELNS1_3gpuE0ELNS1_3repE0EEENS1_30default_config_static_selectorELNS0_4arch9wavefront6targetE0EEEvSQ_
; %bb.0:
	.section	.rodata,"a",@progbits
	.p2align	6, 0x0
	.amdhsa_kernel _ZN7rocprim17ROCPRIM_400000_NS6detail17trampoline_kernelINS0_14default_configENS1_22reduce_config_selectorIiEEZNS1_11reduce_implILb1ES3_PiS7_iN6hipcub16HIPCUB_304000_NS6detail34convert_binary_result_type_wrapperINS9_3SumENS9_22TransformInputIteratorIbN2at6native12_GLOBAL__N_19NonZeroOpIsEEPKslEEiEEEE10hipError_tPvRmT1_T2_T3_mT4_P12ihipStream_tbEUlT_E0_NS1_11comp_targetILNS1_3genE0ELNS1_11target_archE4294967295ELNS1_3gpuE0ELNS1_3repE0EEENS1_30default_config_static_selectorELNS0_4arch9wavefront6targetE0EEEvSQ_
		.amdhsa_group_segment_fixed_size 0
		.amdhsa_private_segment_fixed_size 0
		.amdhsa_kernarg_size 56
		.amdhsa_user_sgpr_count 2
		.amdhsa_user_sgpr_dispatch_ptr 0
		.amdhsa_user_sgpr_queue_ptr 0
		.amdhsa_user_sgpr_kernarg_segment_ptr 1
		.amdhsa_user_sgpr_dispatch_id 0
		.amdhsa_user_sgpr_private_segment_size 0
		.amdhsa_wavefront_size32 1
		.amdhsa_uses_dynamic_stack 0
		.amdhsa_enable_private_segment 0
		.amdhsa_system_sgpr_workgroup_id_x 1
		.amdhsa_system_sgpr_workgroup_id_y 0
		.amdhsa_system_sgpr_workgroup_id_z 0
		.amdhsa_system_sgpr_workgroup_info 0
		.amdhsa_system_vgpr_workitem_id 0
		.amdhsa_next_free_vgpr 1
		.amdhsa_next_free_sgpr 1
		.amdhsa_reserve_vcc 0
		.amdhsa_float_round_mode_32 0
		.amdhsa_float_round_mode_16_64 0
		.amdhsa_float_denorm_mode_32 3
		.amdhsa_float_denorm_mode_16_64 3
		.amdhsa_fp16_overflow 0
		.amdhsa_workgroup_processor_mode 1
		.amdhsa_memory_ordered 1
		.amdhsa_forward_progress 1
		.amdhsa_inst_pref_size 0
		.amdhsa_round_robin_scheduling 0
		.amdhsa_exception_fp_ieee_invalid_op 0
		.amdhsa_exception_fp_denorm_src 0
		.amdhsa_exception_fp_ieee_div_zero 0
		.amdhsa_exception_fp_ieee_overflow 0
		.amdhsa_exception_fp_ieee_underflow 0
		.amdhsa_exception_fp_ieee_inexact 0
		.amdhsa_exception_int_div_zero 0
	.end_amdhsa_kernel
	.section	.text._ZN7rocprim17ROCPRIM_400000_NS6detail17trampoline_kernelINS0_14default_configENS1_22reduce_config_selectorIiEEZNS1_11reduce_implILb1ES3_PiS7_iN6hipcub16HIPCUB_304000_NS6detail34convert_binary_result_type_wrapperINS9_3SumENS9_22TransformInputIteratorIbN2at6native12_GLOBAL__N_19NonZeroOpIsEEPKslEEiEEEE10hipError_tPvRmT1_T2_T3_mT4_P12ihipStream_tbEUlT_E0_NS1_11comp_targetILNS1_3genE0ELNS1_11target_archE4294967295ELNS1_3gpuE0ELNS1_3repE0EEENS1_30default_config_static_selectorELNS0_4arch9wavefront6targetE0EEEvSQ_,"axG",@progbits,_ZN7rocprim17ROCPRIM_400000_NS6detail17trampoline_kernelINS0_14default_configENS1_22reduce_config_selectorIiEEZNS1_11reduce_implILb1ES3_PiS7_iN6hipcub16HIPCUB_304000_NS6detail34convert_binary_result_type_wrapperINS9_3SumENS9_22TransformInputIteratorIbN2at6native12_GLOBAL__N_19NonZeroOpIsEEPKslEEiEEEE10hipError_tPvRmT1_T2_T3_mT4_P12ihipStream_tbEUlT_E0_NS1_11comp_targetILNS1_3genE0ELNS1_11target_archE4294967295ELNS1_3gpuE0ELNS1_3repE0EEENS1_30default_config_static_selectorELNS0_4arch9wavefront6targetE0EEEvSQ_,comdat
.Lfunc_end286:
	.size	_ZN7rocprim17ROCPRIM_400000_NS6detail17trampoline_kernelINS0_14default_configENS1_22reduce_config_selectorIiEEZNS1_11reduce_implILb1ES3_PiS7_iN6hipcub16HIPCUB_304000_NS6detail34convert_binary_result_type_wrapperINS9_3SumENS9_22TransformInputIteratorIbN2at6native12_GLOBAL__N_19NonZeroOpIsEEPKslEEiEEEE10hipError_tPvRmT1_T2_T3_mT4_P12ihipStream_tbEUlT_E0_NS1_11comp_targetILNS1_3genE0ELNS1_11target_archE4294967295ELNS1_3gpuE0ELNS1_3repE0EEENS1_30default_config_static_selectorELNS0_4arch9wavefront6targetE0EEEvSQ_, .Lfunc_end286-_ZN7rocprim17ROCPRIM_400000_NS6detail17trampoline_kernelINS0_14default_configENS1_22reduce_config_selectorIiEEZNS1_11reduce_implILb1ES3_PiS7_iN6hipcub16HIPCUB_304000_NS6detail34convert_binary_result_type_wrapperINS9_3SumENS9_22TransformInputIteratorIbN2at6native12_GLOBAL__N_19NonZeroOpIsEEPKslEEiEEEE10hipError_tPvRmT1_T2_T3_mT4_P12ihipStream_tbEUlT_E0_NS1_11comp_targetILNS1_3genE0ELNS1_11target_archE4294967295ELNS1_3gpuE0ELNS1_3repE0EEENS1_30default_config_static_selectorELNS0_4arch9wavefront6targetE0EEEvSQ_
                                        ; -- End function
	.set _ZN7rocprim17ROCPRIM_400000_NS6detail17trampoline_kernelINS0_14default_configENS1_22reduce_config_selectorIiEEZNS1_11reduce_implILb1ES3_PiS7_iN6hipcub16HIPCUB_304000_NS6detail34convert_binary_result_type_wrapperINS9_3SumENS9_22TransformInputIteratorIbN2at6native12_GLOBAL__N_19NonZeroOpIsEEPKslEEiEEEE10hipError_tPvRmT1_T2_T3_mT4_P12ihipStream_tbEUlT_E0_NS1_11comp_targetILNS1_3genE0ELNS1_11target_archE4294967295ELNS1_3gpuE0ELNS1_3repE0EEENS1_30default_config_static_selectorELNS0_4arch9wavefront6targetE0EEEvSQ_.num_vgpr, 0
	.set _ZN7rocprim17ROCPRIM_400000_NS6detail17trampoline_kernelINS0_14default_configENS1_22reduce_config_selectorIiEEZNS1_11reduce_implILb1ES3_PiS7_iN6hipcub16HIPCUB_304000_NS6detail34convert_binary_result_type_wrapperINS9_3SumENS9_22TransformInputIteratorIbN2at6native12_GLOBAL__N_19NonZeroOpIsEEPKslEEiEEEE10hipError_tPvRmT1_T2_T3_mT4_P12ihipStream_tbEUlT_E0_NS1_11comp_targetILNS1_3genE0ELNS1_11target_archE4294967295ELNS1_3gpuE0ELNS1_3repE0EEENS1_30default_config_static_selectorELNS0_4arch9wavefront6targetE0EEEvSQ_.num_agpr, 0
	.set _ZN7rocprim17ROCPRIM_400000_NS6detail17trampoline_kernelINS0_14default_configENS1_22reduce_config_selectorIiEEZNS1_11reduce_implILb1ES3_PiS7_iN6hipcub16HIPCUB_304000_NS6detail34convert_binary_result_type_wrapperINS9_3SumENS9_22TransformInputIteratorIbN2at6native12_GLOBAL__N_19NonZeroOpIsEEPKslEEiEEEE10hipError_tPvRmT1_T2_T3_mT4_P12ihipStream_tbEUlT_E0_NS1_11comp_targetILNS1_3genE0ELNS1_11target_archE4294967295ELNS1_3gpuE0ELNS1_3repE0EEENS1_30default_config_static_selectorELNS0_4arch9wavefront6targetE0EEEvSQ_.numbered_sgpr, 0
	.set _ZN7rocprim17ROCPRIM_400000_NS6detail17trampoline_kernelINS0_14default_configENS1_22reduce_config_selectorIiEEZNS1_11reduce_implILb1ES3_PiS7_iN6hipcub16HIPCUB_304000_NS6detail34convert_binary_result_type_wrapperINS9_3SumENS9_22TransformInputIteratorIbN2at6native12_GLOBAL__N_19NonZeroOpIsEEPKslEEiEEEE10hipError_tPvRmT1_T2_T3_mT4_P12ihipStream_tbEUlT_E0_NS1_11comp_targetILNS1_3genE0ELNS1_11target_archE4294967295ELNS1_3gpuE0ELNS1_3repE0EEENS1_30default_config_static_selectorELNS0_4arch9wavefront6targetE0EEEvSQ_.num_named_barrier, 0
	.set _ZN7rocprim17ROCPRIM_400000_NS6detail17trampoline_kernelINS0_14default_configENS1_22reduce_config_selectorIiEEZNS1_11reduce_implILb1ES3_PiS7_iN6hipcub16HIPCUB_304000_NS6detail34convert_binary_result_type_wrapperINS9_3SumENS9_22TransformInputIteratorIbN2at6native12_GLOBAL__N_19NonZeroOpIsEEPKslEEiEEEE10hipError_tPvRmT1_T2_T3_mT4_P12ihipStream_tbEUlT_E0_NS1_11comp_targetILNS1_3genE0ELNS1_11target_archE4294967295ELNS1_3gpuE0ELNS1_3repE0EEENS1_30default_config_static_selectorELNS0_4arch9wavefront6targetE0EEEvSQ_.private_seg_size, 0
	.set _ZN7rocprim17ROCPRIM_400000_NS6detail17trampoline_kernelINS0_14default_configENS1_22reduce_config_selectorIiEEZNS1_11reduce_implILb1ES3_PiS7_iN6hipcub16HIPCUB_304000_NS6detail34convert_binary_result_type_wrapperINS9_3SumENS9_22TransformInputIteratorIbN2at6native12_GLOBAL__N_19NonZeroOpIsEEPKslEEiEEEE10hipError_tPvRmT1_T2_T3_mT4_P12ihipStream_tbEUlT_E0_NS1_11comp_targetILNS1_3genE0ELNS1_11target_archE4294967295ELNS1_3gpuE0ELNS1_3repE0EEENS1_30default_config_static_selectorELNS0_4arch9wavefront6targetE0EEEvSQ_.uses_vcc, 0
	.set _ZN7rocprim17ROCPRIM_400000_NS6detail17trampoline_kernelINS0_14default_configENS1_22reduce_config_selectorIiEEZNS1_11reduce_implILb1ES3_PiS7_iN6hipcub16HIPCUB_304000_NS6detail34convert_binary_result_type_wrapperINS9_3SumENS9_22TransformInputIteratorIbN2at6native12_GLOBAL__N_19NonZeroOpIsEEPKslEEiEEEE10hipError_tPvRmT1_T2_T3_mT4_P12ihipStream_tbEUlT_E0_NS1_11comp_targetILNS1_3genE0ELNS1_11target_archE4294967295ELNS1_3gpuE0ELNS1_3repE0EEENS1_30default_config_static_selectorELNS0_4arch9wavefront6targetE0EEEvSQ_.uses_flat_scratch, 0
	.set _ZN7rocprim17ROCPRIM_400000_NS6detail17trampoline_kernelINS0_14default_configENS1_22reduce_config_selectorIiEEZNS1_11reduce_implILb1ES3_PiS7_iN6hipcub16HIPCUB_304000_NS6detail34convert_binary_result_type_wrapperINS9_3SumENS9_22TransformInputIteratorIbN2at6native12_GLOBAL__N_19NonZeroOpIsEEPKslEEiEEEE10hipError_tPvRmT1_T2_T3_mT4_P12ihipStream_tbEUlT_E0_NS1_11comp_targetILNS1_3genE0ELNS1_11target_archE4294967295ELNS1_3gpuE0ELNS1_3repE0EEENS1_30default_config_static_selectorELNS0_4arch9wavefront6targetE0EEEvSQ_.has_dyn_sized_stack, 0
	.set _ZN7rocprim17ROCPRIM_400000_NS6detail17trampoline_kernelINS0_14default_configENS1_22reduce_config_selectorIiEEZNS1_11reduce_implILb1ES3_PiS7_iN6hipcub16HIPCUB_304000_NS6detail34convert_binary_result_type_wrapperINS9_3SumENS9_22TransformInputIteratorIbN2at6native12_GLOBAL__N_19NonZeroOpIsEEPKslEEiEEEE10hipError_tPvRmT1_T2_T3_mT4_P12ihipStream_tbEUlT_E0_NS1_11comp_targetILNS1_3genE0ELNS1_11target_archE4294967295ELNS1_3gpuE0ELNS1_3repE0EEENS1_30default_config_static_selectorELNS0_4arch9wavefront6targetE0EEEvSQ_.has_recursion, 0
	.set _ZN7rocprim17ROCPRIM_400000_NS6detail17trampoline_kernelINS0_14default_configENS1_22reduce_config_selectorIiEEZNS1_11reduce_implILb1ES3_PiS7_iN6hipcub16HIPCUB_304000_NS6detail34convert_binary_result_type_wrapperINS9_3SumENS9_22TransformInputIteratorIbN2at6native12_GLOBAL__N_19NonZeroOpIsEEPKslEEiEEEE10hipError_tPvRmT1_T2_T3_mT4_P12ihipStream_tbEUlT_E0_NS1_11comp_targetILNS1_3genE0ELNS1_11target_archE4294967295ELNS1_3gpuE0ELNS1_3repE0EEENS1_30default_config_static_selectorELNS0_4arch9wavefront6targetE0EEEvSQ_.has_indirect_call, 0
	.section	.AMDGPU.csdata,"",@progbits
; Kernel info:
; codeLenInByte = 0
; TotalNumSgprs: 0
; NumVgprs: 0
; ScratchSize: 0
; MemoryBound: 0
; FloatMode: 240
; IeeeMode: 1
; LDSByteSize: 0 bytes/workgroup (compile time only)
; SGPRBlocks: 0
; VGPRBlocks: 0
; NumSGPRsForWavesPerEU: 1
; NumVGPRsForWavesPerEU: 1
; Occupancy: 16
; WaveLimiterHint : 0
; COMPUTE_PGM_RSRC2:SCRATCH_EN: 0
; COMPUTE_PGM_RSRC2:USER_SGPR: 2
; COMPUTE_PGM_RSRC2:TRAP_HANDLER: 0
; COMPUTE_PGM_RSRC2:TGID_X_EN: 1
; COMPUTE_PGM_RSRC2:TGID_Y_EN: 0
; COMPUTE_PGM_RSRC2:TGID_Z_EN: 0
; COMPUTE_PGM_RSRC2:TIDIG_COMP_CNT: 0
	.section	.text._ZN7rocprim17ROCPRIM_400000_NS6detail17trampoline_kernelINS0_14default_configENS1_22reduce_config_selectorIiEEZNS1_11reduce_implILb1ES3_PiS7_iN6hipcub16HIPCUB_304000_NS6detail34convert_binary_result_type_wrapperINS9_3SumENS9_22TransformInputIteratorIbN2at6native12_GLOBAL__N_19NonZeroOpIsEEPKslEEiEEEE10hipError_tPvRmT1_T2_T3_mT4_P12ihipStream_tbEUlT_E0_NS1_11comp_targetILNS1_3genE5ELNS1_11target_archE942ELNS1_3gpuE9ELNS1_3repE0EEENS1_30default_config_static_selectorELNS0_4arch9wavefront6targetE0EEEvSQ_,"axG",@progbits,_ZN7rocprim17ROCPRIM_400000_NS6detail17trampoline_kernelINS0_14default_configENS1_22reduce_config_selectorIiEEZNS1_11reduce_implILb1ES3_PiS7_iN6hipcub16HIPCUB_304000_NS6detail34convert_binary_result_type_wrapperINS9_3SumENS9_22TransformInputIteratorIbN2at6native12_GLOBAL__N_19NonZeroOpIsEEPKslEEiEEEE10hipError_tPvRmT1_T2_T3_mT4_P12ihipStream_tbEUlT_E0_NS1_11comp_targetILNS1_3genE5ELNS1_11target_archE942ELNS1_3gpuE9ELNS1_3repE0EEENS1_30default_config_static_selectorELNS0_4arch9wavefront6targetE0EEEvSQ_,comdat
	.globl	_ZN7rocprim17ROCPRIM_400000_NS6detail17trampoline_kernelINS0_14default_configENS1_22reduce_config_selectorIiEEZNS1_11reduce_implILb1ES3_PiS7_iN6hipcub16HIPCUB_304000_NS6detail34convert_binary_result_type_wrapperINS9_3SumENS9_22TransformInputIteratorIbN2at6native12_GLOBAL__N_19NonZeroOpIsEEPKslEEiEEEE10hipError_tPvRmT1_T2_T3_mT4_P12ihipStream_tbEUlT_E0_NS1_11comp_targetILNS1_3genE5ELNS1_11target_archE942ELNS1_3gpuE9ELNS1_3repE0EEENS1_30default_config_static_selectorELNS0_4arch9wavefront6targetE0EEEvSQ_ ; -- Begin function _ZN7rocprim17ROCPRIM_400000_NS6detail17trampoline_kernelINS0_14default_configENS1_22reduce_config_selectorIiEEZNS1_11reduce_implILb1ES3_PiS7_iN6hipcub16HIPCUB_304000_NS6detail34convert_binary_result_type_wrapperINS9_3SumENS9_22TransformInputIteratorIbN2at6native12_GLOBAL__N_19NonZeroOpIsEEPKslEEiEEEE10hipError_tPvRmT1_T2_T3_mT4_P12ihipStream_tbEUlT_E0_NS1_11comp_targetILNS1_3genE5ELNS1_11target_archE942ELNS1_3gpuE9ELNS1_3repE0EEENS1_30default_config_static_selectorELNS0_4arch9wavefront6targetE0EEEvSQ_
	.p2align	8
	.type	_ZN7rocprim17ROCPRIM_400000_NS6detail17trampoline_kernelINS0_14default_configENS1_22reduce_config_selectorIiEEZNS1_11reduce_implILb1ES3_PiS7_iN6hipcub16HIPCUB_304000_NS6detail34convert_binary_result_type_wrapperINS9_3SumENS9_22TransformInputIteratorIbN2at6native12_GLOBAL__N_19NonZeroOpIsEEPKslEEiEEEE10hipError_tPvRmT1_T2_T3_mT4_P12ihipStream_tbEUlT_E0_NS1_11comp_targetILNS1_3genE5ELNS1_11target_archE942ELNS1_3gpuE9ELNS1_3repE0EEENS1_30default_config_static_selectorELNS0_4arch9wavefront6targetE0EEEvSQ_,@function
_ZN7rocprim17ROCPRIM_400000_NS6detail17trampoline_kernelINS0_14default_configENS1_22reduce_config_selectorIiEEZNS1_11reduce_implILb1ES3_PiS7_iN6hipcub16HIPCUB_304000_NS6detail34convert_binary_result_type_wrapperINS9_3SumENS9_22TransformInputIteratorIbN2at6native12_GLOBAL__N_19NonZeroOpIsEEPKslEEiEEEE10hipError_tPvRmT1_T2_T3_mT4_P12ihipStream_tbEUlT_E0_NS1_11comp_targetILNS1_3genE5ELNS1_11target_archE942ELNS1_3gpuE9ELNS1_3repE0EEENS1_30default_config_static_selectorELNS0_4arch9wavefront6targetE0EEEvSQ_: ; @_ZN7rocprim17ROCPRIM_400000_NS6detail17trampoline_kernelINS0_14default_configENS1_22reduce_config_selectorIiEEZNS1_11reduce_implILb1ES3_PiS7_iN6hipcub16HIPCUB_304000_NS6detail34convert_binary_result_type_wrapperINS9_3SumENS9_22TransformInputIteratorIbN2at6native12_GLOBAL__N_19NonZeroOpIsEEPKslEEiEEEE10hipError_tPvRmT1_T2_T3_mT4_P12ihipStream_tbEUlT_E0_NS1_11comp_targetILNS1_3genE5ELNS1_11target_archE942ELNS1_3gpuE9ELNS1_3repE0EEENS1_30default_config_static_selectorELNS0_4arch9wavefront6targetE0EEEvSQ_
; %bb.0:
	.section	.rodata,"a",@progbits
	.p2align	6, 0x0
	.amdhsa_kernel _ZN7rocprim17ROCPRIM_400000_NS6detail17trampoline_kernelINS0_14default_configENS1_22reduce_config_selectorIiEEZNS1_11reduce_implILb1ES3_PiS7_iN6hipcub16HIPCUB_304000_NS6detail34convert_binary_result_type_wrapperINS9_3SumENS9_22TransformInputIteratorIbN2at6native12_GLOBAL__N_19NonZeroOpIsEEPKslEEiEEEE10hipError_tPvRmT1_T2_T3_mT4_P12ihipStream_tbEUlT_E0_NS1_11comp_targetILNS1_3genE5ELNS1_11target_archE942ELNS1_3gpuE9ELNS1_3repE0EEENS1_30default_config_static_selectorELNS0_4arch9wavefront6targetE0EEEvSQ_
		.amdhsa_group_segment_fixed_size 0
		.amdhsa_private_segment_fixed_size 0
		.amdhsa_kernarg_size 56
		.amdhsa_user_sgpr_count 2
		.amdhsa_user_sgpr_dispatch_ptr 0
		.amdhsa_user_sgpr_queue_ptr 0
		.amdhsa_user_sgpr_kernarg_segment_ptr 1
		.amdhsa_user_sgpr_dispatch_id 0
		.amdhsa_user_sgpr_private_segment_size 0
		.amdhsa_wavefront_size32 1
		.amdhsa_uses_dynamic_stack 0
		.amdhsa_enable_private_segment 0
		.amdhsa_system_sgpr_workgroup_id_x 1
		.amdhsa_system_sgpr_workgroup_id_y 0
		.amdhsa_system_sgpr_workgroup_id_z 0
		.amdhsa_system_sgpr_workgroup_info 0
		.amdhsa_system_vgpr_workitem_id 0
		.amdhsa_next_free_vgpr 1
		.amdhsa_next_free_sgpr 1
		.amdhsa_reserve_vcc 0
		.amdhsa_float_round_mode_32 0
		.amdhsa_float_round_mode_16_64 0
		.amdhsa_float_denorm_mode_32 3
		.amdhsa_float_denorm_mode_16_64 3
		.amdhsa_fp16_overflow 0
		.amdhsa_workgroup_processor_mode 1
		.amdhsa_memory_ordered 1
		.amdhsa_forward_progress 1
		.amdhsa_inst_pref_size 0
		.amdhsa_round_robin_scheduling 0
		.amdhsa_exception_fp_ieee_invalid_op 0
		.amdhsa_exception_fp_denorm_src 0
		.amdhsa_exception_fp_ieee_div_zero 0
		.amdhsa_exception_fp_ieee_overflow 0
		.amdhsa_exception_fp_ieee_underflow 0
		.amdhsa_exception_fp_ieee_inexact 0
		.amdhsa_exception_int_div_zero 0
	.end_amdhsa_kernel
	.section	.text._ZN7rocprim17ROCPRIM_400000_NS6detail17trampoline_kernelINS0_14default_configENS1_22reduce_config_selectorIiEEZNS1_11reduce_implILb1ES3_PiS7_iN6hipcub16HIPCUB_304000_NS6detail34convert_binary_result_type_wrapperINS9_3SumENS9_22TransformInputIteratorIbN2at6native12_GLOBAL__N_19NonZeroOpIsEEPKslEEiEEEE10hipError_tPvRmT1_T2_T3_mT4_P12ihipStream_tbEUlT_E0_NS1_11comp_targetILNS1_3genE5ELNS1_11target_archE942ELNS1_3gpuE9ELNS1_3repE0EEENS1_30default_config_static_selectorELNS0_4arch9wavefront6targetE0EEEvSQ_,"axG",@progbits,_ZN7rocprim17ROCPRIM_400000_NS6detail17trampoline_kernelINS0_14default_configENS1_22reduce_config_selectorIiEEZNS1_11reduce_implILb1ES3_PiS7_iN6hipcub16HIPCUB_304000_NS6detail34convert_binary_result_type_wrapperINS9_3SumENS9_22TransformInputIteratorIbN2at6native12_GLOBAL__N_19NonZeroOpIsEEPKslEEiEEEE10hipError_tPvRmT1_T2_T3_mT4_P12ihipStream_tbEUlT_E0_NS1_11comp_targetILNS1_3genE5ELNS1_11target_archE942ELNS1_3gpuE9ELNS1_3repE0EEENS1_30default_config_static_selectorELNS0_4arch9wavefront6targetE0EEEvSQ_,comdat
.Lfunc_end287:
	.size	_ZN7rocprim17ROCPRIM_400000_NS6detail17trampoline_kernelINS0_14default_configENS1_22reduce_config_selectorIiEEZNS1_11reduce_implILb1ES3_PiS7_iN6hipcub16HIPCUB_304000_NS6detail34convert_binary_result_type_wrapperINS9_3SumENS9_22TransformInputIteratorIbN2at6native12_GLOBAL__N_19NonZeroOpIsEEPKslEEiEEEE10hipError_tPvRmT1_T2_T3_mT4_P12ihipStream_tbEUlT_E0_NS1_11comp_targetILNS1_3genE5ELNS1_11target_archE942ELNS1_3gpuE9ELNS1_3repE0EEENS1_30default_config_static_selectorELNS0_4arch9wavefront6targetE0EEEvSQ_, .Lfunc_end287-_ZN7rocprim17ROCPRIM_400000_NS6detail17trampoline_kernelINS0_14default_configENS1_22reduce_config_selectorIiEEZNS1_11reduce_implILb1ES3_PiS7_iN6hipcub16HIPCUB_304000_NS6detail34convert_binary_result_type_wrapperINS9_3SumENS9_22TransformInputIteratorIbN2at6native12_GLOBAL__N_19NonZeroOpIsEEPKslEEiEEEE10hipError_tPvRmT1_T2_T3_mT4_P12ihipStream_tbEUlT_E0_NS1_11comp_targetILNS1_3genE5ELNS1_11target_archE942ELNS1_3gpuE9ELNS1_3repE0EEENS1_30default_config_static_selectorELNS0_4arch9wavefront6targetE0EEEvSQ_
                                        ; -- End function
	.set _ZN7rocprim17ROCPRIM_400000_NS6detail17trampoline_kernelINS0_14default_configENS1_22reduce_config_selectorIiEEZNS1_11reduce_implILb1ES3_PiS7_iN6hipcub16HIPCUB_304000_NS6detail34convert_binary_result_type_wrapperINS9_3SumENS9_22TransformInputIteratorIbN2at6native12_GLOBAL__N_19NonZeroOpIsEEPKslEEiEEEE10hipError_tPvRmT1_T2_T3_mT4_P12ihipStream_tbEUlT_E0_NS1_11comp_targetILNS1_3genE5ELNS1_11target_archE942ELNS1_3gpuE9ELNS1_3repE0EEENS1_30default_config_static_selectorELNS0_4arch9wavefront6targetE0EEEvSQ_.num_vgpr, 0
	.set _ZN7rocprim17ROCPRIM_400000_NS6detail17trampoline_kernelINS0_14default_configENS1_22reduce_config_selectorIiEEZNS1_11reduce_implILb1ES3_PiS7_iN6hipcub16HIPCUB_304000_NS6detail34convert_binary_result_type_wrapperINS9_3SumENS9_22TransformInputIteratorIbN2at6native12_GLOBAL__N_19NonZeroOpIsEEPKslEEiEEEE10hipError_tPvRmT1_T2_T3_mT4_P12ihipStream_tbEUlT_E0_NS1_11comp_targetILNS1_3genE5ELNS1_11target_archE942ELNS1_3gpuE9ELNS1_3repE0EEENS1_30default_config_static_selectorELNS0_4arch9wavefront6targetE0EEEvSQ_.num_agpr, 0
	.set _ZN7rocprim17ROCPRIM_400000_NS6detail17trampoline_kernelINS0_14default_configENS1_22reduce_config_selectorIiEEZNS1_11reduce_implILb1ES3_PiS7_iN6hipcub16HIPCUB_304000_NS6detail34convert_binary_result_type_wrapperINS9_3SumENS9_22TransformInputIteratorIbN2at6native12_GLOBAL__N_19NonZeroOpIsEEPKslEEiEEEE10hipError_tPvRmT1_T2_T3_mT4_P12ihipStream_tbEUlT_E0_NS1_11comp_targetILNS1_3genE5ELNS1_11target_archE942ELNS1_3gpuE9ELNS1_3repE0EEENS1_30default_config_static_selectorELNS0_4arch9wavefront6targetE0EEEvSQ_.numbered_sgpr, 0
	.set _ZN7rocprim17ROCPRIM_400000_NS6detail17trampoline_kernelINS0_14default_configENS1_22reduce_config_selectorIiEEZNS1_11reduce_implILb1ES3_PiS7_iN6hipcub16HIPCUB_304000_NS6detail34convert_binary_result_type_wrapperINS9_3SumENS9_22TransformInputIteratorIbN2at6native12_GLOBAL__N_19NonZeroOpIsEEPKslEEiEEEE10hipError_tPvRmT1_T2_T3_mT4_P12ihipStream_tbEUlT_E0_NS1_11comp_targetILNS1_3genE5ELNS1_11target_archE942ELNS1_3gpuE9ELNS1_3repE0EEENS1_30default_config_static_selectorELNS0_4arch9wavefront6targetE0EEEvSQ_.num_named_barrier, 0
	.set _ZN7rocprim17ROCPRIM_400000_NS6detail17trampoline_kernelINS0_14default_configENS1_22reduce_config_selectorIiEEZNS1_11reduce_implILb1ES3_PiS7_iN6hipcub16HIPCUB_304000_NS6detail34convert_binary_result_type_wrapperINS9_3SumENS9_22TransformInputIteratorIbN2at6native12_GLOBAL__N_19NonZeroOpIsEEPKslEEiEEEE10hipError_tPvRmT1_T2_T3_mT4_P12ihipStream_tbEUlT_E0_NS1_11comp_targetILNS1_3genE5ELNS1_11target_archE942ELNS1_3gpuE9ELNS1_3repE0EEENS1_30default_config_static_selectorELNS0_4arch9wavefront6targetE0EEEvSQ_.private_seg_size, 0
	.set _ZN7rocprim17ROCPRIM_400000_NS6detail17trampoline_kernelINS0_14default_configENS1_22reduce_config_selectorIiEEZNS1_11reduce_implILb1ES3_PiS7_iN6hipcub16HIPCUB_304000_NS6detail34convert_binary_result_type_wrapperINS9_3SumENS9_22TransformInputIteratorIbN2at6native12_GLOBAL__N_19NonZeroOpIsEEPKslEEiEEEE10hipError_tPvRmT1_T2_T3_mT4_P12ihipStream_tbEUlT_E0_NS1_11comp_targetILNS1_3genE5ELNS1_11target_archE942ELNS1_3gpuE9ELNS1_3repE0EEENS1_30default_config_static_selectorELNS0_4arch9wavefront6targetE0EEEvSQ_.uses_vcc, 0
	.set _ZN7rocprim17ROCPRIM_400000_NS6detail17trampoline_kernelINS0_14default_configENS1_22reduce_config_selectorIiEEZNS1_11reduce_implILb1ES3_PiS7_iN6hipcub16HIPCUB_304000_NS6detail34convert_binary_result_type_wrapperINS9_3SumENS9_22TransformInputIteratorIbN2at6native12_GLOBAL__N_19NonZeroOpIsEEPKslEEiEEEE10hipError_tPvRmT1_T2_T3_mT4_P12ihipStream_tbEUlT_E0_NS1_11comp_targetILNS1_3genE5ELNS1_11target_archE942ELNS1_3gpuE9ELNS1_3repE0EEENS1_30default_config_static_selectorELNS0_4arch9wavefront6targetE0EEEvSQ_.uses_flat_scratch, 0
	.set _ZN7rocprim17ROCPRIM_400000_NS6detail17trampoline_kernelINS0_14default_configENS1_22reduce_config_selectorIiEEZNS1_11reduce_implILb1ES3_PiS7_iN6hipcub16HIPCUB_304000_NS6detail34convert_binary_result_type_wrapperINS9_3SumENS9_22TransformInputIteratorIbN2at6native12_GLOBAL__N_19NonZeroOpIsEEPKslEEiEEEE10hipError_tPvRmT1_T2_T3_mT4_P12ihipStream_tbEUlT_E0_NS1_11comp_targetILNS1_3genE5ELNS1_11target_archE942ELNS1_3gpuE9ELNS1_3repE0EEENS1_30default_config_static_selectorELNS0_4arch9wavefront6targetE0EEEvSQ_.has_dyn_sized_stack, 0
	.set _ZN7rocprim17ROCPRIM_400000_NS6detail17trampoline_kernelINS0_14default_configENS1_22reduce_config_selectorIiEEZNS1_11reduce_implILb1ES3_PiS7_iN6hipcub16HIPCUB_304000_NS6detail34convert_binary_result_type_wrapperINS9_3SumENS9_22TransformInputIteratorIbN2at6native12_GLOBAL__N_19NonZeroOpIsEEPKslEEiEEEE10hipError_tPvRmT1_T2_T3_mT4_P12ihipStream_tbEUlT_E0_NS1_11comp_targetILNS1_3genE5ELNS1_11target_archE942ELNS1_3gpuE9ELNS1_3repE0EEENS1_30default_config_static_selectorELNS0_4arch9wavefront6targetE0EEEvSQ_.has_recursion, 0
	.set _ZN7rocprim17ROCPRIM_400000_NS6detail17trampoline_kernelINS0_14default_configENS1_22reduce_config_selectorIiEEZNS1_11reduce_implILb1ES3_PiS7_iN6hipcub16HIPCUB_304000_NS6detail34convert_binary_result_type_wrapperINS9_3SumENS9_22TransformInputIteratorIbN2at6native12_GLOBAL__N_19NonZeroOpIsEEPKslEEiEEEE10hipError_tPvRmT1_T2_T3_mT4_P12ihipStream_tbEUlT_E0_NS1_11comp_targetILNS1_3genE5ELNS1_11target_archE942ELNS1_3gpuE9ELNS1_3repE0EEENS1_30default_config_static_selectorELNS0_4arch9wavefront6targetE0EEEvSQ_.has_indirect_call, 0
	.section	.AMDGPU.csdata,"",@progbits
; Kernel info:
; codeLenInByte = 0
; TotalNumSgprs: 0
; NumVgprs: 0
; ScratchSize: 0
; MemoryBound: 0
; FloatMode: 240
; IeeeMode: 1
; LDSByteSize: 0 bytes/workgroup (compile time only)
; SGPRBlocks: 0
; VGPRBlocks: 0
; NumSGPRsForWavesPerEU: 1
; NumVGPRsForWavesPerEU: 1
; Occupancy: 16
; WaveLimiterHint : 0
; COMPUTE_PGM_RSRC2:SCRATCH_EN: 0
; COMPUTE_PGM_RSRC2:USER_SGPR: 2
; COMPUTE_PGM_RSRC2:TRAP_HANDLER: 0
; COMPUTE_PGM_RSRC2:TGID_X_EN: 1
; COMPUTE_PGM_RSRC2:TGID_Y_EN: 0
; COMPUTE_PGM_RSRC2:TGID_Z_EN: 0
; COMPUTE_PGM_RSRC2:TIDIG_COMP_CNT: 0
	.section	.text._ZN7rocprim17ROCPRIM_400000_NS6detail17trampoline_kernelINS0_14default_configENS1_22reduce_config_selectorIiEEZNS1_11reduce_implILb1ES3_PiS7_iN6hipcub16HIPCUB_304000_NS6detail34convert_binary_result_type_wrapperINS9_3SumENS9_22TransformInputIteratorIbN2at6native12_GLOBAL__N_19NonZeroOpIsEEPKslEEiEEEE10hipError_tPvRmT1_T2_T3_mT4_P12ihipStream_tbEUlT_E0_NS1_11comp_targetILNS1_3genE4ELNS1_11target_archE910ELNS1_3gpuE8ELNS1_3repE0EEENS1_30default_config_static_selectorELNS0_4arch9wavefront6targetE0EEEvSQ_,"axG",@progbits,_ZN7rocprim17ROCPRIM_400000_NS6detail17trampoline_kernelINS0_14default_configENS1_22reduce_config_selectorIiEEZNS1_11reduce_implILb1ES3_PiS7_iN6hipcub16HIPCUB_304000_NS6detail34convert_binary_result_type_wrapperINS9_3SumENS9_22TransformInputIteratorIbN2at6native12_GLOBAL__N_19NonZeroOpIsEEPKslEEiEEEE10hipError_tPvRmT1_T2_T3_mT4_P12ihipStream_tbEUlT_E0_NS1_11comp_targetILNS1_3genE4ELNS1_11target_archE910ELNS1_3gpuE8ELNS1_3repE0EEENS1_30default_config_static_selectorELNS0_4arch9wavefront6targetE0EEEvSQ_,comdat
	.globl	_ZN7rocprim17ROCPRIM_400000_NS6detail17trampoline_kernelINS0_14default_configENS1_22reduce_config_selectorIiEEZNS1_11reduce_implILb1ES3_PiS7_iN6hipcub16HIPCUB_304000_NS6detail34convert_binary_result_type_wrapperINS9_3SumENS9_22TransformInputIteratorIbN2at6native12_GLOBAL__N_19NonZeroOpIsEEPKslEEiEEEE10hipError_tPvRmT1_T2_T3_mT4_P12ihipStream_tbEUlT_E0_NS1_11comp_targetILNS1_3genE4ELNS1_11target_archE910ELNS1_3gpuE8ELNS1_3repE0EEENS1_30default_config_static_selectorELNS0_4arch9wavefront6targetE0EEEvSQ_ ; -- Begin function _ZN7rocprim17ROCPRIM_400000_NS6detail17trampoline_kernelINS0_14default_configENS1_22reduce_config_selectorIiEEZNS1_11reduce_implILb1ES3_PiS7_iN6hipcub16HIPCUB_304000_NS6detail34convert_binary_result_type_wrapperINS9_3SumENS9_22TransformInputIteratorIbN2at6native12_GLOBAL__N_19NonZeroOpIsEEPKslEEiEEEE10hipError_tPvRmT1_T2_T3_mT4_P12ihipStream_tbEUlT_E0_NS1_11comp_targetILNS1_3genE4ELNS1_11target_archE910ELNS1_3gpuE8ELNS1_3repE0EEENS1_30default_config_static_selectorELNS0_4arch9wavefront6targetE0EEEvSQ_
	.p2align	8
	.type	_ZN7rocprim17ROCPRIM_400000_NS6detail17trampoline_kernelINS0_14default_configENS1_22reduce_config_selectorIiEEZNS1_11reduce_implILb1ES3_PiS7_iN6hipcub16HIPCUB_304000_NS6detail34convert_binary_result_type_wrapperINS9_3SumENS9_22TransformInputIteratorIbN2at6native12_GLOBAL__N_19NonZeroOpIsEEPKslEEiEEEE10hipError_tPvRmT1_T2_T3_mT4_P12ihipStream_tbEUlT_E0_NS1_11comp_targetILNS1_3genE4ELNS1_11target_archE910ELNS1_3gpuE8ELNS1_3repE0EEENS1_30default_config_static_selectorELNS0_4arch9wavefront6targetE0EEEvSQ_,@function
_ZN7rocprim17ROCPRIM_400000_NS6detail17trampoline_kernelINS0_14default_configENS1_22reduce_config_selectorIiEEZNS1_11reduce_implILb1ES3_PiS7_iN6hipcub16HIPCUB_304000_NS6detail34convert_binary_result_type_wrapperINS9_3SumENS9_22TransformInputIteratorIbN2at6native12_GLOBAL__N_19NonZeroOpIsEEPKslEEiEEEE10hipError_tPvRmT1_T2_T3_mT4_P12ihipStream_tbEUlT_E0_NS1_11comp_targetILNS1_3genE4ELNS1_11target_archE910ELNS1_3gpuE8ELNS1_3repE0EEENS1_30default_config_static_selectorELNS0_4arch9wavefront6targetE0EEEvSQ_: ; @_ZN7rocprim17ROCPRIM_400000_NS6detail17trampoline_kernelINS0_14default_configENS1_22reduce_config_selectorIiEEZNS1_11reduce_implILb1ES3_PiS7_iN6hipcub16HIPCUB_304000_NS6detail34convert_binary_result_type_wrapperINS9_3SumENS9_22TransformInputIteratorIbN2at6native12_GLOBAL__N_19NonZeroOpIsEEPKslEEiEEEE10hipError_tPvRmT1_T2_T3_mT4_P12ihipStream_tbEUlT_E0_NS1_11comp_targetILNS1_3genE4ELNS1_11target_archE910ELNS1_3gpuE8ELNS1_3repE0EEENS1_30default_config_static_selectorELNS0_4arch9wavefront6targetE0EEEvSQ_
; %bb.0:
	.section	.rodata,"a",@progbits
	.p2align	6, 0x0
	.amdhsa_kernel _ZN7rocprim17ROCPRIM_400000_NS6detail17trampoline_kernelINS0_14default_configENS1_22reduce_config_selectorIiEEZNS1_11reduce_implILb1ES3_PiS7_iN6hipcub16HIPCUB_304000_NS6detail34convert_binary_result_type_wrapperINS9_3SumENS9_22TransformInputIteratorIbN2at6native12_GLOBAL__N_19NonZeroOpIsEEPKslEEiEEEE10hipError_tPvRmT1_T2_T3_mT4_P12ihipStream_tbEUlT_E0_NS1_11comp_targetILNS1_3genE4ELNS1_11target_archE910ELNS1_3gpuE8ELNS1_3repE0EEENS1_30default_config_static_selectorELNS0_4arch9wavefront6targetE0EEEvSQ_
		.amdhsa_group_segment_fixed_size 0
		.amdhsa_private_segment_fixed_size 0
		.amdhsa_kernarg_size 56
		.amdhsa_user_sgpr_count 2
		.amdhsa_user_sgpr_dispatch_ptr 0
		.amdhsa_user_sgpr_queue_ptr 0
		.amdhsa_user_sgpr_kernarg_segment_ptr 1
		.amdhsa_user_sgpr_dispatch_id 0
		.amdhsa_user_sgpr_private_segment_size 0
		.amdhsa_wavefront_size32 1
		.amdhsa_uses_dynamic_stack 0
		.amdhsa_enable_private_segment 0
		.amdhsa_system_sgpr_workgroup_id_x 1
		.amdhsa_system_sgpr_workgroup_id_y 0
		.amdhsa_system_sgpr_workgroup_id_z 0
		.amdhsa_system_sgpr_workgroup_info 0
		.amdhsa_system_vgpr_workitem_id 0
		.amdhsa_next_free_vgpr 1
		.amdhsa_next_free_sgpr 1
		.amdhsa_reserve_vcc 0
		.amdhsa_float_round_mode_32 0
		.amdhsa_float_round_mode_16_64 0
		.amdhsa_float_denorm_mode_32 3
		.amdhsa_float_denorm_mode_16_64 3
		.amdhsa_fp16_overflow 0
		.amdhsa_workgroup_processor_mode 1
		.amdhsa_memory_ordered 1
		.amdhsa_forward_progress 1
		.amdhsa_inst_pref_size 0
		.amdhsa_round_robin_scheduling 0
		.amdhsa_exception_fp_ieee_invalid_op 0
		.amdhsa_exception_fp_denorm_src 0
		.amdhsa_exception_fp_ieee_div_zero 0
		.amdhsa_exception_fp_ieee_overflow 0
		.amdhsa_exception_fp_ieee_underflow 0
		.amdhsa_exception_fp_ieee_inexact 0
		.amdhsa_exception_int_div_zero 0
	.end_amdhsa_kernel
	.section	.text._ZN7rocprim17ROCPRIM_400000_NS6detail17trampoline_kernelINS0_14default_configENS1_22reduce_config_selectorIiEEZNS1_11reduce_implILb1ES3_PiS7_iN6hipcub16HIPCUB_304000_NS6detail34convert_binary_result_type_wrapperINS9_3SumENS9_22TransformInputIteratorIbN2at6native12_GLOBAL__N_19NonZeroOpIsEEPKslEEiEEEE10hipError_tPvRmT1_T2_T3_mT4_P12ihipStream_tbEUlT_E0_NS1_11comp_targetILNS1_3genE4ELNS1_11target_archE910ELNS1_3gpuE8ELNS1_3repE0EEENS1_30default_config_static_selectorELNS0_4arch9wavefront6targetE0EEEvSQ_,"axG",@progbits,_ZN7rocprim17ROCPRIM_400000_NS6detail17trampoline_kernelINS0_14default_configENS1_22reduce_config_selectorIiEEZNS1_11reduce_implILb1ES3_PiS7_iN6hipcub16HIPCUB_304000_NS6detail34convert_binary_result_type_wrapperINS9_3SumENS9_22TransformInputIteratorIbN2at6native12_GLOBAL__N_19NonZeroOpIsEEPKslEEiEEEE10hipError_tPvRmT1_T2_T3_mT4_P12ihipStream_tbEUlT_E0_NS1_11comp_targetILNS1_3genE4ELNS1_11target_archE910ELNS1_3gpuE8ELNS1_3repE0EEENS1_30default_config_static_selectorELNS0_4arch9wavefront6targetE0EEEvSQ_,comdat
.Lfunc_end288:
	.size	_ZN7rocprim17ROCPRIM_400000_NS6detail17trampoline_kernelINS0_14default_configENS1_22reduce_config_selectorIiEEZNS1_11reduce_implILb1ES3_PiS7_iN6hipcub16HIPCUB_304000_NS6detail34convert_binary_result_type_wrapperINS9_3SumENS9_22TransformInputIteratorIbN2at6native12_GLOBAL__N_19NonZeroOpIsEEPKslEEiEEEE10hipError_tPvRmT1_T2_T3_mT4_P12ihipStream_tbEUlT_E0_NS1_11comp_targetILNS1_3genE4ELNS1_11target_archE910ELNS1_3gpuE8ELNS1_3repE0EEENS1_30default_config_static_selectorELNS0_4arch9wavefront6targetE0EEEvSQ_, .Lfunc_end288-_ZN7rocprim17ROCPRIM_400000_NS6detail17trampoline_kernelINS0_14default_configENS1_22reduce_config_selectorIiEEZNS1_11reduce_implILb1ES3_PiS7_iN6hipcub16HIPCUB_304000_NS6detail34convert_binary_result_type_wrapperINS9_3SumENS9_22TransformInputIteratorIbN2at6native12_GLOBAL__N_19NonZeroOpIsEEPKslEEiEEEE10hipError_tPvRmT1_T2_T3_mT4_P12ihipStream_tbEUlT_E0_NS1_11comp_targetILNS1_3genE4ELNS1_11target_archE910ELNS1_3gpuE8ELNS1_3repE0EEENS1_30default_config_static_selectorELNS0_4arch9wavefront6targetE0EEEvSQ_
                                        ; -- End function
	.set _ZN7rocprim17ROCPRIM_400000_NS6detail17trampoline_kernelINS0_14default_configENS1_22reduce_config_selectorIiEEZNS1_11reduce_implILb1ES3_PiS7_iN6hipcub16HIPCUB_304000_NS6detail34convert_binary_result_type_wrapperINS9_3SumENS9_22TransformInputIteratorIbN2at6native12_GLOBAL__N_19NonZeroOpIsEEPKslEEiEEEE10hipError_tPvRmT1_T2_T3_mT4_P12ihipStream_tbEUlT_E0_NS1_11comp_targetILNS1_3genE4ELNS1_11target_archE910ELNS1_3gpuE8ELNS1_3repE0EEENS1_30default_config_static_selectorELNS0_4arch9wavefront6targetE0EEEvSQ_.num_vgpr, 0
	.set _ZN7rocprim17ROCPRIM_400000_NS6detail17trampoline_kernelINS0_14default_configENS1_22reduce_config_selectorIiEEZNS1_11reduce_implILb1ES3_PiS7_iN6hipcub16HIPCUB_304000_NS6detail34convert_binary_result_type_wrapperINS9_3SumENS9_22TransformInputIteratorIbN2at6native12_GLOBAL__N_19NonZeroOpIsEEPKslEEiEEEE10hipError_tPvRmT1_T2_T3_mT4_P12ihipStream_tbEUlT_E0_NS1_11comp_targetILNS1_3genE4ELNS1_11target_archE910ELNS1_3gpuE8ELNS1_3repE0EEENS1_30default_config_static_selectorELNS0_4arch9wavefront6targetE0EEEvSQ_.num_agpr, 0
	.set _ZN7rocprim17ROCPRIM_400000_NS6detail17trampoline_kernelINS0_14default_configENS1_22reduce_config_selectorIiEEZNS1_11reduce_implILb1ES3_PiS7_iN6hipcub16HIPCUB_304000_NS6detail34convert_binary_result_type_wrapperINS9_3SumENS9_22TransformInputIteratorIbN2at6native12_GLOBAL__N_19NonZeroOpIsEEPKslEEiEEEE10hipError_tPvRmT1_T2_T3_mT4_P12ihipStream_tbEUlT_E0_NS1_11comp_targetILNS1_3genE4ELNS1_11target_archE910ELNS1_3gpuE8ELNS1_3repE0EEENS1_30default_config_static_selectorELNS0_4arch9wavefront6targetE0EEEvSQ_.numbered_sgpr, 0
	.set _ZN7rocprim17ROCPRIM_400000_NS6detail17trampoline_kernelINS0_14default_configENS1_22reduce_config_selectorIiEEZNS1_11reduce_implILb1ES3_PiS7_iN6hipcub16HIPCUB_304000_NS6detail34convert_binary_result_type_wrapperINS9_3SumENS9_22TransformInputIteratorIbN2at6native12_GLOBAL__N_19NonZeroOpIsEEPKslEEiEEEE10hipError_tPvRmT1_T2_T3_mT4_P12ihipStream_tbEUlT_E0_NS1_11comp_targetILNS1_3genE4ELNS1_11target_archE910ELNS1_3gpuE8ELNS1_3repE0EEENS1_30default_config_static_selectorELNS0_4arch9wavefront6targetE0EEEvSQ_.num_named_barrier, 0
	.set _ZN7rocprim17ROCPRIM_400000_NS6detail17trampoline_kernelINS0_14default_configENS1_22reduce_config_selectorIiEEZNS1_11reduce_implILb1ES3_PiS7_iN6hipcub16HIPCUB_304000_NS6detail34convert_binary_result_type_wrapperINS9_3SumENS9_22TransformInputIteratorIbN2at6native12_GLOBAL__N_19NonZeroOpIsEEPKslEEiEEEE10hipError_tPvRmT1_T2_T3_mT4_P12ihipStream_tbEUlT_E0_NS1_11comp_targetILNS1_3genE4ELNS1_11target_archE910ELNS1_3gpuE8ELNS1_3repE0EEENS1_30default_config_static_selectorELNS0_4arch9wavefront6targetE0EEEvSQ_.private_seg_size, 0
	.set _ZN7rocprim17ROCPRIM_400000_NS6detail17trampoline_kernelINS0_14default_configENS1_22reduce_config_selectorIiEEZNS1_11reduce_implILb1ES3_PiS7_iN6hipcub16HIPCUB_304000_NS6detail34convert_binary_result_type_wrapperINS9_3SumENS9_22TransformInputIteratorIbN2at6native12_GLOBAL__N_19NonZeroOpIsEEPKslEEiEEEE10hipError_tPvRmT1_T2_T3_mT4_P12ihipStream_tbEUlT_E0_NS1_11comp_targetILNS1_3genE4ELNS1_11target_archE910ELNS1_3gpuE8ELNS1_3repE0EEENS1_30default_config_static_selectorELNS0_4arch9wavefront6targetE0EEEvSQ_.uses_vcc, 0
	.set _ZN7rocprim17ROCPRIM_400000_NS6detail17trampoline_kernelINS0_14default_configENS1_22reduce_config_selectorIiEEZNS1_11reduce_implILb1ES3_PiS7_iN6hipcub16HIPCUB_304000_NS6detail34convert_binary_result_type_wrapperINS9_3SumENS9_22TransformInputIteratorIbN2at6native12_GLOBAL__N_19NonZeroOpIsEEPKslEEiEEEE10hipError_tPvRmT1_T2_T3_mT4_P12ihipStream_tbEUlT_E0_NS1_11comp_targetILNS1_3genE4ELNS1_11target_archE910ELNS1_3gpuE8ELNS1_3repE0EEENS1_30default_config_static_selectorELNS0_4arch9wavefront6targetE0EEEvSQ_.uses_flat_scratch, 0
	.set _ZN7rocprim17ROCPRIM_400000_NS6detail17trampoline_kernelINS0_14default_configENS1_22reduce_config_selectorIiEEZNS1_11reduce_implILb1ES3_PiS7_iN6hipcub16HIPCUB_304000_NS6detail34convert_binary_result_type_wrapperINS9_3SumENS9_22TransformInputIteratorIbN2at6native12_GLOBAL__N_19NonZeroOpIsEEPKslEEiEEEE10hipError_tPvRmT1_T2_T3_mT4_P12ihipStream_tbEUlT_E0_NS1_11comp_targetILNS1_3genE4ELNS1_11target_archE910ELNS1_3gpuE8ELNS1_3repE0EEENS1_30default_config_static_selectorELNS0_4arch9wavefront6targetE0EEEvSQ_.has_dyn_sized_stack, 0
	.set _ZN7rocprim17ROCPRIM_400000_NS6detail17trampoline_kernelINS0_14default_configENS1_22reduce_config_selectorIiEEZNS1_11reduce_implILb1ES3_PiS7_iN6hipcub16HIPCUB_304000_NS6detail34convert_binary_result_type_wrapperINS9_3SumENS9_22TransformInputIteratorIbN2at6native12_GLOBAL__N_19NonZeroOpIsEEPKslEEiEEEE10hipError_tPvRmT1_T2_T3_mT4_P12ihipStream_tbEUlT_E0_NS1_11comp_targetILNS1_3genE4ELNS1_11target_archE910ELNS1_3gpuE8ELNS1_3repE0EEENS1_30default_config_static_selectorELNS0_4arch9wavefront6targetE0EEEvSQ_.has_recursion, 0
	.set _ZN7rocprim17ROCPRIM_400000_NS6detail17trampoline_kernelINS0_14default_configENS1_22reduce_config_selectorIiEEZNS1_11reduce_implILb1ES3_PiS7_iN6hipcub16HIPCUB_304000_NS6detail34convert_binary_result_type_wrapperINS9_3SumENS9_22TransformInputIteratorIbN2at6native12_GLOBAL__N_19NonZeroOpIsEEPKslEEiEEEE10hipError_tPvRmT1_T2_T3_mT4_P12ihipStream_tbEUlT_E0_NS1_11comp_targetILNS1_3genE4ELNS1_11target_archE910ELNS1_3gpuE8ELNS1_3repE0EEENS1_30default_config_static_selectorELNS0_4arch9wavefront6targetE0EEEvSQ_.has_indirect_call, 0
	.section	.AMDGPU.csdata,"",@progbits
; Kernel info:
; codeLenInByte = 0
; TotalNumSgprs: 0
; NumVgprs: 0
; ScratchSize: 0
; MemoryBound: 0
; FloatMode: 240
; IeeeMode: 1
; LDSByteSize: 0 bytes/workgroup (compile time only)
; SGPRBlocks: 0
; VGPRBlocks: 0
; NumSGPRsForWavesPerEU: 1
; NumVGPRsForWavesPerEU: 1
; Occupancy: 16
; WaveLimiterHint : 0
; COMPUTE_PGM_RSRC2:SCRATCH_EN: 0
; COMPUTE_PGM_RSRC2:USER_SGPR: 2
; COMPUTE_PGM_RSRC2:TRAP_HANDLER: 0
; COMPUTE_PGM_RSRC2:TGID_X_EN: 1
; COMPUTE_PGM_RSRC2:TGID_Y_EN: 0
; COMPUTE_PGM_RSRC2:TGID_Z_EN: 0
; COMPUTE_PGM_RSRC2:TIDIG_COMP_CNT: 0
	.section	.text._ZN7rocprim17ROCPRIM_400000_NS6detail17trampoline_kernelINS0_14default_configENS1_22reduce_config_selectorIiEEZNS1_11reduce_implILb1ES3_PiS7_iN6hipcub16HIPCUB_304000_NS6detail34convert_binary_result_type_wrapperINS9_3SumENS9_22TransformInputIteratorIbN2at6native12_GLOBAL__N_19NonZeroOpIsEEPKslEEiEEEE10hipError_tPvRmT1_T2_T3_mT4_P12ihipStream_tbEUlT_E0_NS1_11comp_targetILNS1_3genE3ELNS1_11target_archE908ELNS1_3gpuE7ELNS1_3repE0EEENS1_30default_config_static_selectorELNS0_4arch9wavefront6targetE0EEEvSQ_,"axG",@progbits,_ZN7rocprim17ROCPRIM_400000_NS6detail17trampoline_kernelINS0_14default_configENS1_22reduce_config_selectorIiEEZNS1_11reduce_implILb1ES3_PiS7_iN6hipcub16HIPCUB_304000_NS6detail34convert_binary_result_type_wrapperINS9_3SumENS9_22TransformInputIteratorIbN2at6native12_GLOBAL__N_19NonZeroOpIsEEPKslEEiEEEE10hipError_tPvRmT1_T2_T3_mT4_P12ihipStream_tbEUlT_E0_NS1_11comp_targetILNS1_3genE3ELNS1_11target_archE908ELNS1_3gpuE7ELNS1_3repE0EEENS1_30default_config_static_selectorELNS0_4arch9wavefront6targetE0EEEvSQ_,comdat
	.globl	_ZN7rocprim17ROCPRIM_400000_NS6detail17trampoline_kernelINS0_14default_configENS1_22reduce_config_selectorIiEEZNS1_11reduce_implILb1ES3_PiS7_iN6hipcub16HIPCUB_304000_NS6detail34convert_binary_result_type_wrapperINS9_3SumENS9_22TransformInputIteratorIbN2at6native12_GLOBAL__N_19NonZeroOpIsEEPKslEEiEEEE10hipError_tPvRmT1_T2_T3_mT4_P12ihipStream_tbEUlT_E0_NS1_11comp_targetILNS1_3genE3ELNS1_11target_archE908ELNS1_3gpuE7ELNS1_3repE0EEENS1_30default_config_static_selectorELNS0_4arch9wavefront6targetE0EEEvSQ_ ; -- Begin function _ZN7rocprim17ROCPRIM_400000_NS6detail17trampoline_kernelINS0_14default_configENS1_22reduce_config_selectorIiEEZNS1_11reduce_implILb1ES3_PiS7_iN6hipcub16HIPCUB_304000_NS6detail34convert_binary_result_type_wrapperINS9_3SumENS9_22TransformInputIteratorIbN2at6native12_GLOBAL__N_19NonZeroOpIsEEPKslEEiEEEE10hipError_tPvRmT1_T2_T3_mT4_P12ihipStream_tbEUlT_E0_NS1_11comp_targetILNS1_3genE3ELNS1_11target_archE908ELNS1_3gpuE7ELNS1_3repE0EEENS1_30default_config_static_selectorELNS0_4arch9wavefront6targetE0EEEvSQ_
	.p2align	8
	.type	_ZN7rocprim17ROCPRIM_400000_NS6detail17trampoline_kernelINS0_14default_configENS1_22reduce_config_selectorIiEEZNS1_11reduce_implILb1ES3_PiS7_iN6hipcub16HIPCUB_304000_NS6detail34convert_binary_result_type_wrapperINS9_3SumENS9_22TransformInputIteratorIbN2at6native12_GLOBAL__N_19NonZeroOpIsEEPKslEEiEEEE10hipError_tPvRmT1_T2_T3_mT4_P12ihipStream_tbEUlT_E0_NS1_11comp_targetILNS1_3genE3ELNS1_11target_archE908ELNS1_3gpuE7ELNS1_3repE0EEENS1_30default_config_static_selectorELNS0_4arch9wavefront6targetE0EEEvSQ_,@function
_ZN7rocprim17ROCPRIM_400000_NS6detail17trampoline_kernelINS0_14default_configENS1_22reduce_config_selectorIiEEZNS1_11reduce_implILb1ES3_PiS7_iN6hipcub16HIPCUB_304000_NS6detail34convert_binary_result_type_wrapperINS9_3SumENS9_22TransformInputIteratorIbN2at6native12_GLOBAL__N_19NonZeroOpIsEEPKslEEiEEEE10hipError_tPvRmT1_T2_T3_mT4_P12ihipStream_tbEUlT_E0_NS1_11comp_targetILNS1_3genE3ELNS1_11target_archE908ELNS1_3gpuE7ELNS1_3repE0EEENS1_30default_config_static_selectorELNS0_4arch9wavefront6targetE0EEEvSQ_: ; @_ZN7rocprim17ROCPRIM_400000_NS6detail17trampoline_kernelINS0_14default_configENS1_22reduce_config_selectorIiEEZNS1_11reduce_implILb1ES3_PiS7_iN6hipcub16HIPCUB_304000_NS6detail34convert_binary_result_type_wrapperINS9_3SumENS9_22TransformInputIteratorIbN2at6native12_GLOBAL__N_19NonZeroOpIsEEPKslEEiEEEE10hipError_tPvRmT1_T2_T3_mT4_P12ihipStream_tbEUlT_E0_NS1_11comp_targetILNS1_3genE3ELNS1_11target_archE908ELNS1_3gpuE7ELNS1_3repE0EEENS1_30default_config_static_selectorELNS0_4arch9wavefront6targetE0EEEvSQ_
; %bb.0:
	.section	.rodata,"a",@progbits
	.p2align	6, 0x0
	.amdhsa_kernel _ZN7rocprim17ROCPRIM_400000_NS6detail17trampoline_kernelINS0_14default_configENS1_22reduce_config_selectorIiEEZNS1_11reduce_implILb1ES3_PiS7_iN6hipcub16HIPCUB_304000_NS6detail34convert_binary_result_type_wrapperINS9_3SumENS9_22TransformInputIteratorIbN2at6native12_GLOBAL__N_19NonZeroOpIsEEPKslEEiEEEE10hipError_tPvRmT1_T2_T3_mT4_P12ihipStream_tbEUlT_E0_NS1_11comp_targetILNS1_3genE3ELNS1_11target_archE908ELNS1_3gpuE7ELNS1_3repE0EEENS1_30default_config_static_selectorELNS0_4arch9wavefront6targetE0EEEvSQ_
		.amdhsa_group_segment_fixed_size 0
		.amdhsa_private_segment_fixed_size 0
		.amdhsa_kernarg_size 56
		.amdhsa_user_sgpr_count 2
		.amdhsa_user_sgpr_dispatch_ptr 0
		.amdhsa_user_sgpr_queue_ptr 0
		.amdhsa_user_sgpr_kernarg_segment_ptr 1
		.amdhsa_user_sgpr_dispatch_id 0
		.amdhsa_user_sgpr_private_segment_size 0
		.amdhsa_wavefront_size32 1
		.amdhsa_uses_dynamic_stack 0
		.amdhsa_enable_private_segment 0
		.amdhsa_system_sgpr_workgroup_id_x 1
		.amdhsa_system_sgpr_workgroup_id_y 0
		.amdhsa_system_sgpr_workgroup_id_z 0
		.amdhsa_system_sgpr_workgroup_info 0
		.amdhsa_system_vgpr_workitem_id 0
		.amdhsa_next_free_vgpr 1
		.amdhsa_next_free_sgpr 1
		.amdhsa_reserve_vcc 0
		.amdhsa_float_round_mode_32 0
		.amdhsa_float_round_mode_16_64 0
		.amdhsa_float_denorm_mode_32 3
		.amdhsa_float_denorm_mode_16_64 3
		.amdhsa_fp16_overflow 0
		.amdhsa_workgroup_processor_mode 1
		.amdhsa_memory_ordered 1
		.amdhsa_forward_progress 1
		.amdhsa_inst_pref_size 0
		.amdhsa_round_robin_scheduling 0
		.amdhsa_exception_fp_ieee_invalid_op 0
		.amdhsa_exception_fp_denorm_src 0
		.amdhsa_exception_fp_ieee_div_zero 0
		.amdhsa_exception_fp_ieee_overflow 0
		.amdhsa_exception_fp_ieee_underflow 0
		.amdhsa_exception_fp_ieee_inexact 0
		.amdhsa_exception_int_div_zero 0
	.end_amdhsa_kernel
	.section	.text._ZN7rocprim17ROCPRIM_400000_NS6detail17trampoline_kernelINS0_14default_configENS1_22reduce_config_selectorIiEEZNS1_11reduce_implILb1ES3_PiS7_iN6hipcub16HIPCUB_304000_NS6detail34convert_binary_result_type_wrapperINS9_3SumENS9_22TransformInputIteratorIbN2at6native12_GLOBAL__N_19NonZeroOpIsEEPKslEEiEEEE10hipError_tPvRmT1_T2_T3_mT4_P12ihipStream_tbEUlT_E0_NS1_11comp_targetILNS1_3genE3ELNS1_11target_archE908ELNS1_3gpuE7ELNS1_3repE0EEENS1_30default_config_static_selectorELNS0_4arch9wavefront6targetE0EEEvSQ_,"axG",@progbits,_ZN7rocprim17ROCPRIM_400000_NS6detail17trampoline_kernelINS0_14default_configENS1_22reduce_config_selectorIiEEZNS1_11reduce_implILb1ES3_PiS7_iN6hipcub16HIPCUB_304000_NS6detail34convert_binary_result_type_wrapperINS9_3SumENS9_22TransformInputIteratorIbN2at6native12_GLOBAL__N_19NonZeroOpIsEEPKslEEiEEEE10hipError_tPvRmT1_T2_T3_mT4_P12ihipStream_tbEUlT_E0_NS1_11comp_targetILNS1_3genE3ELNS1_11target_archE908ELNS1_3gpuE7ELNS1_3repE0EEENS1_30default_config_static_selectorELNS0_4arch9wavefront6targetE0EEEvSQ_,comdat
.Lfunc_end289:
	.size	_ZN7rocprim17ROCPRIM_400000_NS6detail17trampoline_kernelINS0_14default_configENS1_22reduce_config_selectorIiEEZNS1_11reduce_implILb1ES3_PiS7_iN6hipcub16HIPCUB_304000_NS6detail34convert_binary_result_type_wrapperINS9_3SumENS9_22TransformInputIteratorIbN2at6native12_GLOBAL__N_19NonZeroOpIsEEPKslEEiEEEE10hipError_tPvRmT1_T2_T3_mT4_P12ihipStream_tbEUlT_E0_NS1_11comp_targetILNS1_3genE3ELNS1_11target_archE908ELNS1_3gpuE7ELNS1_3repE0EEENS1_30default_config_static_selectorELNS0_4arch9wavefront6targetE0EEEvSQ_, .Lfunc_end289-_ZN7rocprim17ROCPRIM_400000_NS6detail17trampoline_kernelINS0_14default_configENS1_22reduce_config_selectorIiEEZNS1_11reduce_implILb1ES3_PiS7_iN6hipcub16HIPCUB_304000_NS6detail34convert_binary_result_type_wrapperINS9_3SumENS9_22TransformInputIteratorIbN2at6native12_GLOBAL__N_19NonZeroOpIsEEPKslEEiEEEE10hipError_tPvRmT1_T2_T3_mT4_P12ihipStream_tbEUlT_E0_NS1_11comp_targetILNS1_3genE3ELNS1_11target_archE908ELNS1_3gpuE7ELNS1_3repE0EEENS1_30default_config_static_selectorELNS0_4arch9wavefront6targetE0EEEvSQ_
                                        ; -- End function
	.set _ZN7rocprim17ROCPRIM_400000_NS6detail17trampoline_kernelINS0_14default_configENS1_22reduce_config_selectorIiEEZNS1_11reduce_implILb1ES3_PiS7_iN6hipcub16HIPCUB_304000_NS6detail34convert_binary_result_type_wrapperINS9_3SumENS9_22TransformInputIteratorIbN2at6native12_GLOBAL__N_19NonZeroOpIsEEPKslEEiEEEE10hipError_tPvRmT1_T2_T3_mT4_P12ihipStream_tbEUlT_E0_NS1_11comp_targetILNS1_3genE3ELNS1_11target_archE908ELNS1_3gpuE7ELNS1_3repE0EEENS1_30default_config_static_selectorELNS0_4arch9wavefront6targetE0EEEvSQ_.num_vgpr, 0
	.set _ZN7rocprim17ROCPRIM_400000_NS6detail17trampoline_kernelINS0_14default_configENS1_22reduce_config_selectorIiEEZNS1_11reduce_implILb1ES3_PiS7_iN6hipcub16HIPCUB_304000_NS6detail34convert_binary_result_type_wrapperINS9_3SumENS9_22TransformInputIteratorIbN2at6native12_GLOBAL__N_19NonZeroOpIsEEPKslEEiEEEE10hipError_tPvRmT1_T2_T3_mT4_P12ihipStream_tbEUlT_E0_NS1_11comp_targetILNS1_3genE3ELNS1_11target_archE908ELNS1_3gpuE7ELNS1_3repE0EEENS1_30default_config_static_selectorELNS0_4arch9wavefront6targetE0EEEvSQ_.num_agpr, 0
	.set _ZN7rocprim17ROCPRIM_400000_NS6detail17trampoline_kernelINS0_14default_configENS1_22reduce_config_selectorIiEEZNS1_11reduce_implILb1ES3_PiS7_iN6hipcub16HIPCUB_304000_NS6detail34convert_binary_result_type_wrapperINS9_3SumENS9_22TransformInputIteratorIbN2at6native12_GLOBAL__N_19NonZeroOpIsEEPKslEEiEEEE10hipError_tPvRmT1_T2_T3_mT4_P12ihipStream_tbEUlT_E0_NS1_11comp_targetILNS1_3genE3ELNS1_11target_archE908ELNS1_3gpuE7ELNS1_3repE0EEENS1_30default_config_static_selectorELNS0_4arch9wavefront6targetE0EEEvSQ_.numbered_sgpr, 0
	.set _ZN7rocprim17ROCPRIM_400000_NS6detail17trampoline_kernelINS0_14default_configENS1_22reduce_config_selectorIiEEZNS1_11reduce_implILb1ES3_PiS7_iN6hipcub16HIPCUB_304000_NS6detail34convert_binary_result_type_wrapperINS9_3SumENS9_22TransformInputIteratorIbN2at6native12_GLOBAL__N_19NonZeroOpIsEEPKslEEiEEEE10hipError_tPvRmT1_T2_T3_mT4_P12ihipStream_tbEUlT_E0_NS1_11comp_targetILNS1_3genE3ELNS1_11target_archE908ELNS1_3gpuE7ELNS1_3repE0EEENS1_30default_config_static_selectorELNS0_4arch9wavefront6targetE0EEEvSQ_.num_named_barrier, 0
	.set _ZN7rocprim17ROCPRIM_400000_NS6detail17trampoline_kernelINS0_14default_configENS1_22reduce_config_selectorIiEEZNS1_11reduce_implILb1ES3_PiS7_iN6hipcub16HIPCUB_304000_NS6detail34convert_binary_result_type_wrapperINS9_3SumENS9_22TransformInputIteratorIbN2at6native12_GLOBAL__N_19NonZeroOpIsEEPKslEEiEEEE10hipError_tPvRmT1_T2_T3_mT4_P12ihipStream_tbEUlT_E0_NS1_11comp_targetILNS1_3genE3ELNS1_11target_archE908ELNS1_3gpuE7ELNS1_3repE0EEENS1_30default_config_static_selectorELNS0_4arch9wavefront6targetE0EEEvSQ_.private_seg_size, 0
	.set _ZN7rocprim17ROCPRIM_400000_NS6detail17trampoline_kernelINS0_14default_configENS1_22reduce_config_selectorIiEEZNS1_11reduce_implILb1ES3_PiS7_iN6hipcub16HIPCUB_304000_NS6detail34convert_binary_result_type_wrapperINS9_3SumENS9_22TransformInputIteratorIbN2at6native12_GLOBAL__N_19NonZeroOpIsEEPKslEEiEEEE10hipError_tPvRmT1_T2_T3_mT4_P12ihipStream_tbEUlT_E0_NS1_11comp_targetILNS1_3genE3ELNS1_11target_archE908ELNS1_3gpuE7ELNS1_3repE0EEENS1_30default_config_static_selectorELNS0_4arch9wavefront6targetE0EEEvSQ_.uses_vcc, 0
	.set _ZN7rocprim17ROCPRIM_400000_NS6detail17trampoline_kernelINS0_14default_configENS1_22reduce_config_selectorIiEEZNS1_11reduce_implILb1ES3_PiS7_iN6hipcub16HIPCUB_304000_NS6detail34convert_binary_result_type_wrapperINS9_3SumENS9_22TransformInputIteratorIbN2at6native12_GLOBAL__N_19NonZeroOpIsEEPKslEEiEEEE10hipError_tPvRmT1_T2_T3_mT4_P12ihipStream_tbEUlT_E0_NS1_11comp_targetILNS1_3genE3ELNS1_11target_archE908ELNS1_3gpuE7ELNS1_3repE0EEENS1_30default_config_static_selectorELNS0_4arch9wavefront6targetE0EEEvSQ_.uses_flat_scratch, 0
	.set _ZN7rocprim17ROCPRIM_400000_NS6detail17trampoline_kernelINS0_14default_configENS1_22reduce_config_selectorIiEEZNS1_11reduce_implILb1ES3_PiS7_iN6hipcub16HIPCUB_304000_NS6detail34convert_binary_result_type_wrapperINS9_3SumENS9_22TransformInputIteratorIbN2at6native12_GLOBAL__N_19NonZeroOpIsEEPKslEEiEEEE10hipError_tPvRmT1_T2_T3_mT4_P12ihipStream_tbEUlT_E0_NS1_11comp_targetILNS1_3genE3ELNS1_11target_archE908ELNS1_3gpuE7ELNS1_3repE0EEENS1_30default_config_static_selectorELNS0_4arch9wavefront6targetE0EEEvSQ_.has_dyn_sized_stack, 0
	.set _ZN7rocprim17ROCPRIM_400000_NS6detail17trampoline_kernelINS0_14default_configENS1_22reduce_config_selectorIiEEZNS1_11reduce_implILb1ES3_PiS7_iN6hipcub16HIPCUB_304000_NS6detail34convert_binary_result_type_wrapperINS9_3SumENS9_22TransformInputIteratorIbN2at6native12_GLOBAL__N_19NonZeroOpIsEEPKslEEiEEEE10hipError_tPvRmT1_T2_T3_mT4_P12ihipStream_tbEUlT_E0_NS1_11comp_targetILNS1_3genE3ELNS1_11target_archE908ELNS1_3gpuE7ELNS1_3repE0EEENS1_30default_config_static_selectorELNS0_4arch9wavefront6targetE0EEEvSQ_.has_recursion, 0
	.set _ZN7rocprim17ROCPRIM_400000_NS6detail17trampoline_kernelINS0_14default_configENS1_22reduce_config_selectorIiEEZNS1_11reduce_implILb1ES3_PiS7_iN6hipcub16HIPCUB_304000_NS6detail34convert_binary_result_type_wrapperINS9_3SumENS9_22TransformInputIteratorIbN2at6native12_GLOBAL__N_19NonZeroOpIsEEPKslEEiEEEE10hipError_tPvRmT1_T2_T3_mT4_P12ihipStream_tbEUlT_E0_NS1_11comp_targetILNS1_3genE3ELNS1_11target_archE908ELNS1_3gpuE7ELNS1_3repE0EEENS1_30default_config_static_selectorELNS0_4arch9wavefront6targetE0EEEvSQ_.has_indirect_call, 0
	.section	.AMDGPU.csdata,"",@progbits
; Kernel info:
; codeLenInByte = 0
; TotalNumSgprs: 0
; NumVgprs: 0
; ScratchSize: 0
; MemoryBound: 0
; FloatMode: 240
; IeeeMode: 1
; LDSByteSize: 0 bytes/workgroup (compile time only)
; SGPRBlocks: 0
; VGPRBlocks: 0
; NumSGPRsForWavesPerEU: 1
; NumVGPRsForWavesPerEU: 1
; Occupancy: 16
; WaveLimiterHint : 0
; COMPUTE_PGM_RSRC2:SCRATCH_EN: 0
; COMPUTE_PGM_RSRC2:USER_SGPR: 2
; COMPUTE_PGM_RSRC2:TRAP_HANDLER: 0
; COMPUTE_PGM_RSRC2:TGID_X_EN: 1
; COMPUTE_PGM_RSRC2:TGID_Y_EN: 0
; COMPUTE_PGM_RSRC2:TGID_Z_EN: 0
; COMPUTE_PGM_RSRC2:TIDIG_COMP_CNT: 0
	.section	.text._ZN7rocprim17ROCPRIM_400000_NS6detail17trampoline_kernelINS0_14default_configENS1_22reduce_config_selectorIiEEZNS1_11reduce_implILb1ES3_PiS7_iN6hipcub16HIPCUB_304000_NS6detail34convert_binary_result_type_wrapperINS9_3SumENS9_22TransformInputIteratorIbN2at6native12_GLOBAL__N_19NonZeroOpIsEEPKslEEiEEEE10hipError_tPvRmT1_T2_T3_mT4_P12ihipStream_tbEUlT_E0_NS1_11comp_targetILNS1_3genE2ELNS1_11target_archE906ELNS1_3gpuE6ELNS1_3repE0EEENS1_30default_config_static_selectorELNS0_4arch9wavefront6targetE0EEEvSQ_,"axG",@progbits,_ZN7rocprim17ROCPRIM_400000_NS6detail17trampoline_kernelINS0_14default_configENS1_22reduce_config_selectorIiEEZNS1_11reduce_implILb1ES3_PiS7_iN6hipcub16HIPCUB_304000_NS6detail34convert_binary_result_type_wrapperINS9_3SumENS9_22TransformInputIteratorIbN2at6native12_GLOBAL__N_19NonZeroOpIsEEPKslEEiEEEE10hipError_tPvRmT1_T2_T3_mT4_P12ihipStream_tbEUlT_E0_NS1_11comp_targetILNS1_3genE2ELNS1_11target_archE906ELNS1_3gpuE6ELNS1_3repE0EEENS1_30default_config_static_selectorELNS0_4arch9wavefront6targetE0EEEvSQ_,comdat
	.globl	_ZN7rocprim17ROCPRIM_400000_NS6detail17trampoline_kernelINS0_14default_configENS1_22reduce_config_selectorIiEEZNS1_11reduce_implILb1ES3_PiS7_iN6hipcub16HIPCUB_304000_NS6detail34convert_binary_result_type_wrapperINS9_3SumENS9_22TransformInputIteratorIbN2at6native12_GLOBAL__N_19NonZeroOpIsEEPKslEEiEEEE10hipError_tPvRmT1_T2_T3_mT4_P12ihipStream_tbEUlT_E0_NS1_11comp_targetILNS1_3genE2ELNS1_11target_archE906ELNS1_3gpuE6ELNS1_3repE0EEENS1_30default_config_static_selectorELNS0_4arch9wavefront6targetE0EEEvSQ_ ; -- Begin function _ZN7rocprim17ROCPRIM_400000_NS6detail17trampoline_kernelINS0_14default_configENS1_22reduce_config_selectorIiEEZNS1_11reduce_implILb1ES3_PiS7_iN6hipcub16HIPCUB_304000_NS6detail34convert_binary_result_type_wrapperINS9_3SumENS9_22TransformInputIteratorIbN2at6native12_GLOBAL__N_19NonZeroOpIsEEPKslEEiEEEE10hipError_tPvRmT1_T2_T3_mT4_P12ihipStream_tbEUlT_E0_NS1_11comp_targetILNS1_3genE2ELNS1_11target_archE906ELNS1_3gpuE6ELNS1_3repE0EEENS1_30default_config_static_selectorELNS0_4arch9wavefront6targetE0EEEvSQ_
	.p2align	8
	.type	_ZN7rocprim17ROCPRIM_400000_NS6detail17trampoline_kernelINS0_14default_configENS1_22reduce_config_selectorIiEEZNS1_11reduce_implILb1ES3_PiS7_iN6hipcub16HIPCUB_304000_NS6detail34convert_binary_result_type_wrapperINS9_3SumENS9_22TransformInputIteratorIbN2at6native12_GLOBAL__N_19NonZeroOpIsEEPKslEEiEEEE10hipError_tPvRmT1_T2_T3_mT4_P12ihipStream_tbEUlT_E0_NS1_11comp_targetILNS1_3genE2ELNS1_11target_archE906ELNS1_3gpuE6ELNS1_3repE0EEENS1_30default_config_static_selectorELNS0_4arch9wavefront6targetE0EEEvSQ_,@function
_ZN7rocprim17ROCPRIM_400000_NS6detail17trampoline_kernelINS0_14default_configENS1_22reduce_config_selectorIiEEZNS1_11reduce_implILb1ES3_PiS7_iN6hipcub16HIPCUB_304000_NS6detail34convert_binary_result_type_wrapperINS9_3SumENS9_22TransformInputIteratorIbN2at6native12_GLOBAL__N_19NonZeroOpIsEEPKslEEiEEEE10hipError_tPvRmT1_T2_T3_mT4_P12ihipStream_tbEUlT_E0_NS1_11comp_targetILNS1_3genE2ELNS1_11target_archE906ELNS1_3gpuE6ELNS1_3repE0EEENS1_30default_config_static_selectorELNS0_4arch9wavefront6targetE0EEEvSQ_: ; @_ZN7rocprim17ROCPRIM_400000_NS6detail17trampoline_kernelINS0_14default_configENS1_22reduce_config_selectorIiEEZNS1_11reduce_implILb1ES3_PiS7_iN6hipcub16HIPCUB_304000_NS6detail34convert_binary_result_type_wrapperINS9_3SumENS9_22TransformInputIteratorIbN2at6native12_GLOBAL__N_19NonZeroOpIsEEPKslEEiEEEE10hipError_tPvRmT1_T2_T3_mT4_P12ihipStream_tbEUlT_E0_NS1_11comp_targetILNS1_3genE2ELNS1_11target_archE906ELNS1_3gpuE6ELNS1_3repE0EEENS1_30default_config_static_selectorELNS0_4arch9wavefront6targetE0EEEvSQ_
; %bb.0:
	.section	.rodata,"a",@progbits
	.p2align	6, 0x0
	.amdhsa_kernel _ZN7rocprim17ROCPRIM_400000_NS6detail17trampoline_kernelINS0_14default_configENS1_22reduce_config_selectorIiEEZNS1_11reduce_implILb1ES3_PiS7_iN6hipcub16HIPCUB_304000_NS6detail34convert_binary_result_type_wrapperINS9_3SumENS9_22TransformInputIteratorIbN2at6native12_GLOBAL__N_19NonZeroOpIsEEPKslEEiEEEE10hipError_tPvRmT1_T2_T3_mT4_P12ihipStream_tbEUlT_E0_NS1_11comp_targetILNS1_3genE2ELNS1_11target_archE906ELNS1_3gpuE6ELNS1_3repE0EEENS1_30default_config_static_selectorELNS0_4arch9wavefront6targetE0EEEvSQ_
		.amdhsa_group_segment_fixed_size 0
		.amdhsa_private_segment_fixed_size 0
		.amdhsa_kernarg_size 56
		.amdhsa_user_sgpr_count 2
		.amdhsa_user_sgpr_dispatch_ptr 0
		.amdhsa_user_sgpr_queue_ptr 0
		.amdhsa_user_sgpr_kernarg_segment_ptr 1
		.amdhsa_user_sgpr_dispatch_id 0
		.amdhsa_user_sgpr_private_segment_size 0
		.amdhsa_wavefront_size32 1
		.amdhsa_uses_dynamic_stack 0
		.amdhsa_enable_private_segment 0
		.amdhsa_system_sgpr_workgroup_id_x 1
		.amdhsa_system_sgpr_workgroup_id_y 0
		.amdhsa_system_sgpr_workgroup_id_z 0
		.amdhsa_system_sgpr_workgroup_info 0
		.amdhsa_system_vgpr_workitem_id 0
		.amdhsa_next_free_vgpr 1
		.amdhsa_next_free_sgpr 1
		.amdhsa_reserve_vcc 0
		.amdhsa_float_round_mode_32 0
		.amdhsa_float_round_mode_16_64 0
		.amdhsa_float_denorm_mode_32 3
		.amdhsa_float_denorm_mode_16_64 3
		.amdhsa_fp16_overflow 0
		.amdhsa_workgroup_processor_mode 1
		.amdhsa_memory_ordered 1
		.amdhsa_forward_progress 1
		.amdhsa_inst_pref_size 0
		.amdhsa_round_robin_scheduling 0
		.amdhsa_exception_fp_ieee_invalid_op 0
		.amdhsa_exception_fp_denorm_src 0
		.amdhsa_exception_fp_ieee_div_zero 0
		.amdhsa_exception_fp_ieee_overflow 0
		.amdhsa_exception_fp_ieee_underflow 0
		.amdhsa_exception_fp_ieee_inexact 0
		.amdhsa_exception_int_div_zero 0
	.end_amdhsa_kernel
	.section	.text._ZN7rocprim17ROCPRIM_400000_NS6detail17trampoline_kernelINS0_14default_configENS1_22reduce_config_selectorIiEEZNS1_11reduce_implILb1ES3_PiS7_iN6hipcub16HIPCUB_304000_NS6detail34convert_binary_result_type_wrapperINS9_3SumENS9_22TransformInputIteratorIbN2at6native12_GLOBAL__N_19NonZeroOpIsEEPKslEEiEEEE10hipError_tPvRmT1_T2_T3_mT4_P12ihipStream_tbEUlT_E0_NS1_11comp_targetILNS1_3genE2ELNS1_11target_archE906ELNS1_3gpuE6ELNS1_3repE0EEENS1_30default_config_static_selectorELNS0_4arch9wavefront6targetE0EEEvSQ_,"axG",@progbits,_ZN7rocprim17ROCPRIM_400000_NS6detail17trampoline_kernelINS0_14default_configENS1_22reduce_config_selectorIiEEZNS1_11reduce_implILb1ES3_PiS7_iN6hipcub16HIPCUB_304000_NS6detail34convert_binary_result_type_wrapperINS9_3SumENS9_22TransformInputIteratorIbN2at6native12_GLOBAL__N_19NonZeroOpIsEEPKslEEiEEEE10hipError_tPvRmT1_T2_T3_mT4_P12ihipStream_tbEUlT_E0_NS1_11comp_targetILNS1_3genE2ELNS1_11target_archE906ELNS1_3gpuE6ELNS1_3repE0EEENS1_30default_config_static_selectorELNS0_4arch9wavefront6targetE0EEEvSQ_,comdat
.Lfunc_end290:
	.size	_ZN7rocprim17ROCPRIM_400000_NS6detail17trampoline_kernelINS0_14default_configENS1_22reduce_config_selectorIiEEZNS1_11reduce_implILb1ES3_PiS7_iN6hipcub16HIPCUB_304000_NS6detail34convert_binary_result_type_wrapperINS9_3SumENS9_22TransformInputIteratorIbN2at6native12_GLOBAL__N_19NonZeroOpIsEEPKslEEiEEEE10hipError_tPvRmT1_T2_T3_mT4_P12ihipStream_tbEUlT_E0_NS1_11comp_targetILNS1_3genE2ELNS1_11target_archE906ELNS1_3gpuE6ELNS1_3repE0EEENS1_30default_config_static_selectorELNS0_4arch9wavefront6targetE0EEEvSQ_, .Lfunc_end290-_ZN7rocprim17ROCPRIM_400000_NS6detail17trampoline_kernelINS0_14default_configENS1_22reduce_config_selectorIiEEZNS1_11reduce_implILb1ES3_PiS7_iN6hipcub16HIPCUB_304000_NS6detail34convert_binary_result_type_wrapperINS9_3SumENS9_22TransformInputIteratorIbN2at6native12_GLOBAL__N_19NonZeroOpIsEEPKslEEiEEEE10hipError_tPvRmT1_T2_T3_mT4_P12ihipStream_tbEUlT_E0_NS1_11comp_targetILNS1_3genE2ELNS1_11target_archE906ELNS1_3gpuE6ELNS1_3repE0EEENS1_30default_config_static_selectorELNS0_4arch9wavefront6targetE0EEEvSQ_
                                        ; -- End function
	.set _ZN7rocprim17ROCPRIM_400000_NS6detail17trampoline_kernelINS0_14default_configENS1_22reduce_config_selectorIiEEZNS1_11reduce_implILb1ES3_PiS7_iN6hipcub16HIPCUB_304000_NS6detail34convert_binary_result_type_wrapperINS9_3SumENS9_22TransformInputIteratorIbN2at6native12_GLOBAL__N_19NonZeroOpIsEEPKslEEiEEEE10hipError_tPvRmT1_T2_T3_mT4_P12ihipStream_tbEUlT_E0_NS1_11comp_targetILNS1_3genE2ELNS1_11target_archE906ELNS1_3gpuE6ELNS1_3repE0EEENS1_30default_config_static_selectorELNS0_4arch9wavefront6targetE0EEEvSQ_.num_vgpr, 0
	.set _ZN7rocprim17ROCPRIM_400000_NS6detail17trampoline_kernelINS0_14default_configENS1_22reduce_config_selectorIiEEZNS1_11reduce_implILb1ES3_PiS7_iN6hipcub16HIPCUB_304000_NS6detail34convert_binary_result_type_wrapperINS9_3SumENS9_22TransformInputIteratorIbN2at6native12_GLOBAL__N_19NonZeroOpIsEEPKslEEiEEEE10hipError_tPvRmT1_T2_T3_mT4_P12ihipStream_tbEUlT_E0_NS1_11comp_targetILNS1_3genE2ELNS1_11target_archE906ELNS1_3gpuE6ELNS1_3repE0EEENS1_30default_config_static_selectorELNS0_4arch9wavefront6targetE0EEEvSQ_.num_agpr, 0
	.set _ZN7rocprim17ROCPRIM_400000_NS6detail17trampoline_kernelINS0_14default_configENS1_22reduce_config_selectorIiEEZNS1_11reduce_implILb1ES3_PiS7_iN6hipcub16HIPCUB_304000_NS6detail34convert_binary_result_type_wrapperINS9_3SumENS9_22TransformInputIteratorIbN2at6native12_GLOBAL__N_19NonZeroOpIsEEPKslEEiEEEE10hipError_tPvRmT1_T2_T3_mT4_P12ihipStream_tbEUlT_E0_NS1_11comp_targetILNS1_3genE2ELNS1_11target_archE906ELNS1_3gpuE6ELNS1_3repE0EEENS1_30default_config_static_selectorELNS0_4arch9wavefront6targetE0EEEvSQ_.numbered_sgpr, 0
	.set _ZN7rocprim17ROCPRIM_400000_NS6detail17trampoline_kernelINS0_14default_configENS1_22reduce_config_selectorIiEEZNS1_11reduce_implILb1ES3_PiS7_iN6hipcub16HIPCUB_304000_NS6detail34convert_binary_result_type_wrapperINS9_3SumENS9_22TransformInputIteratorIbN2at6native12_GLOBAL__N_19NonZeroOpIsEEPKslEEiEEEE10hipError_tPvRmT1_T2_T3_mT4_P12ihipStream_tbEUlT_E0_NS1_11comp_targetILNS1_3genE2ELNS1_11target_archE906ELNS1_3gpuE6ELNS1_3repE0EEENS1_30default_config_static_selectorELNS0_4arch9wavefront6targetE0EEEvSQ_.num_named_barrier, 0
	.set _ZN7rocprim17ROCPRIM_400000_NS6detail17trampoline_kernelINS0_14default_configENS1_22reduce_config_selectorIiEEZNS1_11reduce_implILb1ES3_PiS7_iN6hipcub16HIPCUB_304000_NS6detail34convert_binary_result_type_wrapperINS9_3SumENS9_22TransformInputIteratorIbN2at6native12_GLOBAL__N_19NonZeroOpIsEEPKslEEiEEEE10hipError_tPvRmT1_T2_T3_mT4_P12ihipStream_tbEUlT_E0_NS1_11comp_targetILNS1_3genE2ELNS1_11target_archE906ELNS1_3gpuE6ELNS1_3repE0EEENS1_30default_config_static_selectorELNS0_4arch9wavefront6targetE0EEEvSQ_.private_seg_size, 0
	.set _ZN7rocprim17ROCPRIM_400000_NS6detail17trampoline_kernelINS0_14default_configENS1_22reduce_config_selectorIiEEZNS1_11reduce_implILb1ES3_PiS7_iN6hipcub16HIPCUB_304000_NS6detail34convert_binary_result_type_wrapperINS9_3SumENS9_22TransformInputIteratorIbN2at6native12_GLOBAL__N_19NonZeroOpIsEEPKslEEiEEEE10hipError_tPvRmT1_T2_T3_mT4_P12ihipStream_tbEUlT_E0_NS1_11comp_targetILNS1_3genE2ELNS1_11target_archE906ELNS1_3gpuE6ELNS1_3repE0EEENS1_30default_config_static_selectorELNS0_4arch9wavefront6targetE0EEEvSQ_.uses_vcc, 0
	.set _ZN7rocprim17ROCPRIM_400000_NS6detail17trampoline_kernelINS0_14default_configENS1_22reduce_config_selectorIiEEZNS1_11reduce_implILb1ES3_PiS7_iN6hipcub16HIPCUB_304000_NS6detail34convert_binary_result_type_wrapperINS9_3SumENS9_22TransformInputIteratorIbN2at6native12_GLOBAL__N_19NonZeroOpIsEEPKslEEiEEEE10hipError_tPvRmT1_T2_T3_mT4_P12ihipStream_tbEUlT_E0_NS1_11comp_targetILNS1_3genE2ELNS1_11target_archE906ELNS1_3gpuE6ELNS1_3repE0EEENS1_30default_config_static_selectorELNS0_4arch9wavefront6targetE0EEEvSQ_.uses_flat_scratch, 0
	.set _ZN7rocprim17ROCPRIM_400000_NS6detail17trampoline_kernelINS0_14default_configENS1_22reduce_config_selectorIiEEZNS1_11reduce_implILb1ES3_PiS7_iN6hipcub16HIPCUB_304000_NS6detail34convert_binary_result_type_wrapperINS9_3SumENS9_22TransformInputIteratorIbN2at6native12_GLOBAL__N_19NonZeroOpIsEEPKslEEiEEEE10hipError_tPvRmT1_T2_T3_mT4_P12ihipStream_tbEUlT_E0_NS1_11comp_targetILNS1_3genE2ELNS1_11target_archE906ELNS1_3gpuE6ELNS1_3repE0EEENS1_30default_config_static_selectorELNS0_4arch9wavefront6targetE0EEEvSQ_.has_dyn_sized_stack, 0
	.set _ZN7rocprim17ROCPRIM_400000_NS6detail17trampoline_kernelINS0_14default_configENS1_22reduce_config_selectorIiEEZNS1_11reduce_implILb1ES3_PiS7_iN6hipcub16HIPCUB_304000_NS6detail34convert_binary_result_type_wrapperINS9_3SumENS9_22TransformInputIteratorIbN2at6native12_GLOBAL__N_19NonZeroOpIsEEPKslEEiEEEE10hipError_tPvRmT1_T2_T3_mT4_P12ihipStream_tbEUlT_E0_NS1_11comp_targetILNS1_3genE2ELNS1_11target_archE906ELNS1_3gpuE6ELNS1_3repE0EEENS1_30default_config_static_selectorELNS0_4arch9wavefront6targetE0EEEvSQ_.has_recursion, 0
	.set _ZN7rocprim17ROCPRIM_400000_NS6detail17trampoline_kernelINS0_14default_configENS1_22reduce_config_selectorIiEEZNS1_11reduce_implILb1ES3_PiS7_iN6hipcub16HIPCUB_304000_NS6detail34convert_binary_result_type_wrapperINS9_3SumENS9_22TransformInputIteratorIbN2at6native12_GLOBAL__N_19NonZeroOpIsEEPKslEEiEEEE10hipError_tPvRmT1_T2_T3_mT4_P12ihipStream_tbEUlT_E0_NS1_11comp_targetILNS1_3genE2ELNS1_11target_archE906ELNS1_3gpuE6ELNS1_3repE0EEENS1_30default_config_static_selectorELNS0_4arch9wavefront6targetE0EEEvSQ_.has_indirect_call, 0
	.section	.AMDGPU.csdata,"",@progbits
; Kernel info:
; codeLenInByte = 0
; TotalNumSgprs: 0
; NumVgprs: 0
; ScratchSize: 0
; MemoryBound: 0
; FloatMode: 240
; IeeeMode: 1
; LDSByteSize: 0 bytes/workgroup (compile time only)
; SGPRBlocks: 0
; VGPRBlocks: 0
; NumSGPRsForWavesPerEU: 1
; NumVGPRsForWavesPerEU: 1
; Occupancy: 16
; WaveLimiterHint : 0
; COMPUTE_PGM_RSRC2:SCRATCH_EN: 0
; COMPUTE_PGM_RSRC2:USER_SGPR: 2
; COMPUTE_PGM_RSRC2:TRAP_HANDLER: 0
; COMPUTE_PGM_RSRC2:TGID_X_EN: 1
; COMPUTE_PGM_RSRC2:TGID_Y_EN: 0
; COMPUTE_PGM_RSRC2:TGID_Z_EN: 0
; COMPUTE_PGM_RSRC2:TIDIG_COMP_CNT: 0
	.section	.text._ZN7rocprim17ROCPRIM_400000_NS6detail17trampoline_kernelINS0_14default_configENS1_22reduce_config_selectorIiEEZNS1_11reduce_implILb1ES3_PiS7_iN6hipcub16HIPCUB_304000_NS6detail34convert_binary_result_type_wrapperINS9_3SumENS9_22TransformInputIteratorIbN2at6native12_GLOBAL__N_19NonZeroOpIsEEPKslEEiEEEE10hipError_tPvRmT1_T2_T3_mT4_P12ihipStream_tbEUlT_E0_NS1_11comp_targetILNS1_3genE10ELNS1_11target_archE1201ELNS1_3gpuE5ELNS1_3repE0EEENS1_30default_config_static_selectorELNS0_4arch9wavefront6targetE0EEEvSQ_,"axG",@progbits,_ZN7rocprim17ROCPRIM_400000_NS6detail17trampoline_kernelINS0_14default_configENS1_22reduce_config_selectorIiEEZNS1_11reduce_implILb1ES3_PiS7_iN6hipcub16HIPCUB_304000_NS6detail34convert_binary_result_type_wrapperINS9_3SumENS9_22TransformInputIteratorIbN2at6native12_GLOBAL__N_19NonZeroOpIsEEPKslEEiEEEE10hipError_tPvRmT1_T2_T3_mT4_P12ihipStream_tbEUlT_E0_NS1_11comp_targetILNS1_3genE10ELNS1_11target_archE1201ELNS1_3gpuE5ELNS1_3repE0EEENS1_30default_config_static_selectorELNS0_4arch9wavefront6targetE0EEEvSQ_,comdat
	.globl	_ZN7rocprim17ROCPRIM_400000_NS6detail17trampoline_kernelINS0_14default_configENS1_22reduce_config_selectorIiEEZNS1_11reduce_implILb1ES3_PiS7_iN6hipcub16HIPCUB_304000_NS6detail34convert_binary_result_type_wrapperINS9_3SumENS9_22TransformInputIteratorIbN2at6native12_GLOBAL__N_19NonZeroOpIsEEPKslEEiEEEE10hipError_tPvRmT1_T2_T3_mT4_P12ihipStream_tbEUlT_E0_NS1_11comp_targetILNS1_3genE10ELNS1_11target_archE1201ELNS1_3gpuE5ELNS1_3repE0EEENS1_30default_config_static_selectorELNS0_4arch9wavefront6targetE0EEEvSQ_ ; -- Begin function _ZN7rocprim17ROCPRIM_400000_NS6detail17trampoline_kernelINS0_14default_configENS1_22reduce_config_selectorIiEEZNS1_11reduce_implILb1ES3_PiS7_iN6hipcub16HIPCUB_304000_NS6detail34convert_binary_result_type_wrapperINS9_3SumENS9_22TransformInputIteratorIbN2at6native12_GLOBAL__N_19NonZeroOpIsEEPKslEEiEEEE10hipError_tPvRmT1_T2_T3_mT4_P12ihipStream_tbEUlT_E0_NS1_11comp_targetILNS1_3genE10ELNS1_11target_archE1201ELNS1_3gpuE5ELNS1_3repE0EEENS1_30default_config_static_selectorELNS0_4arch9wavefront6targetE0EEEvSQ_
	.p2align	8
	.type	_ZN7rocprim17ROCPRIM_400000_NS6detail17trampoline_kernelINS0_14default_configENS1_22reduce_config_selectorIiEEZNS1_11reduce_implILb1ES3_PiS7_iN6hipcub16HIPCUB_304000_NS6detail34convert_binary_result_type_wrapperINS9_3SumENS9_22TransformInputIteratorIbN2at6native12_GLOBAL__N_19NonZeroOpIsEEPKslEEiEEEE10hipError_tPvRmT1_T2_T3_mT4_P12ihipStream_tbEUlT_E0_NS1_11comp_targetILNS1_3genE10ELNS1_11target_archE1201ELNS1_3gpuE5ELNS1_3repE0EEENS1_30default_config_static_selectorELNS0_4arch9wavefront6targetE0EEEvSQ_,@function
_ZN7rocprim17ROCPRIM_400000_NS6detail17trampoline_kernelINS0_14default_configENS1_22reduce_config_selectorIiEEZNS1_11reduce_implILb1ES3_PiS7_iN6hipcub16HIPCUB_304000_NS6detail34convert_binary_result_type_wrapperINS9_3SumENS9_22TransformInputIteratorIbN2at6native12_GLOBAL__N_19NonZeroOpIsEEPKslEEiEEEE10hipError_tPvRmT1_T2_T3_mT4_P12ihipStream_tbEUlT_E0_NS1_11comp_targetILNS1_3genE10ELNS1_11target_archE1201ELNS1_3gpuE5ELNS1_3repE0EEENS1_30default_config_static_selectorELNS0_4arch9wavefront6targetE0EEEvSQ_: ; @_ZN7rocprim17ROCPRIM_400000_NS6detail17trampoline_kernelINS0_14default_configENS1_22reduce_config_selectorIiEEZNS1_11reduce_implILb1ES3_PiS7_iN6hipcub16HIPCUB_304000_NS6detail34convert_binary_result_type_wrapperINS9_3SumENS9_22TransformInputIteratorIbN2at6native12_GLOBAL__N_19NonZeroOpIsEEPKslEEiEEEE10hipError_tPvRmT1_T2_T3_mT4_P12ihipStream_tbEUlT_E0_NS1_11comp_targetILNS1_3genE10ELNS1_11target_archE1201ELNS1_3gpuE5ELNS1_3repE0EEENS1_30default_config_static_selectorELNS0_4arch9wavefront6targetE0EEEvSQ_
; %bb.0:
	s_clause 0x1
	s_load_b256 s[12:19], s[0:1], 0x0
	s_load_b128 s[20:23], s[0:1], 0x20
	s_lshl_b32 s2, ttmp9, 12
	s_mov_b32 s3, 0
	v_mbcnt_lo_u32_b32 v18, -1, 0
	v_lshlrev_b32_e32 v19, 2, v0
	s_mov_b32 s24, ttmp9
	s_mov_b32 s25, s3
	s_lshl_b64 s[8:9], s[2:3], 2
	s_wait_kmcnt 0x0
	s_lshl_b64 s[4:5], s[14:15], 2
	s_lshr_b64 s[6:7], s[16:17], 12
	s_add_nc_u64 s[4:5], s[12:13], s[4:5]
	s_cmp_lg_u64 s[6:7], s[24:25]
	s_add_nc_u64 s[26:27], s[4:5], s[8:9]
	s_cbranch_scc0 .LBB291_6
; %bb.1:
	s_clause 0xf
	global_load_b32 v1, v19, s[26:27]
	global_load_b32 v2, v19, s[26:27] offset:1024
	global_load_b32 v3, v19, s[26:27] offset:2048
	;; [unrolled: 1-line block ×15, first 2 shown]
	s_mov_b32 s3, exec_lo
	s_wait_loadcnt 0xe
	v_add_nc_u32_e32 v1, v2, v1
	s_wait_loadcnt 0xc
	s_delay_alu instid0(VALU_DEP_1) | instskip(SKIP_1) | instid1(VALU_DEP_1)
	v_add3_u32 v1, v1, v3, v4
	s_wait_loadcnt 0xa
	v_add3_u32 v1, v1, v5, v6
	s_wait_loadcnt 0x8
	s_delay_alu instid0(VALU_DEP_1) | instskip(SKIP_1) | instid1(VALU_DEP_1)
	v_add3_u32 v1, v1, v7, v8
	s_wait_loadcnt 0x6
	v_add3_u32 v1, v1, v9, v10
	;; [unrolled: 5-line block ×3, first 2 shown]
	s_wait_loadcnt 0x0
	s_delay_alu instid0(VALU_DEP_1) | instskip(NEXT) | instid1(VALU_DEP_1)
	v_add3_u32 v1, v1, v15, v16
	v_mov_b32_dpp v2, v1 quad_perm:[1,0,3,2] row_mask:0xf bank_mask:0xf
	s_delay_alu instid0(VALU_DEP_1) | instskip(NEXT) | instid1(VALU_DEP_1)
	v_add_nc_u32_e32 v1, v2, v1
	v_mov_b32_dpp v2, v1 quad_perm:[2,3,0,1] row_mask:0xf bank_mask:0xf
	s_delay_alu instid0(VALU_DEP_1) | instskip(NEXT) | instid1(VALU_DEP_1)
	v_add_nc_u32_e32 v1, v1, v2
	v_mov_b32_dpp v2, v1 row_ror:4 row_mask:0xf bank_mask:0xf
	s_delay_alu instid0(VALU_DEP_1) | instskip(NEXT) | instid1(VALU_DEP_1)
	v_add_nc_u32_e32 v1, v1, v2
	v_mov_b32_dpp v2, v1 row_ror:8 row_mask:0xf bank_mask:0xf
	s_delay_alu instid0(VALU_DEP_1)
	v_add_nc_u32_e32 v1, v1, v2
	ds_swizzle_b32 v2, v1 offset:swizzle(BROADCAST,32,15)
	s_wait_dscnt 0x0
	v_dual_mov_b32 v2, 0 :: v_dual_add_nc_u32 v1, v1, v2
	ds_bpermute_b32 v1, v2, v1 offset:124
	v_cmpx_eq_u32_e32 0, v18
	s_cbranch_execz .LBB291_3
; %bb.2:
	v_lshrrev_b32_e32 v2, 3, v0
	s_delay_alu instid0(VALU_DEP_1)
	v_and_b32_e32 v2, 28, v2
	s_wait_dscnt 0x0
	ds_store_b32 v2, v1
.LBB291_3:
	s_or_b32 exec_lo, exec_lo, s3
	s_delay_alu instid0(SALU_CYCLE_1)
	s_mov_b32 s3, exec_lo
	s_wait_dscnt 0x0
	s_barrier_signal -1
	s_barrier_wait -1
	global_inv scope:SCOPE_SE
	v_cmpx_gt_u32_e32 32, v0
	s_cbranch_execz .LBB291_5
; %bb.4:
	v_and_b32_e32 v1, 7, v18
	s_delay_alu instid0(VALU_DEP_1) | instskip(SKIP_4) | instid1(VALU_DEP_2)
	v_lshlrev_b32_e32 v2, 2, v1
	v_cmp_ne_u32_e32 vcc_lo, 7, v1
	ds_load_b32 v2, v2
	v_add_co_ci_u32_e64 v3, null, 0, v18, vcc_lo
	v_cmp_gt_u32_e32 vcc_lo, 6, v1
	v_lshlrev_b32_e32 v3, 2, v3
	s_wait_alu 0xfffd
	v_cndmask_b32_e64 v1, 0, 2, vcc_lo
	s_delay_alu instid0(VALU_DEP_1)
	v_add_lshl_u32 v1, v1, v18, 2
	s_wait_dscnt 0x0
	ds_bpermute_b32 v3, v3, v2
	s_wait_dscnt 0x0
	v_add_nc_u32_e32 v2, v3, v2
	v_lshlrev_b32_e32 v3, 2, v18
	ds_bpermute_b32 v1, v1, v2
	s_wait_dscnt 0x0
	v_add_nc_u32_e32 v1, v1, v2
	v_or_b32_e32 v2, 16, v3
	ds_bpermute_b32 v2, v2, v1
	s_wait_dscnt 0x0
	v_add_nc_u32_e32 v1, v2, v1
.LBB291_5:
	s_or_b32 exec_lo, exec_lo, s3
	s_branch .LBB291_44
.LBB291_6:
                                        ; implicit-def: $vgpr1
	s_cbranch_execz .LBB291_44
; %bb.7:
	v_mov_b32_e32 v1, 0
	s_sub_co_i32 s28, s16, s2
	s_mov_b32 s2, exec_lo
	s_delay_alu instid0(VALU_DEP_1)
	v_dual_mov_b32 v2, v1 :: v_dual_mov_b32 v3, v1
	v_dual_mov_b32 v4, v1 :: v_dual_mov_b32 v5, v1
	;; [unrolled: 1-line block ×7, first 2 shown]
	v_mov_b32_e32 v16, v1
	v_cmpx_gt_u32_e64 s28, v0
	s_cbranch_execz .LBB291_9
; %bb.8:
	global_load_b32 v2, v19, s[26:27]
	v_mov_b32_e32 v17, v1
	v_dual_mov_b32 v3, v1 :: v_dual_mov_b32 v4, v1
	v_dual_mov_b32 v5, v1 :: v_dual_mov_b32 v6, v1
	;; [unrolled: 1-line block ×7, first 2 shown]
	s_wait_loadcnt 0x0
	v_mov_b32_e32 v1, v2
	v_mov_b32_e32 v2, v3
	;; [unrolled: 1-line block ×16, first 2 shown]
.LBB291_9:
	s_or_b32 exec_lo, exec_lo, s2
	v_or_b32_e32 v17, 0x100, v0
	s_delay_alu instid0(VALU_DEP_1)
	v_cmp_gt_u32_e32 vcc_lo, s28, v17
	s_and_saveexec_b32 s2, vcc_lo
	s_cbranch_execz .LBB291_11
; %bb.10:
	global_load_b32 v2, v19, s[26:27] offset:1024
.LBB291_11:
	s_or_b32 exec_lo, exec_lo, s2
	v_or_b32_e32 v17, 0x200, v0
	s_delay_alu instid0(VALU_DEP_1)
	v_cmp_gt_u32_e64 s2, s28, v17
	s_and_saveexec_b32 s3, s2
	s_cbranch_execz .LBB291_13
; %bb.12:
	global_load_b32 v3, v19, s[26:27] offset:2048
.LBB291_13:
	s_or_b32 exec_lo, exec_lo, s3
	v_or_b32_e32 v17, 0x300, v0
	s_delay_alu instid0(VALU_DEP_1)
	v_cmp_gt_u32_e64 s3, s28, v17
	s_and_saveexec_b32 s4, s3
	;; [unrolled: 9-line block ×14, first 2 shown]
	s_cbranch_execz .LBB291_39
; %bb.38:
	global_load_b32 v16, v19, s[26:27] offset:15360
.LBB291_39:
	s_wait_alu 0xfffe
	s_or_b32 exec_lo, exec_lo, s29
	s_wait_loadcnt 0x0
	v_cndmask_b32_e32 v2, 0, v2, vcc_lo
	v_cndmask_b32_e64 v3, 0, v3, s2
	v_cndmask_b32_e64 v4, 0, v4, s3
	v_cmp_ne_u32_e32 vcc_lo, 31, v18
	s_min_u32 s2, s28, 0x100
	v_add_nc_u32_e32 v1, v2, v1
	v_cndmask_b32_e64 v2, 0, v5, s4
	v_cndmask_b32_e64 v5, 0, v6, s5
	;; [unrolled: 1-line block ×3, first 2 shown]
	s_mov_b32 s3, exec_lo
	v_add3_u32 v1, v1, v3, v4
	v_cndmask_b32_e64 v3, 0, v7, s6
	v_cndmask_b32_e64 v4, 0, v8, s7
	s_delay_alu instid0(VALU_DEP_3) | instskip(SKIP_2) | instid1(VALU_DEP_3)
	v_add3_u32 v1, v1, v2, v5
	v_cndmask_b32_e64 v2, 0, v9, s8
	v_cndmask_b32_e64 v5, 0, v10, s9
	v_add3_u32 v1, v1, v3, v4
	v_cndmask_b32_e64 v3, 0, v11, s10
	v_cndmask_b32_e64 v4, 0, v12, s11
	s_delay_alu instid0(VALU_DEP_3) | instskip(SKIP_2) | instid1(VALU_DEP_3)
	v_add3_u32 v1, v1, v2, v5
	v_cndmask_b32_e64 v2, 0, v13, s12
	v_cndmask_b32_e64 v5, 0, v14, s13
	v_add3_u32 v1, v1, v3, v4
	v_cndmask_b32_e64 v3, 0, v16, s15
	s_wait_alu 0xfffd
	v_add_co_ci_u32_e64 v4, null, 0, v18, vcc_lo
	v_cmp_gt_u32_e32 vcc_lo, 30, v18
	v_add3_u32 v1, v1, v2, v5
	s_delay_alu instid0(VALU_DEP_3)
	v_lshlrev_b32_e32 v2, 2, v4
	v_add_nc_u32_e32 v4, 1, v18
	s_wait_alu 0xfffd
	v_cndmask_b32_e64 v5, 0, 2, vcc_lo
	v_add3_u32 v1, v1, v6, v3
	v_and_b32_e32 v3, 0xe0, v0
	ds_bpermute_b32 v2, v2, v1
	s_wait_alu 0xfffe
	v_sub_nc_u32_e64 v3, s2, v3 clamp
	s_delay_alu instid0(VALU_DEP_1)
	v_cmp_lt_u32_e32 vcc_lo, v4, v3
	v_add_lshl_u32 v4, v5, v18, 2
	s_wait_dscnt 0x0
	s_wait_alu 0xfffd
	v_cndmask_b32_e32 v2, 0, v2, vcc_lo
	v_cmp_gt_u32_e32 vcc_lo, 28, v18
	s_delay_alu instid0(VALU_DEP_2) | instskip(SKIP_4) | instid1(VALU_DEP_1)
	v_add_nc_u32_e32 v1, v1, v2
	s_wait_alu 0xfffd
	v_cndmask_b32_e64 v5, 0, 4, vcc_lo
	ds_bpermute_b32 v2, v4, v1
	v_add_nc_u32_e32 v4, 2, v18
	v_cmp_lt_u32_e32 vcc_lo, v4, v3
	v_add_lshl_u32 v4, v5, v18, 2
	s_wait_dscnt 0x0
	s_wait_alu 0xfffd
	v_cndmask_b32_e32 v2, 0, v2, vcc_lo
	v_cmp_gt_u32_e32 vcc_lo, 24, v18
	s_delay_alu instid0(VALU_DEP_2) | instskip(SKIP_4) | instid1(VALU_DEP_1)
	v_add_nc_u32_e32 v1, v1, v2
	s_wait_alu 0xfffd
	v_cndmask_b32_e64 v5, 0, 8, vcc_lo
	ds_bpermute_b32 v2, v4, v1
	v_add_nc_u32_e32 v4, 4, v18
	v_cmp_lt_u32_e32 vcc_lo, v4, v3
	v_add_lshl_u32 v4, v5, v18, 2
	v_add_nc_u32_e32 v5, 8, v18
	s_wait_dscnt 0x0
	s_wait_alu 0xfffd
	v_cndmask_b32_e32 v2, 0, v2, vcc_lo
	s_delay_alu instid0(VALU_DEP_2) | instskip(NEXT) | instid1(VALU_DEP_2)
	v_cmp_lt_u32_e32 vcc_lo, v5, v3
	v_add_nc_u32_e32 v1, v1, v2
	v_lshlrev_b32_e32 v2, 2, v18
	ds_bpermute_b32 v4, v4, v1
	v_or_b32_e32 v5, 64, v2
	s_wait_dscnt 0x0
	s_wait_alu 0xfffd
	v_cndmask_b32_e32 v4, 0, v4, vcc_lo
	s_delay_alu instid0(VALU_DEP_1) | instskip(SKIP_2) | instid1(VALU_DEP_1)
	v_add_nc_u32_e32 v1, v1, v4
	ds_bpermute_b32 v4, v5, v1
	v_add_nc_u32_e32 v5, 16, v18
	v_cmp_lt_u32_e32 vcc_lo, v5, v3
	s_wait_dscnt 0x0
	s_wait_alu 0xfffd
	v_cndmask_b32_e32 v3, 0, v4, vcc_lo
	s_delay_alu instid0(VALU_DEP_1)
	v_add_nc_u32_e32 v1, v1, v3
	v_cmpx_eq_u32_e32 0, v18
; %bb.40:
	v_lshrrev_b32_e32 v3, 3, v0
	s_delay_alu instid0(VALU_DEP_1)
	v_and_b32_e32 v3, 28, v3
	ds_store_b32 v3, v1 offset:32
; %bb.41:
	s_or_b32 exec_lo, exec_lo, s3
	s_delay_alu instid0(SALU_CYCLE_1)
	s_mov_b32 s3, exec_lo
	s_wait_dscnt 0x0
	s_barrier_signal -1
	s_barrier_wait -1
	global_inv scope:SCOPE_SE
	v_cmpx_gt_u32_e32 8, v0
	s_cbranch_execz .LBB291_43
; %bb.42:
	ds_load_b32 v1, v2 offset:32
	v_and_b32_e32 v3, 7, v18
	s_add_co_i32 s2, s2, 31
	v_or_b32_e32 v2, 16, v2
	s_wait_alu 0xfffe
	s_lshr_b32 s2, s2, 5
	v_cmp_ne_u32_e32 vcc_lo, 7, v3
	v_add_nc_u32_e32 v5, 1, v3
	s_wait_alu 0xfffd
	v_add_co_ci_u32_e64 v4, null, 0, v18, vcc_lo
	v_cmp_gt_u32_e32 vcc_lo, 6, v3
	s_delay_alu instid0(VALU_DEP_2)
	v_lshlrev_b32_e32 v4, 2, v4
	s_wait_alu 0xfffd
	v_cndmask_b32_e64 v6, 0, 2, vcc_lo
	s_wait_alu 0xfffe
	v_cmp_gt_u32_e32 vcc_lo, s2, v5
	s_wait_dscnt 0x0
	ds_bpermute_b32 v4, v4, v1
	v_add_lshl_u32 v5, v6, v18, 2
	s_wait_dscnt 0x0
	s_wait_alu 0xfffd
	v_cndmask_b32_e32 v4, 0, v4, vcc_lo
	s_delay_alu instid0(VALU_DEP_1) | instskip(SKIP_3) | instid1(VALU_DEP_2)
	v_add_nc_u32_e32 v1, v4, v1
	ds_bpermute_b32 v4, v5, v1
	v_add_nc_u32_e32 v5, 2, v3
	v_add_nc_u32_e32 v3, 4, v3
	v_cmp_gt_u32_e32 vcc_lo, s2, v5
	s_wait_dscnt 0x0
	s_wait_alu 0xfffd
	v_cndmask_b32_e32 v4, 0, v4, vcc_lo
	v_cmp_gt_u32_e32 vcc_lo, s2, v3
	s_delay_alu instid0(VALU_DEP_2) | instskip(SKIP_4) | instid1(VALU_DEP_1)
	v_add_nc_u32_e32 v1, v1, v4
	ds_bpermute_b32 v2, v2, v1
	s_wait_dscnt 0x0
	s_wait_alu 0xfffd
	v_cndmask_b32_e32 v2, 0, v2, vcc_lo
	v_add_nc_u32_e32 v1, v1, v2
.LBB291_43:
	s_wait_alu 0xfffe
	s_or_b32 exec_lo, exec_lo, s3
.LBB291_44:
	s_load_b32 s0, s[0:1], 0x30
	s_mov_b32 s1, exec_lo
	v_cmpx_eq_u32_e32 0, v0
	s_cbranch_execz .LBB291_46
; %bb.45:
	s_mul_u64 s[2:3], s[22:23], s[20:21]
	s_wait_alu 0xfffe
	s_lshl_b64 s[2:3], s[2:3], 2
	s_cmp_eq_u64 s[16:17], 0
	s_wait_alu 0xfffe
	s_add_nc_u64 s[2:3], s[18:19], s[2:3]
	s_cselect_b32 s1, -1, 0
	s_wait_kmcnt 0x0
	v_cndmask_b32_e64 v0, v1, s0, s1
	v_mov_b32_e32 v1, 0
	s_lshl_b64 s[0:1], s[24:25], 2
	s_wait_alu 0xfffe
	s_add_nc_u64 s[0:1], s[2:3], s[0:1]
	global_store_b32 v1, v0, s[0:1]
.LBB291_46:
	s_endpgm
	.section	.rodata,"a",@progbits
	.p2align	6, 0x0
	.amdhsa_kernel _ZN7rocprim17ROCPRIM_400000_NS6detail17trampoline_kernelINS0_14default_configENS1_22reduce_config_selectorIiEEZNS1_11reduce_implILb1ES3_PiS7_iN6hipcub16HIPCUB_304000_NS6detail34convert_binary_result_type_wrapperINS9_3SumENS9_22TransformInputIteratorIbN2at6native12_GLOBAL__N_19NonZeroOpIsEEPKslEEiEEEE10hipError_tPvRmT1_T2_T3_mT4_P12ihipStream_tbEUlT_E0_NS1_11comp_targetILNS1_3genE10ELNS1_11target_archE1201ELNS1_3gpuE5ELNS1_3repE0EEENS1_30default_config_static_selectorELNS0_4arch9wavefront6targetE0EEEvSQ_
		.amdhsa_group_segment_fixed_size 64
		.amdhsa_private_segment_fixed_size 0
		.amdhsa_kernarg_size 56
		.amdhsa_user_sgpr_count 2
		.amdhsa_user_sgpr_dispatch_ptr 0
		.amdhsa_user_sgpr_queue_ptr 0
		.amdhsa_user_sgpr_kernarg_segment_ptr 1
		.amdhsa_user_sgpr_dispatch_id 0
		.amdhsa_user_sgpr_private_segment_size 0
		.amdhsa_wavefront_size32 1
		.amdhsa_uses_dynamic_stack 0
		.amdhsa_enable_private_segment 0
		.amdhsa_system_sgpr_workgroup_id_x 1
		.amdhsa_system_sgpr_workgroup_id_y 0
		.amdhsa_system_sgpr_workgroup_id_z 0
		.amdhsa_system_sgpr_workgroup_info 0
		.amdhsa_system_vgpr_workitem_id 0
		.amdhsa_next_free_vgpr 20
		.amdhsa_next_free_sgpr 30
		.amdhsa_reserve_vcc 1
		.amdhsa_float_round_mode_32 0
		.amdhsa_float_round_mode_16_64 0
		.amdhsa_float_denorm_mode_32 3
		.amdhsa_float_denorm_mode_16_64 3
		.amdhsa_fp16_overflow 0
		.amdhsa_workgroup_processor_mode 1
		.amdhsa_memory_ordered 1
		.amdhsa_forward_progress 1
		.amdhsa_inst_pref_size 20
		.amdhsa_round_robin_scheduling 0
		.amdhsa_exception_fp_ieee_invalid_op 0
		.amdhsa_exception_fp_denorm_src 0
		.amdhsa_exception_fp_ieee_div_zero 0
		.amdhsa_exception_fp_ieee_overflow 0
		.amdhsa_exception_fp_ieee_underflow 0
		.amdhsa_exception_fp_ieee_inexact 0
		.amdhsa_exception_int_div_zero 0
	.end_amdhsa_kernel
	.section	.text._ZN7rocprim17ROCPRIM_400000_NS6detail17trampoline_kernelINS0_14default_configENS1_22reduce_config_selectorIiEEZNS1_11reduce_implILb1ES3_PiS7_iN6hipcub16HIPCUB_304000_NS6detail34convert_binary_result_type_wrapperINS9_3SumENS9_22TransformInputIteratorIbN2at6native12_GLOBAL__N_19NonZeroOpIsEEPKslEEiEEEE10hipError_tPvRmT1_T2_T3_mT4_P12ihipStream_tbEUlT_E0_NS1_11comp_targetILNS1_3genE10ELNS1_11target_archE1201ELNS1_3gpuE5ELNS1_3repE0EEENS1_30default_config_static_selectorELNS0_4arch9wavefront6targetE0EEEvSQ_,"axG",@progbits,_ZN7rocprim17ROCPRIM_400000_NS6detail17trampoline_kernelINS0_14default_configENS1_22reduce_config_selectorIiEEZNS1_11reduce_implILb1ES3_PiS7_iN6hipcub16HIPCUB_304000_NS6detail34convert_binary_result_type_wrapperINS9_3SumENS9_22TransformInputIteratorIbN2at6native12_GLOBAL__N_19NonZeroOpIsEEPKslEEiEEEE10hipError_tPvRmT1_T2_T3_mT4_P12ihipStream_tbEUlT_E0_NS1_11comp_targetILNS1_3genE10ELNS1_11target_archE1201ELNS1_3gpuE5ELNS1_3repE0EEENS1_30default_config_static_selectorELNS0_4arch9wavefront6targetE0EEEvSQ_,comdat
.Lfunc_end291:
	.size	_ZN7rocprim17ROCPRIM_400000_NS6detail17trampoline_kernelINS0_14default_configENS1_22reduce_config_selectorIiEEZNS1_11reduce_implILb1ES3_PiS7_iN6hipcub16HIPCUB_304000_NS6detail34convert_binary_result_type_wrapperINS9_3SumENS9_22TransformInputIteratorIbN2at6native12_GLOBAL__N_19NonZeroOpIsEEPKslEEiEEEE10hipError_tPvRmT1_T2_T3_mT4_P12ihipStream_tbEUlT_E0_NS1_11comp_targetILNS1_3genE10ELNS1_11target_archE1201ELNS1_3gpuE5ELNS1_3repE0EEENS1_30default_config_static_selectorELNS0_4arch9wavefront6targetE0EEEvSQ_, .Lfunc_end291-_ZN7rocprim17ROCPRIM_400000_NS6detail17trampoline_kernelINS0_14default_configENS1_22reduce_config_selectorIiEEZNS1_11reduce_implILb1ES3_PiS7_iN6hipcub16HIPCUB_304000_NS6detail34convert_binary_result_type_wrapperINS9_3SumENS9_22TransformInputIteratorIbN2at6native12_GLOBAL__N_19NonZeroOpIsEEPKslEEiEEEE10hipError_tPvRmT1_T2_T3_mT4_P12ihipStream_tbEUlT_E0_NS1_11comp_targetILNS1_3genE10ELNS1_11target_archE1201ELNS1_3gpuE5ELNS1_3repE0EEENS1_30default_config_static_selectorELNS0_4arch9wavefront6targetE0EEEvSQ_
                                        ; -- End function
	.set _ZN7rocprim17ROCPRIM_400000_NS6detail17trampoline_kernelINS0_14default_configENS1_22reduce_config_selectorIiEEZNS1_11reduce_implILb1ES3_PiS7_iN6hipcub16HIPCUB_304000_NS6detail34convert_binary_result_type_wrapperINS9_3SumENS9_22TransformInputIteratorIbN2at6native12_GLOBAL__N_19NonZeroOpIsEEPKslEEiEEEE10hipError_tPvRmT1_T2_T3_mT4_P12ihipStream_tbEUlT_E0_NS1_11comp_targetILNS1_3genE10ELNS1_11target_archE1201ELNS1_3gpuE5ELNS1_3repE0EEENS1_30default_config_static_selectorELNS0_4arch9wavefront6targetE0EEEvSQ_.num_vgpr, 20
	.set _ZN7rocprim17ROCPRIM_400000_NS6detail17trampoline_kernelINS0_14default_configENS1_22reduce_config_selectorIiEEZNS1_11reduce_implILb1ES3_PiS7_iN6hipcub16HIPCUB_304000_NS6detail34convert_binary_result_type_wrapperINS9_3SumENS9_22TransformInputIteratorIbN2at6native12_GLOBAL__N_19NonZeroOpIsEEPKslEEiEEEE10hipError_tPvRmT1_T2_T3_mT4_P12ihipStream_tbEUlT_E0_NS1_11comp_targetILNS1_3genE10ELNS1_11target_archE1201ELNS1_3gpuE5ELNS1_3repE0EEENS1_30default_config_static_selectorELNS0_4arch9wavefront6targetE0EEEvSQ_.num_agpr, 0
	.set _ZN7rocprim17ROCPRIM_400000_NS6detail17trampoline_kernelINS0_14default_configENS1_22reduce_config_selectorIiEEZNS1_11reduce_implILb1ES3_PiS7_iN6hipcub16HIPCUB_304000_NS6detail34convert_binary_result_type_wrapperINS9_3SumENS9_22TransformInputIteratorIbN2at6native12_GLOBAL__N_19NonZeroOpIsEEPKslEEiEEEE10hipError_tPvRmT1_T2_T3_mT4_P12ihipStream_tbEUlT_E0_NS1_11comp_targetILNS1_3genE10ELNS1_11target_archE1201ELNS1_3gpuE5ELNS1_3repE0EEENS1_30default_config_static_selectorELNS0_4arch9wavefront6targetE0EEEvSQ_.numbered_sgpr, 30
	.set _ZN7rocprim17ROCPRIM_400000_NS6detail17trampoline_kernelINS0_14default_configENS1_22reduce_config_selectorIiEEZNS1_11reduce_implILb1ES3_PiS7_iN6hipcub16HIPCUB_304000_NS6detail34convert_binary_result_type_wrapperINS9_3SumENS9_22TransformInputIteratorIbN2at6native12_GLOBAL__N_19NonZeroOpIsEEPKslEEiEEEE10hipError_tPvRmT1_T2_T3_mT4_P12ihipStream_tbEUlT_E0_NS1_11comp_targetILNS1_3genE10ELNS1_11target_archE1201ELNS1_3gpuE5ELNS1_3repE0EEENS1_30default_config_static_selectorELNS0_4arch9wavefront6targetE0EEEvSQ_.num_named_barrier, 0
	.set _ZN7rocprim17ROCPRIM_400000_NS6detail17trampoline_kernelINS0_14default_configENS1_22reduce_config_selectorIiEEZNS1_11reduce_implILb1ES3_PiS7_iN6hipcub16HIPCUB_304000_NS6detail34convert_binary_result_type_wrapperINS9_3SumENS9_22TransformInputIteratorIbN2at6native12_GLOBAL__N_19NonZeroOpIsEEPKslEEiEEEE10hipError_tPvRmT1_T2_T3_mT4_P12ihipStream_tbEUlT_E0_NS1_11comp_targetILNS1_3genE10ELNS1_11target_archE1201ELNS1_3gpuE5ELNS1_3repE0EEENS1_30default_config_static_selectorELNS0_4arch9wavefront6targetE0EEEvSQ_.private_seg_size, 0
	.set _ZN7rocprim17ROCPRIM_400000_NS6detail17trampoline_kernelINS0_14default_configENS1_22reduce_config_selectorIiEEZNS1_11reduce_implILb1ES3_PiS7_iN6hipcub16HIPCUB_304000_NS6detail34convert_binary_result_type_wrapperINS9_3SumENS9_22TransformInputIteratorIbN2at6native12_GLOBAL__N_19NonZeroOpIsEEPKslEEiEEEE10hipError_tPvRmT1_T2_T3_mT4_P12ihipStream_tbEUlT_E0_NS1_11comp_targetILNS1_3genE10ELNS1_11target_archE1201ELNS1_3gpuE5ELNS1_3repE0EEENS1_30default_config_static_selectorELNS0_4arch9wavefront6targetE0EEEvSQ_.uses_vcc, 1
	.set _ZN7rocprim17ROCPRIM_400000_NS6detail17trampoline_kernelINS0_14default_configENS1_22reduce_config_selectorIiEEZNS1_11reduce_implILb1ES3_PiS7_iN6hipcub16HIPCUB_304000_NS6detail34convert_binary_result_type_wrapperINS9_3SumENS9_22TransformInputIteratorIbN2at6native12_GLOBAL__N_19NonZeroOpIsEEPKslEEiEEEE10hipError_tPvRmT1_T2_T3_mT4_P12ihipStream_tbEUlT_E0_NS1_11comp_targetILNS1_3genE10ELNS1_11target_archE1201ELNS1_3gpuE5ELNS1_3repE0EEENS1_30default_config_static_selectorELNS0_4arch9wavefront6targetE0EEEvSQ_.uses_flat_scratch, 0
	.set _ZN7rocprim17ROCPRIM_400000_NS6detail17trampoline_kernelINS0_14default_configENS1_22reduce_config_selectorIiEEZNS1_11reduce_implILb1ES3_PiS7_iN6hipcub16HIPCUB_304000_NS6detail34convert_binary_result_type_wrapperINS9_3SumENS9_22TransformInputIteratorIbN2at6native12_GLOBAL__N_19NonZeroOpIsEEPKslEEiEEEE10hipError_tPvRmT1_T2_T3_mT4_P12ihipStream_tbEUlT_E0_NS1_11comp_targetILNS1_3genE10ELNS1_11target_archE1201ELNS1_3gpuE5ELNS1_3repE0EEENS1_30default_config_static_selectorELNS0_4arch9wavefront6targetE0EEEvSQ_.has_dyn_sized_stack, 0
	.set _ZN7rocprim17ROCPRIM_400000_NS6detail17trampoline_kernelINS0_14default_configENS1_22reduce_config_selectorIiEEZNS1_11reduce_implILb1ES3_PiS7_iN6hipcub16HIPCUB_304000_NS6detail34convert_binary_result_type_wrapperINS9_3SumENS9_22TransformInputIteratorIbN2at6native12_GLOBAL__N_19NonZeroOpIsEEPKslEEiEEEE10hipError_tPvRmT1_T2_T3_mT4_P12ihipStream_tbEUlT_E0_NS1_11comp_targetILNS1_3genE10ELNS1_11target_archE1201ELNS1_3gpuE5ELNS1_3repE0EEENS1_30default_config_static_selectorELNS0_4arch9wavefront6targetE0EEEvSQ_.has_recursion, 0
	.set _ZN7rocprim17ROCPRIM_400000_NS6detail17trampoline_kernelINS0_14default_configENS1_22reduce_config_selectorIiEEZNS1_11reduce_implILb1ES3_PiS7_iN6hipcub16HIPCUB_304000_NS6detail34convert_binary_result_type_wrapperINS9_3SumENS9_22TransformInputIteratorIbN2at6native12_GLOBAL__N_19NonZeroOpIsEEPKslEEiEEEE10hipError_tPvRmT1_T2_T3_mT4_P12ihipStream_tbEUlT_E0_NS1_11comp_targetILNS1_3genE10ELNS1_11target_archE1201ELNS1_3gpuE5ELNS1_3repE0EEENS1_30default_config_static_selectorELNS0_4arch9wavefront6targetE0EEEvSQ_.has_indirect_call, 0
	.section	.AMDGPU.csdata,"",@progbits
; Kernel info:
; codeLenInByte = 2448
; TotalNumSgprs: 32
; NumVgprs: 20
; ScratchSize: 0
; MemoryBound: 0
; FloatMode: 240
; IeeeMode: 1
; LDSByteSize: 64 bytes/workgroup (compile time only)
; SGPRBlocks: 0
; VGPRBlocks: 2
; NumSGPRsForWavesPerEU: 32
; NumVGPRsForWavesPerEU: 20
; Occupancy: 16
; WaveLimiterHint : 1
; COMPUTE_PGM_RSRC2:SCRATCH_EN: 0
; COMPUTE_PGM_RSRC2:USER_SGPR: 2
; COMPUTE_PGM_RSRC2:TRAP_HANDLER: 0
; COMPUTE_PGM_RSRC2:TGID_X_EN: 1
; COMPUTE_PGM_RSRC2:TGID_Y_EN: 0
; COMPUTE_PGM_RSRC2:TGID_Z_EN: 0
; COMPUTE_PGM_RSRC2:TIDIG_COMP_CNT: 0
	.section	.text._ZN7rocprim17ROCPRIM_400000_NS6detail17trampoline_kernelINS0_14default_configENS1_22reduce_config_selectorIiEEZNS1_11reduce_implILb1ES3_PiS7_iN6hipcub16HIPCUB_304000_NS6detail34convert_binary_result_type_wrapperINS9_3SumENS9_22TransformInputIteratorIbN2at6native12_GLOBAL__N_19NonZeroOpIsEEPKslEEiEEEE10hipError_tPvRmT1_T2_T3_mT4_P12ihipStream_tbEUlT_E0_NS1_11comp_targetILNS1_3genE10ELNS1_11target_archE1200ELNS1_3gpuE4ELNS1_3repE0EEENS1_30default_config_static_selectorELNS0_4arch9wavefront6targetE0EEEvSQ_,"axG",@progbits,_ZN7rocprim17ROCPRIM_400000_NS6detail17trampoline_kernelINS0_14default_configENS1_22reduce_config_selectorIiEEZNS1_11reduce_implILb1ES3_PiS7_iN6hipcub16HIPCUB_304000_NS6detail34convert_binary_result_type_wrapperINS9_3SumENS9_22TransformInputIteratorIbN2at6native12_GLOBAL__N_19NonZeroOpIsEEPKslEEiEEEE10hipError_tPvRmT1_T2_T3_mT4_P12ihipStream_tbEUlT_E0_NS1_11comp_targetILNS1_3genE10ELNS1_11target_archE1200ELNS1_3gpuE4ELNS1_3repE0EEENS1_30default_config_static_selectorELNS0_4arch9wavefront6targetE0EEEvSQ_,comdat
	.globl	_ZN7rocprim17ROCPRIM_400000_NS6detail17trampoline_kernelINS0_14default_configENS1_22reduce_config_selectorIiEEZNS1_11reduce_implILb1ES3_PiS7_iN6hipcub16HIPCUB_304000_NS6detail34convert_binary_result_type_wrapperINS9_3SumENS9_22TransformInputIteratorIbN2at6native12_GLOBAL__N_19NonZeroOpIsEEPKslEEiEEEE10hipError_tPvRmT1_T2_T3_mT4_P12ihipStream_tbEUlT_E0_NS1_11comp_targetILNS1_3genE10ELNS1_11target_archE1200ELNS1_3gpuE4ELNS1_3repE0EEENS1_30default_config_static_selectorELNS0_4arch9wavefront6targetE0EEEvSQ_ ; -- Begin function _ZN7rocprim17ROCPRIM_400000_NS6detail17trampoline_kernelINS0_14default_configENS1_22reduce_config_selectorIiEEZNS1_11reduce_implILb1ES3_PiS7_iN6hipcub16HIPCUB_304000_NS6detail34convert_binary_result_type_wrapperINS9_3SumENS9_22TransformInputIteratorIbN2at6native12_GLOBAL__N_19NonZeroOpIsEEPKslEEiEEEE10hipError_tPvRmT1_T2_T3_mT4_P12ihipStream_tbEUlT_E0_NS1_11comp_targetILNS1_3genE10ELNS1_11target_archE1200ELNS1_3gpuE4ELNS1_3repE0EEENS1_30default_config_static_selectorELNS0_4arch9wavefront6targetE0EEEvSQ_
	.p2align	8
	.type	_ZN7rocprim17ROCPRIM_400000_NS6detail17trampoline_kernelINS0_14default_configENS1_22reduce_config_selectorIiEEZNS1_11reduce_implILb1ES3_PiS7_iN6hipcub16HIPCUB_304000_NS6detail34convert_binary_result_type_wrapperINS9_3SumENS9_22TransformInputIteratorIbN2at6native12_GLOBAL__N_19NonZeroOpIsEEPKslEEiEEEE10hipError_tPvRmT1_T2_T3_mT4_P12ihipStream_tbEUlT_E0_NS1_11comp_targetILNS1_3genE10ELNS1_11target_archE1200ELNS1_3gpuE4ELNS1_3repE0EEENS1_30default_config_static_selectorELNS0_4arch9wavefront6targetE0EEEvSQ_,@function
_ZN7rocprim17ROCPRIM_400000_NS6detail17trampoline_kernelINS0_14default_configENS1_22reduce_config_selectorIiEEZNS1_11reduce_implILb1ES3_PiS7_iN6hipcub16HIPCUB_304000_NS6detail34convert_binary_result_type_wrapperINS9_3SumENS9_22TransformInputIteratorIbN2at6native12_GLOBAL__N_19NonZeroOpIsEEPKslEEiEEEE10hipError_tPvRmT1_T2_T3_mT4_P12ihipStream_tbEUlT_E0_NS1_11comp_targetILNS1_3genE10ELNS1_11target_archE1200ELNS1_3gpuE4ELNS1_3repE0EEENS1_30default_config_static_selectorELNS0_4arch9wavefront6targetE0EEEvSQ_: ; @_ZN7rocprim17ROCPRIM_400000_NS6detail17trampoline_kernelINS0_14default_configENS1_22reduce_config_selectorIiEEZNS1_11reduce_implILb1ES3_PiS7_iN6hipcub16HIPCUB_304000_NS6detail34convert_binary_result_type_wrapperINS9_3SumENS9_22TransformInputIteratorIbN2at6native12_GLOBAL__N_19NonZeroOpIsEEPKslEEiEEEE10hipError_tPvRmT1_T2_T3_mT4_P12ihipStream_tbEUlT_E0_NS1_11comp_targetILNS1_3genE10ELNS1_11target_archE1200ELNS1_3gpuE4ELNS1_3repE0EEENS1_30default_config_static_selectorELNS0_4arch9wavefront6targetE0EEEvSQ_
; %bb.0:
	.section	.rodata,"a",@progbits
	.p2align	6, 0x0
	.amdhsa_kernel _ZN7rocprim17ROCPRIM_400000_NS6detail17trampoline_kernelINS0_14default_configENS1_22reduce_config_selectorIiEEZNS1_11reduce_implILb1ES3_PiS7_iN6hipcub16HIPCUB_304000_NS6detail34convert_binary_result_type_wrapperINS9_3SumENS9_22TransformInputIteratorIbN2at6native12_GLOBAL__N_19NonZeroOpIsEEPKslEEiEEEE10hipError_tPvRmT1_T2_T3_mT4_P12ihipStream_tbEUlT_E0_NS1_11comp_targetILNS1_3genE10ELNS1_11target_archE1200ELNS1_3gpuE4ELNS1_3repE0EEENS1_30default_config_static_selectorELNS0_4arch9wavefront6targetE0EEEvSQ_
		.amdhsa_group_segment_fixed_size 0
		.amdhsa_private_segment_fixed_size 0
		.amdhsa_kernarg_size 56
		.amdhsa_user_sgpr_count 2
		.amdhsa_user_sgpr_dispatch_ptr 0
		.amdhsa_user_sgpr_queue_ptr 0
		.amdhsa_user_sgpr_kernarg_segment_ptr 1
		.amdhsa_user_sgpr_dispatch_id 0
		.amdhsa_user_sgpr_private_segment_size 0
		.amdhsa_wavefront_size32 1
		.amdhsa_uses_dynamic_stack 0
		.amdhsa_enable_private_segment 0
		.amdhsa_system_sgpr_workgroup_id_x 1
		.amdhsa_system_sgpr_workgroup_id_y 0
		.amdhsa_system_sgpr_workgroup_id_z 0
		.amdhsa_system_sgpr_workgroup_info 0
		.amdhsa_system_vgpr_workitem_id 0
		.amdhsa_next_free_vgpr 1
		.amdhsa_next_free_sgpr 1
		.amdhsa_reserve_vcc 0
		.amdhsa_float_round_mode_32 0
		.amdhsa_float_round_mode_16_64 0
		.amdhsa_float_denorm_mode_32 3
		.amdhsa_float_denorm_mode_16_64 3
		.amdhsa_fp16_overflow 0
		.amdhsa_workgroup_processor_mode 1
		.amdhsa_memory_ordered 1
		.amdhsa_forward_progress 1
		.amdhsa_inst_pref_size 0
		.amdhsa_round_robin_scheduling 0
		.amdhsa_exception_fp_ieee_invalid_op 0
		.amdhsa_exception_fp_denorm_src 0
		.amdhsa_exception_fp_ieee_div_zero 0
		.amdhsa_exception_fp_ieee_overflow 0
		.amdhsa_exception_fp_ieee_underflow 0
		.amdhsa_exception_fp_ieee_inexact 0
		.amdhsa_exception_int_div_zero 0
	.end_amdhsa_kernel
	.section	.text._ZN7rocprim17ROCPRIM_400000_NS6detail17trampoline_kernelINS0_14default_configENS1_22reduce_config_selectorIiEEZNS1_11reduce_implILb1ES3_PiS7_iN6hipcub16HIPCUB_304000_NS6detail34convert_binary_result_type_wrapperINS9_3SumENS9_22TransformInputIteratorIbN2at6native12_GLOBAL__N_19NonZeroOpIsEEPKslEEiEEEE10hipError_tPvRmT1_T2_T3_mT4_P12ihipStream_tbEUlT_E0_NS1_11comp_targetILNS1_3genE10ELNS1_11target_archE1200ELNS1_3gpuE4ELNS1_3repE0EEENS1_30default_config_static_selectorELNS0_4arch9wavefront6targetE0EEEvSQ_,"axG",@progbits,_ZN7rocprim17ROCPRIM_400000_NS6detail17trampoline_kernelINS0_14default_configENS1_22reduce_config_selectorIiEEZNS1_11reduce_implILb1ES3_PiS7_iN6hipcub16HIPCUB_304000_NS6detail34convert_binary_result_type_wrapperINS9_3SumENS9_22TransformInputIteratorIbN2at6native12_GLOBAL__N_19NonZeroOpIsEEPKslEEiEEEE10hipError_tPvRmT1_T2_T3_mT4_P12ihipStream_tbEUlT_E0_NS1_11comp_targetILNS1_3genE10ELNS1_11target_archE1200ELNS1_3gpuE4ELNS1_3repE0EEENS1_30default_config_static_selectorELNS0_4arch9wavefront6targetE0EEEvSQ_,comdat
.Lfunc_end292:
	.size	_ZN7rocprim17ROCPRIM_400000_NS6detail17trampoline_kernelINS0_14default_configENS1_22reduce_config_selectorIiEEZNS1_11reduce_implILb1ES3_PiS7_iN6hipcub16HIPCUB_304000_NS6detail34convert_binary_result_type_wrapperINS9_3SumENS9_22TransformInputIteratorIbN2at6native12_GLOBAL__N_19NonZeroOpIsEEPKslEEiEEEE10hipError_tPvRmT1_T2_T3_mT4_P12ihipStream_tbEUlT_E0_NS1_11comp_targetILNS1_3genE10ELNS1_11target_archE1200ELNS1_3gpuE4ELNS1_3repE0EEENS1_30default_config_static_selectorELNS0_4arch9wavefront6targetE0EEEvSQ_, .Lfunc_end292-_ZN7rocprim17ROCPRIM_400000_NS6detail17trampoline_kernelINS0_14default_configENS1_22reduce_config_selectorIiEEZNS1_11reduce_implILb1ES3_PiS7_iN6hipcub16HIPCUB_304000_NS6detail34convert_binary_result_type_wrapperINS9_3SumENS9_22TransformInputIteratorIbN2at6native12_GLOBAL__N_19NonZeroOpIsEEPKslEEiEEEE10hipError_tPvRmT1_T2_T3_mT4_P12ihipStream_tbEUlT_E0_NS1_11comp_targetILNS1_3genE10ELNS1_11target_archE1200ELNS1_3gpuE4ELNS1_3repE0EEENS1_30default_config_static_selectorELNS0_4arch9wavefront6targetE0EEEvSQ_
                                        ; -- End function
	.set _ZN7rocprim17ROCPRIM_400000_NS6detail17trampoline_kernelINS0_14default_configENS1_22reduce_config_selectorIiEEZNS1_11reduce_implILb1ES3_PiS7_iN6hipcub16HIPCUB_304000_NS6detail34convert_binary_result_type_wrapperINS9_3SumENS9_22TransformInputIteratorIbN2at6native12_GLOBAL__N_19NonZeroOpIsEEPKslEEiEEEE10hipError_tPvRmT1_T2_T3_mT4_P12ihipStream_tbEUlT_E0_NS1_11comp_targetILNS1_3genE10ELNS1_11target_archE1200ELNS1_3gpuE4ELNS1_3repE0EEENS1_30default_config_static_selectorELNS0_4arch9wavefront6targetE0EEEvSQ_.num_vgpr, 0
	.set _ZN7rocprim17ROCPRIM_400000_NS6detail17trampoline_kernelINS0_14default_configENS1_22reduce_config_selectorIiEEZNS1_11reduce_implILb1ES3_PiS7_iN6hipcub16HIPCUB_304000_NS6detail34convert_binary_result_type_wrapperINS9_3SumENS9_22TransformInputIteratorIbN2at6native12_GLOBAL__N_19NonZeroOpIsEEPKslEEiEEEE10hipError_tPvRmT1_T2_T3_mT4_P12ihipStream_tbEUlT_E0_NS1_11comp_targetILNS1_3genE10ELNS1_11target_archE1200ELNS1_3gpuE4ELNS1_3repE0EEENS1_30default_config_static_selectorELNS0_4arch9wavefront6targetE0EEEvSQ_.num_agpr, 0
	.set _ZN7rocprim17ROCPRIM_400000_NS6detail17trampoline_kernelINS0_14default_configENS1_22reduce_config_selectorIiEEZNS1_11reduce_implILb1ES3_PiS7_iN6hipcub16HIPCUB_304000_NS6detail34convert_binary_result_type_wrapperINS9_3SumENS9_22TransformInputIteratorIbN2at6native12_GLOBAL__N_19NonZeroOpIsEEPKslEEiEEEE10hipError_tPvRmT1_T2_T3_mT4_P12ihipStream_tbEUlT_E0_NS1_11comp_targetILNS1_3genE10ELNS1_11target_archE1200ELNS1_3gpuE4ELNS1_3repE0EEENS1_30default_config_static_selectorELNS0_4arch9wavefront6targetE0EEEvSQ_.numbered_sgpr, 0
	.set _ZN7rocprim17ROCPRIM_400000_NS6detail17trampoline_kernelINS0_14default_configENS1_22reduce_config_selectorIiEEZNS1_11reduce_implILb1ES3_PiS7_iN6hipcub16HIPCUB_304000_NS6detail34convert_binary_result_type_wrapperINS9_3SumENS9_22TransformInputIteratorIbN2at6native12_GLOBAL__N_19NonZeroOpIsEEPKslEEiEEEE10hipError_tPvRmT1_T2_T3_mT4_P12ihipStream_tbEUlT_E0_NS1_11comp_targetILNS1_3genE10ELNS1_11target_archE1200ELNS1_3gpuE4ELNS1_3repE0EEENS1_30default_config_static_selectorELNS0_4arch9wavefront6targetE0EEEvSQ_.num_named_barrier, 0
	.set _ZN7rocprim17ROCPRIM_400000_NS6detail17trampoline_kernelINS0_14default_configENS1_22reduce_config_selectorIiEEZNS1_11reduce_implILb1ES3_PiS7_iN6hipcub16HIPCUB_304000_NS6detail34convert_binary_result_type_wrapperINS9_3SumENS9_22TransformInputIteratorIbN2at6native12_GLOBAL__N_19NonZeroOpIsEEPKslEEiEEEE10hipError_tPvRmT1_T2_T3_mT4_P12ihipStream_tbEUlT_E0_NS1_11comp_targetILNS1_3genE10ELNS1_11target_archE1200ELNS1_3gpuE4ELNS1_3repE0EEENS1_30default_config_static_selectorELNS0_4arch9wavefront6targetE0EEEvSQ_.private_seg_size, 0
	.set _ZN7rocprim17ROCPRIM_400000_NS6detail17trampoline_kernelINS0_14default_configENS1_22reduce_config_selectorIiEEZNS1_11reduce_implILb1ES3_PiS7_iN6hipcub16HIPCUB_304000_NS6detail34convert_binary_result_type_wrapperINS9_3SumENS9_22TransformInputIteratorIbN2at6native12_GLOBAL__N_19NonZeroOpIsEEPKslEEiEEEE10hipError_tPvRmT1_T2_T3_mT4_P12ihipStream_tbEUlT_E0_NS1_11comp_targetILNS1_3genE10ELNS1_11target_archE1200ELNS1_3gpuE4ELNS1_3repE0EEENS1_30default_config_static_selectorELNS0_4arch9wavefront6targetE0EEEvSQ_.uses_vcc, 0
	.set _ZN7rocprim17ROCPRIM_400000_NS6detail17trampoline_kernelINS0_14default_configENS1_22reduce_config_selectorIiEEZNS1_11reduce_implILb1ES3_PiS7_iN6hipcub16HIPCUB_304000_NS6detail34convert_binary_result_type_wrapperINS9_3SumENS9_22TransformInputIteratorIbN2at6native12_GLOBAL__N_19NonZeroOpIsEEPKslEEiEEEE10hipError_tPvRmT1_T2_T3_mT4_P12ihipStream_tbEUlT_E0_NS1_11comp_targetILNS1_3genE10ELNS1_11target_archE1200ELNS1_3gpuE4ELNS1_3repE0EEENS1_30default_config_static_selectorELNS0_4arch9wavefront6targetE0EEEvSQ_.uses_flat_scratch, 0
	.set _ZN7rocprim17ROCPRIM_400000_NS6detail17trampoline_kernelINS0_14default_configENS1_22reduce_config_selectorIiEEZNS1_11reduce_implILb1ES3_PiS7_iN6hipcub16HIPCUB_304000_NS6detail34convert_binary_result_type_wrapperINS9_3SumENS9_22TransformInputIteratorIbN2at6native12_GLOBAL__N_19NonZeroOpIsEEPKslEEiEEEE10hipError_tPvRmT1_T2_T3_mT4_P12ihipStream_tbEUlT_E0_NS1_11comp_targetILNS1_3genE10ELNS1_11target_archE1200ELNS1_3gpuE4ELNS1_3repE0EEENS1_30default_config_static_selectorELNS0_4arch9wavefront6targetE0EEEvSQ_.has_dyn_sized_stack, 0
	.set _ZN7rocprim17ROCPRIM_400000_NS6detail17trampoline_kernelINS0_14default_configENS1_22reduce_config_selectorIiEEZNS1_11reduce_implILb1ES3_PiS7_iN6hipcub16HIPCUB_304000_NS6detail34convert_binary_result_type_wrapperINS9_3SumENS9_22TransformInputIteratorIbN2at6native12_GLOBAL__N_19NonZeroOpIsEEPKslEEiEEEE10hipError_tPvRmT1_T2_T3_mT4_P12ihipStream_tbEUlT_E0_NS1_11comp_targetILNS1_3genE10ELNS1_11target_archE1200ELNS1_3gpuE4ELNS1_3repE0EEENS1_30default_config_static_selectorELNS0_4arch9wavefront6targetE0EEEvSQ_.has_recursion, 0
	.set _ZN7rocprim17ROCPRIM_400000_NS6detail17trampoline_kernelINS0_14default_configENS1_22reduce_config_selectorIiEEZNS1_11reduce_implILb1ES3_PiS7_iN6hipcub16HIPCUB_304000_NS6detail34convert_binary_result_type_wrapperINS9_3SumENS9_22TransformInputIteratorIbN2at6native12_GLOBAL__N_19NonZeroOpIsEEPKslEEiEEEE10hipError_tPvRmT1_T2_T3_mT4_P12ihipStream_tbEUlT_E0_NS1_11comp_targetILNS1_3genE10ELNS1_11target_archE1200ELNS1_3gpuE4ELNS1_3repE0EEENS1_30default_config_static_selectorELNS0_4arch9wavefront6targetE0EEEvSQ_.has_indirect_call, 0
	.section	.AMDGPU.csdata,"",@progbits
; Kernel info:
; codeLenInByte = 0
; TotalNumSgprs: 0
; NumVgprs: 0
; ScratchSize: 0
; MemoryBound: 0
; FloatMode: 240
; IeeeMode: 1
; LDSByteSize: 0 bytes/workgroup (compile time only)
; SGPRBlocks: 0
; VGPRBlocks: 0
; NumSGPRsForWavesPerEU: 1
; NumVGPRsForWavesPerEU: 1
; Occupancy: 16
; WaveLimiterHint : 0
; COMPUTE_PGM_RSRC2:SCRATCH_EN: 0
; COMPUTE_PGM_RSRC2:USER_SGPR: 2
; COMPUTE_PGM_RSRC2:TRAP_HANDLER: 0
; COMPUTE_PGM_RSRC2:TGID_X_EN: 1
; COMPUTE_PGM_RSRC2:TGID_Y_EN: 0
; COMPUTE_PGM_RSRC2:TGID_Z_EN: 0
; COMPUTE_PGM_RSRC2:TIDIG_COMP_CNT: 0
	.section	.text._ZN7rocprim17ROCPRIM_400000_NS6detail17trampoline_kernelINS0_14default_configENS1_22reduce_config_selectorIiEEZNS1_11reduce_implILb1ES3_PiS7_iN6hipcub16HIPCUB_304000_NS6detail34convert_binary_result_type_wrapperINS9_3SumENS9_22TransformInputIteratorIbN2at6native12_GLOBAL__N_19NonZeroOpIsEEPKslEEiEEEE10hipError_tPvRmT1_T2_T3_mT4_P12ihipStream_tbEUlT_E0_NS1_11comp_targetILNS1_3genE9ELNS1_11target_archE1100ELNS1_3gpuE3ELNS1_3repE0EEENS1_30default_config_static_selectorELNS0_4arch9wavefront6targetE0EEEvSQ_,"axG",@progbits,_ZN7rocprim17ROCPRIM_400000_NS6detail17trampoline_kernelINS0_14default_configENS1_22reduce_config_selectorIiEEZNS1_11reduce_implILb1ES3_PiS7_iN6hipcub16HIPCUB_304000_NS6detail34convert_binary_result_type_wrapperINS9_3SumENS9_22TransformInputIteratorIbN2at6native12_GLOBAL__N_19NonZeroOpIsEEPKslEEiEEEE10hipError_tPvRmT1_T2_T3_mT4_P12ihipStream_tbEUlT_E0_NS1_11comp_targetILNS1_3genE9ELNS1_11target_archE1100ELNS1_3gpuE3ELNS1_3repE0EEENS1_30default_config_static_selectorELNS0_4arch9wavefront6targetE0EEEvSQ_,comdat
	.globl	_ZN7rocprim17ROCPRIM_400000_NS6detail17trampoline_kernelINS0_14default_configENS1_22reduce_config_selectorIiEEZNS1_11reduce_implILb1ES3_PiS7_iN6hipcub16HIPCUB_304000_NS6detail34convert_binary_result_type_wrapperINS9_3SumENS9_22TransformInputIteratorIbN2at6native12_GLOBAL__N_19NonZeroOpIsEEPKslEEiEEEE10hipError_tPvRmT1_T2_T3_mT4_P12ihipStream_tbEUlT_E0_NS1_11comp_targetILNS1_3genE9ELNS1_11target_archE1100ELNS1_3gpuE3ELNS1_3repE0EEENS1_30default_config_static_selectorELNS0_4arch9wavefront6targetE0EEEvSQ_ ; -- Begin function _ZN7rocprim17ROCPRIM_400000_NS6detail17trampoline_kernelINS0_14default_configENS1_22reduce_config_selectorIiEEZNS1_11reduce_implILb1ES3_PiS7_iN6hipcub16HIPCUB_304000_NS6detail34convert_binary_result_type_wrapperINS9_3SumENS9_22TransformInputIteratorIbN2at6native12_GLOBAL__N_19NonZeroOpIsEEPKslEEiEEEE10hipError_tPvRmT1_T2_T3_mT4_P12ihipStream_tbEUlT_E0_NS1_11comp_targetILNS1_3genE9ELNS1_11target_archE1100ELNS1_3gpuE3ELNS1_3repE0EEENS1_30default_config_static_selectorELNS0_4arch9wavefront6targetE0EEEvSQ_
	.p2align	8
	.type	_ZN7rocprim17ROCPRIM_400000_NS6detail17trampoline_kernelINS0_14default_configENS1_22reduce_config_selectorIiEEZNS1_11reduce_implILb1ES3_PiS7_iN6hipcub16HIPCUB_304000_NS6detail34convert_binary_result_type_wrapperINS9_3SumENS9_22TransformInputIteratorIbN2at6native12_GLOBAL__N_19NonZeroOpIsEEPKslEEiEEEE10hipError_tPvRmT1_T2_T3_mT4_P12ihipStream_tbEUlT_E0_NS1_11comp_targetILNS1_3genE9ELNS1_11target_archE1100ELNS1_3gpuE3ELNS1_3repE0EEENS1_30default_config_static_selectorELNS0_4arch9wavefront6targetE0EEEvSQ_,@function
_ZN7rocprim17ROCPRIM_400000_NS6detail17trampoline_kernelINS0_14default_configENS1_22reduce_config_selectorIiEEZNS1_11reduce_implILb1ES3_PiS7_iN6hipcub16HIPCUB_304000_NS6detail34convert_binary_result_type_wrapperINS9_3SumENS9_22TransformInputIteratorIbN2at6native12_GLOBAL__N_19NonZeroOpIsEEPKslEEiEEEE10hipError_tPvRmT1_T2_T3_mT4_P12ihipStream_tbEUlT_E0_NS1_11comp_targetILNS1_3genE9ELNS1_11target_archE1100ELNS1_3gpuE3ELNS1_3repE0EEENS1_30default_config_static_selectorELNS0_4arch9wavefront6targetE0EEEvSQ_: ; @_ZN7rocprim17ROCPRIM_400000_NS6detail17trampoline_kernelINS0_14default_configENS1_22reduce_config_selectorIiEEZNS1_11reduce_implILb1ES3_PiS7_iN6hipcub16HIPCUB_304000_NS6detail34convert_binary_result_type_wrapperINS9_3SumENS9_22TransformInputIteratorIbN2at6native12_GLOBAL__N_19NonZeroOpIsEEPKslEEiEEEE10hipError_tPvRmT1_T2_T3_mT4_P12ihipStream_tbEUlT_E0_NS1_11comp_targetILNS1_3genE9ELNS1_11target_archE1100ELNS1_3gpuE3ELNS1_3repE0EEENS1_30default_config_static_selectorELNS0_4arch9wavefront6targetE0EEEvSQ_
; %bb.0:
	.section	.rodata,"a",@progbits
	.p2align	6, 0x0
	.amdhsa_kernel _ZN7rocprim17ROCPRIM_400000_NS6detail17trampoline_kernelINS0_14default_configENS1_22reduce_config_selectorIiEEZNS1_11reduce_implILb1ES3_PiS7_iN6hipcub16HIPCUB_304000_NS6detail34convert_binary_result_type_wrapperINS9_3SumENS9_22TransformInputIteratorIbN2at6native12_GLOBAL__N_19NonZeroOpIsEEPKslEEiEEEE10hipError_tPvRmT1_T2_T3_mT4_P12ihipStream_tbEUlT_E0_NS1_11comp_targetILNS1_3genE9ELNS1_11target_archE1100ELNS1_3gpuE3ELNS1_3repE0EEENS1_30default_config_static_selectorELNS0_4arch9wavefront6targetE0EEEvSQ_
		.amdhsa_group_segment_fixed_size 0
		.amdhsa_private_segment_fixed_size 0
		.amdhsa_kernarg_size 56
		.amdhsa_user_sgpr_count 2
		.amdhsa_user_sgpr_dispatch_ptr 0
		.amdhsa_user_sgpr_queue_ptr 0
		.amdhsa_user_sgpr_kernarg_segment_ptr 1
		.amdhsa_user_sgpr_dispatch_id 0
		.amdhsa_user_sgpr_private_segment_size 0
		.amdhsa_wavefront_size32 1
		.amdhsa_uses_dynamic_stack 0
		.amdhsa_enable_private_segment 0
		.amdhsa_system_sgpr_workgroup_id_x 1
		.amdhsa_system_sgpr_workgroup_id_y 0
		.amdhsa_system_sgpr_workgroup_id_z 0
		.amdhsa_system_sgpr_workgroup_info 0
		.amdhsa_system_vgpr_workitem_id 0
		.amdhsa_next_free_vgpr 1
		.amdhsa_next_free_sgpr 1
		.amdhsa_reserve_vcc 0
		.amdhsa_float_round_mode_32 0
		.amdhsa_float_round_mode_16_64 0
		.amdhsa_float_denorm_mode_32 3
		.amdhsa_float_denorm_mode_16_64 3
		.amdhsa_fp16_overflow 0
		.amdhsa_workgroup_processor_mode 1
		.amdhsa_memory_ordered 1
		.amdhsa_forward_progress 1
		.amdhsa_inst_pref_size 0
		.amdhsa_round_robin_scheduling 0
		.amdhsa_exception_fp_ieee_invalid_op 0
		.amdhsa_exception_fp_denorm_src 0
		.amdhsa_exception_fp_ieee_div_zero 0
		.amdhsa_exception_fp_ieee_overflow 0
		.amdhsa_exception_fp_ieee_underflow 0
		.amdhsa_exception_fp_ieee_inexact 0
		.amdhsa_exception_int_div_zero 0
	.end_amdhsa_kernel
	.section	.text._ZN7rocprim17ROCPRIM_400000_NS6detail17trampoline_kernelINS0_14default_configENS1_22reduce_config_selectorIiEEZNS1_11reduce_implILb1ES3_PiS7_iN6hipcub16HIPCUB_304000_NS6detail34convert_binary_result_type_wrapperINS9_3SumENS9_22TransformInputIteratorIbN2at6native12_GLOBAL__N_19NonZeroOpIsEEPKslEEiEEEE10hipError_tPvRmT1_T2_T3_mT4_P12ihipStream_tbEUlT_E0_NS1_11comp_targetILNS1_3genE9ELNS1_11target_archE1100ELNS1_3gpuE3ELNS1_3repE0EEENS1_30default_config_static_selectorELNS0_4arch9wavefront6targetE0EEEvSQ_,"axG",@progbits,_ZN7rocprim17ROCPRIM_400000_NS6detail17trampoline_kernelINS0_14default_configENS1_22reduce_config_selectorIiEEZNS1_11reduce_implILb1ES3_PiS7_iN6hipcub16HIPCUB_304000_NS6detail34convert_binary_result_type_wrapperINS9_3SumENS9_22TransformInputIteratorIbN2at6native12_GLOBAL__N_19NonZeroOpIsEEPKslEEiEEEE10hipError_tPvRmT1_T2_T3_mT4_P12ihipStream_tbEUlT_E0_NS1_11comp_targetILNS1_3genE9ELNS1_11target_archE1100ELNS1_3gpuE3ELNS1_3repE0EEENS1_30default_config_static_selectorELNS0_4arch9wavefront6targetE0EEEvSQ_,comdat
.Lfunc_end293:
	.size	_ZN7rocprim17ROCPRIM_400000_NS6detail17trampoline_kernelINS0_14default_configENS1_22reduce_config_selectorIiEEZNS1_11reduce_implILb1ES3_PiS7_iN6hipcub16HIPCUB_304000_NS6detail34convert_binary_result_type_wrapperINS9_3SumENS9_22TransformInputIteratorIbN2at6native12_GLOBAL__N_19NonZeroOpIsEEPKslEEiEEEE10hipError_tPvRmT1_T2_T3_mT4_P12ihipStream_tbEUlT_E0_NS1_11comp_targetILNS1_3genE9ELNS1_11target_archE1100ELNS1_3gpuE3ELNS1_3repE0EEENS1_30default_config_static_selectorELNS0_4arch9wavefront6targetE0EEEvSQ_, .Lfunc_end293-_ZN7rocprim17ROCPRIM_400000_NS6detail17trampoline_kernelINS0_14default_configENS1_22reduce_config_selectorIiEEZNS1_11reduce_implILb1ES3_PiS7_iN6hipcub16HIPCUB_304000_NS6detail34convert_binary_result_type_wrapperINS9_3SumENS9_22TransformInputIteratorIbN2at6native12_GLOBAL__N_19NonZeroOpIsEEPKslEEiEEEE10hipError_tPvRmT1_T2_T3_mT4_P12ihipStream_tbEUlT_E0_NS1_11comp_targetILNS1_3genE9ELNS1_11target_archE1100ELNS1_3gpuE3ELNS1_3repE0EEENS1_30default_config_static_selectorELNS0_4arch9wavefront6targetE0EEEvSQ_
                                        ; -- End function
	.set _ZN7rocprim17ROCPRIM_400000_NS6detail17trampoline_kernelINS0_14default_configENS1_22reduce_config_selectorIiEEZNS1_11reduce_implILb1ES3_PiS7_iN6hipcub16HIPCUB_304000_NS6detail34convert_binary_result_type_wrapperINS9_3SumENS9_22TransformInputIteratorIbN2at6native12_GLOBAL__N_19NonZeroOpIsEEPKslEEiEEEE10hipError_tPvRmT1_T2_T3_mT4_P12ihipStream_tbEUlT_E0_NS1_11comp_targetILNS1_3genE9ELNS1_11target_archE1100ELNS1_3gpuE3ELNS1_3repE0EEENS1_30default_config_static_selectorELNS0_4arch9wavefront6targetE0EEEvSQ_.num_vgpr, 0
	.set _ZN7rocprim17ROCPRIM_400000_NS6detail17trampoline_kernelINS0_14default_configENS1_22reduce_config_selectorIiEEZNS1_11reduce_implILb1ES3_PiS7_iN6hipcub16HIPCUB_304000_NS6detail34convert_binary_result_type_wrapperINS9_3SumENS9_22TransformInputIteratorIbN2at6native12_GLOBAL__N_19NonZeroOpIsEEPKslEEiEEEE10hipError_tPvRmT1_T2_T3_mT4_P12ihipStream_tbEUlT_E0_NS1_11comp_targetILNS1_3genE9ELNS1_11target_archE1100ELNS1_3gpuE3ELNS1_3repE0EEENS1_30default_config_static_selectorELNS0_4arch9wavefront6targetE0EEEvSQ_.num_agpr, 0
	.set _ZN7rocprim17ROCPRIM_400000_NS6detail17trampoline_kernelINS0_14default_configENS1_22reduce_config_selectorIiEEZNS1_11reduce_implILb1ES3_PiS7_iN6hipcub16HIPCUB_304000_NS6detail34convert_binary_result_type_wrapperINS9_3SumENS9_22TransformInputIteratorIbN2at6native12_GLOBAL__N_19NonZeroOpIsEEPKslEEiEEEE10hipError_tPvRmT1_T2_T3_mT4_P12ihipStream_tbEUlT_E0_NS1_11comp_targetILNS1_3genE9ELNS1_11target_archE1100ELNS1_3gpuE3ELNS1_3repE0EEENS1_30default_config_static_selectorELNS0_4arch9wavefront6targetE0EEEvSQ_.numbered_sgpr, 0
	.set _ZN7rocprim17ROCPRIM_400000_NS6detail17trampoline_kernelINS0_14default_configENS1_22reduce_config_selectorIiEEZNS1_11reduce_implILb1ES3_PiS7_iN6hipcub16HIPCUB_304000_NS6detail34convert_binary_result_type_wrapperINS9_3SumENS9_22TransformInputIteratorIbN2at6native12_GLOBAL__N_19NonZeroOpIsEEPKslEEiEEEE10hipError_tPvRmT1_T2_T3_mT4_P12ihipStream_tbEUlT_E0_NS1_11comp_targetILNS1_3genE9ELNS1_11target_archE1100ELNS1_3gpuE3ELNS1_3repE0EEENS1_30default_config_static_selectorELNS0_4arch9wavefront6targetE0EEEvSQ_.num_named_barrier, 0
	.set _ZN7rocprim17ROCPRIM_400000_NS6detail17trampoline_kernelINS0_14default_configENS1_22reduce_config_selectorIiEEZNS1_11reduce_implILb1ES3_PiS7_iN6hipcub16HIPCUB_304000_NS6detail34convert_binary_result_type_wrapperINS9_3SumENS9_22TransformInputIteratorIbN2at6native12_GLOBAL__N_19NonZeroOpIsEEPKslEEiEEEE10hipError_tPvRmT1_T2_T3_mT4_P12ihipStream_tbEUlT_E0_NS1_11comp_targetILNS1_3genE9ELNS1_11target_archE1100ELNS1_3gpuE3ELNS1_3repE0EEENS1_30default_config_static_selectorELNS0_4arch9wavefront6targetE0EEEvSQ_.private_seg_size, 0
	.set _ZN7rocprim17ROCPRIM_400000_NS6detail17trampoline_kernelINS0_14default_configENS1_22reduce_config_selectorIiEEZNS1_11reduce_implILb1ES3_PiS7_iN6hipcub16HIPCUB_304000_NS6detail34convert_binary_result_type_wrapperINS9_3SumENS9_22TransformInputIteratorIbN2at6native12_GLOBAL__N_19NonZeroOpIsEEPKslEEiEEEE10hipError_tPvRmT1_T2_T3_mT4_P12ihipStream_tbEUlT_E0_NS1_11comp_targetILNS1_3genE9ELNS1_11target_archE1100ELNS1_3gpuE3ELNS1_3repE0EEENS1_30default_config_static_selectorELNS0_4arch9wavefront6targetE0EEEvSQ_.uses_vcc, 0
	.set _ZN7rocprim17ROCPRIM_400000_NS6detail17trampoline_kernelINS0_14default_configENS1_22reduce_config_selectorIiEEZNS1_11reduce_implILb1ES3_PiS7_iN6hipcub16HIPCUB_304000_NS6detail34convert_binary_result_type_wrapperINS9_3SumENS9_22TransformInputIteratorIbN2at6native12_GLOBAL__N_19NonZeroOpIsEEPKslEEiEEEE10hipError_tPvRmT1_T2_T3_mT4_P12ihipStream_tbEUlT_E0_NS1_11comp_targetILNS1_3genE9ELNS1_11target_archE1100ELNS1_3gpuE3ELNS1_3repE0EEENS1_30default_config_static_selectorELNS0_4arch9wavefront6targetE0EEEvSQ_.uses_flat_scratch, 0
	.set _ZN7rocprim17ROCPRIM_400000_NS6detail17trampoline_kernelINS0_14default_configENS1_22reduce_config_selectorIiEEZNS1_11reduce_implILb1ES3_PiS7_iN6hipcub16HIPCUB_304000_NS6detail34convert_binary_result_type_wrapperINS9_3SumENS9_22TransformInputIteratorIbN2at6native12_GLOBAL__N_19NonZeroOpIsEEPKslEEiEEEE10hipError_tPvRmT1_T2_T3_mT4_P12ihipStream_tbEUlT_E0_NS1_11comp_targetILNS1_3genE9ELNS1_11target_archE1100ELNS1_3gpuE3ELNS1_3repE0EEENS1_30default_config_static_selectorELNS0_4arch9wavefront6targetE0EEEvSQ_.has_dyn_sized_stack, 0
	.set _ZN7rocprim17ROCPRIM_400000_NS6detail17trampoline_kernelINS0_14default_configENS1_22reduce_config_selectorIiEEZNS1_11reduce_implILb1ES3_PiS7_iN6hipcub16HIPCUB_304000_NS6detail34convert_binary_result_type_wrapperINS9_3SumENS9_22TransformInputIteratorIbN2at6native12_GLOBAL__N_19NonZeroOpIsEEPKslEEiEEEE10hipError_tPvRmT1_T2_T3_mT4_P12ihipStream_tbEUlT_E0_NS1_11comp_targetILNS1_3genE9ELNS1_11target_archE1100ELNS1_3gpuE3ELNS1_3repE0EEENS1_30default_config_static_selectorELNS0_4arch9wavefront6targetE0EEEvSQ_.has_recursion, 0
	.set _ZN7rocprim17ROCPRIM_400000_NS6detail17trampoline_kernelINS0_14default_configENS1_22reduce_config_selectorIiEEZNS1_11reduce_implILb1ES3_PiS7_iN6hipcub16HIPCUB_304000_NS6detail34convert_binary_result_type_wrapperINS9_3SumENS9_22TransformInputIteratorIbN2at6native12_GLOBAL__N_19NonZeroOpIsEEPKslEEiEEEE10hipError_tPvRmT1_T2_T3_mT4_P12ihipStream_tbEUlT_E0_NS1_11comp_targetILNS1_3genE9ELNS1_11target_archE1100ELNS1_3gpuE3ELNS1_3repE0EEENS1_30default_config_static_selectorELNS0_4arch9wavefront6targetE0EEEvSQ_.has_indirect_call, 0
	.section	.AMDGPU.csdata,"",@progbits
; Kernel info:
; codeLenInByte = 0
; TotalNumSgprs: 0
; NumVgprs: 0
; ScratchSize: 0
; MemoryBound: 0
; FloatMode: 240
; IeeeMode: 1
; LDSByteSize: 0 bytes/workgroup (compile time only)
; SGPRBlocks: 0
; VGPRBlocks: 0
; NumSGPRsForWavesPerEU: 1
; NumVGPRsForWavesPerEU: 1
; Occupancy: 16
; WaveLimiterHint : 0
; COMPUTE_PGM_RSRC2:SCRATCH_EN: 0
; COMPUTE_PGM_RSRC2:USER_SGPR: 2
; COMPUTE_PGM_RSRC2:TRAP_HANDLER: 0
; COMPUTE_PGM_RSRC2:TGID_X_EN: 1
; COMPUTE_PGM_RSRC2:TGID_Y_EN: 0
; COMPUTE_PGM_RSRC2:TGID_Z_EN: 0
; COMPUTE_PGM_RSRC2:TIDIG_COMP_CNT: 0
	.section	.text._ZN7rocprim17ROCPRIM_400000_NS6detail17trampoline_kernelINS0_14default_configENS1_22reduce_config_selectorIiEEZNS1_11reduce_implILb1ES3_PiS7_iN6hipcub16HIPCUB_304000_NS6detail34convert_binary_result_type_wrapperINS9_3SumENS9_22TransformInputIteratorIbN2at6native12_GLOBAL__N_19NonZeroOpIsEEPKslEEiEEEE10hipError_tPvRmT1_T2_T3_mT4_P12ihipStream_tbEUlT_E0_NS1_11comp_targetILNS1_3genE8ELNS1_11target_archE1030ELNS1_3gpuE2ELNS1_3repE0EEENS1_30default_config_static_selectorELNS0_4arch9wavefront6targetE0EEEvSQ_,"axG",@progbits,_ZN7rocprim17ROCPRIM_400000_NS6detail17trampoline_kernelINS0_14default_configENS1_22reduce_config_selectorIiEEZNS1_11reduce_implILb1ES3_PiS7_iN6hipcub16HIPCUB_304000_NS6detail34convert_binary_result_type_wrapperINS9_3SumENS9_22TransformInputIteratorIbN2at6native12_GLOBAL__N_19NonZeroOpIsEEPKslEEiEEEE10hipError_tPvRmT1_T2_T3_mT4_P12ihipStream_tbEUlT_E0_NS1_11comp_targetILNS1_3genE8ELNS1_11target_archE1030ELNS1_3gpuE2ELNS1_3repE0EEENS1_30default_config_static_selectorELNS0_4arch9wavefront6targetE0EEEvSQ_,comdat
	.globl	_ZN7rocprim17ROCPRIM_400000_NS6detail17trampoline_kernelINS0_14default_configENS1_22reduce_config_selectorIiEEZNS1_11reduce_implILb1ES3_PiS7_iN6hipcub16HIPCUB_304000_NS6detail34convert_binary_result_type_wrapperINS9_3SumENS9_22TransformInputIteratorIbN2at6native12_GLOBAL__N_19NonZeroOpIsEEPKslEEiEEEE10hipError_tPvRmT1_T2_T3_mT4_P12ihipStream_tbEUlT_E0_NS1_11comp_targetILNS1_3genE8ELNS1_11target_archE1030ELNS1_3gpuE2ELNS1_3repE0EEENS1_30default_config_static_selectorELNS0_4arch9wavefront6targetE0EEEvSQ_ ; -- Begin function _ZN7rocprim17ROCPRIM_400000_NS6detail17trampoline_kernelINS0_14default_configENS1_22reduce_config_selectorIiEEZNS1_11reduce_implILb1ES3_PiS7_iN6hipcub16HIPCUB_304000_NS6detail34convert_binary_result_type_wrapperINS9_3SumENS9_22TransformInputIteratorIbN2at6native12_GLOBAL__N_19NonZeroOpIsEEPKslEEiEEEE10hipError_tPvRmT1_T2_T3_mT4_P12ihipStream_tbEUlT_E0_NS1_11comp_targetILNS1_3genE8ELNS1_11target_archE1030ELNS1_3gpuE2ELNS1_3repE0EEENS1_30default_config_static_selectorELNS0_4arch9wavefront6targetE0EEEvSQ_
	.p2align	8
	.type	_ZN7rocprim17ROCPRIM_400000_NS6detail17trampoline_kernelINS0_14default_configENS1_22reduce_config_selectorIiEEZNS1_11reduce_implILb1ES3_PiS7_iN6hipcub16HIPCUB_304000_NS6detail34convert_binary_result_type_wrapperINS9_3SumENS9_22TransformInputIteratorIbN2at6native12_GLOBAL__N_19NonZeroOpIsEEPKslEEiEEEE10hipError_tPvRmT1_T2_T3_mT4_P12ihipStream_tbEUlT_E0_NS1_11comp_targetILNS1_3genE8ELNS1_11target_archE1030ELNS1_3gpuE2ELNS1_3repE0EEENS1_30default_config_static_selectorELNS0_4arch9wavefront6targetE0EEEvSQ_,@function
_ZN7rocprim17ROCPRIM_400000_NS6detail17trampoline_kernelINS0_14default_configENS1_22reduce_config_selectorIiEEZNS1_11reduce_implILb1ES3_PiS7_iN6hipcub16HIPCUB_304000_NS6detail34convert_binary_result_type_wrapperINS9_3SumENS9_22TransformInputIteratorIbN2at6native12_GLOBAL__N_19NonZeroOpIsEEPKslEEiEEEE10hipError_tPvRmT1_T2_T3_mT4_P12ihipStream_tbEUlT_E0_NS1_11comp_targetILNS1_3genE8ELNS1_11target_archE1030ELNS1_3gpuE2ELNS1_3repE0EEENS1_30default_config_static_selectorELNS0_4arch9wavefront6targetE0EEEvSQ_: ; @_ZN7rocprim17ROCPRIM_400000_NS6detail17trampoline_kernelINS0_14default_configENS1_22reduce_config_selectorIiEEZNS1_11reduce_implILb1ES3_PiS7_iN6hipcub16HIPCUB_304000_NS6detail34convert_binary_result_type_wrapperINS9_3SumENS9_22TransformInputIteratorIbN2at6native12_GLOBAL__N_19NonZeroOpIsEEPKslEEiEEEE10hipError_tPvRmT1_T2_T3_mT4_P12ihipStream_tbEUlT_E0_NS1_11comp_targetILNS1_3genE8ELNS1_11target_archE1030ELNS1_3gpuE2ELNS1_3repE0EEENS1_30default_config_static_selectorELNS0_4arch9wavefront6targetE0EEEvSQ_
; %bb.0:
	.section	.rodata,"a",@progbits
	.p2align	6, 0x0
	.amdhsa_kernel _ZN7rocprim17ROCPRIM_400000_NS6detail17trampoline_kernelINS0_14default_configENS1_22reduce_config_selectorIiEEZNS1_11reduce_implILb1ES3_PiS7_iN6hipcub16HIPCUB_304000_NS6detail34convert_binary_result_type_wrapperINS9_3SumENS9_22TransformInputIteratorIbN2at6native12_GLOBAL__N_19NonZeroOpIsEEPKslEEiEEEE10hipError_tPvRmT1_T2_T3_mT4_P12ihipStream_tbEUlT_E0_NS1_11comp_targetILNS1_3genE8ELNS1_11target_archE1030ELNS1_3gpuE2ELNS1_3repE0EEENS1_30default_config_static_selectorELNS0_4arch9wavefront6targetE0EEEvSQ_
		.amdhsa_group_segment_fixed_size 0
		.amdhsa_private_segment_fixed_size 0
		.amdhsa_kernarg_size 56
		.amdhsa_user_sgpr_count 2
		.amdhsa_user_sgpr_dispatch_ptr 0
		.amdhsa_user_sgpr_queue_ptr 0
		.amdhsa_user_sgpr_kernarg_segment_ptr 1
		.amdhsa_user_sgpr_dispatch_id 0
		.amdhsa_user_sgpr_private_segment_size 0
		.amdhsa_wavefront_size32 1
		.amdhsa_uses_dynamic_stack 0
		.amdhsa_enable_private_segment 0
		.amdhsa_system_sgpr_workgroup_id_x 1
		.amdhsa_system_sgpr_workgroup_id_y 0
		.amdhsa_system_sgpr_workgroup_id_z 0
		.amdhsa_system_sgpr_workgroup_info 0
		.amdhsa_system_vgpr_workitem_id 0
		.amdhsa_next_free_vgpr 1
		.amdhsa_next_free_sgpr 1
		.amdhsa_reserve_vcc 0
		.amdhsa_float_round_mode_32 0
		.amdhsa_float_round_mode_16_64 0
		.amdhsa_float_denorm_mode_32 3
		.amdhsa_float_denorm_mode_16_64 3
		.amdhsa_fp16_overflow 0
		.amdhsa_workgroup_processor_mode 1
		.amdhsa_memory_ordered 1
		.amdhsa_forward_progress 1
		.amdhsa_inst_pref_size 0
		.amdhsa_round_robin_scheduling 0
		.amdhsa_exception_fp_ieee_invalid_op 0
		.amdhsa_exception_fp_denorm_src 0
		.amdhsa_exception_fp_ieee_div_zero 0
		.amdhsa_exception_fp_ieee_overflow 0
		.amdhsa_exception_fp_ieee_underflow 0
		.amdhsa_exception_fp_ieee_inexact 0
		.amdhsa_exception_int_div_zero 0
	.end_amdhsa_kernel
	.section	.text._ZN7rocprim17ROCPRIM_400000_NS6detail17trampoline_kernelINS0_14default_configENS1_22reduce_config_selectorIiEEZNS1_11reduce_implILb1ES3_PiS7_iN6hipcub16HIPCUB_304000_NS6detail34convert_binary_result_type_wrapperINS9_3SumENS9_22TransformInputIteratorIbN2at6native12_GLOBAL__N_19NonZeroOpIsEEPKslEEiEEEE10hipError_tPvRmT1_T2_T3_mT4_P12ihipStream_tbEUlT_E0_NS1_11comp_targetILNS1_3genE8ELNS1_11target_archE1030ELNS1_3gpuE2ELNS1_3repE0EEENS1_30default_config_static_selectorELNS0_4arch9wavefront6targetE0EEEvSQ_,"axG",@progbits,_ZN7rocprim17ROCPRIM_400000_NS6detail17trampoline_kernelINS0_14default_configENS1_22reduce_config_selectorIiEEZNS1_11reduce_implILb1ES3_PiS7_iN6hipcub16HIPCUB_304000_NS6detail34convert_binary_result_type_wrapperINS9_3SumENS9_22TransformInputIteratorIbN2at6native12_GLOBAL__N_19NonZeroOpIsEEPKslEEiEEEE10hipError_tPvRmT1_T2_T3_mT4_P12ihipStream_tbEUlT_E0_NS1_11comp_targetILNS1_3genE8ELNS1_11target_archE1030ELNS1_3gpuE2ELNS1_3repE0EEENS1_30default_config_static_selectorELNS0_4arch9wavefront6targetE0EEEvSQ_,comdat
.Lfunc_end294:
	.size	_ZN7rocprim17ROCPRIM_400000_NS6detail17trampoline_kernelINS0_14default_configENS1_22reduce_config_selectorIiEEZNS1_11reduce_implILb1ES3_PiS7_iN6hipcub16HIPCUB_304000_NS6detail34convert_binary_result_type_wrapperINS9_3SumENS9_22TransformInputIteratorIbN2at6native12_GLOBAL__N_19NonZeroOpIsEEPKslEEiEEEE10hipError_tPvRmT1_T2_T3_mT4_P12ihipStream_tbEUlT_E0_NS1_11comp_targetILNS1_3genE8ELNS1_11target_archE1030ELNS1_3gpuE2ELNS1_3repE0EEENS1_30default_config_static_selectorELNS0_4arch9wavefront6targetE0EEEvSQ_, .Lfunc_end294-_ZN7rocprim17ROCPRIM_400000_NS6detail17trampoline_kernelINS0_14default_configENS1_22reduce_config_selectorIiEEZNS1_11reduce_implILb1ES3_PiS7_iN6hipcub16HIPCUB_304000_NS6detail34convert_binary_result_type_wrapperINS9_3SumENS9_22TransformInputIteratorIbN2at6native12_GLOBAL__N_19NonZeroOpIsEEPKslEEiEEEE10hipError_tPvRmT1_T2_T3_mT4_P12ihipStream_tbEUlT_E0_NS1_11comp_targetILNS1_3genE8ELNS1_11target_archE1030ELNS1_3gpuE2ELNS1_3repE0EEENS1_30default_config_static_selectorELNS0_4arch9wavefront6targetE0EEEvSQ_
                                        ; -- End function
	.set _ZN7rocprim17ROCPRIM_400000_NS6detail17trampoline_kernelINS0_14default_configENS1_22reduce_config_selectorIiEEZNS1_11reduce_implILb1ES3_PiS7_iN6hipcub16HIPCUB_304000_NS6detail34convert_binary_result_type_wrapperINS9_3SumENS9_22TransformInputIteratorIbN2at6native12_GLOBAL__N_19NonZeroOpIsEEPKslEEiEEEE10hipError_tPvRmT1_T2_T3_mT4_P12ihipStream_tbEUlT_E0_NS1_11comp_targetILNS1_3genE8ELNS1_11target_archE1030ELNS1_3gpuE2ELNS1_3repE0EEENS1_30default_config_static_selectorELNS0_4arch9wavefront6targetE0EEEvSQ_.num_vgpr, 0
	.set _ZN7rocprim17ROCPRIM_400000_NS6detail17trampoline_kernelINS0_14default_configENS1_22reduce_config_selectorIiEEZNS1_11reduce_implILb1ES3_PiS7_iN6hipcub16HIPCUB_304000_NS6detail34convert_binary_result_type_wrapperINS9_3SumENS9_22TransformInputIteratorIbN2at6native12_GLOBAL__N_19NonZeroOpIsEEPKslEEiEEEE10hipError_tPvRmT1_T2_T3_mT4_P12ihipStream_tbEUlT_E0_NS1_11comp_targetILNS1_3genE8ELNS1_11target_archE1030ELNS1_3gpuE2ELNS1_3repE0EEENS1_30default_config_static_selectorELNS0_4arch9wavefront6targetE0EEEvSQ_.num_agpr, 0
	.set _ZN7rocprim17ROCPRIM_400000_NS6detail17trampoline_kernelINS0_14default_configENS1_22reduce_config_selectorIiEEZNS1_11reduce_implILb1ES3_PiS7_iN6hipcub16HIPCUB_304000_NS6detail34convert_binary_result_type_wrapperINS9_3SumENS9_22TransformInputIteratorIbN2at6native12_GLOBAL__N_19NonZeroOpIsEEPKslEEiEEEE10hipError_tPvRmT1_T2_T3_mT4_P12ihipStream_tbEUlT_E0_NS1_11comp_targetILNS1_3genE8ELNS1_11target_archE1030ELNS1_3gpuE2ELNS1_3repE0EEENS1_30default_config_static_selectorELNS0_4arch9wavefront6targetE0EEEvSQ_.numbered_sgpr, 0
	.set _ZN7rocprim17ROCPRIM_400000_NS6detail17trampoline_kernelINS0_14default_configENS1_22reduce_config_selectorIiEEZNS1_11reduce_implILb1ES3_PiS7_iN6hipcub16HIPCUB_304000_NS6detail34convert_binary_result_type_wrapperINS9_3SumENS9_22TransformInputIteratorIbN2at6native12_GLOBAL__N_19NonZeroOpIsEEPKslEEiEEEE10hipError_tPvRmT1_T2_T3_mT4_P12ihipStream_tbEUlT_E0_NS1_11comp_targetILNS1_3genE8ELNS1_11target_archE1030ELNS1_3gpuE2ELNS1_3repE0EEENS1_30default_config_static_selectorELNS0_4arch9wavefront6targetE0EEEvSQ_.num_named_barrier, 0
	.set _ZN7rocprim17ROCPRIM_400000_NS6detail17trampoline_kernelINS0_14default_configENS1_22reduce_config_selectorIiEEZNS1_11reduce_implILb1ES3_PiS7_iN6hipcub16HIPCUB_304000_NS6detail34convert_binary_result_type_wrapperINS9_3SumENS9_22TransformInputIteratorIbN2at6native12_GLOBAL__N_19NonZeroOpIsEEPKslEEiEEEE10hipError_tPvRmT1_T2_T3_mT4_P12ihipStream_tbEUlT_E0_NS1_11comp_targetILNS1_3genE8ELNS1_11target_archE1030ELNS1_3gpuE2ELNS1_3repE0EEENS1_30default_config_static_selectorELNS0_4arch9wavefront6targetE0EEEvSQ_.private_seg_size, 0
	.set _ZN7rocprim17ROCPRIM_400000_NS6detail17trampoline_kernelINS0_14default_configENS1_22reduce_config_selectorIiEEZNS1_11reduce_implILb1ES3_PiS7_iN6hipcub16HIPCUB_304000_NS6detail34convert_binary_result_type_wrapperINS9_3SumENS9_22TransformInputIteratorIbN2at6native12_GLOBAL__N_19NonZeroOpIsEEPKslEEiEEEE10hipError_tPvRmT1_T2_T3_mT4_P12ihipStream_tbEUlT_E0_NS1_11comp_targetILNS1_3genE8ELNS1_11target_archE1030ELNS1_3gpuE2ELNS1_3repE0EEENS1_30default_config_static_selectorELNS0_4arch9wavefront6targetE0EEEvSQ_.uses_vcc, 0
	.set _ZN7rocprim17ROCPRIM_400000_NS6detail17trampoline_kernelINS0_14default_configENS1_22reduce_config_selectorIiEEZNS1_11reduce_implILb1ES3_PiS7_iN6hipcub16HIPCUB_304000_NS6detail34convert_binary_result_type_wrapperINS9_3SumENS9_22TransformInputIteratorIbN2at6native12_GLOBAL__N_19NonZeroOpIsEEPKslEEiEEEE10hipError_tPvRmT1_T2_T3_mT4_P12ihipStream_tbEUlT_E0_NS1_11comp_targetILNS1_3genE8ELNS1_11target_archE1030ELNS1_3gpuE2ELNS1_3repE0EEENS1_30default_config_static_selectorELNS0_4arch9wavefront6targetE0EEEvSQ_.uses_flat_scratch, 0
	.set _ZN7rocprim17ROCPRIM_400000_NS6detail17trampoline_kernelINS0_14default_configENS1_22reduce_config_selectorIiEEZNS1_11reduce_implILb1ES3_PiS7_iN6hipcub16HIPCUB_304000_NS6detail34convert_binary_result_type_wrapperINS9_3SumENS9_22TransformInputIteratorIbN2at6native12_GLOBAL__N_19NonZeroOpIsEEPKslEEiEEEE10hipError_tPvRmT1_T2_T3_mT4_P12ihipStream_tbEUlT_E0_NS1_11comp_targetILNS1_3genE8ELNS1_11target_archE1030ELNS1_3gpuE2ELNS1_3repE0EEENS1_30default_config_static_selectorELNS0_4arch9wavefront6targetE0EEEvSQ_.has_dyn_sized_stack, 0
	.set _ZN7rocprim17ROCPRIM_400000_NS6detail17trampoline_kernelINS0_14default_configENS1_22reduce_config_selectorIiEEZNS1_11reduce_implILb1ES3_PiS7_iN6hipcub16HIPCUB_304000_NS6detail34convert_binary_result_type_wrapperINS9_3SumENS9_22TransformInputIteratorIbN2at6native12_GLOBAL__N_19NonZeroOpIsEEPKslEEiEEEE10hipError_tPvRmT1_T2_T3_mT4_P12ihipStream_tbEUlT_E0_NS1_11comp_targetILNS1_3genE8ELNS1_11target_archE1030ELNS1_3gpuE2ELNS1_3repE0EEENS1_30default_config_static_selectorELNS0_4arch9wavefront6targetE0EEEvSQ_.has_recursion, 0
	.set _ZN7rocprim17ROCPRIM_400000_NS6detail17trampoline_kernelINS0_14default_configENS1_22reduce_config_selectorIiEEZNS1_11reduce_implILb1ES3_PiS7_iN6hipcub16HIPCUB_304000_NS6detail34convert_binary_result_type_wrapperINS9_3SumENS9_22TransformInputIteratorIbN2at6native12_GLOBAL__N_19NonZeroOpIsEEPKslEEiEEEE10hipError_tPvRmT1_T2_T3_mT4_P12ihipStream_tbEUlT_E0_NS1_11comp_targetILNS1_3genE8ELNS1_11target_archE1030ELNS1_3gpuE2ELNS1_3repE0EEENS1_30default_config_static_selectorELNS0_4arch9wavefront6targetE0EEEvSQ_.has_indirect_call, 0
	.section	.AMDGPU.csdata,"",@progbits
; Kernel info:
; codeLenInByte = 0
; TotalNumSgprs: 0
; NumVgprs: 0
; ScratchSize: 0
; MemoryBound: 0
; FloatMode: 240
; IeeeMode: 1
; LDSByteSize: 0 bytes/workgroup (compile time only)
; SGPRBlocks: 0
; VGPRBlocks: 0
; NumSGPRsForWavesPerEU: 1
; NumVGPRsForWavesPerEU: 1
; Occupancy: 16
; WaveLimiterHint : 0
; COMPUTE_PGM_RSRC2:SCRATCH_EN: 0
; COMPUTE_PGM_RSRC2:USER_SGPR: 2
; COMPUTE_PGM_RSRC2:TRAP_HANDLER: 0
; COMPUTE_PGM_RSRC2:TGID_X_EN: 1
; COMPUTE_PGM_RSRC2:TGID_Y_EN: 0
; COMPUTE_PGM_RSRC2:TGID_Z_EN: 0
; COMPUTE_PGM_RSRC2:TIDIG_COMP_CNT: 0
	.section	.text._ZN7rocprim17ROCPRIM_400000_NS6detail17trampoline_kernelINS0_14default_configENS1_22reduce_config_selectorIiEEZNS1_11reduce_implILb1ES3_PiS7_iN6hipcub16HIPCUB_304000_NS6detail34convert_binary_result_type_wrapperINS9_3SumENS9_22TransformInputIteratorIbN2at6native12_GLOBAL__N_19NonZeroOpIsEEPKslEEiEEEE10hipError_tPvRmT1_T2_T3_mT4_P12ihipStream_tbEUlT_E1_NS1_11comp_targetILNS1_3genE0ELNS1_11target_archE4294967295ELNS1_3gpuE0ELNS1_3repE0EEENS1_30default_config_static_selectorELNS0_4arch9wavefront6targetE0EEEvSQ_,"axG",@progbits,_ZN7rocprim17ROCPRIM_400000_NS6detail17trampoline_kernelINS0_14default_configENS1_22reduce_config_selectorIiEEZNS1_11reduce_implILb1ES3_PiS7_iN6hipcub16HIPCUB_304000_NS6detail34convert_binary_result_type_wrapperINS9_3SumENS9_22TransformInputIteratorIbN2at6native12_GLOBAL__N_19NonZeroOpIsEEPKslEEiEEEE10hipError_tPvRmT1_T2_T3_mT4_P12ihipStream_tbEUlT_E1_NS1_11comp_targetILNS1_3genE0ELNS1_11target_archE4294967295ELNS1_3gpuE0ELNS1_3repE0EEENS1_30default_config_static_selectorELNS0_4arch9wavefront6targetE0EEEvSQ_,comdat
	.globl	_ZN7rocprim17ROCPRIM_400000_NS6detail17trampoline_kernelINS0_14default_configENS1_22reduce_config_selectorIiEEZNS1_11reduce_implILb1ES3_PiS7_iN6hipcub16HIPCUB_304000_NS6detail34convert_binary_result_type_wrapperINS9_3SumENS9_22TransformInputIteratorIbN2at6native12_GLOBAL__N_19NonZeroOpIsEEPKslEEiEEEE10hipError_tPvRmT1_T2_T3_mT4_P12ihipStream_tbEUlT_E1_NS1_11comp_targetILNS1_3genE0ELNS1_11target_archE4294967295ELNS1_3gpuE0ELNS1_3repE0EEENS1_30default_config_static_selectorELNS0_4arch9wavefront6targetE0EEEvSQ_ ; -- Begin function _ZN7rocprim17ROCPRIM_400000_NS6detail17trampoline_kernelINS0_14default_configENS1_22reduce_config_selectorIiEEZNS1_11reduce_implILb1ES3_PiS7_iN6hipcub16HIPCUB_304000_NS6detail34convert_binary_result_type_wrapperINS9_3SumENS9_22TransformInputIteratorIbN2at6native12_GLOBAL__N_19NonZeroOpIsEEPKslEEiEEEE10hipError_tPvRmT1_T2_T3_mT4_P12ihipStream_tbEUlT_E1_NS1_11comp_targetILNS1_3genE0ELNS1_11target_archE4294967295ELNS1_3gpuE0ELNS1_3repE0EEENS1_30default_config_static_selectorELNS0_4arch9wavefront6targetE0EEEvSQ_
	.p2align	8
	.type	_ZN7rocprim17ROCPRIM_400000_NS6detail17trampoline_kernelINS0_14default_configENS1_22reduce_config_selectorIiEEZNS1_11reduce_implILb1ES3_PiS7_iN6hipcub16HIPCUB_304000_NS6detail34convert_binary_result_type_wrapperINS9_3SumENS9_22TransformInputIteratorIbN2at6native12_GLOBAL__N_19NonZeroOpIsEEPKslEEiEEEE10hipError_tPvRmT1_T2_T3_mT4_P12ihipStream_tbEUlT_E1_NS1_11comp_targetILNS1_3genE0ELNS1_11target_archE4294967295ELNS1_3gpuE0ELNS1_3repE0EEENS1_30default_config_static_selectorELNS0_4arch9wavefront6targetE0EEEvSQ_,@function
_ZN7rocprim17ROCPRIM_400000_NS6detail17trampoline_kernelINS0_14default_configENS1_22reduce_config_selectorIiEEZNS1_11reduce_implILb1ES3_PiS7_iN6hipcub16HIPCUB_304000_NS6detail34convert_binary_result_type_wrapperINS9_3SumENS9_22TransformInputIteratorIbN2at6native12_GLOBAL__N_19NonZeroOpIsEEPKslEEiEEEE10hipError_tPvRmT1_T2_T3_mT4_P12ihipStream_tbEUlT_E1_NS1_11comp_targetILNS1_3genE0ELNS1_11target_archE4294967295ELNS1_3gpuE0ELNS1_3repE0EEENS1_30default_config_static_selectorELNS0_4arch9wavefront6targetE0EEEvSQ_: ; @_ZN7rocprim17ROCPRIM_400000_NS6detail17trampoline_kernelINS0_14default_configENS1_22reduce_config_selectorIiEEZNS1_11reduce_implILb1ES3_PiS7_iN6hipcub16HIPCUB_304000_NS6detail34convert_binary_result_type_wrapperINS9_3SumENS9_22TransformInputIteratorIbN2at6native12_GLOBAL__N_19NonZeroOpIsEEPKslEEiEEEE10hipError_tPvRmT1_T2_T3_mT4_P12ihipStream_tbEUlT_E1_NS1_11comp_targetILNS1_3genE0ELNS1_11target_archE4294967295ELNS1_3gpuE0ELNS1_3repE0EEENS1_30default_config_static_selectorELNS0_4arch9wavefront6targetE0EEEvSQ_
; %bb.0:
	.section	.rodata,"a",@progbits
	.p2align	6, 0x0
	.amdhsa_kernel _ZN7rocprim17ROCPRIM_400000_NS6detail17trampoline_kernelINS0_14default_configENS1_22reduce_config_selectorIiEEZNS1_11reduce_implILb1ES3_PiS7_iN6hipcub16HIPCUB_304000_NS6detail34convert_binary_result_type_wrapperINS9_3SumENS9_22TransformInputIteratorIbN2at6native12_GLOBAL__N_19NonZeroOpIsEEPKslEEiEEEE10hipError_tPvRmT1_T2_T3_mT4_P12ihipStream_tbEUlT_E1_NS1_11comp_targetILNS1_3genE0ELNS1_11target_archE4294967295ELNS1_3gpuE0ELNS1_3repE0EEENS1_30default_config_static_selectorELNS0_4arch9wavefront6targetE0EEEvSQ_
		.amdhsa_group_segment_fixed_size 0
		.amdhsa_private_segment_fixed_size 0
		.amdhsa_kernarg_size 40
		.amdhsa_user_sgpr_count 2
		.amdhsa_user_sgpr_dispatch_ptr 0
		.amdhsa_user_sgpr_queue_ptr 0
		.amdhsa_user_sgpr_kernarg_segment_ptr 1
		.amdhsa_user_sgpr_dispatch_id 0
		.amdhsa_user_sgpr_private_segment_size 0
		.amdhsa_wavefront_size32 1
		.amdhsa_uses_dynamic_stack 0
		.amdhsa_enable_private_segment 0
		.amdhsa_system_sgpr_workgroup_id_x 1
		.amdhsa_system_sgpr_workgroup_id_y 0
		.amdhsa_system_sgpr_workgroup_id_z 0
		.amdhsa_system_sgpr_workgroup_info 0
		.amdhsa_system_vgpr_workitem_id 0
		.amdhsa_next_free_vgpr 1
		.amdhsa_next_free_sgpr 1
		.amdhsa_reserve_vcc 0
		.amdhsa_float_round_mode_32 0
		.amdhsa_float_round_mode_16_64 0
		.amdhsa_float_denorm_mode_32 3
		.amdhsa_float_denorm_mode_16_64 3
		.amdhsa_fp16_overflow 0
		.amdhsa_workgroup_processor_mode 1
		.amdhsa_memory_ordered 1
		.amdhsa_forward_progress 1
		.amdhsa_inst_pref_size 0
		.amdhsa_round_robin_scheduling 0
		.amdhsa_exception_fp_ieee_invalid_op 0
		.amdhsa_exception_fp_denorm_src 0
		.amdhsa_exception_fp_ieee_div_zero 0
		.amdhsa_exception_fp_ieee_overflow 0
		.amdhsa_exception_fp_ieee_underflow 0
		.amdhsa_exception_fp_ieee_inexact 0
		.amdhsa_exception_int_div_zero 0
	.end_amdhsa_kernel
	.section	.text._ZN7rocprim17ROCPRIM_400000_NS6detail17trampoline_kernelINS0_14default_configENS1_22reduce_config_selectorIiEEZNS1_11reduce_implILb1ES3_PiS7_iN6hipcub16HIPCUB_304000_NS6detail34convert_binary_result_type_wrapperINS9_3SumENS9_22TransformInputIteratorIbN2at6native12_GLOBAL__N_19NonZeroOpIsEEPKslEEiEEEE10hipError_tPvRmT1_T2_T3_mT4_P12ihipStream_tbEUlT_E1_NS1_11comp_targetILNS1_3genE0ELNS1_11target_archE4294967295ELNS1_3gpuE0ELNS1_3repE0EEENS1_30default_config_static_selectorELNS0_4arch9wavefront6targetE0EEEvSQ_,"axG",@progbits,_ZN7rocprim17ROCPRIM_400000_NS6detail17trampoline_kernelINS0_14default_configENS1_22reduce_config_selectorIiEEZNS1_11reduce_implILb1ES3_PiS7_iN6hipcub16HIPCUB_304000_NS6detail34convert_binary_result_type_wrapperINS9_3SumENS9_22TransformInputIteratorIbN2at6native12_GLOBAL__N_19NonZeroOpIsEEPKslEEiEEEE10hipError_tPvRmT1_T2_T3_mT4_P12ihipStream_tbEUlT_E1_NS1_11comp_targetILNS1_3genE0ELNS1_11target_archE4294967295ELNS1_3gpuE0ELNS1_3repE0EEENS1_30default_config_static_selectorELNS0_4arch9wavefront6targetE0EEEvSQ_,comdat
.Lfunc_end295:
	.size	_ZN7rocprim17ROCPRIM_400000_NS6detail17trampoline_kernelINS0_14default_configENS1_22reduce_config_selectorIiEEZNS1_11reduce_implILb1ES3_PiS7_iN6hipcub16HIPCUB_304000_NS6detail34convert_binary_result_type_wrapperINS9_3SumENS9_22TransformInputIteratorIbN2at6native12_GLOBAL__N_19NonZeroOpIsEEPKslEEiEEEE10hipError_tPvRmT1_T2_T3_mT4_P12ihipStream_tbEUlT_E1_NS1_11comp_targetILNS1_3genE0ELNS1_11target_archE4294967295ELNS1_3gpuE0ELNS1_3repE0EEENS1_30default_config_static_selectorELNS0_4arch9wavefront6targetE0EEEvSQ_, .Lfunc_end295-_ZN7rocprim17ROCPRIM_400000_NS6detail17trampoline_kernelINS0_14default_configENS1_22reduce_config_selectorIiEEZNS1_11reduce_implILb1ES3_PiS7_iN6hipcub16HIPCUB_304000_NS6detail34convert_binary_result_type_wrapperINS9_3SumENS9_22TransformInputIteratorIbN2at6native12_GLOBAL__N_19NonZeroOpIsEEPKslEEiEEEE10hipError_tPvRmT1_T2_T3_mT4_P12ihipStream_tbEUlT_E1_NS1_11comp_targetILNS1_3genE0ELNS1_11target_archE4294967295ELNS1_3gpuE0ELNS1_3repE0EEENS1_30default_config_static_selectorELNS0_4arch9wavefront6targetE0EEEvSQ_
                                        ; -- End function
	.set _ZN7rocprim17ROCPRIM_400000_NS6detail17trampoline_kernelINS0_14default_configENS1_22reduce_config_selectorIiEEZNS1_11reduce_implILb1ES3_PiS7_iN6hipcub16HIPCUB_304000_NS6detail34convert_binary_result_type_wrapperINS9_3SumENS9_22TransformInputIteratorIbN2at6native12_GLOBAL__N_19NonZeroOpIsEEPKslEEiEEEE10hipError_tPvRmT1_T2_T3_mT4_P12ihipStream_tbEUlT_E1_NS1_11comp_targetILNS1_3genE0ELNS1_11target_archE4294967295ELNS1_3gpuE0ELNS1_3repE0EEENS1_30default_config_static_selectorELNS0_4arch9wavefront6targetE0EEEvSQ_.num_vgpr, 0
	.set _ZN7rocprim17ROCPRIM_400000_NS6detail17trampoline_kernelINS0_14default_configENS1_22reduce_config_selectorIiEEZNS1_11reduce_implILb1ES3_PiS7_iN6hipcub16HIPCUB_304000_NS6detail34convert_binary_result_type_wrapperINS9_3SumENS9_22TransformInputIteratorIbN2at6native12_GLOBAL__N_19NonZeroOpIsEEPKslEEiEEEE10hipError_tPvRmT1_T2_T3_mT4_P12ihipStream_tbEUlT_E1_NS1_11comp_targetILNS1_3genE0ELNS1_11target_archE4294967295ELNS1_3gpuE0ELNS1_3repE0EEENS1_30default_config_static_selectorELNS0_4arch9wavefront6targetE0EEEvSQ_.num_agpr, 0
	.set _ZN7rocprim17ROCPRIM_400000_NS6detail17trampoline_kernelINS0_14default_configENS1_22reduce_config_selectorIiEEZNS1_11reduce_implILb1ES3_PiS7_iN6hipcub16HIPCUB_304000_NS6detail34convert_binary_result_type_wrapperINS9_3SumENS9_22TransformInputIteratorIbN2at6native12_GLOBAL__N_19NonZeroOpIsEEPKslEEiEEEE10hipError_tPvRmT1_T2_T3_mT4_P12ihipStream_tbEUlT_E1_NS1_11comp_targetILNS1_3genE0ELNS1_11target_archE4294967295ELNS1_3gpuE0ELNS1_3repE0EEENS1_30default_config_static_selectorELNS0_4arch9wavefront6targetE0EEEvSQ_.numbered_sgpr, 0
	.set _ZN7rocprim17ROCPRIM_400000_NS6detail17trampoline_kernelINS0_14default_configENS1_22reduce_config_selectorIiEEZNS1_11reduce_implILb1ES3_PiS7_iN6hipcub16HIPCUB_304000_NS6detail34convert_binary_result_type_wrapperINS9_3SumENS9_22TransformInputIteratorIbN2at6native12_GLOBAL__N_19NonZeroOpIsEEPKslEEiEEEE10hipError_tPvRmT1_T2_T3_mT4_P12ihipStream_tbEUlT_E1_NS1_11comp_targetILNS1_3genE0ELNS1_11target_archE4294967295ELNS1_3gpuE0ELNS1_3repE0EEENS1_30default_config_static_selectorELNS0_4arch9wavefront6targetE0EEEvSQ_.num_named_barrier, 0
	.set _ZN7rocprim17ROCPRIM_400000_NS6detail17trampoline_kernelINS0_14default_configENS1_22reduce_config_selectorIiEEZNS1_11reduce_implILb1ES3_PiS7_iN6hipcub16HIPCUB_304000_NS6detail34convert_binary_result_type_wrapperINS9_3SumENS9_22TransformInputIteratorIbN2at6native12_GLOBAL__N_19NonZeroOpIsEEPKslEEiEEEE10hipError_tPvRmT1_T2_T3_mT4_P12ihipStream_tbEUlT_E1_NS1_11comp_targetILNS1_3genE0ELNS1_11target_archE4294967295ELNS1_3gpuE0ELNS1_3repE0EEENS1_30default_config_static_selectorELNS0_4arch9wavefront6targetE0EEEvSQ_.private_seg_size, 0
	.set _ZN7rocprim17ROCPRIM_400000_NS6detail17trampoline_kernelINS0_14default_configENS1_22reduce_config_selectorIiEEZNS1_11reduce_implILb1ES3_PiS7_iN6hipcub16HIPCUB_304000_NS6detail34convert_binary_result_type_wrapperINS9_3SumENS9_22TransformInputIteratorIbN2at6native12_GLOBAL__N_19NonZeroOpIsEEPKslEEiEEEE10hipError_tPvRmT1_T2_T3_mT4_P12ihipStream_tbEUlT_E1_NS1_11comp_targetILNS1_3genE0ELNS1_11target_archE4294967295ELNS1_3gpuE0ELNS1_3repE0EEENS1_30default_config_static_selectorELNS0_4arch9wavefront6targetE0EEEvSQ_.uses_vcc, 0
	.set _ZN7rocprim17ROCPRIM_400000_NS6detail17trampoline_kernelINS0_14default_configENS1_22reduce_config_selectorIiEEZNS1_11reduce_implILb1ES3_PiS7_iN6hipcub16HIPCUB_304000_NS6detail34convert_binary_result_type_wrapperINS9_3SumENS9_22TransformInputIteratorIbN2at6native12_GLOBAL__N_19NonZeroOpIsEEPKslEEiEEEE10hipError_tPvRmT1_T2_T3_mT4_P12ihipStream_tbEUlT_E1_NS1_11comp_targetILNS1_3genE0ELNS1_11target_archE4294967295ELNS1_3gpuE0ELNS1_3repE0EEENS1_30default_config_static_selectorELNS0_4arch9wavefront6targetE0EEEvSQ_.uses_flat_scratch, 0
	.set _ZN7rocprim17ROCPRIM_400000_NS6detail17trampoline_kernelINS0_14default_configENS1_22reduce_config_selectorIiEEZNS1_11reduce_implILb1ES3_PiS7_iN6hipcub16HIPCUB_304000_NS6detail34convert_binary_result_type_wrapperINS9_3SumENS9_22TransformInputIteratorIbN2at6native12_GLOBAL__N_19NonZeroOpIsEEPKslEEiEEEE10hipError_tPvRmT1_T2_T3_mT4_P12ihipStream_tbEUlT_E1_NS1_11comp_targetILNS1_3genE0ELNS1_11target_archE4294967295ELNS1_3gpuE0ELNS1_3repE0EEENS1_30default_config_static_selectorELNS0_4arch9wavefront6targetE0EEEvSQ_.has_dyn_sized_stack, 0
	.set _ZN7rocprim17ROCPRIM_400000_NS6detail17trampoline_kernelINS0_14default_configENS1_22reduce_config_selectorIiEEZNS1_11reduce_implILb1ES3_PiS7_iN6hipcub16HIPCUB_304000_NS6detail34convert_binary_result_type_wrapperINS9_3SumENS9_22TransformInputIteratorIbN2at6native12_GLOBAL__N_19NonZeroOpIsEEPKslEEiEEEE10hipError_tPvRmT1_T2_T3_mT4_P12ihipStream_tbEUlT_E1_NS1_11comp_targetILNS1_3genE0ELNS1_11target_archE4294967295ELNS1_3gpuE0ELNS1_3repE0EEENS1_30default_config_static_selectorELNS0_4arch9wavefront6targetE0EEEvSQ_.has_recursion, 0
	.set _ZN7rocprim17ROCPRIM_400000_NS6detail17trampoline_kernelINS0_14default_configENS1_22reduce_config_selectorIiEEZNS1_11reduce_implILb1ES3_PiS7_iN6hipcub16HIPCUB_304000_NS6detail34convert_binary_result_type_wrapperINS9_3SumENS9_22TransformInputIteratorIbN2at6native12_GLOBAL__N_19NonZeroOpIsEEPKslEEiEEEE10hipError_tPvRmT1_T2_T3_mT4_P12ihipStream_tbEUlT_E1_NS1_11comp_targetILNS1_3genE0ELNS1_11target_archE4294967295ELNS1_3gpuE0ELNS1_3repE0EEENS1_30default_config_static_selectorELNS0_4arch9wavefront6targetE0EEEvSQ_.has_indirect_call, 0
	.section	.AMDGPU.csdata,"",@progbits
; Kernel info:
; codeLenInByte = 0
; TotalNumSgprs: 0
; NumVgprs: 0
; ScratchSize: 0
; MemoryBound: 0
; FloatMode: 240
; IeeeMode: 1
; LDSByteSize: 0 bytes/workgroup (compile time only)
; SGPRBlocks: 0
; VGPRBlocks: 0
; NumSGPRsForWavesPerEU: 1
; NumVGPRsForWavesPerEU: 1
; Occupancy: 16
; WaveLimiterHint : 0
; COMPUTE_PGM_RSRC2:SCRATCH_EN: 0
; COMPUTE_PGM_RSRC2:USER_SGPR: 2
; COMPUTE_PGM_RSRC2:TRAP_HANDLER: 0
; COMPUTE_PGM_RSRC2:TGID_X_EN: 1
; COMPUTE_PGM_RSRC2:TGID_Y_EN: 0
; COMPUTE_PGM_RSRC2:TGID_Z_EN: 0
; COMPUTE_PGM_RSRC2:TIDIG_COMP_CNT: 0
	.section	.text._ZN7rocprim17ROCPRIM_400000_NS6detail17trampoline_kernelINS0_14default_configENS1_22reduce_config_selectorIiEEZNS1_11reduce_implILb1ES3_PiS7_iN6hipcub16HIPCUB_304000_NS6detail34convert_binary_result_type_wrapperINS9_3SumENS9_22TransformInputIteratorIbN2at6native12_GLOBAL__N_19NonZeroOpIsEEPKslEEiEEEE10hipError_tPvRmT1_T2_T3_mT4_P12ihipStream_tbEUlT_E1_NS1_11comp_targetILNS1_3genE5ELNS1_11target_archE942ELNS1_3gpuE9ELNS1_3repE0EEENS1_30default_config_static_selectorELNS0_4arch9wavefront6targetE0EEEvSQ_,"axG",@progbits,_ZN7rocprim17ROCPRIM_400000_NS6detail17trampoline_kernelINS0_14default_configENS1_22reduce_config_selectorIiEEZNS1_11reduce_implILb1ES3_PiS7_iN6hipcub16HIPCUB_304000_NS6detail34convert_binary_result_type_wrapperINS9_3SumENS9_22TransformInputIteratorIbN2at6native12_GLOBAL__N_19NonZeroOpIsEEPKslEEiEEEE10hipError_tPvRmT1_T2_T3_mT4_P12ihipStream_tbEUlT_E1_NS1_11comp_targetILNS1_3genE5ELNS1_11target_archE942ELNS1_3gpuE9ELNS1_3repE0EEENS1_30default_config_static_selectorELNS0_4arch9wavefront6targetE0EEEvSQ_,comdat
	.globl	_ZN7rocprim17ROCPRIM_400000_NS6detail17trampoline_kernelINS0_14default_configENS1_22reduce_config_selectorIiEEZNS1_11reduce_implILb1ES3_PiS7_iN6hipcub16HIPCUB_304000_NS6detail34convert_binary_result_type_wrapperINS9_3SumENS9_22TransformInputIteratorIbN2at6native12_GLOBAL__N_19NonZeroOpIsEEPKslEEiEEEE10hipError_tPvRmT1_T2_T3_mT4_P12ihipStream_tbEUlT_E1_NS1_11comp_targetILNS1_3genE5ELNS1_11target_archE942ELNS1_3gpuE9ELNS1_3repE0EEENS1_30default_config_static_selectorELNS0_4arch9wavefront6targetE0EEEvSQ_ ; -- Begin function _ZN7rocprim17ROCPRIM_400000_NS6detail17trampoline_kernelINS0_14default_configENS1_22reduce_config_selectorIiEEZNS1_11reduce_implILb1ES3_PiS7_iN6hipcub16HIPCUB_304000_NS6detail34convert_binary_result_type_wrapperINS9_3SumENS9_22TransformInputIteratorIbN2at6native12_GLOBAL__N_19NonZeroOpIsEEPKslEEiEEEE10hipError_tPvRmT1_T2_T3_mT4_P12ihipStream_tbEUlT_E1_NS1_11comp_targetILNS1_3genE5ELNS1_11target_archE942ELNS1_3gpuE9ELNS1_3repE0EEENS1_30default_config_static_selectorELNS0_4arch9wavefront6targetE0EEEvSQ_
	.p2align	8
	.type	_ZN7rocprim17ROCPRIM_400000_NS6detail17trampoline_kernelINS0_14default_configENS1_22reduce_config_selectorIiEEZNS1_11reduce_implILb1ES3_PiS7_iN6hipcub16HIPCUB_304000_NS6detail34convert_binary_result_type_wrapperINS9_3SumENS9_22TransformInputIteratorIbN2at6native12_GLOBAL__N_19NonZeroOpIsEEPKslEEiEEEE10hipError_tPvRmT1_T2_T3_mT4_P12ihipStream_tbEUlT_E1_NS1_11comp_targetILNS1_3genE5ELNS1_11target_archE942ELNS1_3gpuE9ELNS1_3repE0EEENS1_30default_config_static_selectorELNS0_4arch9wavefront6targetE0EEEvSQ_,@function
_ZN7rocprim17ROCPRIM_400000_NS6detail17trampoline_kernelINS0_14default_configENS1_22reduce_config_selectorIiEEZNS1_11reduce_implILb1ES3_PiS7_iN6hipcub16HIPCUB_304000_NS6detail34convert_binary_result_type_wrapperINS9_3SumENS9_22TransformInputIteratorIbN2at6native12_GLOBAL__N_19NonZeroOpIsEEPKslEEiEEEE10hipError_tPvRmT1_T2_T3_mT4_P12ihipStream_tbEUlT_E1_NS1_11comp_targetILNS1_3genE5ELNS1_11target_archE942ELNS1_3gpuE9ELNS1_3repE0EEENS1_30default_config_static_selectorELNS0_4arch9wavefront6targetE0EEEvSQ_: ; @_ZN7rocprim17ROCPRIM_400000_NS6detail17trampoline_kernelINS0_14default_configENS1_22reduce_config_selectorIiEEZNS1_11reduce_implILb1ES3_PiS7_iN6hipcub16HIPCUB_304000_NS6detail34convert_binary_result_type_wrapperINS9_3SumENS9_22TransformInputIteratorIbN2at6native12_GLOBAL__N_19NonZeroOpIsEEPKslEEiEEEE10hipError_tPvRmT1_T2_T3_mT4_P12ihipStream_tbEUlT_E1_NS1_11comp_targetILNS1_3genE5ELNS1_11target_archE942ELNS1_3gpuE9ELNS1_3repE0EEENS1_30default_config_static_selectorELNS0_4arch9wavefront6targetE0EEEvSQ_
; %bb.0:
	.section	.rodata,"a",@progbits
	.p2align	6, 0x0
	.amdhsa_kernel _ZN7rocprim17ROCPRIM_400000_NS6detail17trampoline_kernelINS0_14default_configENS1_22reduce_config_selectorIiEEZNS1_11reduce_implILb1ES3_PiS7_iN6hipcub16HIPCUB_304000_NS6detail34convert_binary_result_type_wrapperINS9_3SumENS9_22TransformInputIteratorIbN2at6native12_GLOBAL__N_19NonZeroOpIsEEPKslEEiEEEE10hipError_tPvRmT1_T2_T3_mT4_P12ihipStream_tbEUlT_E1_NS1_11comp_targetILNS1_3genE5ELNS1_11target_archE942ELNS1_3gpuE9ELNS1_3repE0EEENS1_30default_config_static_selectorELNS0_4arch9wavefront6targetE0EEEvSQ_
		.amdhsa_group_segment_fixed_size 0
		.amdhsa_private_segment_fixed_size 0
		.amdhsa_kernarg_size 40
		.amdhsa_user_sgpr_count 2
		.amdhsa_user_sgpr_dispatch_ptr 0
		.amdhsa_user_sgpr_queue_ptr 0
		.amdhsa_user_sgpr_kernarg_segment_ptr 1
		.amdhsa_user_sgpr_dispatch_id 0
		.amdhsa_user_sgpr_private_segment_size 0
		.amdhsa_wavefront_size32 1
		.amdhsa_uses_dynamic_stack 0
		.amdhsa_enable_private_segment 0
		.amdhsa_system_sgpr_workgroup_id_x 1
		.amdhsa_system_sgpr_workgroup_id_y 0
		.amdhsa_system_sgpr_workgroup_id_z 0
		.amdhsa_system_sgpr_workgroup_info 0
		.amdhsa_system_vgpr_workitem_id 0
		.amdhsa_next_free_vgpr 1
		.amdhsa_next_free_sgpr 1
		.amdhsa_reserve_vcc 0
		.amdhsa_float_round_mode_32 0
		.amdhsa_float_round_mode_16_64 0
		.amdhsa_float_denorm_mode_32 3
		.amdhsa_float_denorm_mode_16_64 3
		.amdhsa_fp16_overflow 0
		.amdhsa_workgroup_processor_mode 1
		.amdhsa_memory_ordered 1
		.amdhsa_forward_progress 1
		.amdhsa_inst_pref_size 0
		.amdhsa_round_robin_scheduling 0
		.amdhsa_exception_fp_ieee_invalid_op 0
		.amdhsa_exception_fp_denorm_src 0
		.amdhsa_exception_fp_ieee_div_zero 0
		.amdhsa_exception_fp_ieee_overflow 0
		.amdhsa_exception_fp_ieee_underflow 0
		.amdhsa_exception_fp_ieee_inexact 0
		.amdhsa_exception_int_div_zero 0
	.end_amdhsa_kernel
	.section	.text._ZN7rocprim17ROCPRIM_400000_NS6detail17trampoline_kernelINS0_14default_configENS1_22reduce_config_selectorIiEEZNS1_11reduce_implILb1ES3_PiS7_iN6hipcub16HIPCUB_304000_NS6detail34convert_binary_result_type_wrapperINS9_3SumENS9_22TransformInputIteratorIbN2at6native12_GLOBAL__N_19NonZeroOpIsEEPKslEEiEEEE10hipError_tPvRmT1_T2_T3_mT4_P12ihipStream_tbEUlT_E1_NS1_11comp_targetILNS1_3genE5ELNS1_11target_archE942ELNS1_3gpuE9ELNS1_3repE0EEENS1_30default_config_static_selectorELNS0_4arch9wavefront6targetE0EEEvSQ_,"axG",@progbits,_ZN7rocprim17ROCPRIM_400000_NS6detail17trampoline_kernelINS0_14default_configENS1_22reduce_config_selectorIiEEZNS1_11reduce_implILb1ES3_PiS7_iN6hipcub16HIPCUB_304000_NS6detail34convert_binary_result_type_wrapperINS9_3SumENS9_22TransformInputIteratorIbN2at6native12_GLOBAL__N_19NonZeroOpIsEEPKslEEiEEEE10hipError_tPvRmT1_T2_T3_mT4_P12ihipStream_tbEUlT_E1_NS1_11comp_targetILNS1_3genE5ELNS1_11target_archE942ELNS1_3gpuE9ELNS1_3repE0EEENS1_30default_config_static_selectorELNS0_4arch9wavefront6targetE0EEEvSQ_,comdat
.Lfunc_end296:
	.size	_ZN7rocprim17ROCPRIM_400000_NS6detail17trampoline_kernelINS0_14default_configENS1_22reduce_config_selectorIiEEZNS1_11reduce_implILb1ES3_PiS7_iN6hipcub16HIPCUB_304000_NS6detail34convert_binary_result_type_wrapperINS9_3SumENS9_22TransformInputIteratorIbN2at6native12_GLOBAL__N_19NonZeroOpIsEEPKslEEiEEEE10hipError_tPvRmT1_T2_T3_mT4_P12ihipStream_tbEUlT_E1_NS1_11comp_targetILNS1_3genE5ELNS1_11target_archE942ELNS1_3gpuE9ELNS1_3repE0EEENS1_30default_config_static_selectorELNS0_4arch9wavefront6targetE0EEEvSQ_, .Lfunc_end296-_ZN7rocprim17ROCPRIM_400000_NS6detail17trampoline_kernelINS0_14default_configENS1_22reduce_config_selectorIiEEZNS1_11reduce_implILb1ES3_PiS7_iN6hipcub16HIPCUB_304000_NS6detail34convert_binary_result_type_wrapperINS9_3SumENS9_22TransformInputIteratorIbN2at6native12_GLOBAL__N_19NonZeroOpIsEEPKslEEiEEEE10hipError_tPvRmT1_T2_T3_mT4_P12ihipStream_tbEUlT_E1_NS1_11comp_targetILNS1_3genE5ELNS1_11target_archE942ELNS1_3gpuE9ELNS1_3repE0EEENS1_30default_config_static_selectorELNS0_4arch9wavefront6targetE0EEEvSQ_
                                        ; -- End function
	.set _ZN7rocprim17ROCPRIM_400000_NS6detail17trampoline_kernelINS0_14default_configENS1_22reduce_config_selectorIiEEZNS1_11reduce_implILb1ES3_PiS7_iN6hipcub16HIPCUB_304000_NS6detail34convert_binary_result_type_wrapperINS9_3SumENS9_22TransformInputIteratorIbN2at6native12_GLOBAL__N_19NonZeroOpIsEEPKslEEiEEEE10hipError_tPvRmT1_T2_T3_mT4_P12ihipStream_tbEUlT_E1_NS1_11comp_targetILNS1_3genE5ELNS1_11target_archE942ELNS1_3gpuE9ELNS1_3repE0EEENS1_30default_config_static_selectorELNS0_4arch9wavefront6targetE0EEEvSQ_.num_vgpr, 0
	.set _ZN7rocprim17ROCPRIM_400000_NS6detail17trampoline_kernelINS0_14default_configENS1_22reduce_config_selectorIiEEZNS1_11reduce_implILb1ES3_PiS7_iN6hipcub16HIPCUB_304000_NS6detail34convert_binary_result_type_wrapperINS9_3SumENS9_22TransformInputIteratorIbN2at6native12_GLOBAL__N_19NonZeroOpIsEEPKslEEiEEEE10hipError_tPvRmT1_T2_T3_mT4_P12ihipStream_tbEUlT_E1_NS1_11comp_targetILNS1_3genE5ELNS1_11target_archE942ELNS1_3gpuE9ELNS1_3repE0EEENS1_30default_config_static_selectorELNS0_4arch9wavefront6targetE0EEEvSQ_.num_agpr, 0
	.set _ZN7rocprim17ROCPRIM_400000_NS6detail17trampoline_kernelINS0_14default_configENS1_22reduce_config_selectorIiEEZNS1_11reduce_implILb1ES3_PiS7_iN6hipcub16HIPCUB_304000_NS6detail34convert_binary_result_type_wrapperINS9_3SumENS9_22TransformInputIteratorIbN2at6native12_GLOBAL__N_19NonZeroOpIsEEPKslEEiEEEE10hipError_tPvRmT1_T2_T3_mT4_P12ihipStream_tbEUlT_E1_NS1_11comp_targetILNS1_3genE5ELNS1_11target_archE942ELNS1_3gpuE9ELNS1_3repE0EEENS1_30default_config_static_selectorELNS0_4arch9wavefront6targetE0EEEvSQ_.numbered_sgpr, 0
	.set _ZN7rocprim17ROCPRIM_400000_NS6detail17trampoline_kernelINS0_14default_configENS1_22reduce_config_selectorIiEEZNS1_11reduce_implILb1ES3_PiS7_iN6hipcub16HIPCUB_304000_NS6detail34convert_binary_result_type_wrapperINS9_3SumENS9_22TransformInputIteratorIbN2at6native12_GLOBAL__N_19NonZeroOpIsEEPKslEEiEEEE10hipError_tPvRmT1_T2_T3_mT4_P12ihipStream_tbEUlT_E1_NS1_11comp_targetILNS1_3genE5ELNS1_11target_archE942ELNS1_3gpuE9ELNS1_3repE0EEENS1_30default_config_static_selectorELNS0_4arch9wavefront6targetE0EEEvSQ_.num_named_barrier, 0
	.set _ZN7rocprim17ROCPRIM_400000_NS6detail17trampoline_kernelINS0_14default_configENS1_22reduce_config_selectorIiEEZNS1_11reduce_implILb1ES3_PiS7_iN6hipcub16HIPCUB_304000_NS6detail34convert_binary_result_type_wrapperINS9_3SumENS9_22TransformInputIteratorIbN2at6native12_GLOBAL__N_19NonZeroOpIsEEPKslEEiEEEE10hipError_tPvRmT1_T2_T3_mT4_P12ihipStream_tbEUlT_E1_NS1_11comp_targetILNS1_3genE5ELNS1_11target_archE942ELNS1_3gpuE9ELNS1_3repE0EEENS1_30default_config_static_selectorELNS0_4arch9wavefront6targetE0EEEvSQ_.private_seg_size, 0
	.set _ZN7rocprim17ROCPRIM_400000_NS6detail17trampoline_kernelINS0_14default_configENS1_22reduce_config_selectorIiEEZNS1_11reduce_implILb1ES3_PiS7_iN6hipcub16HIPCUB_304000_NS6detail34convert_binary_result_type_wrapperINS9_3SumENS9_22TransformInputIteratorIbN2at6native12_GLOBAL__N_19NonZeroOpIsEEPKslEEiEEEE10hipError_tPvRmT1_T2_T3_mT4_P12ihipStream_tbEUlT_E1_NS1_11comp_targetILNS1_3genE5ELNS1_11target_archE942ELNS1_3gpuE9ELNS1_3repE0EEENS1_30default_config_static_selectorELNS0_4arch9wavefront6targetE0EEEvSQ_.uses_vcc, 0
	.set _ZN7rocprim17ROCPRIM_400000_NS6detail17trampoline_kernelINS0_14default_configENS1_22reduce_config_selectorIiEEZNS1_11reduce_implILb1ES3_PiS7_iN6hipcub16HIPCUB_304000_NS6detail34convert_binary_result_type_wrapperINS9_3SumENS9_22TransformInputIteratorIbN2at6native12_GLOBAL__N_19NonZeroOpIsEEPKslEEiEEEE10hipError_tPvRmT1_T2_T3_mT4_P12ihipStream_tbEUlT_E1_NS1_11comp_targetILNS1_3genE5ELNS1_11target_archE942ELNS1_3gpuE9ELNS1_3repE0EEENS1_30default_config_static_selectorELNS0_4arch9wavefront6targetE0EEEvSQ_.uses_flat_scratch, 0
	.set _ZN7rocprim17ROCPRIM_400000_NS6detail17trampoline_kernelINS0_14default_configENS1_22reduce_config_selectorIiEEZNS1_11reduce_implILb1ES3_PiS7_iN6hipcub16HIPCUB_304000_NS6detail34convert_binary_result_type_wrapperINS9_3SumENS9_22TransformInputIteratorIbN2at6native12_GLOBAL__N_19NonZeroOpIsEEPKslEEiEEEE10hipError_tPvRmT1_T2_T3_mT4_P12ihipStream_tbEUlT_E1_NS1_11comp_targetILNS1_3genE5ELNS1_11target_archE942ELNS1_3gpuE9ELNS1_3repE0EEENS1_30default_config_static_selectorELNS0_4arch9wavefront6targetE0EEEvSQ_.has_dyn_sized_stack, 0
	.set _ZN7rocprim17ROCPRIM_400000_NS6detail17trampoline_kernelINS0_14default_configENS1_22reduce_config_selectorIiEEZNS1_11reduce_implILb1ES3_PiS7_iN6hipcub16HIPCUB_304000_NS6detail34convert_binary_result_type_wrapperINS9_3SumENS9_22TransformInputIteratorIbN2at6native12_GLOBAL__N_19NonZeroOpIsEEPKslEEiEEEE10hipError_tPvRmT1_T2_T3_mT4_P12ihipStream_tbEUlT_E1_NS1_11comp_targetILNS1_3genE5ELNS1_11target_archE942ELNS1_3gpuE9ELNS1_3repE0EEENS1_30default_config_static_selectorELNS0_4arch9wavefront6targetE0EEEvSQ_.has_recursion, 0
	.set _ZN7rocprim17ROCPRIM_400000_NS6detail17trampoline_kernelINS0_14default_configENS1_22reduce_config_selectorIiEEZNS1_11reduce_implILb1ES3_PiS7_iN6hipcub16HIPCUB_304000_NS6detail34convert_binary_result_type_wrapperINS9_3SumENS9_22TransformInputIteratorIbN2at6native12_GLOBAL__N_19NonZeroOpIsEEPKslEEiEEEE10hipError_tPvRmT1_T2_T3_mT4_P12ihipStream_tbEUlT_E1_NS1_11comp_targetILNS1_3genE5ELNS1_11target_archE942ELNS1_3gpuE9ELNS1_3repE0EEENS1_30default_config_static_selectorELNS0_4arch9wavefront6targetE0EEEvSQ_.has_indirect_call, 0
	.section	.AMDGPU.csdata,"",@progbits
; Kernel info:
; codeLenInByte = 0
; TotalNumSgprs: 0
; NumVgprs: 0
; ScratchSize: 0
; MemoryBound: 0
; FloatMode: 240
; IeeeMode: 1
; LDSByteSize: 0 bytes/workgroup (compile time only)
; SGPRBlocks: 0
; VGPRBlocks: 0
; NumSGPRsForWavesPerEU: 1
; NumVGPRsForWavesPerEU: 1
; Occupancy: 16
; WaveLimiterHint : 0
; COMPUTE_PGM_RSRC2:SCRATCH_EN: 0
; COMPUTE_PGM_RSRC2:USER_SGPR: 2
; COMPUTE_PGM_RSRC2:TRAP_HANDLER: 0
; COMPUTE_PGM_RSRC2:TGID_X_EN: 1
; COMPUTE_PGM_RSRC2:TGID_Y_EN: 0
; COMPUTE_PGM_RSRC2:TGID_Z_EN: 0
; COMPUTE_PGM_RSRC2:TIDIG_COMP_CNT: 0
	.section	.text._ZN7rocprim17ROCPRIM_400000_NS6detail17trampoline_kernelINS0_14default_configENS1_22reduce_config_selectorIiEEZNS1_11reduce_implILb1ES3_PiS7_iN6hipcub16HIPCUB_304000_NS6detail34convert_binary_result_type_wrapperINS9_3SumENS9_22TransformInputIteratorIbN2at6native12_GLOBAL__N_19NonZeroOpIsEEPKslEEiEEEE10hipError_tPvRmT1_T2_T3_mT4_P12ihipStream_tbEUlT_E1_NS1_11comp_targetILNS1_3genE4ELNS1_11target_archE910ELNS1_3gpuE8ELNS1_3repE0EEENS1_30default_config_static_selectorELNS0_4arch9wavefront6targetE0EEEvSQ_,"axG",@progbits,_ZN7rocprim17ROCPRIM_400000_NS6detail17trampoline_kernelINS0_14default_configENS1_22reduce_config_selectorIiEEZNS1_11reduce_implILb1ES3_PiS7_iN6hipcub16HIPCUB_304000_NS6detail34convert_binary_result_type_wrapperINS9_3SumENS9_22TransformInputIteratorIbN2at6native12_GLOBAL__N_19NonZeroOpIsEEPKslEEiEEEE10hipError_tPvRmT1_T2_T3_mT4_P12ihipStream_tbEUlT_E1_NS1_11comp_targetILNS1_3genE4ELNS1_11target_archE910ELNS1_3gpuE8ELNS1_3repE0EEENS1_30default_config_static_selectorELNS0_4arch9wavefront6targetE0EEEvSQ_,comdat
	.globl	_ZN7rocprim17ROCPRIM_400000_NS6detail17trampoline_kernelINS0_14default_configENS1_22reduce_config_selectorIiEEZNS1_11reduce_implILb1ES3_PiS7_iN6hipcub16HIPCUB_304000_NS6detail34convert_binary_result_type_wrapperINS9_3SumENS9_22TransformInputIteratorIbN2at6native12_GLOBAL__N_19NonZeroOpIsEEPKslEEiEEEE10hipError_tPvRmT1_T2_T3_mT4_P12ihipStream_tbEUlT_E1_NS1_11comp_targetILNS1_3genE4ELNS1_11target_archE910ELNS1_3gpuE8ELNS1_3repE0EEENS1_30default_config_static_selectorELNS0_4arch9wavefront6targetE0EEEvSQ_ ; -- Begin function _ZN7rocprim17ROCPRIM_400000_NS6detail17trampoline_kernelINS0_14default_configENS1_22reduce_config_selectorIiEEZNS1_11reduce_implILb1ES3_PiS7_iN6hipcub16HIPCUB_304000_NS6detail34convert_binary_result_type_wrapperINS9_3SumENS9_22TransformInputIteratorIbN2at6native12_GLOBAL__N_19NonZeroOpIsEEPKslEEiEEEE10hipError_tPvRmT1_T2_T3_mT4_P12ihipStream_tbEUlT_E1_NS1_11comp_targetILNS1_3genE4ELNS1_11target_archE910ELNS1_3gpuE8ELNS1_3repE0EEENS1_30default_config_static_selectorELNS0_4arch9wavefront6targetE0EEEvSQ_
	.p2align	8
	.type	_ZN7rocprim17ROCPRIM_400000_NS6detail17trampoline_kernelINS0_14default_configENS1_22reduce_config_selectorIiEEZNS1_11reduce_implILb1ES3_PiS7_iN6hipcub16HIPCUB_304000_NS6detail34convert_binary_result_type_wrapperINS9_3SumENS9_22TransformInputIteratorIbN2at6native12_GLOBAL__N_19NonZeroOpIsEEPKslEEiEEEE10hipError_tPvRmT1_T2_T3_mT4_P12ihipStream_tbEUlT_E1_NS1_11comp_targetILNS1_3genE4ELNS1_11target_archE910ELNS1_3gpuE8ELNS1_3repE0EEENS1_30default_config_static_selectorELNS0_4arch9wavefront6targetE0EEEvSQ_,@function
_ZN7rocprim17ROCPRIM_400000_NS6detail17trampoline_kernelINS0_14default_configENS1_22reduce_config_selectorIiEEZNS1_11reduce_implILb1ES3_PiS7_iN6hipcub16HIPCUB_304000_NS6detail34convert_binary_result_type_wrapperINS9_3SumENS9_22TransformInputIteratorIbN2at6native12_GLOBAL__N_19NonZeroOpIsEEPKslEEiEEEE10hipError_tPvRmT1_T2_T3_mT4_P12ihipStream_tbEUlT_E1_NS1_11comp_targetILNS1_3genE4ELNS1_11target_archE910ELNS1_3gpuE8ELNS1_3repE0EEENS1_30default_config_static_selectorELNS0_4arch9wavefront6targetE0EEEvSQ_: ; @_ZN7rocprim17ROCPRIM_400000_NS6detail17trampoline_kernelINS0_14default_configENS1_22reduce_config_selectorIiEEZNS1_11reduce_implILb1ES3_PiS7_iN6hipcub16HIPCUB_304000_NS6detail34convert_binary_result_type_wrapperINS9_3SumENS9_22TransformInputIteratorIbN2at6native12_GLOBAL__N_19NonZeroOpIsEEPKslEEiEEEE10hipError_tPvRmT1_T2_T3_mT4_P12ihipStream_tbEUlT_E1_NS1_11comp_targetILNS1_3genE4ELNS1_11target_archE910ELNS1_3gpuE8ELNS1_3repE0EEENS1_30default_config_static_selectorELNS0_4arch9wavefront6targetE0EEEvSQ_
; %bb.0:
	.section	.rodata,"a",@progbits
	.p2align	6, 0x0
	.amdhsa_kernel _ZN7rocprim17ROCPRIM_400000_NS6detail17trampoline_kernelINS0_14default_configENS1_22reduce_config_selectorIiEEZNS1_11reduce_implILb1ES3_PiS7_iN6hipcub16HIPCUB_304000_NS6detail34convert_binary_result_type_wrapperINS9_3SumENS9_22TransformInputIteratorIbN2at6native12_GLOBAL__N_19NonZeroOpIsEEPKslEEiEEEE10hipError_tPvRmT1_T2_T3_mT4_P12ihipStream_tbEUlT_E1_NS1_11comp_targetILNS1_3genE4ELNS1_11target_archE910ELNS1_3gpuE8ELNS1_3repE0EEENS1_30default_config_static_selectorELNS0_4arch9wavefront6targetE0EEEvSQ_
		.amdhsa_group_segment_fixed_size 0
		.amdhsa_private_segment_fixed_size 0
		.amdhsa_kernarg_size 40
		.amdhsa_user_sgpr_count 2
		.amdhsa_user_sgpr_dispatch_ptr 0
		.amdhsa_user_sgpr_queue_ptr 0
		.amdhsa_user_sgpr_kernarg_segment_ptr 1
		.amdhsa_user_sgpr_dispatch_id 0
		.amdhsa_user_sgpr_private_segment_size 0
		.amdhsa_wavefront_size32 1
		.amdhsa_uses_dynamic_stack 0
		.amdhsa_enable_private_segment 0
		.amdhsa_system_sgpr_workgroup_id_x 1
		.amdhsa_system_sgpr_workgroup_id_y 0
		.amdhsa_system_sgpr_workgroup_id_z 0
		.amdhsa_system_sgpr_workgroup_info 0
		.amdhsa_system_vgpr_workitem_id 0
		.amdhsa_next_free_vgpr 1
		.amdhsa_next_free_sgpr 1
		.amdhsa_reserve_vcc 0
		.amdhsa_float_round_mode_32 0
		.amdhsa_float_round_mode_16_64 0
		.amdhsa_float_denorm_mode_32 3
		.amdhsa_float_denorm_mode_16_64 3
		.amdhsa_fp16_overflow 0
		.amdhsa_workgroup_processor_mode 1
		.amdhsa_memory_ordered 1
		.amdhsa_forward_progress 1
		.amdhsa_inst_pref_size 0
		.amdhsa_round_robin_scheduling 0
		.amdhsa_exception_fp_ieee_invalid_op 0
		.amdhsa_exception_fp_denorm_src 0
		.amdhsa_exception_fp_ieee_div_zero 0
		.amdhsa_exception_fp_ieee_overflow 0
		.amdhsa_exception_fp_ieee_underflow 0
		.amdhsa_exception_fp_ieee_inexact 0
		.amdhsa_exception_int_div_zero 0
	.end_amdhsa_kernel
	.section	.text._ZN7rocprim17ROCPRIM_400000_NS6detail17trampoline_kernelINS0_14default_configENS1_22reduce_config_selectorIiEEZNS1_11reduce_implILb1ES3_PiS7_iN6hipcub16HIPCUB_304000_NS6detail34convert_binary_result_type_wrapperINS9_3SumENS9_22TransformInputIteratorIbN2at6native12_GLOBAL__N_19NonZeroOpIsEEPKslEEiEEEE10hipError_tPvRmT1_T2_T3_mT4_P12ihipStream_tbEUlT_E1_NS1_11comp_targetILNS1_3genE4ELNS1_11target_archE910ELNS1_3gpuE8ELNS1_3repE0EEENS1_30default_config_static_selectorELNS0_4arch9wavefront6targetE0EEEvSQ_,"axG",@progbits,_ZN7rocprim17ROCPRIM_400000_NS6detail17trampoline_kernelINS0_14default_configENS1_22reduce_config_selectorIiEEZNS1_11reduce_implILb1ES3_PiS7_iN6hipcub16HIPCUB_304000_NS6detail34convert_binary_result_type_wrapperINS9_3SumENS9_22TransformInputIteratorIbN2at6native12_GLOBAL__N_19NonZeroOpIsEEPKslEEiEEEE10hipError_tPvRmT1_T2_T3_mT4_P12ihipStream_tbEUlT_E1_NS1_11comp_targetILNS1_3genE4ELNS1_11target_archE910ELNS1_3gpuE8ELNS1_3repE0EEENS1_30default_config_static_selectorELNS0_4arch9wavefront6targetE0EEEvSQ_,comdat
.Lfunc_end297:
	.size	_ZN7rocprim17ROCPRIM_400000_NS6detail17trampoline_kernelINS0_14default_configENS1_22reduce_config_selectorIiEEZNS1_11reduce_implILb1ES3_PiS7_iN6hipcub16HIPCUB_304000_NS6detail34convert_binary_result_type_wrapperINS9_3SumENS9_22TransformInputIteratorIbN2at6native12_GLOBAL__N_19NonZeroOpIsEEPKslEEiEEEE10hipError_tPvRmT1_T2_T3_mT4_P12ihipStream_tbEUlT_E1_NS1_11comp_targetILNS1_3genE4ELNS1_11target_archE910ELNS1_3gpuE8ELNS1_3repE0EEENS1_30default_config_static_selectorELNS0_4arch9wavefront6targetE0EEEvSQ_, .Lfunc_end297-_ZN7rocprim17ROCPRIM_400000_NS6detail17trampoline_kernelINS0_14default_configENS1_22reduce_config_selectorIiEEZNS1_11reduce_implILb1ES3_PiS7_iN6hipcub16HIPCUB_304000_NS6detail34convert_binary_result_type_wrapperINS9_3SumENS9_22TransformInputIteratorIbN2at6native12_GLOBAL__N_19NonZeroOpIsEEPKslEEiEEEE10hipError_tPvRmT1_T2_T3_mT4_P12ihipStream_tbEUlT_E1_NS1_11comp_targetILNS1_3genE4ELNS1_11target_archE910ELNS1_3gpuE8ELNS1_3repE0EEENS1_30default_config_static_selectorELNS0_4arch9wavefront6targetE0EEEvSQ_
                                        ; -- End function
	.set _ZN7rocprim17ROCPRIM_400000_NS6detail17trampoline_kernelINS0_14default_configENS1_22reduce_config_selectorIiEEZNS1_11reduce_implILb1ES3_PiS7_iN6hipcub16HIPCUB_304000_NS6detail34convert_binary_result_type_wrapperINS9_3SumENS9_22TransformInputIteratorIbN2at6native12_GLOBAL__N_19NonZeroOpIsEEPKslEEiEEEE10hipError_tPvRmT1_T2_T3_mT4_P12ihipStream_tbEUlT_E1_NS1_11comp_targetILNS1_3genE4ELNS1_11target_archE910ELNS1_3gpuE8ELNS1_3repE0EEENS1_30default_config_static_selectorELNS0_4arch9wavefront6targetE0EEEvSQ_.num_vgpr, 0
	.set _ZN7rocprim17ROCPRIM_400000_NS6detail17trampoline_kernelINS0_14default_configENS1_22reduce_config_selectorIiEEZNS1_11reduce_implILb1ES3_PiS7_iN6hipcub16HIPCUB_304000_NS6detail34convert_binary_result_type_wrapperINS9_3SumENS9_22TransformInputIteratorIbN2at6native12_GLOBAL__N_19NonZeroOpIsEEPKslEEiEEEE10hipError_tPvRmT1_T2_T3_mT4_P12ihipStream_tbEUlT_E1_NS1_11comp_targetILNS1_3genE4ELNS1_11target_archE910ELNS1_3gpuE8ELNS1_3repE0EEENS1_30default_config_static_selectorELNS0_4arch9wavefront6targetE0EEEvSQ_.num_agpr, 0
	.set _ZN7rocprim17ROCPRIM_400000_NS6detail17trampoline_kernelINS0_14default_configENS1_22reduce_config_selectorIiEEZNS1_11reduce_implILb1ES3_PiS7_iN6hipcub16HIPCUB_304000_NS6detail34convert_binary_result_type_wrapperINS9_3SumENS9_22TransformInputIteratorIbN2at6native12_GLOBAL__N_19NonZeroOpIsEEPKslEEiEEEE10hipError_tPvRmT1_T2_T3_mT4_P12ihipStream_tbEUlT_E1_NS1_11comp_targetILNS1_3genE4ELNS1_11target_archE910ELNS1_3gpuE8ELNS1_3repE0EEENS1_30default_config_static_selectorELNS0_4arch9wavefront6targetE0EEEvSQ_.numbered_sgpr, 0
	.set _ZN7rocprim17ROCPRIM_400000_NS6detail17trampoline_kernelINS0_14default_configENS1_22reduce_config_selectorIiEEZNS1_11reduce_implILb1ES3_PiS7_iN6hipcub16HIPCUB_304000_NS6detail34convert_binary_result_type_wrapperINS9_3SumENS9_22TransformInputIteratorIbN2at6native12_GLOBAL__N_19NonZeroOpIsEEPKslEEiEEEE10hipError_tPvRmT1_T2_T3_mT4_P12ihipStream_tbEUlT_E1_NS1_11comp_targetILNS1_3genE4ELNS1_11target_archE910ELNS1_3gpuE8ELNS1_3repE0EEENS1_30default_config_static_selectorELNS0_4arch9wavefront6targetE0EEEvSQ_.num_named_barrier, 0
	.set _ZN7rocprim17ROCPRIM_400000_NS6detail17trampoline_kernelINS0_14default_configENS1_22reduce_config_selectorIiEEZNS1_11reduce_implILb1ES3_PiS7_iN6hipcub16HIPCUB_304000_NS6detail34convert_binary_result_type_wrapperINS9_3SumENS9_22TransformInputIteratorIbN2at6native12_GLOBAL__N_19NonZeroOpIsEEPKslEEiEEEE10hipError_tPvRmT1_T2_T3_mT4_P12ihipStream_tbEUlT_E1_NS1_11comp_targetILNS1_3genE4ELNS1_11target_archE910ELNS1_3gpuE8ELNS1_3repE0EEENS1_30default_config_static_selectorELNS0_4arch9wavefront6targetE0EEEvSQ_.private_seg_size, 0
	.set _ZN7rocprim17ROCPRIM_400000_NS6detail17trampoline_kernelINS0_14default_configENS1_22reduce_config_selectorIiEEZNS1_11reduce_implILb1ES3_PiS7_iN6hipcub16HIPCUB_304000_NS6detail34convert_binary_result_type_wrapperINS9_3SumENS9_22TransformInputIteratorIbN2at6native12_GLOBAL__N_19NonZeroOpIsEEPKslEEiEEEE10hipError_tPvRmT1_T2_T3_mT4_P12ihipStream_tbEUlT_E1_NS1_11comp_targetILNS1_3genE4ELNS1_11target_archE910ELNS1_3gpuE8ELNS1_3repE0EEENS1_30default_config_static_selectorELNS0_4arch9wavefront6targetE0EEEvSQ_.uses_vcc, 0
	.set _ZN7rocprim17ROCPRIM_400000_NS6detail17trampoline_kernelINS0_14default_configENS1_22reduce_config_selectorIiEEZNS1_11reduce_implILb1ES3_PiS7_iN6hipcub16HIPCUB_304000_NS6detail34convert_binary_result_type_wrapperINS9_3SumENS9_22TransformInputIteratorIbN2at6native12_GLOBAL__N_19NonZeroOpIsEEPKslEEiEEEE10hipError_tPvRmT1_T2_T3_mT4_P12ihipStream_tbEUlT_E1_NS1_11comp_targetILNS1_3genE4ELNS1_11target_archE910ELNS1_3gpuE8ELNS1_3repE0EEENS1_30default_config_static_selectorELNS0_4arch9wavefront6targetE0EEEvSQ_.uses_flat_scratch, 0
	.set _ZN7rocprim17ROCPRIM_400000_NS6detail17trampoline_kernelINS0_14default_configENS1_22reduce_config_selectorIiEEZNS1_11reduce_implILb1ES3_PiS7_iN6hipcub16HIPCUB_304000_NS6detail34convert_binary_result_type_wrapperINS9_3SumENS9_22TransformInputIteratorIbN2at6native12_GLOBAL__N_19NonZeroOpIsEEPKslEEiEEEE10hipError_tPvRmT1_T2_T3_mT4_P12ihipStream_tbEUlT_E1_NS1_11comp_targetILNS1_3genE4ELNS1_11target_archE910ELNS1_3gpuE8ELNS1_3repE0EEENS1_30default_config_static_selectorELNS0_4arch9wavefront6targetE0EEEvSQ_.has_dyn_sized_stack, 0
	.set _ZN7rocprim17ROCPRIM_400000_NS6detail17trampoline_kernelINS0_14default_configENS1_22reduce_config_selectorIiEEZNS1_11reduce_implILb1ES3_PiS7_iN6hipcub16HIPCUB_304000_NS6detail34convert_binary_result_type_wrapperINS9_3SumENS9_22TransformInputIteratorIbN2at6native12_GLOBAL__N_19NonZeroOpIsEEPKslEEiEEEE10hipError_tPvRmT1_T2_T3_mT4_P12ihipStream_tbEUlT_E1_NS1_11comp_targetILNS1_3genE4ELNS1_11target_archE910ELNS1_3gpuE8ELNS1_3repE0EEENS1_30default_config_static_selectorELNS0_4arch9wavefront6targetE0EEEvSQ_.has_recursion, 0
	.set _ZN7rocprim17ROCPRIM_400000_NS6detail17trampoline_kernelINS0_14default_configENS1_22reduce_config_selectorIiEEZNS1_11reduce_implILb1ES3_PiS7_iN6hipcub16HIPCUB_304000_NS6detail34convert_binary_result_type_wrapperINS9_3SumENS9_22TransformInputIteratorIbN2at6native12_GLOBAL__N_19NonZeroOpIsEEPKslEEiEEEE10hipError_tPvRmT1_T2_T3_mT4_P12ihipStream_tbEUlT_E1_NS1_11comp_targetILNS1_3genE4ELNS1_11target_archE910ELNS1_3gpuE8ELNS1_3repE0EEENS1_30default_config_static_selectorELNS0_4arch9wavefront6targetE0EEEvSQ_.has_indirect_call, 0
	.section	.AMDGPU.csdata,"",@progbits
; Kernel info:
; codeLenInByte = 0
; TotalNumSgprs: 0
; NumVgprs: 0
; ScratchSize: 0
; MemoryBound: 0
; FloatMode: 240
; IeeeMode: 1
; LDSByteSize: 0 bytes/workgroup (compile time only)
; SGPRBlocks: 0
; VGPRBlocks: 0
; NumSGPRsForWavesPerEU: 1
; NumVGPRsForWavesPerEU: 1
; Occupancy: 16
; WaveLimiterHint : 0
; COMPUTE_PGM_RSRC2:SCRATCH_EN: 0
; COMPUTE_PGM_RSRC2:USER_SGPR: 2
; COMPUTE_PGM_RSRC2:TRAP_HANDLER: 0
; COMPUTE_PGM_RSRC2:TGID_X_EN: 1
; COMPUTE_PGM_RSRC2:TGID_Y_EN: 0
; COMPUTE_PGM_RSRC2:TGID_Z_EN: 0
; COMPUTE_PGM_RSRC2:TIDIG_COMP_CNT: 0
	.section	.text._ZN7rocprim17ROCPRIM_400000_NS6detail17trampoline_kernelINS0_14default_configENS1_22reduce_config_selectorIiEEZNS1_11reduce_implILb1ES3_PiS7_iN6hipcub16HIPCUB_304000_NS6detail34convert_binary_result_type_wrapperINS9_3SumENS9_22TransformInputIteratorIbN2at6native12_GLOBAL__N_19NonZeroOpIsEEPKslEEiEEEE10hipError_tPvRmT1_T2_T3_mT4_P12ihipStream_tbEUlT_E1_NS1_11comp_targetILNS1_3genE3ELNS1_11target_archE908ELNS1_3gpuE7ELNS1_3repE0EEENS1_30default_config_static_selectorELNS0_4arch9wavefront6targetE0EEEvSQ_,"axG",@progbits,_ZN7rocprim17ROCPRIM_400000_NS6detail17trampoline_kernelINS0_14default_configENS1_22reduce_config_selectorIiEEZNS1_11reduce_implILb1ES3_PiS7_iN6hipcub16HIPCUB_304000_NS6detail34convert_binary_result_type_wrapperINS9_3SumENS9_22TransformInputIteratorIbN2at6native12_GLOBAL__N_19NonZeroOpIsEEPKslEEiEEEE10hipError_tPvRmT1_T2_T3_mT4_P12ihipStream_tbEUlT_E1_NS1_11comp_targetILNS1_3genE3ELNS1_11target_archE908ELNS1_3gpuE7ELNS1_3repE0EEENS1_30default_config_static_selectorELNS0_4arch9wavefront6targetE0EEEvSQ_,comdat
	.globl	_ZN7rocprim17ROCPRIM_400000_NS6detail17trampoline_kernelINS0_14default_configENS1_22reduce_config_selectorIiEEZNS1_11reduce_implILb1ES3_PiS7_iN6hipcub16HIPCUB_304000_NS6detail34convert_binary_result_type_wrapperINS9_3SumENS9_22TransformInputIteratorIbN2at6native12_GLOBAL__N_19NonZeroOpIsEEPKslEEiEEEE10hipError_tPvRmT1_T2_T3_mT4_P12ihipStream_tbEUlT_E1_NS1_11comp_targetILNS1_3genE3ELNS1_11target_archE908ELNS1_3gpuE7ELNS1_3repE0EEENS1_30default_config_static_selectorELNS0_4arch9wavefront6targetE0EEEvSQ_ ; -- Begin function _ZN7rocprim17ROCPRIM_400000_NS6detail17trampoline_kernelINS0_14default_configENS1_22reduce_config_selectorIiEEZNS1_11reduce_implILb1ES3_PiS7_iN6hipcub16HIPCUB_304000_NS6detail34convert_binary_result_type_wrapperINS9_3SumENS9_22TransformInputIteratorIbN2at6native12_GLOBAL__N_19NonZeroOpIsEEPKslEEiEEEE10hipError_tPvRmT1_T2_T3_mT4_P12ihipStream_tbEUlT_E1_NS1_11comp_targetILNS1_3genE3ELNS1_11target_archE908ELNS1_3gpuE7ELNS1_3repE0EEENS1_30default_config_static_selectorELNS0_4arch9wavefront6targetE0EEEvSQ_
	.p2align	8
	.type	_ZN7rocprim17ROCPRIM_400000_NS6detail17trampoline_kernelINS0_14default_configENS1_22reduce_config_selectorIiEEZNS1_11reduce_implILb1ES3_PiS7_iN6hipcub16HIPCUB_304000_NS6detail34convert_binary_result_type_wrapperINS9_3SumENS9_22TransformInputIteratorIbN2at6native12_GLOBAL__N_19NonZeroOpIsEEPKslEEiEEEE10hipError_tPvRmT1_T2_T3_mT4_P12ihipStream_tbEUlT_E1_NS1_11comp_targetILNS1_3genE3ELNS1_11target_archE908ELNS1_3gpuE7ELNS1_3repE0EEENS1_30default_config_static_selectorELNS0_4arch9wavefront6targetE0EEEvSQ_,@function
_ZN7rocprim17ROCPRIM_400000_NS6detail17trampoline_kernelINS0_14default_configENS1_22reduce_config_selectorIiEEZNS1_11reduce_implILb1ES3_PiS7_iN6hipcub16HIPCUB_304000_NS6detail34convert_binary_result_type_wrapperINS9_3SumENS9_22TransformInputIteratorIbN2at6native12_GLOBAL__N_19NonZeroOpIsEEPKslEEiEEEE10hipError_tPvRmT1_T2_T3_mT4_P12ihipStream_tbEUlT_E1_NS1_11comp_targetILNS1_3genE3ELNS1_11target_archE908ELNS1_3gpuE7ELNS1_3repE0EEENS1_30default_config_static_selectorELNS0_4arch9wavefront6targetE0EEEvSQ_: ; @_ZN7rocprim17ROCPRIM_400000_NS6detail17trampoline_kernelINS0_14default_configENS1_22reduce_config_selectorIiEEZNS1_11reduce_implILb1ES3_PiS7_iN6hipcub16HIPCUB_304000_NS6detail34convert_binary_result_type_wrapperINS9_3SumENS9_22TransformInputIteratorIbN2at6native12_GLOBAL__N_19NonZeroOpIsEEPKslEEiEEEE10hipError_tPvRmT1_T2_T3_mT4_P12ihipStream_tbEUlT_E1_NS1_11comp_targetILNS1_3genE3ELNS1_11target_archE908ELNS1_3gpuE7ELNS1_3repE0EEENS1_30default_config_static_selectorELNS0_4arch9wavefront6targetE0EEEvSQ_
; %bb.0:
	.section	.rodata,"a",@progbits
	.p2align	6, 0x0
	.amdhsa_kernel _ZN7rocprim17ROCPRIM_400000_NS6detail17trampoline_kernelINS0_14default_configENS1_22reduce_config_selectorIiEEZNS1_11reduce_implILb1ES3_PiS7_iN6hipcub16HIPCUB_304000_NS6detail34convert_binary_result_type_wrapperINS9_3SumENS9_22TransformInputIteratorIbN2at6native12_GLOBAL__N_19NonZeroOpIsEEPKslEEiEEEE10hipError_tPvRmT1_T2_T3_mT4_P12ihipStream_tbEUlT_E1_NS1_11comp_targetILNS1_3genE3ELNS1_11target_archE908ELNS1_3gpuE7ELNS1_3repE0EEENS1_30default_config_static_selectorELNS0_4arch9wavefront6targetE0EEEvSQ_
		.amdhsa_group_segment_fixed_size 0
		.amdhsa_private_segment_fixed_size 0
		.amdhsa_kernarg_size 40
		.amdhsa_user_sgpr_count 2
		.amdhsa_user_sgpr_dispatch_ptr 0
		.amdhsa_user_sgpr_queue_ptr 0
		.amdhsa_user_sgpr_kernarg_segment_ptr 1
		.amdhsa_user_sgpr_dispatch_id 0
		.amdhsa_user_sgpr_private_segment_size 0
		.amdhsa_wavefront_size32 1
		.amdhsa_uses_dynamic_stack 0
		.amdhsa_enable_private_segment 0
		.amdhsa_system_sgpr_workgroup_id_x 1
		.amdhsa_system_sgpr_workgroup_id_y 0
		.amdhsa_system_sgpr_workgroup_id_z 0
		.amdhsa_system_sgpr_workgroup_info 0
		.amdhsa_system_vgpr_workitem_id 0
		.amdhsa_next_free_vgpr 1
		.amdhsa_next_free_sgpr 1
		.amdhsa_reserve_vcc 0
		.amdhsa_float_round_mode_32 0
		.amdhsa_float_round_mode_16_64 0
		.amdhsa_float_denorm_mode_32 3
		.amdhsa_float_denorm_mode_16_64 3
		.amdhsa_fp16_overflow 0
		.amdhsa_workgroup_processor_mode 1
		.amdhsa_memory_ordered 1
		.amdhsa_forward_progress 1
		.amdhsa_inst_pref_size 0
		.amdhsa_round_robin_scheduling 0
		.amdhsa_exception_fp_ieee_invalid_op 0
		.amdhsa_exception_fp_denorm_src 0
		.amdhsa_exception_fp_ieee_div_zero 0
		.amdhsa_exception_fp_ieee_overflow 0
		.amdhsa_exception_fp_ieee_underflow 0
		.amdhsa_exception_fp_ieee_inexact 0
		.amdhsa_exception_int_div_zero 0
	.end_amdhsa_kernel
	.section	.text._ZN7rocprim17ROCPRIM_400000_NS6detail17trampoline_kernelINS0_14default_configENS1_22reduce_config_selectorIiEEZNS1_11reduce_implILb1ES3_PiS7_iN6hipcub16HIPCUB_304000_NS6detail34convert_binary_result_type_wrapperINS9_3SumENS9_22TransformInputIteratorIbN2at6native12_GLOBAL__N_19NonZeroOpIsEEPKslEEiEEEE10hipError_tPvRmT1_T2_T3_mT4_P12ihipStream_tbEUlT_E1_NS1_11comp_targetILNS1_3genE3ELNS1_11target_archE908ELNS1_3gpuE7ELNS1_3repE0EEENS1_30default_config_static_selectorELNS0_4arch9wavefront6targetE0EEEvSQ_,"axG",@progbits,_ZN7rocprim17ROCPRIM_400000_NS6detail17trampoline_kernelINS0_14default_configENS1_22reduce_config_selectorIiEEZNS1_11reduce_implILb1ES3_PiS7_iN6hipcub16HIPCUB_304000_NS6detail34convert_binary_result_type_wrapperINS9_3SumENS9_22TransformInputIteratorIbN2at6native12_GLOBAL__N_19NonZeroOpIsEEPKslEEiEEEE10hipError_tPvRmT1_T2_T3_mT4_P12ihipStream_tbEUlT_E1_NS1_11comp_targetILNS1_3genE3ELNS1_11target_archE908ELNS1_3gpuE7ELNS1_3repE0EEENS1_30default_config_static_selectorELNS0_4arch9wavefront6targetE0EEEvSQ_,comdat
.Lfunc_end298:
	.size	_ZN7rocprim17ROCPRIM_400000_NS6detail17trampoline_kernelINS0_14default_configENS1_22reduce_config_selectorIiEEZNS1_11reduce_implILb1ES3_PiS7_iN6hipcub16HIPCUB_304000_NS6detail34convert_binary_result_type_wrapperINS9_3SumENS9_22TransformInputIteratorIbN2at6native12_GLOBAL__N_19NonZeroOpIsEEPKslEEiEEEE10hipError_tPvRmT1_T2_T3_mT4_P12ihipStream_tbEUlT_E1_NS1_11comp_targetILNS1_3genE3ELNS1_11target_archE908ELNS1_3gpuE7ELNS1_3repE0EEENS1_30default_config_static_selectorELNS0_4arch9wavefront6targetE0EEEvSQ_, .Lfunc_end298-_ZN7rocprim17ROCPRIM_400000_NS6detail17trampoline_kernelINS0_14default_configENS1_22reduce_config_selectorIiEEZNS1_11reduce_implILb1ES3_PiS7_iN6hipcub16HIPCUB_304000_NS6detail34convert_binary_result_type_wrapperINS9_3SumENS9_22TransformInputIteratorIbN2at6native12_GLOBAL__N_19NonZeroOpIsEEPKslEEiEEEE10hipError_tPvRmT1_T2_T3_mT4_P12ihipStream_tbEUlT_E1_NS1_11comp_targetILNS1_3genE3ELNS1_11target_archE908ELNS1_3gpuE7ELNS1_3repE0EEENS1_30default_config_static_selectorELNS0_4arch9wavefront6targetE0EEEvSQ_
                                        ; -- End function
	.set _ZN7rocprim17ROCPRIM_400000_NS6detail17trampoline_kernelINS0_14default_configENS1_22reduce_config_selectorIiEEZNS1_11reduce_implILb1ES3_PiS7_iN6hipcub16HIPCUB_304000_NS6detail34convert_binary_result_type_wrapperINS9_3SumENS9_22TransformInputIteratorIbN2at6native12_GLOBAL__N_19NonZeroOpIsEEPKslEEiEEEE10hipError_tPvRmT1_T2_T3_mT4_P12ihipStream_tbEUlT_E1_NS1_11comp_targetILNS1_3genE3ELNS1_11target_archE908ELNS1_3gpuE7ELNS1_3repE0EEENS1_30default_config_static_selectorELNS0_4arch9wavefront6targetE0EEEvSQ_.num_vgpr, 0
	.set _ZN7rocprim17ROCPRIM_400000_NS6detail17trampoline_kernelINS0_14default_configENS1_22reduce_config_selectorIiEEZNS1_11reduce_implILb1ES3_PiS7_iN6hipcub16HIPCUB_304000_NS6detail34convert_binary_result_type_wrapperINS9_3SumENS9_22TransformInputIteratorIbN2at6native12_GLOBAL__N_19NonZeroOpIsEEPKslEEiEEEE10hipError_tPvRmT1_T2_T3_mT4_P12ihipStream_tbEUlT_E1_NS1_11comp_targetILNS1_3genE3ELNS1_11target_archE908ELNS1_3gpuE7ELNS1_3repE0EEENS1_30default_config_static_selectorELNS0_4arch9wavefront6targetE0EEEvSQ_.num_agpr, 0
	.set _ZN7rocprim17ROCPRIM_400000_NS6detail17trampoline_kernelINS0_14default_configENS1_22reduce_config_selectorIiEEZNS1_11reduce_implILb1ES3_PiS7_iN6hipcub16HIPCUB_304000_NS6detail34convert_binary_result_type_wrapperINS9_3SumENS9_22TransformInputIteratorIbN2at6native12_GLOBAL__N_19NonZeroOpIsEEPKslEEiEEEE10hipError_tPvRmT1_T2_T3_mT4_P12ihipStream_tbEUlT_E1_NS1_11comp_targetILNS1_3genE3ELNS1_11target_archE908ELNS1_3gpuE7ELNS1_3repE0EEENS1_30default_config_static_selectorELNS0_4arch9wavefront6targetE0EEEvSQ_.numbered_sgpr, 0
	.set _ZN7rocprim17ROCPRIM_400000_NS6detail17trampoline_kernelINS0_14default_configENS1_22reduce_config_selectorIiEEZNS1_11reduce_implILb1ES3_PiS7_iN6hipcub16HIPCUB_304000_NS6detail34convert_binary_result_type_wrapperINS9_3SumENS9_22TransformInputIteratorIbN2at6native12_GLOBAL__N_19NonZeroOpIsEEPKslEEiEEEE10hipError_tPvRmT1_T2_T3_mT4_P12ihipStream_tbEUlT_E1_NS1_11comp_targetILNS1_3genE3ELNS1_11target_archE908ELNS1_3gpuE7ELNS1_3repE0EEENS1_30default_config_static_selectorELNS0_4arch9wavefront6targetE0EEEvSQ_.num_named_barrier, 0
	.set _ZN7rocprim17ROCPRIM_400000_NS6detail17trampoline_kernelINS0_14default_configENS1_22reduce_config_selectorIiEEZNS1_11reduce_implILb1ES3_PiS7_iN6hipcub16HIPCUB_304000_NS6detail34convert_binary_result_type_wrapperINS9_3SumENS9_22TransformInputIteratorIbN2at6native12_GLOBAL__N_19NonZeroOpIsEEPKslEEiEEEE10hipError_tPvRmT1_T2_T3_mT4_P12ihipStream_tbEUlT_E1_NS1_11comp_targetILNS1_3genE3ELNS1_11target_archE908ELNS1_3gpuE7ELNS1_3repE0EEENS1_30default_config_static_selectorELNS0_4arch9wavefront6targetE0EEEvSQ_.private_seg_size, 0
	.set _ZN7rocprim17ROCPRIM_400000_NS6detail17trampoline_kernelINS0_14default_configENS1_22reduce_config_selectorIiEEZNS1_11reduce_implILb1ES3_PiS7_iN6hipcub16HIPCUB_304000_NS6detail34convert_binary_result_type_wrapperINS9_3SumENS9_22TransformInputIteratorIbN2at6native12_GLOBAL__N_19NonZeroOpIsEEPKslEEiEEEE10hipError_tPvRmT1_T2_T3_mT4_P12ihipStream_tbEUlT_E1_NS1_11comp_targetILNS1_3genE3ELNS1_11target_archE908ELNS1_3gpuE7ELNS1_3repE0EEENS1_30default_config_static_selectorELNS0_4arch9wavefront6targetE0EEEvSQ_.uses_vcc, 0
	.set _ZN7rocprim17ROCPRIM_400000_NS6detail17trampoline_kernelINS0_14default_configENS1_22reduce_config_selectorIiEEZNS1_11reduce_implILb1ES3_PiS7_iN6hipcub16HIPCUB_304000_NS6detail34convert_binary_result_type_wrapperINS9_3SumENS9_22TransformInputIteratorIbN2at6native12_GLOBAL__N_19NonZeroOpIsEEPKslEEiEEEE10hipError_tPvRmT1_T2_T3_mT4_P12ihipStream_tbEUlT_E1_NS1_11comp_targetILNS1_3genE3ELNS1_11target_archE908ELNS1_3gpuE7ELNS1_3repE0EEENS1_30default_config_static_selectorELNS0_4arch9wavefront6targetE0EEEvSQ_.uses_flat_scratch, 0
	.set _ZN7rocprim17ROCPRIM_400000_NS6detail17trampoline_kernelINS0_14default_configENS1_22reduce_config_selectorIiEEZNS1_11reduce_implILb1ES3_PiS7_iN6hipcub16HIPCUB_304000_NS6detail34convert_binary_result_type_wrapperINS9_3SumENS9_22TransformInputIteratorIbN2at6native12_GLOBAL__N_19NonZeroOpIsEEPKslEEiEEEE10hipError_tPvRmT1_T2_T3_mT4_P12ihipStream_tbEUlT_E1_NS1_11comp_targetILNS1_3genE3ELNS1_11target_archE908ELNS1_3gpuE7ELNS1_3repE0EEENS1_30default_config_static_selectorELNS0_4arch9wavefront6targetE0EEEvSQ_.has_dyn_sized_stack, 0
	.set _ZN7rocprim17ROCPRIM_400000_NS6detail17trampoline_kernelINS0_14default_configENS1_22reduce_config_selectorIiEEZNS1_11reduce_implILb1ES3_PiS7_iN6hipcub16HIPCUB_304000_NS6detail34convert_binary_result_type_wrapperINS9_3SumENS9_22TransformInputIteratorIbN2at6native12_GLOBAL__N_19NonZeroOpIsEEPKslEEiEEEE10hipError_tPvRmT1_T2_T3_mT4_P12ihipStream_tbEUlT_E1_NS1_11comp_targetILNS1_3genE3ELNS1_11target_archE908ELNS1_3gpuE7ELNS1_3repE0EEENS1_30default_config_static_selectorELNS0_4arch9wavefront6targetE0EEEvSQ_.has_recursion, 0
	.set _ZN7rocprim17ROCPRIM_400000_NS6detail17trampoline_kernelINS0_14default_configENS1_22reduce_config_selectorIiEEZNS1_11reduce_implILb1ES3_PiS7_iN6hipcub16HIPCUB_304000_NS6detail34convert_binary_result_type_wrapperINS9_3SumENS9_22TransformInputIteratorIbN2at6native12_GLOBAL__N_19NonZeroOpIsEEPKslEEiEEEE10hipError_tPvRmT1_T2_T3_mT4_P12ihipStream_tbEUlT_E1_NS1_11comp_targetILNS1_3genE3ELNS1_11target_archE908ELNS1_3gpuE7ELNS1_3repE0EEENS1_30default_config_static_selectorELNS0_4arch9wavefront6targetE0EEEvSQ_.has_indirect_call, 0
	.section	.AMDGPU.csdata,"",@progbits
; Kernel info:
; codeLenInByte = 0
; TotalNumSgprs: 0
; NumVgprs: 0
; ScratchSize: 0
; MemoryBound: 0
; FloatMode: 240
; IeeeMode: 1
; LDSByteSize: 0 bytes/workgroup (compile time only)
; SGPRBlocks: 0
; VGPRBlocks: 0
; NumSGPRsForWavesPerEU: 1
; NumVGPRsForWavesPerEU: 1
; Occupancy: 16
; WaveLimiterHint : 0
; COMPUTE_PGM_RSRC2:SCRATCH_EN: 0
; COMPUTE_PGM_RSRC2:USER_SGPR: 2
; COMPUTE_PGM_RSRC2:TRAP_HANDLER: 0
; COMPUTE_PGM_RSRC2:TGID_X_EN: 1
; COMPUTE_PGM_RSRC2:TGID_Y_EN: 0
; COMPUTE_PGM_RSRC2:TGID_Z_EN: 0
; COMPUTE_PGM_RSRC2:TIDIG_COMP_CNT: 0
	.section	.text._ZN7rocprim17ROCPRIM_400000_NS6detail17trampoline_kernelINS0_14default_configENS1_22reduce_config_selectorIiEEZNS1_11reduce_implILb1ES3_PiS7_iN6hipcub16HIPCUB_304000_NS6detail34convert_binary_result_type_wrapperINS9_3SumENS9_22TransformInputIteratorIbN2at6native12_GLOBAL__N_19NonZeroOpIsEEPKslEEiEEEE10hipError_tPvRmT1_T2_T3_mT4_P12ihipStream_tbEUlT_E1_NS1_11comp_targetILNS1_3genE2ELNS1_11target_archE906ELNS1_3gpuE6ELNS1_3repE0EEENS1_30default_config_static_selectorELNS0_4arch9wavefront6targetE0EEEvSQ_,"axG",@progbits,_ZN7rocprim17ROCPRIM_400000_NS6detail17trampoline_kernelINS0_14default_configENS1_22reduce_config_selectorIiEEZNS1_11reduce_implILb1ES3_PiS7_iN6hipcub16HIPCUB_304000_NS6detail34convert_binary_result_type_wrapperINS9_3SumENS9_22TransformInputIteratorIbN2at6native12_GLOBAL__N_19NonZeroOpIsEEPKslEEiEEEE10hipError_tPvRmT1_T2_T3_mT4_P12ihipStream_tbEUlT_E1_NS1_11comp_targetILNS1_3genE2ELNS1_11target_archE906ELNS1_3gpuE6ELNS1_3repE0EEENS1_30default_config_static_selectorELNS0_4arch9wavefront6targetE0EEEvSQ_,comdat
	.globl	_ZN7rocprim17ROCPRIM_400000_NS6detail17trampoline_kernelINS0_14default_configENS1_22reduce_config_selectorIiEEZNS1_11reduce_implILb1ES3_PiS7_iN6hipcub16HIPCUB_304000_NS6detail34convert_binary_result_type_wrapperINS9_3SumENS9_22TransformInputIteratorIbN2at6native12_GLOBAL__N_19NonZeroOpIsEEPKslEEiEEEE10hipError_tPvRmT1_T2_T3_mT4_P12ihipStream_tbEUlT_E1_NS1_11comp_targetILNS1_3genE2ELNS1_11target_archE906ELNS1_3gpuE6ELNS1_3repE0EEENS1_30default_config_static_selectorELNS0_4arch9wavefront6targetE0EEEvSQ_ ; -- Begin function _ZN7rocprim17ROCPRIM_400000_NS6detail17trampoline_kernelINS0_14default_configENS1_22reduce_config_selectorIiEEZNS1_11reduce_implILb1ES3_PiS7_iN6hipcub16HIPCUB_304000_NS6detail34convert_binary_result_type_wrapperINS9_3SumENS9_22TransformInputIteratorIbN2at6native12_GLOBAL__N_19NonZeroOpIsEEPKslEEiEEEE10hipError_tPvRmT1_T2_T3_mT4_P12ihipStream_tbEUlT_E1_NS1_11comp_targetILNS1_3genE2ELNS1_11target_archE906ELNS1_3gpuE6ELNS1_3repE0EEENS1_30default_config_static_selectorELNS0_4arch9wavefront6targetE0EEEvSQ_
	.p2align	8
	.type	_ZN7rocprim17ROCPRIM_400000_NS6detail17trampoline_kernelINS0_14default_configENS1_22reduce_config_selectorIiEEZNS1_11reduce_implILb1ES3_PiS7_iN6hipcub16HIPCUB_304000_NS6detail34convert_binary_result_type_wrapperINS9_3SumENS9_22TransformInputIteratorIbN2at6native12_GLOBAL__N_19NonZeroOpIsEEPKslEEiEEEE10hipError_tPvRmT1_T2_T3_mT4_P12ihipStream_tbEUlT_E1_NS1_11comp_targetILNS1_3genE2ELNS1_11target_archE906ELNS1_3gpuE6ELNS1_3repE0EEENS1_30default_config_static_selectorELNS0_4arch9wavefront6targetE0EEEvSQ_,@function
_ZN7rocprim17ROCPRIM_400000_NS6detail17trampoline_kernelINS0_14default_configENS1_22reduce_config_selectorIiEEZNS1_11reduce_implILb1ES3_PiS7_iN6hipcub16HIPCUB_304000_NS6detail34convert_binary_result_type_wrapperINS9_3SumENS9_22TransformInputIteratorIbN2at6native12_GLOBAL__N_19NonZeroOpIsEEPKslEEiEEEE10hipError_tPvRmT1_T2_T3_mT4_P12ihipStream_tbEUlT_E1_NS1_11comp_targetILNS1_3genE2ELNS1_11target_archE906ELNS1_3gpuE6ELNS1_3repE0EEENS1_30default_config_static_selectorELNS0_4arch9wavefront6targetE0EEEvSQ_: ; @_ZN7rocprim17ROCPRIM_400000_NS6detail17trampoline_kernelINS0_14default_configENS1_22reduce_config_selectorIiEEZNS1_11reduce_implILb1ES3_PiS7_iN6hipcub16HIPCUB_304000_NS6detail34convert_binary_result_type_wrapperINS9_3SumENS9_22TransformInputIteratorIbN2at6native12_GLOBAL__N_19NonZeroOpIsEEPKslEEiEEEE10hipError_tPvRmT1_T2_T3_mT4_P12ihipStream_tbEUlT_E1_NS1_11comp_targetILNS1_3genE2ELNS1_11target_archE906ELNS1_3gpuE6ELNS1_3repE0EEENS1_30default_config_static_selectorELNS0_4arch9wavefront6targetE0EEEvSQ_
; %bb.0:
	.section	.rodata,"a",@progbits
	.p2align	6, 0x0
	.amdhsa_kernel _ZN7rocprim17ROCPRIM_400000_NS6detail17trampoline_kernelINS0_14default_configENS1_22reduce_config_selectorIiEEZNS1_11reduce_implILb1ES3_PiS7_iN6hipcub16HIPCUB_304000_NS6detail34convert_binary_result_type_wrapperINS9_3SumENS9_22TransformInputIteratorIbN2at6native12_GLOBAL__N_19NonZeroOpIsEEPKslEEiEEEE10hipError_tPvRmT1_T2_T3_mT4_P12ihipStream_tbEUlT_E1_NS1_11comp_targetILNS1_3genE2ELNS1_11target_archE906ELNS1_3gpuE6ELNS1_3repE0EEENS1_30default_config_static_selectorELNS0_4arch9wavefront6targetE0EEEvSQ_
		.amdhsa_group_segment_fixed_size 0
		.amdhsa_private_segment_fixed_size 0
		.amdhsa_kernarg_size 40
		.amdhsa_user_sgpr_count 2
		.amdhsa_user_sgpr_dispatch_ptr 0
		.amdhsa_user_sgpr_queue_ptr 0
		.amdhsa_user_sgpr_kernarg_segment_ptr 1
		.amdhsa_user_sgpr_dispatch_id 0
		.amdhsa_user_sgpr_private_segment_size 0
		.amdhsa_wavefront_size32 1
		.amdhsa_uses_dynamic_stack 0
		.amdhsa_enable_private_segment 0
		.amdhsa_system_sgpr_workgroup_id_x 1
		.amdhsa_system_sgpr_workgroup_id_y 0
		.amdhsa_system_sgpr_workgroup_id_z 0
		.amdhsa_system_sgpr_workgroup_info 0
		.amdhsa_system_vgpr_workitem_id 0
		.amdhsa_next_free_vgpr 1
		.amdhsa_next_free_sgpr 1
		.amdhsa_reserve_vcc 0
		.amdhsa_float_round_mode_32 0
		.amdhsa_float_round_mode_16_64 0
		.amdhsa_float_denorm_mode_32 3
		.amdhsa_float_denorm_mode_16_64 3
		.amdhsa_fp16_overflow 0
		.amdhsa_workgroup_processor_mode 1
		.amdhsa_memory_ordered 1
		.amdhsa_forward_progress 1
		.amdhsa_inst_pref_size 0
		.amdhsa_round_robin_scheduling 0
		.amdhsa_exception_fp_ieee_invalid_op 0
		.amdhsa_exception_fp_denorm_src 0
		.amdhsa_exception_fp_ieee_div_zero 0
		.amdhsa_exception_fp_ieee_overflow 0
		.amdhsa_exception_fp_ieee_underflow 0
		.amdhsa_exception_fp_ieee_inexact 0
		.amdhsa_exception_int_div_zero 0
	.end_amdhsa_kernel
	.section	.text._ZN7rocprim17ROCPRIM_400000_NS6detail17trampoline_kernelINS0_14default_configENS1_22reduce_config_selectorIiEEZNS1_11reduce_implILb1ES3_PiS7_iN6hipcub16HIPCUB_304000_NS6detail34convert_binary_result_type_wrapperINS9_3SumENS9_22TransformInputIteratorIbN2at6native12_GLOBAL__N_19NonZeroOpIsEEPKslEEiEEEE10hipError_tPvRmT1_T2_T3_mT4_P12ihipStream_tbEUlT_E1_NS1_11comp_targetILNS1_3genE2ELNS1_11target_archE906ELNS1_3gpuE6ELNS1_3repE0EEENS1_30default_config_static_selectorELNS0_4arch9wavefront6targetE0EEEvSQ_,"axG",@progbits,_ZN7rocprim17ROCPRIM_400000_NS6detail17trampoline_kernelINS0_14default_configENS1_22reduce_config_selectorIiEEZNS1_11reduce_implILb1ES3_PiS7_iN6hipcub16HIPCUB_304000_NS6detail34convert_binary_result_type_wrapperINS9_3SumENS9_22TransformInputIteratorIbN2at6native12_GLOBAL__N_19NonZeroOpIsEEPKslEEiEEEE10hipError_tPvRmT1_T2_T3_mT4_P12ihipStream_tbEUlT_E1_NS1_11comp_targetILNS1_3genE2ELNS1_11target_archE906ELNS1_3gpuE6ELNS1_3repE0EEENS1_30default_config_static_selectorELNS0_4arch9wavefront6targetE0EEEvSQ_,comdat
.Lfunc_end299:
	.size	_ZN7rocprim17ROCPRIM_400000_NS6detail17trampoline_kernelINS0_14default_configENS1_22reduce_config_selectorIiEEZNS1_11reduce_implILb1ES3_PiS7_iN6hipcub16HIPCUB_304000_NS6detail34convert_binary_result_type_wrapperINS9_3SumENS9_22TransformInputIteratorIbN2at6native12_GLOBAL__N_19NonZeroOpIsEEPKslEEiEEEE10hipError_tPvRmT1_T2_T3_mT4_P12ihipStream_tbEUlT_E1_NS1_11comp_targetILNS1_3genE2ELNS1_11target_archE906ELNS1_3gpuE6ELNS1_3repE0EEENS1_30default_config_static_selectorELNS0_4arch9wavefront6targetE0EEEvSQ_, .Lfunc_end299-_ZN7rocprim17ROCPRIM_400000_NS6detail17trampoline_kernelINS0_14default_configENS1_22reduce_config_selectorIiEEZNS1_11reduce_implILb1ES3_PiS7_iN6hipcub16HIPCUB_304000_NS6detail34convert_binary_result_type_wrapperINS9_3SumENS9_22TransformInputIteratorIbN2at6native12_GLOBAL__N_19NonZeroOpIsEEPKslEEiEEEE10hipError_tPvRmT1_T2_T3_mT4_P12ihipStream_tbEUlT_E1_NS1_11comp_targetILNS1_3genE2ELNS1_11target_archE906ELNS1_3gpuE6ELNS1_3repE0EEENS1_30default_config_static_selectorELNS0_4arch9wavefront6targetE0EEEvSQ_
                                        ; -- End function
	.set _ZN7rocprim17ROCPRIM_400000_NS6detail17trampoline_kernelINS0_14default_configENS1_22reduce_config_selectorIiEEZNS1_11reduce_implILb1ES3_PiS7_iN6hipcub16HIPCUB_304000_NS6detail34convert_binary_result_type_wrapperINS9_3SumENS9_22TransformInputIteratorIbN2at6native12_GLOBAL__N_19NonZeroOpIsEEPKslEEiEEEE10hipError_tPvRmT1_T2_T3_mT4_P12ihipStream_tbEUlT_E1_NS1_11comp_targetILNS1_3genE2ELNS1_11target_archE906ELNS1_3gpuE6ELNS1_3repE0EEENS1_30default_config_static_selectorELNS0_4arch9wavefront6targetE0EEEvSQ_.num_vgpr, 0
	.set _ZN7rocprim17ROCPRIM_400000_NS6detail17trampoline_kernelINS0_14default_configENS1_22reduce_config_selectorIiEEZNS1_11reduce_implILb1ES3_PiS7_iN6hipcub16HIPCUB_304000_NS6detail34convert_binary_result_type_wrapperINS9_3SumENS9_22TransformInputIteratorIbN2at6native12_GLOBAL__N_19NonZeroOpIsEEPKslEEiEEEE10hipError_tPvRmT1_T2_T3_mT4_P12ihipStream_tbEUlT_E1_NS1_11comp_targetILNS1_3genE2ELNS1_11target_archE906ELNS1_3gpuE6ELNS1_3repE0EEENS1_30default_config_static_selectorELNS0_4arch9wavefront6targetE0EEEvSQ_.num_agpr, 0
	.set _ZN7rocprim17ROCPRIM_400000_NS6detail17trampoline_kernelINS0_14default_configENS1_22reduce_config_selectorIiEEZNS1_11reduce_implILb1ES3_PiS7_iN6hipcub16HIPCUB_304000_NS6detail34convert_binary_result_type_wrapperINS9_3SumENS9_22TransformInputIteratorIbN2at6native12_GLOBAL__N_19NonZeroOpIsEEPKslEEiEEEE10hipError_tPvRmT1_T2_T3_mT4_P12ihipStream_tbEUlT_E1_NS1_11comp_targetILNS1_3genE2ELNS1_11target_archE906ELNS1_3gpuE6ELNS1_3repE0EEENS1_30default_config_static_selectorELNS0_4arch9wavefront6targetE0EEEvSQ_.numbered_sgpr, 0
	.set _ZN7rocprim17ROCPRIM_400000_NS6detail17trampoline_kernelINS0_14default_configENS1_22reduce_config_selectorIiEEZNS1_11reduce_implILb1ES3_PiS7_iN6hipcub16HIPCUB_304000_NS6detail34convert_binary_result_type_wrapperINS9_3SumENS9_22TransformInputIteratorIbN2at6native12_GLOBAL__N_19NonZeroOpIsEEPKslEEiEEEE10hipError_tPvRmT1_T2_T3_mT4_P12ihipStream_tbEUlT_E1_NS1_11comp_targetILNS1_3genE2ELNS1_11target_archE906ELNS1_3gpuE6ELNS1_3repE0EEENS1_30default_config_static_selectorELNS0_4arch9wavefront6targetE0EEEvSQ_.num_named_barrier, 0
	.set _ZN7rocprim17ROCPRIM_400000_NS6detail17trampoline_kernelINS0_14default_configENS1_22reduce_config_selectorIiEEZNS1_11reduce_implILb1ES3_PiS7_iN6hipcub16HIPCUB_304000_NS6detail34convert_binary_result_type_wrapperINS9_3SumENS9_22TransformInputIteratorIbN2at6native12_GLOBAL__N_19NonZeroOpIsEEPKslEEiEEEE10hipError_tPvRmT1_T2_T3_mT4_P12ihipStream_tbEUlT_E1_NS1_11comp_targetILNS1_3genE2ELNS1_11target_archE906ELNS1_3gpuE6ELNS1_3repE0EEENS1_30default_config_static_selectorELNS0_4arch9wavefront6targetE0EEEvSQ_.private_seg_size, 0
	.set _ZN7rocprim17ROCPRIM_400000_NS6detail17trampoline_kernelINS0_14default_configENS1_22reduce_config_selectorIiEEZNS1_11reduce_implILb1ES3_PiS7_iN6hipcub16HIPCUB_304000_NS6detail34convert_binary_result_type_wrapperINS9_3SumENS9_22TransformInputIteratorIbN2at6native12_GLOBAL__N_19NonZeroOpIsEEPKslEEiEEEE10hipError_tPvRmT1_T2_T3_mT4_P12ihipStream_tbEUlT_E1_NS1_11comp_targetILNS1_3genE2ELNS1_11target_archE906ELNS1_3gpuE6ELNS1_3repE0EEENS1_30default_config_static_selectorELNS0_4arch9wavefront6targetE0EEEvSQ_.uses_vcc, 0
	.set _ZN7rocprim17ROCPRIM_400000_NS6detail17trampoline_kernelINS0_14default_configENS1_22reduce_config_selectorIiEEZNS1_11reduce_implILb1ES3_PiS7_iN6hipcub16HIPCUB_304000_NS6detail34convert_binary_result_type_wrapperINS9_3SumENS9_22TransformInputIteratorIbN2at6native12_GLOBAL__N_19NonZeroOpIsEEPKslEEiEEEE10hipError_tPvRmT1_T2_T3_mT4_P12ihipStream_tbEUlT_E1_NS1_11comp_targetILNS1_3genE2ELNS1_11target_archE906ELNS1_3gpuE6ELNS1_3repE0EEENS1_30default_config_static_selectorELNS0_4arch9wavefront6targetE0EEEvSQ_.uses_flat_scratch, 0
	.set _ZN7rocprim17ROCPRIM_400000_NS6detail17trampoline_kernelINS0_14default_configENS1_22reduce_config_selectorIiEEZNS1_11reduce_implILb1ES3_PiS7_iN6hipcub16HIPCUB_304000_NS6detail34convert_binary_result_type_wrapperINS9_3SumENS9_22TransformInputIteratorIbN2at6native12_GLOBAL__N_19NonZeroOpIsEEPKslEEiEEEE10hipError_tPvRmT1_T2_T3_mT4_P12ihipStream_tbEUlT_E1_NS1_11comp_targetILNS1_3genE2ELNS1_11target_archE906ELNS1_3gpuE6ELNS1_3repE0EEENS1_30default_config_static_selectorELNS0_4arch9wavefront6targetE0EEEvSQ_.has_dyn_sized_stack, 0
	.set _ZN7rocprim17ROCPRIM_400000_NS6detail17trampoline_kernelINS0_14default_configENS1_22reduce_config_selectorIiEEZNS1_11reduce_implILb1ES3_PiS7_iN6hipcub16HIPCUB_304000_NS6detail34convert_binary_result_type_wrapperINS9_3SumENS9_22TransformInputIteratorIbN2at6native12_GLOBAL__N_19NonZeroOpIsEEPKslEEiEEEE10hipError_tPvRmT1_T2_T3_mT4_P12ihipStream_tbEUlT_E1_NS1_11comp_targetILNS1_3genE2ELNS1_11target_archE906ELNS1_3gpuE6ELNS1_3repE0EEENS1_30default_config_static_selectorELNS0_4arch9wavefront6targetE0EEEvSQ_.has_recursion, 0
	.set _ZN7rocprim17ROCPRIM_400000_NS6detail17trampoline_kernelINS0_14default_configENS1_22reduce_config_selectorIiEEZNS1_11reduce_implILb1ES3_PiS7_iN6hipcub16HIPCUB_304000_NS6detail34convert_binary_result_type_wrapperINS9_3SumENS9_22TransformInputIteratorIbN2at6native12_GLOBAL__N_19NonZeroOpIsEEPKslEEiEEEE10hipError_tPvRmT1_T2_T3_mT4_P12ihipStream_tbEUlT_E1_NS1_11comp_targetILNS1_3genE2ELNS1_11target_archE906ELNS1_3gpuE6ELNS1_3repE0EEENS1_30default_config_static_selectorELNS0_4arch9wavefront6targetE0EEEvSQ_.has_indirect_call, 0
	.section	.AMDGPU.csdata,"",@progbits
; Kernel info:
; codeLenInByte = 0
; TotalNumSgprs: 0
; NumVgprs: 0
; ScratchSize: 0
; MemoryBound: 0
; FloatMode: 240
; IeeeMode: 1
; LDSByteSize: 0 bytes/workgroup (compile time only)
; SGPRBlocks: 0
; VGPRBlocks: 0
; NumSGPRsForWavesPerEU: 1
; NumVGPRsForWavesPerEU: 1
; Occupancy: 16
; WaveLimiterHint : 0
; COMPUTE_PGM_RSRC2:SCRATCH_EN: 0
; COMPUTE_PGM_RSRC2:USER_SGPR: 2
; COMPUTE_PGM_RSRC2:TRAP_HANDLER: 0
; COMPUTE_PGM_RSRC2:TGID_X_EN: 1
; COMPUTE_PGM_RSRC2:TGID_Y_EN: 0
; COMPUTE_PGM_RSRC2:TGID_Z_EN: 0
; COMPUTE_PGM_RSRC2:TIDIG_COMP_CNT: 0
	.section	.text._ZN7rocprim17ROCPRIM_400000_NS6detail17trampoline_kernelINS0_14default_configENS1_22reduce_config_selectorIiEEZNS1_11reduce_implILb1ES3_PiS7_iN6hipcub16HIPCUB_304000_NS6detail34convert_binary_result_type_wrapperINS9_3SumENS9_22TransformInputIteratorIbN2at6native12_GLOBAL__N_19NonZeroOpIsEEPKslEEiEEEE10hipError_tPvRmT1_T2_T3_mT4_P12ihipStream_tbEUlT_E1_NS1_11comp_targetILNS1_3genE10ELNS1_11target_archE1201ELNS1_3gpuE5ELNS1_3repE0EEENS1_30default_config_static_selectorELNS0_4arch9wavefront6targetE0EEEvSQ_,"axG",@progbits,_ZN7rocprim17ROCPRIM_400000_NS6detail17trampoline_kernelINS0_14default_configENS1_22reduce_config_selectorIiEEZNS1_11reduce_implILb1ES3_PiS7_iN6hipcub16HIPCUB_304000_NS6detail34convert_binary_result_type_wrapperINS9_3SumENS9_22TransformInputIteratorIbN2at6native12_GLOBAL__N_19NonZeroOpIsEEPKslEEiEEEE10hipError_tPvRmT1_T2_T3_mT4_P12ihipStream_tbEUlT_E1_NS1_11comp_targetILNS1_3genE10ELNS1_11target_archE1201ELNS1_3gpuE5ELNS1_3repE0EEENS1_30default_config_static_selectorELNS0_4arch9wavefront6targetE0EEEvSQ_,comdat
	.globl	_ZN7rocprim17ROCPRIM_400000_NS6detail17trampoline_kernelINS0_14default_configENS1_22reduce_config_selectorIiEEZNS1_11reduce_implILb1ES3_PiS7_iN6hipcub16HIPCUB_304000_NS6detail34convert_binary_result_type_wrapperINS9_3SumENS9_22TransformInputIteratorIbN2at6native12_GLOBAL__N_19NonZeroOpIsEEPKslEEiEEEE10hipError_tPvRmT1_T2_T3_mT4_P12ihipStream_tbEUlT_E1_NS1_11comp_targetILNS1_3genE10ELNS1_11target_archE1201ELNS1_3gpuE5ELNS1_3repE0EEENS1_30default_config_static_selectorELNS0_4arch9wavefront6targetE0EEEvSQ_ ; -- Begin function _ZN7rocprim17ROCPRIM_400000_NS6detail17trampoline_kernelINS0_14default_configENS1_22reduce_config_selectorIiEEZNS1_11reduce_implILb1ES3_PiS7_iN6hipcub16HIPCUB_304000_NS6detail34convert_binary_result_type_wrapperINS9_3SumENS9_22TransformInputIteratorIbN2at6native12_GLOBAL__N_19NonZeroOpIsEEPKslEEiEEEE10hipError_tPvRmT1_T2_T3_mT4_P12ihipStream_tbEUlT_E1_NS1_11comp_targetILNS1_3genE10ELNS1_11target_archE1201ELNS1_3gpuE5ELNS1_3repE0EEENS1_30default_config_static_selectorELNS0_4arch9wavefront6targetE0EEEvSQ_
	.p2align	8
	.type	_ZN7rocprim17ROCPRIM_400000_NS6detail17trampoline_kernelINS0_14default_configENS1_22reduce_config_selectorIiEEZNS1_11reduce_implILb1ES3_PiS7_iN6hipcub16HIPCUB_304000_NS6detail34convert_binary_result_type_wrapperINS9_3SumENS9_22TransformInputIteratorIbN2at6native12_GLOBAL__N_19NonZeroOpIsEEPKslEEiEEEE10hipError_tPvRmT1_T2_T3_mT4_P12ihipStream_tbEUlT_E1_NS1_11comp_targetILNS1_3genE10ELNS1_11target_archE1201ELNS1_3gpuE5ELNS1_3repE0EEENS1_30default_config_static_selectorELNS0_4arch9wavefront6targetE0EEEvSQ_,@function
_ZN7rocprim17ROCPRIM_400000_NS6detail17trampoline_kernelINS0_14default_configENS1_22reduce_config_selectorIiEEZNS1_11reduce_implILb1ES3_PiS7_iN6hipcub16HIPCUB_304000_NS6detail34convert_binary_result_type_wrapperINS9_3SumENS9_22TransformInputIteratorIbN2at6native12_GLOBAL__N_19NonZeroOpIsEEPKslEEiEEEE10hipError_tPvRmT1_T2_T3_mT4_P12ihipStream_tbEUlT_E1_NS1_11comp_targetILNS1_3genE10ELNS1_11target_archE1201ELNS1_3gpuE5ELNS1_3repE0EEENS1_30default_config_static_selectorELNS0_4arch9wavefront6targetE0EEEvSQ_: ; @_ZN7rocprim17ROCPRIM_400000_NS6detail17trampoline_kernelINS0_14default_configENS1_22reduce_config_selectorIiEEZNS1_11reduce_implILb1ES3_PiS7_iN6hipcub16HIPCUB_304000_NS6detail34convert_binary_result_type_wrapperINS9_3SumENS9_22TransformInputIteratorIbN2at6native12_GLOBAL__N_19NonZeroOpIsEEPKslEEiEEEE10hipError_tPvRmT1_T2_T3_mT4_P12ihipStream_tbEUlT_E1_NS1_11comp_targetILNS1_3genE10ELNS1_11target_archE1201ELNS1_3gpuE5ELNS1_3repE0EEENS1_30default_config_static_selectorELNS0_4arch9wavefront6targetE0EEEvSQ_
; %bb.0:
	s_clause 0x1
	s_load_b32 s33, s[0:1], 0x4
	s_load_b128 s[36:39], s[0:1], 0x8
	s_mov_b32 s34, ttmp9
	s_wait_kmcnt 0x0
	s_cmp_lt_i32 s33, 8
	s_cbranch_scc1 .LBB300_11
; %bb.1:
	s_cmp_gt_i32 s33, 15
	s_cbranch_scc0 .LBB300_12
; %bb.2:
	s_cmp_gt_i32 s33, 31
	s_cbranch_scc0 .LBB300_13
; %bb.3:
	s_cmp_eq_u32 s33, 32
	s_mov_b32 s42, 0
	s_cbranch_scc0 .LBB300_14
; %bb.4:
	s_mov_b32 s35, 0
	s_lshl_b32 s2, s34, 13
	s_mov_b32 s3, s35
	s_lshr_b64 s[4:5], s[38:39], 13
	s_lshl_b64 s[6:7], s[2:3], 2
	s_cmp_lg_u64 s[4:5], s[34:35]
	s_add_nc_u64 s[40:41], s[36:37], s[6:7]
	s_cbranch_scc0 .LBB300_23
; %bb.5:
	v_lshlrev_b32_e32 v1, 2, v0
	s_mov_b32 s3, exec_lo
	s_clause 0x1f
	global_load_b32 v2, v1, s[40:41]
	global_load_b32 v3, v1, s[40:41] offset:1024
	global_load_b32 v4, v1, s[40:41] offset:2048
	;; [unrolled: 1-line block ×31, first 2 shown]
	s_wait_loadcnt 0x1e
	v_add_nc_u32_e32 v2, v3, v2
	s_wait_loadcnt 0x1c
	s_delay_alu instid0(VALU_DEP_1) | instskip(SKIP_1) | instid1(VALU_DEP_1)
	v_add3_u32 v2, v2, v4, v5
	s_wait_loadcnt 0x1a
	v_add3_u32 v2, v2, v6, v7
	s_wait_loadcnt 0x18
	s_delay_alu instid0(VALU_DEP_1) | instskip(SKIP_1) | instid1(VALU_DEP_1)
	v_add3_u32 v2, v2, v8, v9
	s_wait_loadcnt 0x16
	v_add3_u32 v2, v2, v10, v11
	;; [unrolled: 5-line block ×7, first 2 shown]
	s_wait_loadcnt 0x0
	s_delay_alu instid0(VALU_DEP_1) | instskip(NEXT) | instid1(VALU_DEP_1)
	v_add3_u32 v1, v2, v32, v1
	v_mov_b32_dpp v2, v1 quad_perm:[1,0,3,2] row_mask:0xf bank_mask:0xf
	s_delay_alu instid0(VALU_DEP_1) | instskip(NEXT) | instid1(VALU_DEP_1)
	v_add_nc_u32_e32 v1, v2, v1
	v_mov_b32_dpp v2, v1 quad_perm:[2,3,0,1] row_mask:0xf bank_mask:0xf
	s_delay_alu instid0(VALU_DEP_1) | instskip(NEXT) | instid1(VALU_DEP_1)
	v_add_nc_u32_e32 v1, v1, v2
	v_mov_b32_dpp v2, v1 row_ror:4 row_mask:0xf bank_mask:0xf
	s_delay_alu instid0(VALU_DEP_1) | instskip(NEXT) | instid1(VALU_DEP_1)
	v_add_nc_u32_e32 v1, v1, v2
	v_mov_b32_dpp v2, v1 row_ror:8 row_mask:0xf bank_mask:0xf
	s_delay_alu instid0(VALU_DEP_1)
	v_add_nc_u32_e32 v1, v1, v2
	ds_swizzle_b32 v2, v1 offset:swizzle(BROADCAST,32,15)
	s_wait_dscnt 0x0
	v_dual_mov_b32 v2, 0 :: v_dual_add_nc_u32 v1, v1, v2
	ds_bpermute_b32 v1, v2, v1 offset:124
	v_mbcnt_lo_u32_b32 v2, -1, 0
	s_delay_alu instid0(VALU_DEP_1)
	v_cmpx_eq_u32_e32 0, v2
	s_cbranch_execz .LBB300_7
; %bb.6:
	v_lshrrev_b32_e32 v3, 3, v0
	s_delay_alu instid0(VALU_DEP_1)
	v_and_b32_e32 v3, 28, v3
	s_wait_dscnt 0x0
	ds_store_b32 v3, v1 offset:96
.LBB300_7:
	s_or_b32 exec_lo, exec_lo, s3
	s_delay_alu instid0(SALU_CYCLE_1)
	s_mov_b32 s3, exec_lo
	s_wait_dscnt 0x0
	s_barrier_signal -1
	s_barrier_wait -1
	global_inv scope:SCOPE_SE
	v_cmpx_gt_u32_e32 32, v0
	s_cbranch_execz .LBB300_9
; %bb.8:
	v_lshl_or_b32 v1, v2, 2, 0x60
	v_and_b32_e32 v3, 7, v2
	ds_load_b32 v1, v1
	v_cmp_ne_u32_e32 vcc_lo, 7, v3
	v_add_co_ci_u32_e64 v4, null, 0, v2, vcc_lo
	v_cmp_gt_u32_e32 vcc_lo, 6, v3
	s_delay_alu instid0(VALU_DEP_2) | instskip(SKIP_2) | instid1(VALU_DEP_1)
	v_lshlrev_b32_e32 v4, 2, v4
	s_wait_alu 0xfffd
	v_cndmask_b32_e64 v3, 0, 2, vcc_lo
	v_add_lshl_u32 v3, v3, v2, 2
	v_lshlrev_b32_e32 v2, 2, v2
	s_wait_dscnt 0x0
	ds_bpermute_b32 v4, v4, v1
	v_or_b32_e32 v2, 16, v2
	s_wait_dscnt 0x0
	v_add_nc_u32_e32 v1, v4, v1
	ds_bpermute_b32 v3, v3, v1
	s_wait_dscnt 0x0
	v_add_nc_u32_e32 v1, v3, v1
	ds_bpermute_b32 v2, v2, v1
	s_wait_dscnt 0x0
	v_add_nc_u32_e32 v1, v2, v1
.LBB300_9:
	s_or_b32 exec_lo, exec_lo, s3
.LBB300_10:
	v_cmp_eq_u32_e64 s2, 0, v0
	s_and_b32 vcc_lo, exec_lo, s42
	s_wait_alu 0xfffe
	s_cbranch_vccnz .LBB300_15
	s_branch .LBB300_93
.LBB300_11:
	s_mov_b32 s2, 0
                                        ; implicit-def: $vgpr1
	s_cbranch_execnz .LBB300_166
	s_branch .LBB300_224
.LBB300_12:
	s_mov_b32 s2, 0
                                        ; implicit-def: $vgpr1
	s_cbranch_execnz .LBB300_134
	s_branch .LBB300_142
.LBB300_13:
	s_mov_b32 s42, -1
.LBB300_14:
	s_mov_b32 s2, 0
                                        ; implicit-def: $vgpr1
	s_and_b32 vcc_lo, exec_lo, s42
	s_cbranch_vccz .LBB300_93
.LBB300_15:
	s_cmp_eq_u32 s33, 16
	s_cbranch_scc0 .LBB300_22
; %bb.16:
	s_mov_b32 s35, 0
	s_lshl_b32 s2, s34, 12
	s_mov_b32 s3, s35
	s_lshr_b64 s[4:5], s[38:39], 12
	s_wait_alu 0xfffe
	s_lshl_b64 s[6:7], s[2:3], 2
	s_cmp_lg_u64 s[4:5], s[34:35]
	s_wait_alu 0xfffe
	s_add_nc_u64 s[16:17], s[36:37], s[6:7]
	s_cbranch_scc0 .LBB300_94
; %bb.17:
	v_lshlrev_b32_e32 v1, 2, v0
	s_mov_b32 s3, exec_lo
	s_clause 0xf
	global_load_b32 v2, v1, s[16:17]
	global_load_b32 v3, v1, s[16:17] offset:1024
	global_load_b32 v4, v1, s[16:17] offset:2048
	;; [unrolled: 1-line block ×15, first 2 shown]
	s_wait_loadcnt 0xe
	v_add_nc_u32_e32 v2, v3, v2
	s_wait_loadcnt 0xc
	s_delay_alu instid0(VALU_DEP_1) | instskip(SKIP_1) | instid1(VALU_DEP_1)
	v_add3_u32 v2, v2, v4, v5
	s_wait_loadcnt 0xa
	v_add3_u32 v2, v2, v6, v7
	s_wait_loadcnt 0x8
	s_delay_alu instid0(VALU_DEP_1) | instskip(SKIP_1) | instid1(VALU_DEP_1)
	v_add3_u32 v2, v2, v8, v9
	s_wait_loadcnt 0x6
	v_add3_u32 v2, v2, v10, v11
	s_wait_loadcnt 0x4
	s_delay_alu instid0(VALU_DEP_1) | instskip(SKIP_1) | instid1(VALU_DEP_1)
	v_add3_u32 v2, v2, v12, v13
	s_wait_loadcnt 0x2
	v_add3_u32 v2, v2, v14, v15
	s_wait_loadcnt 0x0
	s_delay_alu instid0(VALU_DEP_1) | instskip(NEXT) | instid1(VALU_DEP_1)
	v_add3_u32 v1, v2, v16, v1
	v_mov_b32_dpp v2, v1 quad_perm:[1,0,3,2] row_mask:0xf bank_mask:0xf
	s_delay_alu instid0(VALU_DEP_1) | instskip(NEXT) | instid1(VALU_DEP_1)
	v_add_nc_u32_e32 v1, v2, v1
	v_mov_b32_dpp v2, v1 quad_perm:[2,3,0,1] row_mask:0xf bank_mask:0xf
	s_delay_alu instid0(VALU_DEP_1) | instskip(NEXT) | instid1(VALU_DEP_1)
	v_add_nc_u32_e32 v1, v1, v2
	v_mov_b32_dpp v2, v1 row_ror:4 row_mask:0xf bank_mask:0xf
	s_delay_alu instid0(VALU_DEP_1) | instskip(NEXT) | instid1(VALU_DEP_1)
	v_add_nc_u32_e32 v1, v1, v2
	v_mov_b32_dpp v2, v1 row_ror:8 row_mask:0xf bank_mask:0xf
	s_delay_alu instid0(VALU_DEP_1)
	v_add_nc_u32_e32 v1, v1, v2
	ds_swizzle_b32 v2, v1 offset:swizzle(BROADCAST,32,15)
	s_wait_dscnt 0x0
	v_dual_mov_b32 v2, 0 :: v_dual_add_nc_u32 v1, v1, v2
	ds_bpermute_b32 v1, v2, v1 offset:124
	v_mbcnt_lo_u32_b32 v2, -1, 0
	s_delay_alu instid0(VALU_DEP_1)
	v_cmpx_eq_u32_e32 0, v2
	s_cbranch_execz .LBB300_19
; %bb.18:
	v_lshrrev_b32_e32 v3, 3, v0
	s_delay_alu instid0(VALU_DEP_1)
	v_and_b32_e32 v3, 28, v3
	s_wait_dscnt 0x0
	ds_store_b32 v3, v1
.LBB300_19:
	s_wait_alu 0xfffe
	s_or_b32 exec_lo, exec_lo, s3
	s_delay_alu instid0(SALU_CYCLE_1)
	s_mov_b32 s3, exec_lo
	s_wait_dscnt 0x0
	s_barrier_signal -1
	s_barrier_wait -1
	global_inv scope:SCOPE_SE
	v_cmpx_gt_u32_e32 32, v0
	s_cbranch_execz .LBB300_21
; %bb.20:
	v_and_b32_e32 v1, 7, v2
	s_delay_alu instid0(VALU_DEP_1)
	v_lshlrev_b32_e32 v3, 2, v1
	v_cmp_ne_u32_e32 vcc_lo, 7, v1
	ds_load_b32 v3, v3
	s_wait_alu 0xfffd
	v_add_co_ci_u32_e64 v4, null, 0, v2, vcc_lo
	v_cmp_gt_u32_e32 vcc_lo, 6, v1
	s_delay_alu instid0(VALU_DEP_2) | instskip(SKIP_2) | instid1(VALU_DEP_1)
	v_lshlrev_b32_e32 v4, 2, v4
	s_wait_alu 0xfffd
	v_cndmask_b32_e64 v1, 0, 2, vcc_lo
	v_add_lshl_u32 v1, v1, v2, 2
	v_lshlrev_b32_e32 v2, 2, v2
	s_delay_alu instid0(VALU_DEP_1)
	v_or_b32_e32 v2, 16, v2
	s_wait_dscnt 0x0
	ds_bpermute_b32 v4, v4, v3
	s_wait_dscnt 0x0
	v_add_nc_u32_e32 v3, v4, v3
	ds_bpermute_b32 v1, v1, v3
	s_wait_dscnt 0x0
	v_add_nc_u32_e32 v1, v1, v3
	;; [unrolled: 3-line block ×3, first 2 shown]
.LBB300_21:
	s_wait_alu 0xfffe
	s_or_b32 exec_lo, exec_lo, s3
	s_mov_b32 s3, 0
	s_branch .LBB300_95
.LBB300_22:
                                        ; implicit-def: $vgpr1
	s_branch .LBB300_142
.LBB300_23:
                                        ; implicit-def: $vgpr1
	s_cbranch_execz .LBB300_10
; %bb.24:
	v_mov_b32_e32 v1, 0
	s_sub_co_i32 s43, s38, s2
	s_delay_alu instid0(SALU_CYCLE_1) | instskip(NEXT) | instid1(VALU_DEP_2)
	v_cmp_gt_u32_e32 vcc_lo, s43, v0
	v_dual_mov_b32 v2, v1 :: v_dual_mov_b32 v3, v1
	v_dual_mov_b32 v4, v1 :: v_dual_mov_b32 v5, v1
	;; [unrolled: 1-line block ×15, first 2 shown]
	v_mov_b32_e32 v32, v1
	s_and_saveexec_b32 s2, vcc_lo
	s_cbranch_execz .LBB300_26
; %bb.25:
	v_dual_mov_b32 v3, v1 :: v_dual_lshlrev_b32 v2, 2, v0
	v_dual_mov_b32 v32, v1 :: v_dual_mov_b32 v33, v1
	v_dual_mov_b32 v4, v1 :: v_dual_mov_b32 v5, v1
	global_load_b32 v2, v2, s[40:41]
	v_dual_mov_b32 v6, v1 :: v_dual_mov_b32 v7, v1
	v_dual_mov_b32 v8, v1 :: v_dual_mov_b32 v9, v1
	;; [unrolled: 1-line block ×13, first 2 shown]
	s_wait_loadcnt 0x0
	v_mov_b32_e32 v1, v2
	v_mov_b32_e32 v2, v3
	;; [unrolled: 1-line block ×32, first 2 shown]
.LBB300_26:
	s_or_b32 exec_lo, exec_lo, s2
	v_or_b32_e32 v33, 0x100, v0
	s_delay_alu instid0(VALU_DEP_1)
	v_cmp_gt_u32_e32 vcc_lo, s43, v33
	s_and_saveexec_b32 s2, vcc_lo
	s_cbranch_execz .LBB300_28
; %bb.27:
	v_lshlrev_b32_e32 v2, 2, v0
	global_load_b32 v2, v2, s[40:41] offset:1024
.LBB300_28:
	s_or_b32 exec_lo, exec_lo, s2
	v_or_b32_e32 v33, 0x200, v0
	s_delay_alu instid0(VALU_DEP_1)
	v_cmp_gt_u32_e64 s2, s43, v33
	s_and_saveexec_b32 s3, s2
	s_cbranch_execz .LBB300_30
; %bb.29:
	v_lshlrev_b32_e32 v3, 2, v0
	global_load_b32 v3, v3, s[40:41] offset:2048
.LBB300_30:
	s_or_b32 exec_lo, exec_lo, s3
	v_or_b32_e32 v33, 0x300, v0
	s_delay_alu instid0(VALU_DEP_1)
	v_cmp_gt_u32_e64 s3, s43, v33
	s_and_saveexec_b32 s4, s3
	s_cbranch_execz .LBB300_32
; %bb.31:
	v_lshlrev_b32_e32 v4, 2, v0
	global_load_b32 v4, v4, s[40:41] offset:3072
.LBB300_32:
	s_or_b32 exec_lo, exec_lo, s4
	v_or_b32_e32 v33, 0x400, v0
	s_delay_alu instid0(VALU_DEP_1)
	v_cmp_gt_u32_e64 s4, s43, v33
	s_and_saveexec_b32 s5, s4
	s_cbranch_execz .LBB300_34
; %bb.33:
	v_lshlrev_b32_e32 v5, 2, v0
	global_load_b32 v5, v5, s[40:41] offset:4096
.LBB300_34:
	s_or_b32 exec_lo, exec_lo, s5
	v_or_b32_e32 v33, 0x500, v0
	s_delay_alu instid0(VALU_DEP_1)
	v_cmp_gt_u32_e64 s5, s43, v33
	s_and_saveexec_b32 s6, s5
	s_cbranch_execz .LBB300_36
; %bb.35:
	v_lshlrev_b32_e32 v6, 2, v0
	global_load_b32 v6, v6, s[40:41] offset:5120
.LBB300_36:
	s_or_b32 exec_lo, exec_lo, s6
	v_or_b32_e32 v33, 0x600, v0
	s_delay_alu instid0(VALU_DEP_1)
	v_cmp_gt_u32_e64 s6, s43, v33
	s_and_saveexec_b32 s7, s6
	s_cbranch_execz .LBB300_38
; %bb.37:
	v_lshlrev_b32_e32 v7, 2, v0
	global_load_b32 v7, v7, s[40:41] offset:6144
.LBB300_38:
	s_or_b32 exec_lo, exec_lo, s7
	v_or_b32_e32 v33, 0x700, v0
	s_delay_alu instid0(VALU_DEP_1)
	v_cmp_gt_u32_e64 s7, s43, v33
	s_and_saveexec_b32 s8, s7
	s_cbranch_execz .LBB300_40
; %bb.39:
	v_lshlrev_b32_e32 v8, 2, v0
	global_load_b32 v8, v8, s[40:41] offset:7168
.LBB300_40:
	s_or_b32 exec_lo, exec_lo, s8
	v_or_b32_e32 v33, 0x800, v0
	s_delay_alu instid0(VALU_DEP_1)
	v_cmp_gt_u32_e64 s8, s43, v33
	s_and_saveexec_b32 s9, s8
	s_cbranch_execz .LBB300_42
; %bb.41:
	v_lshlrev_b32_e32 v9, 2, v0
	global_load_b32 v9, v9, s[40:41] offset:8192
.LBB300_42:
	s_or_b32 exec_lo, exec_lo, s9
	v_or_b32_e32 v33, 0x900, v0
	s_delay_alu instid0(VALU_DEP_1)
	v_cmp_gt_u32_e64 s9, s43, v33
	s_and_saveexec_b32 s10, s9
	s_cbranch_execz .LBB300_44
; %bb.43:
	v_lshlrev_b32_e32 v10, 2, v0
	global_load_b32 v10, v10, s[40:41] offset:9216
.LBB300_44:
	s_or_b32 exec_lo, exec_lo, s10
	v_or_b32_e32 v33, 0xa00, v0
	s_delay_alu instid0(VALU_DEP_1)
	v_cmp_gt_u32_e64 s10, s43, v33
	s_and_saveexec_b32 s11, s10
	s_cbranch_execz .LBB300_46
; %bb.45:
	v_lshlrev_b32_e32 v11, 2, v0
	global_load_b32 v11, v11, s[40:41] offset:10240
.LBB300_46:
	s_or_b32 exec_lo, exec_lo, s11
	v_or_b32_e32 v33, 0xb00, v0
	s_delay_alu instid0(VALU_DEP_1)
	v_cmp_gt_u32_e64 s11, s43, v33
	s_and_saveexec_b32 s12, s11
	s_cbranch_execz .LBB300_48
; %bb.47:
	v_lshlrev_b32_e32 v12, 2, v0
	global_load_b32 v12, v12, s[40:41] offset:11264
.LBB300_48:
	s_or_b32 exec_lo, exec_lo, s12
	v_or_b32_e32 v33, 0xc00, v0
	s_delay_alu instid0(VALU_DEP_1)
	v_cmp_gt_u32_e64 s12, s43, v33
	s_and_saveexec_b32 s13, s12
	s_cbranch_execz .LBB300_50
; %bb.49:
	v_lshlrev_b32_e32 v13, 2, v0
	global_load_b32 v13, v13, s[40:41] offset:12288
.LBB300_50:
	s_or_b32 exec_lo, exec_lo, s13
	v_or_b32_e32 v33, 0xd00, v0
	s_delay_alu instid0(VALU_DEP_1)
	v_cmp_gt_u32_e64 s13, s43, v33
	s_and_saveexec_b32 s14, s13
	s_cbranch_execz .LBB300_52
; %bb.51:
	v_lshlrev_b32_e32 v14, 2, v0
	global_load_b32 v14, v14, s[40:41] offset:13312
.LBB300_52:
	s_or_b32 exec_lo, exec_lo, s14
	v_or_b32_e32 v33, 0xe00, v0
	s_delay_alu instid0(VALU_DEP_1)
	v_cmp_gt_u32_e64 s14, s43, v33
	s_and_saveexec_b32 s15, s14
	s_cbranch_execz .LBB300_54
; %bb.53:
	v_lshlrev_b32_e32 v15, 2, v0
	global_load_b32 v15, v15, s[40:41] offset:14336
.LBB300_54:
	s_or_b32 exec_lo, exec_lo, s15
	v_or_b32_e32 v33, 0xf00, v0
	s_delay_alu instid0(VALU_DEP_1)
	v_cmp_gt_u32_e64 s15, s43, v33
	s_and_saveexec_b32 s16, s15
	s_cbranch_execz .LBB300_56
; %bb.55:
	v_lshlrev_b32_e32 v16, 2, v0
	global_load_b32 v16, v16, s[40:41] offset:15360
.LBB300_56:
	s_or_b32 exec_lo, exec_lo, s16
	v_or_b32_e32 v33, 0x1000, v0
	s_delay_alu instid0(VALU_DEP_1)
	v_cmp_gt_u32_e64 s16, s43, v33
	s_and_saveexec_b32 s17, s16
	s_cbranch_execz .LBB300_58
; %bb.57:
	v_lshlrev_b32_e32 v17, 2, v0
	global_load_b32 v17, v17, s[40:41] offset:16384
.LBB300_58:
	s_or_b32 exec_lo, exec_lo, s17
	v_or_b32_e32 v33, 0x1100, v0
	s_delay_alu instid0(VALU_DEP_1)
	v_cmp_gt_u32_e64 s17, s43, v33
	s_and_saveexec_b32 s18, s17
	s_cbranch_execz .LBB300_60
; %bb.59:
	v_lshlrev_b32_e32 v18, 2, v0
	global_load_b32 v18, v18, s[40:41] offset:17408
.LBB300_60:
	s_or_b32 exec_lo, exec_lo, s18
	v_or_b32_e32 v33, 0x1200, v0
	s_delay_alu instid0(VALU_DEP_1)
	v_cmp_gt_u32_e64 s18, s43, v33
	s_and_saveexec_b32 s19, s18
	s_cbranch_execz .LBB300_62
; %bb.61:
	v_lshlrev_b32_e32 v19, 2, v0
	global_load_b32 v19, v19, s[40:41] offset:18432
.LBB300_62:
	s_or_b32 exec_lo, exec_lo, s19
	v_or_b32_e32 v33, 0x1300, v0
	s_delay_alu instid0(VALU_DEP_1)
	v_cmp_gt_u32_e64 s19, s43, v33
	s_and_saveexec_b32 s20, s19
	s_cbranch_execz .LBB300_64
; %bb.63:
	v_lshlrev_b32_e32 v20, 2, v0
	global_load_b32 v20, v20, s[40:41] offset:19456
.LBB300_64:
	s_or_b32 exec_lo, exec_lo, s20
	v_or_b32_e32 v33, 0x1400, v0
	s_delay_alu instid0(VALU_DEP_1)
	v_cmp_gt_u32_e64 s20, s43, v33
	s_and_saveexec_b32 s21, s20
	s_cbranch_execz .LBB300_66
; %bb.65:
	v_lshlrev_b32_e32 v21, 2, v0
	global_load_b32 v21, v21, s[40:41] offset:20480
.LBB300_66:
	s_or_b32 exec_lo, exec_lo, s21
	v_or_b32_e32 v33, 0x1500, v0
	s_delay_alu instid0(VALU_DEP_1)
	v_cmp_gt_u32_e64 s21, s43, v33
	s_and_saveexec_b32 s22, s21
	s_cbranch_execz .LBB300_68
; %bb.67:
	v_lshlrev_b32_e32 v22, 2, v0
	global_load_b32 v22, v22, s[40:41] offset:21504
.LBB300_68:
	s_or_b32 exec_lo, exec_lo, s22
	v_or_b32_e32 v33, 0x1600, v0
	s_delay_alu instid0(VALU_DEP_1)
	v_cmp_gt_u32_e64 s22, s43, v33
	s_and_saveexec_b32 s23, s22
	s_cbranch_execz .LBB300_70
; %bb.69:
	v_lshlrev_b32_e32 v23, 2, v0
	global_load_b32 v23, v23, s[40:41] offset:22528
.LBB300_70:
	s_or_b32 exec_lo, exec_lo, s23
	v_or_b32_e32 v33, 0x1700, v0
	s_delay_alu instid0(VALU_DEP_1)
	v_cmp_gt_u32_e64 s23, s43, v33
	s_and_saveexec_b32 s24, s23
	s_cbranch_execz .LBB300_72
; %bb.71:
	v_lshlrev_b32_e32 v24, 2, v0
	global_load_b32 v24, v24, s[40:41] offset:23552
.LBB300_72:
	s_or_b32 exec_lo, exec_lo, s24
	v_or_b32_e32 v33, 0x1800, v0
	s_delay_alu instid0(VALU_DEP_1)
	v_cmp_gt_u32_e64 s24, s43, v33
	s_and_saveexec_b32 s25, s24
	s_cbranch_execz .LBB300_74
; %bb.73:
	v_lshlrev_b32_e32 v25, 2, v0
	global_load_b32 v25, v25, s[40:41] offset:24576
.LBB300_74:
	s_or_b32 exec_lo, exec_lo, s25
	v_or_b32_e32 v33, 0x1900, v0
	s_delay_alu instid0(VALU_DEP_1)
	v_cmp_gt_u32_e64 s25, s43, v33
	s_and_saveexec_b32 s26, s25
	s_cbranch_execz .LBB300_76
; %bb.75:
	v_lshlrev_b32_e32 v26, 2, v0
	global_load_b32 v26, v26, s[40:41] offset:25600
.LBB300_76:
	s_or_b32 exec_lo, exec_lo, s26
	v_or_b32_e32 v33, 0x1a00, v0
	s_delay_alu instid0(VALU_DEP_1)
	v_cmp_gt_u32_e64 s26, s43, v33
	s_and_saveexec_b32 s27, s26
	s_cbranch_execz .LBB300_78
; %bb.77:
	v_lshlrev_b32_e32 v27, 2, v0
	global_load_b32 v27, v27, s[40:41] offset:26624
.LBB300_78:
	s_or_b32 exec_lo, exec_lo, s27
	v_or_b32_e32 v33, 0x1b00, v0
	s_delay_alu instid0(VALU_DEP_1)
	v_cmp_gt_u32_e64 s27, s43, v33
	s_and_saveexec_b32 s28, s27
	s_cbranch_execz .LBB300_80
; %bb.79:
	v_lshlrev_b32_e32 v28, 2, v0
	global_load_b32 v28, v28, s[40:41] offset:27648
.LBB300_80:
	s_or_b32 exec_lo, exec_lo, s28
	v_or_b32_e32 v33, 0x1c00, v0
	s_delay_alu instid0(VALU_DEP_1)
	v_cmp_gt_u32_e64 s28, s43, v33
	s_and_saveexec_b32 s29, s28
	s_cbranch_execz .LBB300_82
; %bb.81:
	v_lshlrev_b32_e32 v29, 2, v0
	global_load_b32 v29, v29, s[40:41] offset:28672
.LBB300_82:
	s_or_b32 exec_lo, exec_lo, s29
	v_or_b32_e32 v33, 0x1d00, v0
	s_delay_alu instid0(VALU_DEP_1)
	v_cmp_gt_u32_e64 s29, s43, v33
	s_and_saveexec_b32 s30, s29
	s_cbranch_execz .LBB300_84
; %bb.83:
	v_lshlrev_b32_e32 v30, 2, v0
	global_load_b32 v30, v30, s[40:41] offset:29696
.LBB300_84:
	s_or_b32 exec_lo, exec_lo, s30
	v_or_b32_e32 v33, 0x1e00, v0
	s_delay_alu instid0(VALU_DEP_1)
	v_cmp_gt_u32_e64 s30, s43, v33
	s_and_saveexec_b32 s31, s30
	s_cbranch_execz .LBB300_86
; %bb.85:
	v_lshlrev_b32_e32 v31, 2, v0
	global_load_b32 v31, v31, s[40:41] offset:30720
.LBB300_86:
	s_or_b32 exec_lo, exec_lo, s31
	v_or_b32_e32 v33, 0x1f00, v0
	s_delay_alu instid0(VALU_DEP_1)
	v_cmp_gt_u32_e64 s31, s43, v33
	s_and_saveexec_b32 s44, s31
	s_cbranch_execz .LBB300_88
; %bb.87:
	v_lshlrev_b32_e32 v32, 2, v0
	global_load_b32 v32, v32, s[40:41] offset:31744
.LBB300_88:
	s_or_b32 exec_lo, exec_lo, s44
	s_wait_loadcnt 0x0
	v_cndmask_b32_e32 v2, 0, v2, vcc_lo
	v_cndmask_b32_e64 v3, 0, v3, s2
	v_cndmask_b32_e64 v4, 0, v4, s3
	s_min_u32 s2, s43, 0x100
	s_mov_b32 s3, exec_lo
	v_add_nc_u32_e32 v1, v2, v1
	v_cndmask_b32_e64 v2, 0, v5, s4
	v_cndmask_b32_e64 v5, 0, v6, s5
	;; [unrolled: 1-line block ×3, first 2 shown]
	s_delay_alu instid0(VALU_DEP_4) | instskip(SKIP_3) | instid1(VALU_DEP_4)
	v_add3_u32 v1, v1, v3, v4
	v_cndmask_b32_e64 v3, 0, v7, s6
	v_cndmask_b32_e64 v4, 0, v8, s7
	;; [unrolled: 1-line block ×3, first 2 shown]
	v_add3_u32 v1, v1, v2, v5
	v_cndmask_b32_e64 v2, 0, v9, s8
	v_cndmask_b32_e64 v5, 0, v10, s9
	s_delay_alu instid0(VALU_DEP_3) | instskip(SKIP_2) | instid1(VALU_DEP_3)
	v_add3_u32 v1, v1, v3, v4
	v_cndmask_b32_e64 v3, 0, v11, s10
	v_cndmask_b32_e64 v4, 0, v12, s11
	v_add3_u32 v1, v1, v2, v5
	v_cndmask_b32_e64 v2, 0, v13, s12
	v_cndmask_b32_e64 v5, 0, v14, s13
	s_delay_alu instid0(VALU_DEP_3) | instskip(SKIP_2) | instid1(VALU_DEP_3)
	v_add3_u32 v1, v1, v3, v4
	v_cndmask_b32_e64 v3, 0, v15, s14
	v_cndmask_b32_e64 v4, 0, v16, s15
	;; [unrolled: 7-line block ×5, first 2 shown]
	v_add3_u32 v1, v1, v2, v5
	v_mbcnt_lo_u32_b32 v2, -1, 0
	v_cndmask_b32_e64 v5, 0, v29, s28
	s_delay_alu instid0(VALU_DEP_3) | instskip(NEXT) | instid1(VALU_DEP_3)
	v_add3_u32 v1, v1, v3, v4
	v_cmp_ne_u32_e32 vcc_lo, 31, v2
	v_cndmask_b32_e64 v3, 0, v32, s31
	s_delay_alu instid0(VALU_DEP_3)
	v_add3_u32 v1, v1, v5, v6
	s_wait_alu 0xfffd
	v_add_co_ci_u32_e64 v4, null, 0, v2, vcc_lo
	v_add_nc_u32_e32 v5, 1, v2
	v_cmp_gt_u32_e32 vcc_lo, 30, v2
	v_add3_u32 v1, v1, v7, v3
	s_delay_alu instid0(VALU_DEP_4)
	v_lshlrev_b32_e32 v4, 2, v4
	s_wait_alu 0xfffd
	v_cndmask_b32_e64 v6, 0, 2, vcc_lo
	ds_bpermute_b32 v3, v4, v1
	v_and_b32_e32 v4, 0xe0, v0
	s_wait_alu 0xfffe
	s_delay_alu instid0(VALU_DEP_1) | instskip(NEXT) | instid1(VALU_DEP_1)
	v_sub_nc_u32_e64 v4, s2, v4 clamp
	v_cmp_lt_u32_e32 vcc_lo, v5, v4
	v_add_lshl_u32 v5, v6, v2, 2
	s_wait_dscnt 0x0
	s_wait_alu 0xfffd
	v_cndmask_b32_e32 v3, 0, v3, vcc_lo
	v_cmp_gt_u32_e32 vcc_lo, 28, v2
	s_delay_alu instid0(VALU_DEP_2) | instskip(SKIP_4) | instid1(VALU_DEP_1)
	v_add_nc_u32_e32 v1, v1, v3
	s_wait_alu 0xfffd
	v_cndmask_b32_e64 v6, 0, 4, vcc_lo
	ds_bpermute_b32 v3, v5, v1
	v_add_nc_u32_e32 v5, 2, v2
	v_cmp_lt_u32_e32 vcc_lo, v5, v4
	v_add_lshl_u32 v5, v6, v2, 2
	s_wait_dscnt 0x0
	s_wait_alu 0xfffd
	v_cndmask_b32_e32 v3, 0, v3, vcc_lo
	v_cmp_gt_u32_e32 vcc_lo, 24, v2
	s_delay_alu instid0(VALU_DEP_2) | instskip(SKIP_4) | instid1(VALU_DEP_1)
	v_add_nc_u32_e32 v1, v1, v3
	s_wait_alu 0xfffd
	v_cndmask_b32_e64 v6, 0, 8, vcc_lo
	ds_bpermute_b32 v3, v5, v1
	v_add_nc_u32_e32 v5, 4, v2
	v_cmp_lt_u32_e32 vcc_lo, v5, v4
	v_add_lshl_u32 v5, v6, v2, 2
	s_wait_dscnt 0x0
	s_wait_alu 0xfffd
	v_cndmask_b32_e32 v3, 0, v3, vcc_lo
	s_delay_alu instid0(VALU_DEP_1) | instskip(SKIP_3) | instid1(VALU_DEP_1)
	v_add_nc_u32_e32 v1, v1, v3
	v_lshlrev_b32_e32 v3, 2, v2
	ds_bpermute_b32 v5, v5, v1
	v_add_nc_u32_e32 v6, 8, v2
	v_cmp_lt_u32_e32 vcc_lo, v6, v4
	v_or_b32_e32 v6, 64, v3
	s_wait_dscnt 0x0
	s_wait_alu 0xfffd
	v_cndmask_b32_e32 v5, 0, v5, vcc_lo
	s_delay_alu instid0(VALU_DEP_1) | instskip(SKIP_2) | instid1(VALU_DEP_1)
	v_add_nc_u32_e32 v1, v1, v5
	ds_bpermute_b32 v5, v6, v1
	v_add_nc_u32_e32 v6, 16, v2
	v_cmp_lt_u32_e32 vcc_lo, v6, v4
	s_wait_dscnt 0x0
	s_wait_alu 0xfffd
	v_cndmask_b32_e32 v4, 0, v5, vcc_lo
	s_delay_alu instid0(VALU_DEP_1)
	v_add_nc_u32_e32 v1, v1, v4
	v_cmpx_eq_u32_e32 0, v2
; %bb.89:
	v_lshrrev_b32_e32 v4, 3, v0
	s_delay_alu instid0(VALU_DEP_1)
	v_and_b32_e32 v4, 28, v4
	ds_store_b32 v4, v1 offset:192
; %bb.90:
	s_or_b32 exec_lo, exec_lo, s3
	s_delay_alu instid0(SALU_CYCLE_1)
	s_mov_b32 s3, exec_lo
	s_wait_dscnt 0x0
	s_barrier_signal -1
	s_barrier_wait -1
	global_inv scope:SCOPE_SE
	v_cmpx_gt_u32_e32 8, v0
	s_cbranch_execz .LBB300_92
; %bb.91:
	ds_load_b32 v1, v3 offset:192
	v_and_b32_e32 v4, 7, v2
	s_add_co_i32 s2, s2, 31
	s_wait_alu 0xfffe
	s_lshr_b32 s2, s2, 5
	s_delay_alu instid0(VALU_DEP_1) | instskip(SKIP_4) | instid1(VALU_DEP_2)
	v_cmp_ne_u32_e32 vcc_lo, 7, v4
	v_add_nc_u32_e32 v6, 1, v4
	s_wait_alu 0xfffd
	v_add_co_ci_u32_e64 v5, null, 0, v2, vcc_lo
	v_cmp_gt_u32_e32 vcc_lo, 6, v4
	v_lshlrev_b32_e32 v5, 2, v5
	s_wait_alu 0xfffd
	v_cndmask_b32_e64 v7, 0, 2, vcc_lo
	s_wait_alu 0xfffe
	v_cmp_gt_u32_e32 vcc_lo, s2, v6
	s_wait_dscnt 0x0
	ds_bpermute_b32 v5, v5, v1
	v_add_lshl_u32 v2, v7, v2, 2
	s_wait_dscnt 0x0
	s_wait_alu 0xfffd
	v_cndmask_b32_e32 v5, 0, v5, vcc_lo
	s_delay_alu instid0(VALU_DEP_1)
	v_add_nc_u32_e32 v1, v5, v1
	v_add_nc_u32_e32 v5, 2, v4
	ds_bpermute_b32 v2, v2, v1
	v_cmp_gt_u32_e32 vcc_lo, s2, v5
	s_wait_dscnt 0x0
	s_wait_alu 0xfffd
	v_cndmask_b32_e32 v2, 0, v2, vcc_lo
	s_delay_alu instid0(VALU_DEP_1)
	v_add_nc_u32_e32 v1, v1, v2
	v_or_b32_e32 v2, 16, v3
	v_add_nc_u32_e32 v3, 4, v4
	ds_bpermute_b32 v2, v2, v1
	v_cmp_gt_u32_e32 vcc_lo, s2, v3
	s_wait_dscnt 0x0
	s_wait_alu 0xfffd
	v_cndmask_b32_e32 v2, 0, v2, vcc_lo
	s_delay_alu instid0(VALU_DEP_1)
	v_add_nc_u32_e32 v1, v1, v2
.LBB300_92:
	s_wait_alu 0xfffe
	s_or_b32 exec_lo, exec_lo, s3
	v_cmp_eq_u32_e64 s2, 0, v0
	s_and_b32 vcc_lo, exec_lo, s42
	s_wait_alu 0xfffe
	s_cbranch_vccnz .LBB300_15
.LBB300_93:
	s_branch .LBB300_142
.LBB300_94:
	s_mov_b32 s3, -1
                                        ; implicit-def: $vgpr1
.LBB300_95:
	s_wait_alu 0xfffe
	s_and_b32 vcc_lo, exec_lo, s3
	s_wait_alu 0xfffe
	s_cbranch_vccz .LBB300_133
; %bb.96:
	v_mov_b32_e32 v1, 0
	s_sub_co_i32 s18, s38, s2
	s_mov_b32 s2, exec_lo
	s_delay_alu instid0(VALU_DEP_1)
	v_dual_mov_b32 v2, v1 :: v_dual_mov_b32 v3, v1
	v_dual_mov_b32 v4, v1 :: v_dual_mov_b32 v5, v1
	;; [unrolled: 1-line block ×7, first 2 shown]
	v_mov_b32_e32 v16, v1
	s_wait_alu 0xfffe
	v_cmpx_gt_u32_e64 s18, v0
	s_cbranch_execz .LBB300_98
; %bb.97:
	v_dual_mov_b32 v3, v1 :: v_dual_lshlrev_b32 v2, 2, v0
	v_dual_mov_b32 v16, v1 :: v_dual_mov_b32 v17, v1
	v_dual_mov_b32 v4, v1 :: v_dual_mov_b32 v5, v1
	global_load_b32 v2, v2, s[16:17]
	v_dual_mov_b32 v6, v1 :: v_dual_mov_b32 v7, v1
	v_dual_mov_b32 v8, v1 :: v_dual_mov_b32 v9, v1
	;; [unrolled: 1-line block ×5, first 2 shown]
	s_wait_loadcnt 0x0
	v_mov_b32_e32 v1, v2
	v_mov_b32_e32 v2, v3
	;; [unrolled: 1-line block ×16, first 2 shown]
.LBB300_98:
	s_or_b32 exec_lo, exec_lo, s2
	v_or_b32_e32 v17, 0x100, v0
	s_delay_alu instid0(VALU_DEP_1)
	v_cmp_gt_u32_e32 vcc_lo, s18, v17
	s_and_saveexec_b32 s2, vcc_lo
	s_cbranch_execz .LBB300_100
; %bb.99:
	v_lshlrev_b32_e32 v2, 2, v0
	global_load_b32 v2, v2, s[16:17] offset:1024
.LBB300_100:
	s_wait_alu 0xfffe
	s_or_b32 exec_lo, exec_lo, s2
	v_or_b32_e32 v17, 0x200, v0
	s_delay_alu instid0(VALU_DEP_1)
	v_cmp_gt_u32_e64 s2, s18, v17
	s_and_saveexec_b32 s3, s2
	s_cbranch_execz .LBB300_102
; %bb.101:
	v_lshlrev_b32_e32 v3, 2, v0
	global_load_b32 v3, v3, s[16:17] offset:2048
.LBB300_102:
	s_wait_alu 0xfffe
	s_or_b32 exec_lo, exec_lo, s3
	v_or_b32_e32 v17, 0x300, v0
	s_delay_alu instid0(VALU_DEP_1)
	v_cmp_gt_u32_e64 s3, s18, v17
	s_and_saveexec_b32 s4, s3
	;; [unrolled: 11-line block ×14, first 2 shown]
	s_cbranch_execz .LBB300_128
; %bb.127:
	v_lshlrev_b32_e32 v16, 2, v0
	global_load_b32 v16, v16, s[16:17] offset:15360
.LBB300_128:
	s_wait_alu 0xfffe
	s_or_b32 exec_lo, exec_lo, s19
	s_wait_loadcnt 0x0
	v_cndmask_b32_e32 v2, 0, v2, vcc_lo
	v_cndmask_b32_e64 v3, 0, v3, s2
	v_cndmask_b32_e64 v4, 0, v4, s3
	s_min_u32 s2, s18, 0x100
	s_mov_b32 s3, exec_lo
	v_add_nc_u32_e32 v1, v2, v1
	v_cndmask_b32_e64 v2, 0, v5, s4
	v_cndmask_b32_e64 v5, 0, v6, s5
	;; [unrolled: 1-line block ×3, first 2 shown]
	s_delay_alu instid0(VALU_DEP_4) | instskip(SKIP_3) | instid1(VALU_DEP_4)
	v_add3_u32 v1, v1, v3, v4
	v_cndmask_b32_e64 v3, 0, v7, s6
	v_cndmask_b32_e64 v4, 0, v8, s7
	;; [unrolled: 1-line block ×3, first 2 shown]
	v_add3_u32 v1, v1, v2, v5
	v_cndmask_b32_e64 v2, 0, v9, s8
	v_cndmask_b32_e64 v5, 0, v10, s9
	s_delay_alu instid0(VALU_DEP_3) | instskip(SKIP_2) | instid1(VALU_DEP_3)
	v_add3_u32 v1, v1, v3, v4
	v_cndmask_b32_e64 v3, 0, v11, s10
	v_cndmask_b32_e64 v4, 0, v12, s11
	v_add3_u32 v1, v1, v2, v5
	v_mbcnt_lo_u32_b32 v2, -1, 0
	v_cndmask_b32_e64 v5, 0, v13, s12
	s_delay_alu instid0(VALU_DEP_3) | instskip(NEXT) | instid1(VALU_DEP_3)
	v_add3_u32 v1, v1, v3, v4
	v_cmp_ne_u32_e32 vcc_lo, 31, v2
	v_cndmask_b32_e64 v3, 0, v16, s15
	s_delay_alu instid0(VALU_DEP_3)
	v_add3_u32 v1, v1, v5, v6
	s_wait_alu 0xfffd
	v_add_co_ci_u32_e64 v4, null, 0, v2, vcc_lo
	v_add_nc_u32_e32 v5, 1, v2
	v_cmp_gt_u32_e32 vcc_lo, 30, v2
	v_add3_u32 v1, v1, v7, v3
	s_delay_alu instid0(VALU_DEP_4)
	v_lshlrev_b32_e32 v4, 2, v4
	s_wait_alu 0xfffd
	v_cndmask_b32_e64 v6, 0, 2, vcc_lo
	ds_bpermute_b32 v3, v4, v1
	v_and_b32_e32 v4, 0xe0, v0
	s_wait_alu 0xfffe
	s_delay_alu instid0(VALU_DEP_1) | instskip(NEXT) | instid1(VALU_DEP_1)
	v_sub_nc_u32_e64 v4, s2, v4 clamp
	v_cmp_lt_u32_e32 vcc_lo, v5, v4
	v_add_lshl_u32 v5, v6, v2, 2
	s_wait_dscnt 0x0
	s_wait_alu 0xfffd
	v_cndmask_b32_e32 v3, 0, v3, vcc_lo
	v_cmp_gt_u32_e32 vcc_lo, 28, v2
	s_delay_alu instid0(VALU_DEP_2) | instskip(SKIP_4) | instid1(VALU_DEP_1)
	v_add_nc_u32_e32 v1, v1, v3
	s_wait_alu 0xfffd
	v_cndmask_b32_e64 v6, 0, 4, vcc_lo
	ds_bpermute_b32 v3, v5, v1
	v_add_nc_u32_e32 v5, 2, v2
	v_cmp_lt_u32_e32 vcc_lo, v5, v4
	v_add_lshl_u32 v5, v6, v2, 2
	s_wait_dscnt 0x0
	s_wait_alu 0xfffd
	v_cndmask_b32_e32 v3, 0, v3, vcc_lo
	v_cmp_gt_u32_e32 vcc_lo, 24, v2
	s_delay_alu instid0(VALU_DEP_2) | instskip(SKIP_4) | instid1(VALU_DEP_1)
	v_add_nc_u32_e32 v1, v1, v3
	s_wait_alu 0xfffd
	v_cndmask_b32_e64 v6, 0, 8, vcc_lo
	ds_bpermute_b32 v3, v5, v1
	v_add_nc_u32_e32 v5, 4, v2
	v_cmp_lt_u32_e32 vcc_lo, v5, v4
	v_add_lshl_u32 v5, v6, v2, 2
	s_wait_dscnt 0x0
	s_wait_alu 0xfffd
	v_cndmask_b32_e32 v3, 0, v3, vcc_lo
	s_delay_alu instid0(VALU_DEP_1) | instskip(SKIP_3) | instid1(VALU_DEP_1)
	v_add_nc_u32_e32 v1, v1, v3
	v_lshlrev_b32_e32 v3, 2, v2
	ds_bpermute_b32 v5, v5, v1
	v_add_nc_u32_e32 v6, 8, v2
	v_cmp_lt_u32_e32 vcc_lo, v6, v4
	v_or_b32_e32 v6, 64, v3
	s_wait_dscnt 0x0
	s_wait_alu 0xfffd
	v_cndmask_b32_e32 v5, 0, v5, vcc_lo
	s_delay_alu instid0(VALU_DEP_1) | instskip(SKIP_2) | instid1(VALU_DEP_1)
	v_add_nc_u32_e32 v1, v1, v5
	ds_bpermute_b32 v5, v6, v1
	v_add_nc_u32_e32 v6, 16, v2
	v_cmp_lt_u32_e32 vcc_lo, v6, v4
	s_wait_dscnt 0x0
	s_wait_alu 0xfffd
	v_cndmask_b32_e32 v4, 0, v5, vcc_lo
	s_delay_alu instid0(VALU_DEP_1)
	v_add_nc_u32_e32 v1, v1, v4
	v_cmpx_eq_u32_e32 0, v2
; %bb.129:
	v_lshrrev_b32_e32 v4, 3, v0
	s_delay_alu instid0(VALU_DEP_1)
	v_and_b32_e32 v4, 28, v4
	ds_store_b32 v4, v1 offset:192
; %bb.130:
	s_or_b32 exec_lo, exec_lo, s3
	s_delay_alu instid0(SALU_CYCLE_1)
	s_mov_b32 s3, exec_lo
	s_wait_dscnt 0x0
	s_barrier_signal -1
	s_barrier_wait -1
	global_inv scope:SCOPE_SE
	v_cmpx_gt_u32_e32 8, v0
	s_cbranch_execz .LBB300_132
; %bb.131:
	ds_load_b32 v1, v3 offset:192
	v_and_b32_e32 v4, 7, v2
	s_add_co_i32 s2, s2, 31
	s_wait_alu 0xfffe
	s_lshr_b32 s2, s2, 5
	s_delay_alu instid0(VALU_DEP_1) | instskip(SKIP_4) | instid1(VALU_DEP_2)
	v_cmp_ne_u32_e32 vcc_lo, 7, v4
	v_add_nc_u32_e32 v6, 1, v4
	s_wait_alu 0xfffd
	v_add_co_ci_u32_e64 v5, null, 0, v2, vcc_lo
	v_cmp_gt_u32_e32 vcc_lo, 6, v4
	v_lshlrev_b32_e32 v5, 2, v5
	s_wait_alu 0xfffd
	v_cndmask_b32_e64 v7, 0, 2, vcc_lo
	s_wait_alu 0xfffe
	v_cmp_gt_u32_e32 vcc_lo, s2, v6
	s_wait_dscnt 0x0
	ds_bpermute_b32 v5, v5, v1
	v_add_lshl_u32 v2, v7, v2, 2
	s_wait_dscnt 0x0
	s_wait_alu 0xfffd
	v_cndmask_b32_e32 v5, 0, v5, vcc_lo
	s_delay_alu instid0(VALU_DEP_1)
	v_add_nc_u32_e32 v1, v5, v1
	v_add_nc_u32_e32 v5, 2, v4
	ds_bpermute_b32 v2, v2, v1
	v_cmp_gt_u32_e32 vcc_lo, s2, v5
	s_wait_dscnt 0x0
	s_wait_alu 0xfffd
	v_cndmask_b32_e32 v2, 0, v2, vcc_lo
	s_delay_alu instid0(VALU_DEP_1)
	v_add_nc_u32_e32 v1, v1, v2
	v_or_b32_e32 v2, 16, v3
	v_add_nc_u32_e32 v3, 4, v4
	ds_bpermute_b32 v2, v2, v1
	v_cmp_gt_u32_e32 vcc_lo, s2, v3
	s_wait_dscnt 0x0
	s_wait_alu 0xfffd
	v_cndmask_b32_e32 v2, 0, v2, vcc_lo
	s_delay_alu instid0(VALU_DEP_1)
	v_add_nc_u32_e32 v1, v1, v2
.LBB300_132:
	s_wait_alu 0xfffe
	s_or_b32 exec_lo, exec_lo, s3
.LBB300_133:
	v_cmp_eq_u32_e64 s2, 0, v0
	s_branch .LBB300_142
.LBB300_134:
	s_cmp_eq_u32 s33, 8
	s_cbranch_scc0 .LBB300_141
; %bb.135:
	s_mov_b32 s35, 0
	s_lshl_b32 s2, s34, 11
	s_mov_b32 s3, s35
	s_lshr_b64 s[4:5], s[38:39], 11
	s_lshl_b64 s[6:7], s[2:3], 2
	s_cmp_lg_u64 s[4:5], s[34:35]
	s_add_nc_u64 s[8:9], s[36:37], s[6:7]
	s_cbranch_scc0 .LBB300_143
; %bb.136:
	v_lshlrev_b32_e32 v1, 2, v0
	s_mov_b32 s3, exec_lo
	s_clause 0x7
	global_load_b32 v2, v1, s[8:9]
	global_load_b32 v3, v1, s[8:9] offset:1024
	global_load_b32 v4, v1, s[8:9] offset:2048
	;; [unrolled: 1-line block ×7, first 2 shown]
	s_wait_loadcnt 0x6
	v_add_nc_u32_e32 v2, v3, v2
	s_wait_loadcnt 0x4
	s_delay_alu instid0(VALU_DEP_1) | instskip(SKIP_1) | instid1(VALU_DEP_1)
	v_add3_u32 v2, v2, v4, v5
	s_wait_loadcnt 0x2
	v_add3_u32 v2, v2, v6, v7
	s_wait_loadcnt 0x0
	s_delay_alu instid0(VALU_DEP_1) | instskip(NEXT) | instid1(VALU_DEP_1)
	v_add3_u32 v1, v2, v8, v1
	v_mov_b32_dpp v2, v1 quad_perm:[1,0,3,2] row_mask:0xf bank_mask:0xf
	s_delay_alu instid0(VALU_DEP_1) | instskip(NEXT) | instid1(VALU_DEP_1)
	v_add_nc_u32_e32 v1, v2, v1
	v_mov_b32_dpp v2, v1 quad_perm:[2,3,0,1] row_mask:0xf bank_mask:0xf
	s_delay_alu instid0(VALU_DEP_1) | instskip(NEXT) | instid1(VALU_DEP_1)
	v_add_nc_u32_e32 v1, v1, v2
	v_mov_b32_dpp v2, v1 row_ror:4 row_mask:0xf bank_mask:0xf
	s_delay_alu instid0(VALU_DEP_1) | instskip(NEXT) | instid1(VALU_DEP_1)
	v_add_nc_u32_e32 v1, v1, v2
	v_mov_b32_dpp v2, v1 row_ror:8 row_mask:0xf bank_mask:0xf
	s_delay_alu instid0(VALU_DEP_1)
	v_add_nc_u32_e32 v1, v1, v2
	ds_swizzle_b32 v2, v1 offset:swizzle(BROADCAST,32,15)
	s_wait_dscnt 0x0
	v_dual_mov_b32 v2, 0 :: v_dual_add_nc_u32 v1, v1, v2
	ds_bpermute_b32 v1, v2, v1 offset:124
	v_mbcnt_lo_u32_b32 v2, -1, 0
	s_delay_alu instid0(VALU_DEP_1)
	v_cmpx_eq_u32_e32 0, v2
	s_cbranch_execz .LBB300_138
; %bb.137:
	v_lshrrev_b32_e32 v3, 3, v0
	s_delay_alu instid0(VALU_DEP_1)
	v_and_b32_e32 v3, 28, v3
	s_wait_dscnt 0x0
	ds_store_b32 v3, v1 offset:160
.LBB300_138:
	s_or_b32 exec_lo, exec_lo, s3
	s_delay_alu instid0(SALU_CYCLE_1)
	s_mov_b32 s3, exec_lo
	s_wait_dscnt 0x0
	s_barrier_signal -1
	s_barrier_wait -1
	global_inv scope:SCOPE_SE
	v_cmpx_gt_u32_e32 32, v0
	s_cbranch_execz .LBB300_140
; %bb.139:
	v_and_b32_e32 v1, 7, v2
	s_delay_alu instid0(VALU_DEP_1) | instskip(SKIP_4) | instid1(VALU_DEP_2)
	v_lshlrev_b32_e32 v3, 2, v1
	v_cmp_ne_u32_e32 vcc_lo, 7, v1
	ds_load_b32 v3, v3 offset:160
	v_add_co_ci_u32_e64 v4, null, 0, v2, vcc_lo
	v_cmp_gt_u32_e32 vcc_lo, 6, v1
	v_lshlrev_b32_e32 v4, 2, v4
	s_wait_alu 0xfffd
	v_cndmask_b32_e64 v1, 0, 2, vcc_lo
	s_delay_alu instid0(VALU_DEP_1) | instskip(SKIP_1) | instid1(VALU_DEP_1)
	v_add_lshl_u32 v1, v1, v2, 2
	v_lshlrev_b32_e32 v2, 2, v2
	v_or_b32_e32 v2, 16, v2
	s_wait_dscnt 0x0
	ds_bpermute_b32 v4, v4, v3
	s_wait_dscnt 0x0
	v_add_nc_u32_e32 v3, v4, v3
	ds_bpermute_b32 v1, v1, v3
	s_wait_dscnt 0x0
	v_add_nc_u32_e32 v1, v1, v3
	;; [unrolled: 3-line block ×3, first 2 shown]
.LBB300_140:
	s_or_b32 exec_lo, exec_lo, s3
	s_branch .LBB300_165
.LBB300_141:
                                        ; implicit-def: $vgpr1
.LBB300_142:
	s_branch .LBB300_224
.LBB300_143:
                                        ; implicit-def: $vgpr1
	s_cbranch_execz .LBB300_165
; %bb.144:
	v_mov_b32_e32 v1, 0
	s_sub_co_i32 s10, s38, s2
	s_mov_b32 s2, exec_lo
	s_delay_alu instid0(VALU_DEP_1)
	v_dual_mov_b32 v2, v1 :: v_dual_mov_b32 v3, v1
	v_dual_mov_b32 v4, v1 :: v_dual_mov_b32 v5, v1
	;; [unrolled: 1-line block ×3, first 2 shown]
	v_mov_b32_e32 v8, v1
	v_cmpx_gt_u32_e64 s10, v0
	s_cbranch_execz .LBB300_146
; %bb.145:
	v_dual_mov_b32 v3, v1 :: v_dual_lshlrev_b32 v2, 2, v0
	v_dual_mov_b32 v8, v1 :: v_dual_mov_b32 v9, v1
	v_dual_mov_b32 v4, v1 :: v_dual_mov_b32 v5, v1
	global_load_b32 v2, v2, s[8:9]
	v_dual_mov_b32 v6, v1 :: v_dual_mov_b32 v7, v1
	s_wait_loadcnt 0x0
	v_mov_b32_e32 v1, v2
	v_mov_b32_e32 v2, v3
	;; [unrolled: 1-line block ×8, first 2 shown]
.LBB300_146:
	s_or_b32 exec_lo, exec_lo, s2
	v_or_b32_e32 v9, 0x100, v0
	s_delay_alu instid0(VALU_DEP_1)
	v_cmp_gt_u32_e32 vcc_lo, s10, v9
	s_and_saveexec_b32 s2, vcc_lo
	s_cbranch_execz .LBB300_148
; %bb.147:
	v_lshlrev_b32_e32 v2, 2, v0
	global_load_b32 v2, v2, s[8:9] offset:1024
.LBB300_148:
	s_or_b32 exec_lo, exec_lo, s2
	v_or_b32_e32 v9, 0x200, v0
	s_delay_alu instid0(VALU_DEP_1)
	v_cmp_gt_u32_e64 s2, s10, v9
	s_and_saveexec_b32 s3, s2
	s_cbranch_execz .LBB300_150
; %bb.149:
	v_lshlrev_b32_e32 v3, 2, v0
	global_load_b32 v3, v3, s[8:9] offset:2048
.LBB300_150:
	s_or_b32 exec_lo, exec_lo, s3
	v_or_b32_e32 v9, 0x300, v0
	s_delay_alu instid0(VALU_DEP_1)
	v_cmp_gt_u32_e64 s3, s10, v9
	s_and_saveexec_b32 s4, s3
	;; [unrolled: 10-line block ×6, first 2 shown]
	s_cbranch_execz .LBB300_160
; %bb.159:
	v_lshlrev_b32_e32 v8, 2, v0
	global_load_b32 v8, v8, s[8:9] offset:7168
.LBB300_160:
	s_wait_alu 0xfffe
	s_or_b32 exec_lo, exec_lo, s11
	s_wait_loadcnt 0x0
	v_cndmask_b32_e32 v2, 0, v2, vcc_lo
	v_cndmask_b32_e64 v3, 0, v3, s2
	v_cndmask_b32_e64 v4, 0, v4, s3
	v_cndmask_b32_e64 v5, 0, v5, s4
	v_cndmask_b32_e64 v6, 0, v6, s5
	v_add_nc_u32_e32 v1, v2, v1
	v_mbcnt_lo_u32_b32 v2, -1, 0
	v_cndmask_b32_e64 v7, 0, v7, s6
	s_min_u32 s2, s10, 0x100
	s_mov_b32 s3, exec_lo
	v_add3_u32 v1, v1, v3, v4
	v_cmp_ne_u32_e32 vcc_lo, 31, v2
	v_cndmask_b32_e64 v3, 0, v8, s7
	s_delay_alu instid0(VALU_DEP_3)
	v_add3_u32 v1, v1, v5, v6
	s_wait_alu 0xfffd
	v_add_co_ci_u32_e64 v4, null, 0, v2, vcc_lo
	v_add_nc_u32_e32 v5, 1, v2
	v_cmp_gt_u32_e32 vcc_lo, 30, v2
	v_add3_u32 v1, v1, v7, v3
	s_delay_alu instid0(VALU_DEP_4)
	v_lshlrev_b32_e32 v4, 2, v4
	s_wait_alu 0xfffd
	v_cndmask_b32_e64 v6, 0, 2, vcc_lo
	ds_bpermute_b32 v3, v4, v1
	v_and_b32_e32 v4, 0xe0, v0
	s_wait_alu 0xfffe
	s_delay_alu instid0(VALU_DEP_1) | instskip(NEXT) | instid1(VALU_DEP_1)
	v_sub_nc_u32_e64 v4, s2, v4 clamp
	v_cmp_lt_u32_e32 vcc_lo, v5, v4
	v_add_lshl_u32 v5, v6, v2, 2
	s_wait_dscnt 0x0
	s_wait_alu 0xfffd
	v_cndmask_b32_e32 v3, 0, v3, vcc_lo
	v_cmp_gt_u32_e32 vcc_lo, 28, v2
	s_delay_alu instid0(VALU_DEP_2) | instskip(SKIP_4) | instid1(VALU_DEP_1)
	v_add_nc_u32_e32 v1, v1, v3
	s_wait_alu 0xfffd
	v_cndmask_b32_e64 v6, 0, 4, vcc_lo
	ds_bpermute_b32 v3, v5, v1
	v_add_nc_u32_e32 v5, 2, v2
	v_cmp_lt_u32_e32 vcc_lo, v5, v4
	v_add_lshl_u32 v5, v6, v2, 2
	s_wait_dscnt 0x0
	s_wait_alu 0xfffd
	v_cndmask_b32_e32 v3, 0, v3, vcc_lo
	v_cmp_gt_u32_e32 vcc_lo, 24, v2
	s_delay_alu instid0(VALU_DEP_2) | instskip(SKIP_4) | instid1(VALU_DEP_1)
	v_add_nc_u32_e32 v1, v1, v3
	s_wait_alu 0xfffd
	v_cndmask_b32_e64 v6, 0, 8, vcc_lo
	ds_bpermute_b32 v3, v5, v1
	v_add_nc_u32_e32 v5, 4, v2
	v_cmp_lt_u32_e32 vcc_lo, v5, v4
	v_add_lshl_u32 v5, v6, v2, 2
	s_wait_dscnt 0x0
	s_wait_alu 0xfffd
	v_cndmask_b32_e32 v3, 0, v3, vcc_lo
	s_delay_alu instid0(VALU_DEP_1) | instskip(SKIP_3) | instid1(VALU_DEP_1)
	v_add_nc_u32_e32 v1, v1, v3
	v_lshlrev_b32_e32 v3, 2, v2
	ds_bpermute_b32 v5, v5, v1
	v_add_nc_u32_e32 v6, 8, v2
	v_cmp_lt_u32_e32 vcc_lo, v6, v4
	v_or_b32_e32 v6, 64, v3
	s_wait_dscnt 0x0
	s_wait_alu 0xfffd
	v_cndmask_b32_e32 v5, 0, v5, vcc_lo
	s_delay_alu instid0(VALU_DEP_1) | instskip(SKIP_2) | instid1(VALU_DEP_1)
	v_add_nc_u32_e32 v1, v1, v5
	ds_bpermute_b32 v5, v6, v1
	v_add_nc_u32_e32 v6, 16, v2
	v_cmp_lt_u32_e32 vcc_lo, v6, v4
	s_wait_dscnt 0x0
	s_wait_alu 0xfffd
	v_cndmask_b32_e32 v4, 0, v5, vcc_lo
	s_delay_alu instid0(VALU_DEP_1)
	v_add_nc_u32_e32 v1, v1, v4
	v_cmpx_eq_u32_e32 0, v2
; %bb.161:
	v_lshrrev_b32_e32 v4, 3, v0
	s_delay_alu instid0(VALU_DEP_1)
	v_and_b32_e32 v4, 28, v4
	ds_store_b32 v4, v1 offset:192
; %bb.162:
	s_or_b32 exec_lo, exec_lo, s3
	s_delay_alu instid0(SALU_CYCLE_1)
	s_mov_b32 s3, exec_lo
	s_wait_dscnt 0x0
	s_barrier_signal -1
	s_barrier_wait -1
	global_inv scope:SCOPE_SE
	v_cmpx_gt_u32_e32 8, v0
	s_cbranch_execz .LBB300_164
; %bb.163:
	ds_load_b32 v1, v3 offset:192
	v_and_b32_e32 v4, 7, v2
	s_add_co_i32 s2, s2, 31
	s_wait_alu 0xfffe
	s_lshr_b32 s2, s2, 5
	s_delay_alu instid0(VALU_DEP_1) | instskip(SKIP_4) | instid1(VALU_DEP_2)
	v_cmp_ne_u32_e32 vcc_lo, 7, v4
	v_add_nc_u32_e32 v6, 1, v4
	s_wait_alu 0xfffd
	v_add_co_ci_u32_e64 v5, null, 0, v2, vcc_lo
	v_cmp_gt_u32_e32 vcc_lo, 6, v4
	v_lshlrev_b32_e32 v5, 2, v5
	s_wait_alu 0xfffd
	v_cndmask_b32_e64 v7, 0, 2, vcc_lo
	s_wait_alu 0xfffe
	v_cmp_gt_u32_e32 vcc_lo, s2, v6
	s_wait_dscnt 0x0
	ds_bpermute_b32 v5, v5, v1
	v_add_lshl_u32 v2, v7, v2, 2
	s_wait_dscnt 0x0
	s_wait_alu 0xfffd
	v_cndmask_b32_e32 v5, 0, v5, vcc_lo
	s_delay_alu instid0(VALU_DEP_1)
	v_add_nc_u32_e32 v1, v5, v1
	v_add_nc_u32_e32 v5, 2, v4
	ds_bpermute_b32 v2, v2, v1
	v_cmp_gt_u32_e32 vcc_lo, s2, v5
	s_wait_dscnt 0x0
	s_wait_alu 0xfffd
	v_cndmask_b32_e32 v2, 0, v2, vcc_lo
	s_delay_alu instid0(VALU_DEP_1)
	v_add_nc_u32_e32 v1, v1, v2
	v_or_b32_e32 v2, 16, v3
	v_add_nc_u32_e32 v3, 4, v4
	ds_bpermute_b32 v2, v2, v1
	v_cmp_gt_u32_e32 vcc_lo, s2, v3
	s_wait_dscnt 0x0
	s_wait_alu 0xfffd
	v_cndmask_b32_e32 v2, 0, v2, vcc_lo
	s_delay_alu instid0(VALU_DEP_1)
	v_add_nc_u32_e32 v1, v1, v2
.LBB300_164:
	s_wait_alu 0xfffe
	s_or_b32 exec_lo, exec_lo, s3
.LBB300_165:
	v_cmp_eq_u32_e64 s2, 0, v0
	s_branch .LBB300_224
.LBB300_166:
	s_cmp_gt_i32 s33, 1
	s_cbranch_scc0 .LBB300_175
; %bb.167:
	s_cmp_gt_i32 s33, 3
	s_cbranch_scc0 .LBB300_176
; %bb.168:
	s_cmp_eq_u32 s33, 4
	s_cbranch_scc0 .LBB300_177
; %bb.169:
	s_mov_b32 s35, 0
	s_lshl_b32 s2, s34, 10
	s_mov_b32 s3, s35
	s_lshr_b64 s[4:5], s[38:39], 10
	s_lshl_b64 s[6:7], s[2:3], 2
	s_cmp_lg_u64 s[4:5], s[34:35]
	s_add_nc_u64 s[4:5], s[36:37], s[6:7]
	s_cbranch_scc0 .LBB300_179
; %bb.170:
	v_lshlrev_b32_e32 v1, 2, v0
	s_mov_b32 s3, exec_lo
	s_clause 0x3
	global_load_b32 v2, v1, s[4:5]
	global_load_b32 v3, v1, s[4:5] offset:1024
	global_load_b32 v4, v1, s[4:5] offset:2048
	;; [unrolled: 1-line block ×3, first 2 shown]
	s_wait_loadcnt 0x2
	v_add_nc_u32_e32 v2, v3, v2
	s_wait_loadcnt 0x0
	s_delay_alu instid0(VALU_DEP_1) | instskip(NEXT) | instid1(VALU_DEP_1)
	v_add3_u32 v1, v2, v4, v1
	v_mov_b32_dpp v2, v1 quad_perm:[1,0,3,2] row_mask:0xf bank_mask:0xf
	s_delay_alu instid0(VALU_DEP_1) | instskip(NEXT) | instid1(VALU_DEP_1)
	v_add_nc_u32_e32 v1, v2, v1
	v_mov_b32_dpp v2, v1 quad_perm:[2,3,0,1] row_mask:0xf bank_mask:0xf
	s_delay_alu instid0(VALU_DEP_1) | instskip(NEXT) | instid1(VALU_DEP_1)
	v_add_nc_u32_e32 v1, v1, v2
	v_mov_b32_dpp v2, v1 row_ror:4 row_mask:0xf bank_mask:0xf
	s_delay_alu instid0(VALU_DEP_1) | instskip(NEXT) | instid1(VALU_DEP_1)
	v_add_nc_u32_e32 v1, v1, v2
	v_mov_b32_dpp v2, v1 row_ror:8 row_mask:0xf bank_mask:0xf
	s_delay_alu instid0(VALU_DEP_1)
	v_add_nc_u32_e32 v1, v1, v2
	ds_swizzle_b32 v2, v1 offset:swizzle(BROADCAST,32,15)
	s_wait_dscnt 0x0
	v_dual_mov_b32 v2, 0 :: v_dual_add_nc_u32 v1, v1, v2
	ds_bpermute_b32 v1, v2, v1 offset:124
	v_mbcnt_lo_u32_b32 v2, -1, 0
	s_delay_alu instid0(VALU_DEP_1)
	v_cmpx_eq_u32_e32 0, v2
	s_cbranch_execz .LBB300_172
; %bb.171:
	v_lshrrev_b32_e32 v3, 3, v0
	s_delay_alu instid0(VALU_DEP_1)
	v_and_b32_e32 v3, 28, v3
	s_wait_dscnt 0x0
	ds_store_b32 v3, v1 offset:128
.LBB300_172:
	s_or_b32 exec_lo, exec_lo, s3
	s_delay_alu instid0(SALU_CYCLE_1)
	s_mov_b32 s3, exec_lo
	s_wait_dscnt 0x0
	s_barrier_signal -1
	s_barrier_wait -1
	global_inv scope:SCOPE_SE
	v_cmpx_gt_u32_e32 32, v0
	s_cbranch_execz .LBB300_174
; %bb.173:
	v_and_b32_e32 v1, 7, v2
	s_delay_alu instid0(VALU_DEP_1) | instskip(SKIP_4) | instid1(VALU_DEP_2)
	v_lshlrev_b32_e32 v3, 2, v1
	v_cmp_ne_u32_e32 vcc_lo, 7, v1
	ds_load_b32 v3, v3 offset:128
	v_add_co_ci_u32_e64 v4, null, 0, v2, vcc_lo
	v_cmp_gt_u32_e32 vcc_lo, 6, v1
	v_lshlrev_b32_e32 v4, 2, v4
	s_wait_alu 0xfffd
	v_cndmask_b32_e64 v1, 0, 2, vcc_lo
	s_delay_alu instid0(VALU_DEP_1) | instskip(SKIP_1) | instid1(VALU_DEP_1)
	v_add_lshl_u32 v1, v1, v2, 2
	v_lshlrev_b32_e32 v2, 2, v2
	v_or_b32_e32 v2, 16, v2
	s_wait_dscnt 0x0
	ds_bpermute_b32 v4, v4, v3
	s_wait_dscnt 0x0
	v_add_nc_u32_e32 v3, v4, v3
	ds_bpermute_b32 v1, v1, v3
	s_wait_dscnt 0x0
	v_add_nc_u32_e32 v1, v1, v3
	;; [unrolled: 3-line block ×3, first 2 shown]
.LBB300_174:
	s_or_b32 exec_lo, exec_lo, s3
	s_mov_b32 s3, 0
	s_branch .LBB300_180
.LBB300_175:
                                        ; implicit-def: $vgpr1
	s_cbranch_execnz .LBB300_215
	s_branch .LBB300_224
.LBB300_176:
                                        ; implicit-def: $vgpr1
	s_cbranch_execz .LBB300_178
	s_branch .LBB300_195
.LBB300_177:
                                        ; implicit-def: $vgpr1
.LBB300_178:
	s_branch .LBB300_224
.LBB300_179:
	s_mov_b32 s3, -1
                                        ; implicit-def: $vgpr1
.LBB300_180:
	s_delay_alu instid0(SALU_CYCLE_1)
	s_and_b32 vcc_lo, exec_lo, s3
	s_wait_alu 0xfffe
	s_cbranch_vccz .LBB300_194
; %bb.181:
	v_mov_b32_e32 v1, 0
	s_sub_co_i32 s6, s38, s2
	s_mov_b32 s2, exec_lo
	s_delay_alu instid0(VALU_DEP_1)
	v_dual_mov_b32 v2, v1 :: v_dual_mov_b32 v3, v1
	v_mov_b32_e32 v4, v1
	v_cmpx_gt_u32_e64 s6, v0
	s_cbranch_execz .LBB300_183
; %bb.182:
	v_dual_mov_b32 v3, v1 :: v_dual_lshlrev_b32 v2, 2, v0
	v_dual_mov_b32 v4, v1 :: v_dual_mov_b32 v5, v1
	global_load_b32 v2, v2, s[4:5]
	s_wait_loadcnt 0x0
	v_mov_b32_e32 v1, v2
	v_mov_b32_e32 v2, v3
	;; [unrolled: 1-line block ×4, first 2 shown]
.LBB300_183:
	s_or_b32 exec_lo, exec_lo, s2
	v_or_b32_e32 v5, 0x100, v0
	s_delay_alu instid0(VALU_DEP_1)
	v_cmp_gt_u32_e32 vcc_lo, s6, v5
	s_and_saveexec_b32 s2, vcc_lo
	s_cbranch_execz .LBB300_185
; %bb.184:
	v_lshlrev_b32_e32 v2, 2, v0
	global_load_b32 v2, v2, s[4:5] offset:1024
.LBB300_185:
	s_or_b32 exec_lo, exec_lo, s2
	v_or_b32_e32 v5, 0x200, v0
	s_delay_alu instid0(VALU_DEP_1)
	v_cmp_gt_u32_e64 s2, s6, v5
	s_and_saveexec_b32 s3, s2
	s_cbranch_execz .LBB300_187
; %bb.186:
	v_lshlrev_b32_e32 v3, 2, v0
	global_load_b32 v3, v3, s[4:5] offset:2048
.LBB300_187:
	s_or_b32 exec_lo, exec_lo, s3
	v_or_b32_e32 v5, 0x300, v0
	s_delay_alu instid0(VALU_DEP_1)
	v_cmp_gt_u32_e64 s3, s6, v5
	s_and_saveexec_b32 s7, s3
	s_cbranch_execz .LBB300_189
; %bb.188:
	v_lshlrev_b32_e32 v4, 2, v0
	global_load_b32 v4, v4, s[4:5] offset:3072
.LBB300_189:
	s_wait_alu 0xfffe
	s_or_b32 exec_lo, exec_lo, s7
	s_wait_loadcnt 0x0
	v_cndmask_b32_e32 v5, 0, v2, vcc_lo
	v_mbcnt_lo_u32_b32 v2, -1, 0
	v_cndmask_b32_e64 v3, 0, v3, s2
	v_cndmask_b32_e64 v4, 0, v4, s3
	s_min_u32 s2, s6, 0x100
	v_add_nc_u32_e32 v1, v5, v1
	v_cmp_ne_u32_e32 vcc_lo, 31, v2
	s_mov_b32 s3, exec_lo
	s_delay_alu instid0(VALU_DEP_2) | instskip(SKIP_4) | instid1(VALU_DEP_3)
	v_add3_u32 v1, v1, v3, v4
	s_wait_alu 0xfffd
	v_add_co_ci_u32_e64 v5, null, 0, v2, vcc_lo
	v_and_b32_e32 v4, 0xe0, v0
	v_cmp_gt_u32_e32 vcc_lo, 30, v2
	v_lshlrev_b32_e32 v3, 2, v5
	v_add_nc_u32_e32 v5, 1, v2
	s_wait_alu 0xfffe
	v_sub_nc_u32_e64 v4, s2, v4 clamp
	s_wait_alu 0xfffd
	v_cndmask_b32_e64 v6, 0, 2, vcc_lo
	ds_bpermute_b32 v3, v3, v1
	v_cmp_lt_u32_e32 vcc_lo, v5, v4
	v_add_lshl_u32 v5, v6, v2, 2
	s_wait_dscnt 0x0
	s_wait_alu 0xfffd
	v_cndmask_b32_e32 v3, 0, v3, vcc_lo
	v_cmp_gt_u32_e32 vcc_lo, 28, v2
	s_delay_alu instid0(VALU_DEP_2) | instskip(SKIP_4) | instid1(VALU_DEP_1)
	v_add_nc_u32_e32 v1, v3, v1
	s_wait_alu 0xfffd
	v_cndmask_b32_e64 v6, 0, 4, vcc_lo
	ds_bpermute_b32 v3, v5, v1
	v_add_nc_u32_e32 v5, 2, v2
	v_cmp_lt_u32_e32 vcc_lo, v5, v4
	v_add_lshl_u32 v5, v6, v2, 2
	s_wait_dscnt 0x0
	s_wait_alu 0xfffd
	v_cndmask_b32_e32 v3, 0, v3, vcc_lo
	v_cmp_gt_u32_e32 vcc_lo, 24, v2
	s_delay_alu instid0(VALU_DEP_2) | instskip(SKIP_4) | instid1(VALU_DEP_1)
	v_add_nc_u32_e32 v1, v1, v3
	s_wait_alu 0xfffd
	v_cndmask_b32_e64 v6, 0, 8, vcc_lo
	ds_bpermute_b32 v3, v5, v1
	v_add_nc_u32_e32 v5, 4, v2
	v_cmp_lt_u32_e32 vcc_lo, v5, v4
	v_add_lshl_u32 v5, v6, v2, 2
	s_wait_dscnt 0x0
	s_wait_alu 0xfffd
	v_dual_cndmask_b32 v3, 0, v3 :: v_dual_add_nc_u32 v6, 8, v2
	s_delay_alu instid0(VALU_DEP_1) | instskip(NEXT) | instid1(VALU_DEP_2)
	v_cmp_lt_u32_e32 vcc_lo, v6, v4
	v_add_nc_u32_e32 v1, v1, v3
	v_lshlrev_b32_e32 v3, 2, v2
	ds_bpermute_b32 v5, v5, v1
	v_or_b32_e32 v6, 64, v3
	s_wait_dscnt 0x0
	s_wait_alu 0xfffd
	v_cndmask_b32_e32 v5, 0, v5, vcc_lo
	s_delay_alu instid0(VALU_DEP_1) | instskip(SKIP_2) | instid1(VALU_DEP_1)
	v_add_nc_u32_e32 v1, v1, v5
	ds_bpermute_b32 v5, v6, v1
	v_add_nc_u32_e32 v6, 16, v2
	v_cmp_lt_u32_e32 vcc_lo, v6, v4
	s_wait_dscnt 0x0
	s_wait_alu 0xfffd
	v_cndmask_b32_e32 v4, 0, v5, vcc_lo
	s_delay_alu instid0(VALU_DEP_1)
	v_add_nc_u32_e32 v1, v1, v4
	v_cmpx_eq_u32_e32 0, v2
; %bb.190:
	v_lshrrev_b32_e32 v4, 3, v0
	s_delay_alu instid0(VALU_DEP_1)
	v_and_b32_e32 v4, 28, v4
	ds_store_b32 v4, v1 offset:192
; %bb.191:
	s_or_b32 exec_lo, exec_lo, s3
	s_delay_alu instid0(SALU_CYCLE_1)
	s_mov_b32 s3, exec_lo
	s_wait_dscnt 0x0
	s_barrier_signal -1
	s_barrier_wait -1
	global_inv scope:SCOPE_SE
	v_cmpx_gt_u32_e32 8, v0
	s_cbranch_execz .LBB300_193
; %bb.192:
	ds_load_b32 v1, v3 offset:192
	v_and_b32_e32 v4, 7, v2
	s_add_co_i32 s2, s2, 31
	s_wait_alu 0xfffe
	s_lshr_b32 s2, s2, 5
	s_delay_alu instid0(VALU_DEP_1) | instskip(SKIP_4) | instid1(VALU_DEP_2)
	v_cmp_ne_u32_e32 vcc_lo, 7, v4
	v_add_nc_u32_e32 v6, 1, v4
	s_wait_alu 0xfffd
	v_add_co_ci_u32_e64 v5, null, 0, v2, vcc_lo
	v_cmp_gt_u32_e32 vcc_lo, 6, v4
	v_lshlrev_b32_e32 v5, 2, v5
	s_wait_alu 0xfffd
	v_cndmask_b32_e64 v7, 0, 2, vcc_lo
	s_wait_alu 0xfffe
	v_cmp_gt_u32_e32 vcc_lo, s2, v6
	s_wait_dscnt 0x0
	ds_bpermute_b32 v5, v5, v1
	v_add_lshl_u32 v2, v7, v2, 2
	s_wait_dscnt 0x0
	s_wait_alu 0xfffd
	v_cndmask_b32_e32 v5, 0, v5, vcc_lo
	s_delay_alu instid0(VALU_DEP_1)
	v_add_nc_u32_e32 v1, v5, v1
	v_add_nc_u32_e32 v5, 2, v4
	ds_bpermute_b32 v2, v2, v1
	v_cmp_gt_u32_e32 vcc_lo, s2, v5
	s_wait_dscnt 0x0
	s_wait_alu 0xfffd
	v_cndmask_b32_e32 v2, 0, v2, vcc_lo
	s_delay_alu instid0(VALU_DEP_1)
	v_add_nc_u32_e32 v1, v1, v2
	v_or_b32_e32 v2, 16, v3
	v_add_nc_u32_e32 v3, 4, v4
	ds_bpermute_b32 v2, v2, v1
	v_cmp_gt_u32_e32 vcc_lo, s2, v3
	s_wait_dscnt 0x0
	s_wait_alu 0xfffd
	v_cndmask_b32_e32 v2, 0, v2, vcc_lo
	s_delay_alu instid0(VALU_DEP_1)
	v_add_nc_u32_e32 v1, v1, v2
.LBB300_193:
	s_wait_alu 0xfffe
	s_or_b32 exec_lo, exec_lo, s3
.LBB300_194:
	v_cmp_eq_u32_e64 s2, 0, v0
	s_branch .LBB300_178
.LBB300_195:
	s_cmp_eq_u32 s33, 2
	s_cbranch_scc0 .LBB300_202
; %bb.196:
	s_mov_b32 s35, 0
	s_lshl_b32 s4, s34, 9
	s_mov_b32 s5, s35
	s_lshr_b64 s[2:3], s[38:39], 9
	s_lshl_b64 s[6:7], s[4:5], 2
	s_cmp_lg_u64 s[2:3], s[34:35]
	s_add_nc_u64 s[2:3], s[36:37], s[6:7]
	s_cbranch_scc0 .LBB300_203
; %bb.197:
	v_lshlrev_b32_e32 v1, 2, v0
	s_mov_b32 s5, exec_lo
	s_clause 0x1
	global_load_b32 v2, v1, s[2:3]
	global_load_b32 v1, v1, s[2:3] offset:1024
	s_wait_loadcnt 0x0
	v_add_nc_u32_e32 v1, v1, v2
	s_delay_alu instid0(VALU_DEP_1) | instskip(NEXT) | instid1(VALU_DEP_1)
	v_mov_b32_dpp v2, v1 quad_perm:[1,0,3,2] row_mask:0xf bank_mask:0xf
	v_add_nc_u32_e32 v1, v2, v1
	s_delay_alu instid0(VALU_DEP_1) | instskip(NEXT) | instid1(VALU_DEP_1)
	v_mov_b32_dpp v2, v1 quad_perm:[2,3,0,1] row_mask:0xf bank_mask:0xf
	v_add_nc_u32_e32 v1, v1, v2
	s_delay_alu instid0(VALU_DEP_1) | instskip(NEXT) | instid1(VALU_DEP_1)
	v_mov_b32_dpp v2, v1 row_ror:4 row_mask:0xf bank_mask:0xf
	v_add_nc_u32_e32 v1, v1, v2
	s_delay_alu instid0(VALU_DEP_1) | instskip(NEXT) | instid1(VALU_DEP_1)
	v_mov_b32_dpp v2, v1 row_ror:8 row_mask:0xf bank_mask:0xf
	v_add_nc_u32_e32 v1, v1, v2
	ds_swizzle_b32 v2, v1 offset:swizzle(BROADCAST,32,15)
	s_wait_dscnt 0x0
	v_dual_mov_b32 v2, 0 :: v_dual_add_nc_u32 v1, v1, v2
	ds_bpermute_b32 v1, v2, v1 offset:124
	v_mbcnt_lo_u32_b32 v2, -1, 0
	s_delay_alu instid0(VALU_DEP_1)
	v_cmpx_eq_u32_e32 0, v2
	s_cbranch_execz .LBB300_199
; %bb.198:
	v_lshrrev_b32_e32 v3, 3, v0
	s_delay_alu instid0(VALU_DEP_1)
	v_and_b32_e32 v3, 28, v3
	s_wait_dscnt 0x0
	ds_store_b32 v3, v1 offset:64
.LBB300_199:
	s_or_b32 exec_lo, exec_lo, s5
	s_delay_alu instid0(SALU_CYCLE_1)
	s_mov_b32 s5, exec_lo
	s_wait_dscnt 0x0
	s_barrier_signal -1
	s_barrier_wait -1
	global_inv scope:SCOPE_SE
	v_cmpx_gt_u32_e32 32, v0
	s_cbranch_execz .LBB300_201
; %bb.200:
	v_and_b32_e32 v1, 7, v2
	s_delay_alu instid0(VALU_DEP_1) | instskip(SKIP_4) | instid1(VALU_DEP_2)
	v_lshlrev_b32_e32 v3, 2, v1
	v_cmp_ne_u32_e32 vcc_lo, 7, v1
	ds_load_b32 v3, v3 offset:64
	v_add_co_ci_u32_e64 v4, null, 0, v2, vcc_lo
	v_cmp_gt_u32_e32 vcc_lo, 6, v1
	v_lshlrev_b32_e32 v4, 2, v4
	s_wait_alu 0xfffd
	v_cndmask_b32_e64 v1, 0, 2, vcc_lo
	s_delay_alu instid0(VALU_DEP_1) | instskip(SKIP_1) | instid1(VALU_DEP_1)
	v_add_lshl_u32 v1, v1, v2, 2
	v_lshlrev_b32_e32 v2, 2, v2
	v_or_b32_e32 v2, 16, v2
	s_wait_dscnt 0x0
	ds_bpermute_b32 v4, v4, v3
	s_wait_dscnt 0x0
	v_add_nc_u32_e32 v3, v4, v3
	ds_bpermute_b32 v1, v1, v3
	s_wait_dscnt 0x0
	v_add_nc_u32_e32 v1, v1, v3
	;; [unrolled: 3-line block ×3, first 2 shown]
.LBB300_201:
	s_or_b32 exec_lo, exec_lo, s5
	s_mov_b32 s5, 0
	s_branch .LBB300_204
.LBB300_202:
                                        ; implicit-def: $vgpr1
	s_branch .LBB300_224
.LBB300_203:
	s_mov_b32 s5, -1
                                        ; implicit-def: $vgpr1
.LBB300_204:
	s_delay_alu instid0(SALU_CYCLE_1)
	s_and_b32 vcc_lo, exec_lo, s5
	s_wait_alu 0xfffe
	s_cbranch_vccz .LBB300_214
; %bb.205:
	v_mov_b32_e32 v1, 0
	s_sub_co_i32 s4, s38, s4
	s_mov_b32 s5, exec_lo
	s_delay_alu instid0(VALU_DEP_1)
	v_mov_b32_e32 v2, v1
	v_cmpx_gt_u32_e64 s4, v0
	s_cbranch_execz .LBB300_207
; %bb.206:
	v_dual_mov_b32 v3, v1 :: v_dual_lshlrev_b32 v2, 2, v0
	global_load_b32 v2, v2, s[2:3]
	s_wait_loadcnt 0x0
	v_mov_b32_e32 v1, v2
	v_mov_b32_e32 v2, v3
.LBB300_207:
	s_or_b32 exec_lo, exec_lo, s5
	v_or_b32_e32 v3, 0x100, v0
	s_delay_alu instid0(VALU_DEP_1)
	v_cmp_gt_u32_e32 vcc_lo, s4, v3
	s_and_saveexec_b32 s5, vcc_lo
	s_cbranch_execz .LBB300_209
; %bb.208:
	v_lshlrev_b32_e32 v2, 2, v0
	global_load_b32 v2, v2, s[2:3] offset:1024
.LBB300_209:
	s_wait_alu 0xfffe
	s_or_b32 exec_lo, exec_lo, s5
	v_mbcnt_lo_u32_b32 v3, -1, 0
	s_wait_loadcnt 0x0
	v_cndmask_b32_e32 v2, 0, v2, vcc_lo
	s_min_u32 s2, s4, 0x100
	s_mov_b32 s3, exec_lo
	v_cmp_ne_u32_e32 vcc_lo, 31, v3
	v_add_nc_u32_e32 v5, 1, v3
	v_add_nc_u32_e32 v1, v2, v1
	s_wait_alu 0xfffd
	v_add_co_ci_u32_e64 v4, null, 0, v3, vcc_lo
	v_cmp_gt_u32_e32 vcc_lo, 30, v3
	s_delay_alu instid0(VALU_DEP_2)
	v_lshlrev_b32_e32 v2, 2, v4
	v_and_b32_e32 v4, 0xe0, v0
	s_wait_alu 0xfffd
	v_cndmask_b32_e64 v6, 0, 2, vcc_lo
	ds_bpermute_b32 v2, v2, v1
	v_sub_nc_u32_e64 v4, s2, v4 clamp
	s_delay_alu instid0(VALU_DEP_1)
	v_cmp_lt_u32_e32 vcc_lo, v5, v4
	v_add_lshl_u32 v5, v6, v3, 2
	s_wait_dscnt 0x0
	s_wait_alu 0xfffd
	v_cndmask_b32_e32 v2, 0, v2, vcc_lo
	v_cmp_gt_u32_e32 vcc_lo, 28, v3
	s_delay_alu instid0(VALU_DEP_2) | instskip(SKIP_4) | instid1(VALU_DEP_1)
	v_add_nc_u32_e32 v1, v2, v1
	s_wait_alu 0xfffd
	v_cndmask_b32_e64 v6, 0, 4, vcc_lo
	ds_bpermute_b32 v2, v5, v1
	v_add_nc_u32_e32 v5, 2, v3
	v_cmp_lt_u32_e32 vcc_lo, v5, v4
	v_add_lshl_u32 v5, v6, v3, 2
	s_wait_dscnt 0x0
	s_wait_alu 0xfffd
	v_cndmask_b32_e32 v2, 0, v2, vcc_lo
	v_cmp_gt_u32_e32 vcc_lo, 24, v3
	s_delay_alu instid0(VALU_DEP_2) | instskip(SKIP_4) | instid1(VALU_DEP_1)
	v_add_nc_u32_e32 v1, v1, v2
	s_wait_alu 0xfffd
	v_cndmask_b32_e64 v6, 0, 8, vcc_lo
	ds_bpermute_b32 v2, v5, v1
	v_add_nc_u32_e32 v5, 4, v3
	v_cmp_lt_u32_e32 vcc_lo, v5, v4
	v_add_lshl_u32 v5, v6, v3, 2
	v_add_nc_u32_e32 v6, 8, v3
	s_wait_dscnt 0x0
	s_wait_alu 0xfffd
	v_cndmask_b32_e32 v2, 0, v2, vcc_lo
	s_delay_alu instid0(VALU_DEP_2) | instskip(NEXT) | instid1(VALU_DEP_2)
	v_cmp_lt_u32_e32 vcc_lo, v6, v4
	v_add_nc_u32_e32 v1, v1, v2
	v_lshlrev_b32_e32 v2, 2, v3
	ds_bpermute_b32 v5, v5, v1
	v_or_b32_e32 v6, 64, v2
	s_wait_dscnt 0x0
	s_wait_alu 0xfffd
	v_cndmask_b32_e32 v5, 0, v5, vcc_lo
	s_delay_alu instid0(VALU_DEP_1) | instskip(SKIP_2) | instid1(VALU_DEP_1)
	v_add_nc_u32_e32 v1, v1, v5
	ds_bpermute_b32 v5, v6, v1
	v_add_nc_u32_e32 v6, 16, v3
	v_cmp_lt_u32_e32 vcc_lo, v6, v4
	s_wait_dscnt 0x0
	s_wait_alu 0xfffd
	v_cndmask_b32_e32 v4, 0, v5, vcc_lo
	s_delay_alu instid0(VALU_DEP_1)
	v_add_nc_u32_e32 v1, v1, v4
	v_cmpx_eq_u32_e32 0, v3
; %bb.210:
	v_lshrrev_b32_e32 v4, 3, v0
	s_delay_alu instid0(VALU_DEP_1)
	v_and_b32_e32 v4, 28, v4
	ds_store_b32 v4, v1 offset:192
; %bb.211:
	s_or_b32 exec_lo, exec_lo, s3
	s_delay_alu instid0(SALU_CYCLE_1)
	s_mov_b32 s3, exec_lo
	s_wait_dscnt 0x0
	s_barrier_signal -1
	s_barrier_wait -1
	global_inv scope:SCOPE_SE
	v_cmpx_gt_u32_e32 8, v0
	s_cbranch_execz .LBB300_213
; %bb.212:
	ds_load_b32 v1, v2 offset:192
	v_and_b32_e32 v4, 7, v3
	s_add_co_i32 s2, s2, 31
	v_or_b32_e32 v2, 16, v2
	s_wait_alu 0xfffe
	s_lshr_b32 s2, s2, 5
	v_cmp_ne_u32_e32 vcc_lo, 7, v4
	v_add_nc_u32_e32 v6, 1, v4
	s_wait_alu 0xfffd
	v_add_co_ci_u32_e64 v5, null, 0, v3, vcc_lo
	v_cmp_gt_u32_e32 vcc_lo, 6, v4
	s_delay_alu instid0(VALU_DEP_2)
	v_lshlrev_b32_e32 v5, 2, v5
	s_wait_alu 0xfffd
	v_cndmask_b32_e64 v7, 0, 2, vcc_lo
	s_wait_alu 0xfffe
	v_cmp_gt_u32_e32 vcc_lo, s2, v6
	s_wait_dscnt 0x0
	ds_bpermute_b32 v5, v5, v1
	v_add_lshl_u32 v3, v7, v3, 2
	s_wait_dscnt 0x0
	s_wait_alu 0xfffd
	v_cndmask_b32_e32 v5, 0, v5, vcc_lo
	s_delay_alu instid0(VALU_DEP_1)
	v_add_nc_u32_e32 v1, v5, v1
	v_add_nc_u32_e32 v5, 2, v4
	ds_bpermute_b32 v3, v3, v1
	v_cmp_gt_u32_e32 vcc_lo, s2, v5
	s_wait_dscnt 0x0
	s_wait_alu 0xfffd
	v_cndmask_b32_e32 v3, 0, v3, vcc_lo
	s_delay_alu instid0(VALU_DEP_1)
	v_add_nc_u32_e32 v1, v1, v3
	v_add_nc_u32_e32 v3, 4, v4
	ds_bpermute_b32 v2, v2, v1
	v_cmp_gt_u32_e32 vcc_lo, s2, v3
	s_wait_dscnt 0x0
	s_wait_alu 0xfffd
	v_cndmask_b32_e32 v2, 0, v2, vcc_lo
	s_delay_alu instid0(VALU_DEP_1)
	v_add_nc_u32_e32 v1, v1, v2
.LBB300_213:
	s_wait_alu 0xfffe
	s_or_b32 exec_lo, exec_lo, s3
.LBB300_214:
	v_cmp_eq_u32_e64 s2, 0, v0
	s_branch .LBB300_224
.LBB300_215:
	s_cmp_eq_u32 s33, 1
	s_cbranch_scc0 .LBB300_223
; %bb.216:
	s_mov_b32 s3, 0
	v_mbcnt_lo_u32_b32 v2, -1, 0
	s_lshr_b64 s[4:5], s[38:39], 8
	s_mov_b32 s35, s3
	s_lshl_b32 s2, s34, 8
	s_cmp_lg_u64 s[4:5], s[34:35]
	s_cbranch_scc0 .LBB300_227
; %bb.217:
	v_lshlrev_b32_e32 v1, 2, v0
	s_lshl_b64 s[4:5], s[2:3], 2
	s_delay_alu instid0(SALU_CYCLE_1) | instskip(SKIP_4) | instid1(VALU_DEP_1)
	s_add_nc_u64 s[4:5], s[36:37], s[4:5]
	global_load_b32 v1, v1, s[4:5]
	s_mov_b32 s4, exec_lo
	s_wait_loadcnt 0x0
	v_mov_b32_dpp v3, v1 quad_perm:[1,0,3,2] row_mask:0xf bank_mask:0xf
	v_add_nc_u32_e32 v1, v3, v1
	s_delay_alu instid0(VALU_DEP_1) | instskip(NEXT) | instid1(VALU_DEP_1)
	v_mov_b32_dpp v3, v1 quad_perm:[2,3,0,1] row_mask:0xf bank_mask:0xf
	v_add_nc_u32_e32 v1, v1, v3
	s_delay_alu instid0(VALU_DEP_1) | instskip(NEXT) | instid1(VALU_DEP_1)
	v_mov_b32_dpp v3, v1 row_ror:4 row_mask:0xf bank_mask:0xf
	v_add_nc_u32_e32 v1, v1, v3
	s_delay_alu instid0(VALU_DEP_1) | instskip(NEXT) | instid1(VALU_DEP_1)
	v_mov_b32_dpp v3, v1 row_ror:8 row_mask:0xf bank_mask:0xf
	v_add_nc_u32_e32 v1, v1, v3
	ds_swizzle_b32 v3, v1 offset:swizzle(BROADCAST,32,15)
	s_wait_dscnt 0x0
	v_add_nc_u32_e32 v1, v1, v3
	v_mov_b32_e32 v3, 0
	ds_bpermute_b32 v1, v3, v1 offset:124
	v_cmpx_eq_u32_e32 0, v2
	s_cbranch_execz .LBB300_219
; %bb.218:
	v_lshrrev_b32_e32 v3, 3, v0
	s_delay_alu instid0(VALU_DEP_1)
	v_and_b32_e32 v3, 28, v3
	s_wait_dscnt 0x0
	ds_store_b32 v3, v1 offset:32
.LBB300_219:
	s_or_b32 exec_lo, exec_lo, s4
	s_delay_alu instid0(SALU_CYCLE_1)
	s_mov_b32 s4, exec_lo
	s_wait_dscnt 0x0
	s_barrier_signal -1
	s_barrier_wait -1
	global_inv scope:SCOPE_SE
	v_cmpx_gt_u32_e32 32, v0
	s_cbranch_execz .LBB300_221
; %bb.220:
	v_and_b32_e32 v1, 7, v2
	s_delay_alu instid0(VALU_DEP_1) | instskip(SKIP_4) | instid1(VALU_DEP_2)
	v_lshlrev_b32_e32 v3, 2, v1
	v_cmp_ne_u32_e32 vcc_lo, 7, v1
	ds_load_b32 v3, v3 offset:32
	v_add_co_ci_u32_e64 v4, null, 0, v2, vcc_lo
	v_cmp_gt_u32_e32 vcc_lo, 6, v1
	v_lshlrev_b32_e32 v4, 2, v4
	s_wait_alu 0xfffd
	v_cndmask_b32_e64 v1, 0, 2, vcc_lo
	s_delay_alu instid0(VALU_DEP_1)
	v_add_lshl_u32 v1, v1, v2, 2
	s_wait_dscnt 0x0
	ds_bpermute_b32 v4, v4, v3
	s_wait_dscnt 0x0
	v_add_nc_u32_e32 v3, v4, v3
	v_lshlrev_b32_e32 v4, 2, v2
	ds_bpermute_b32 v1, v1, v3
	s_wait_dscnt 0x0
	v_add_nc_u32_e32 v1, v1, v3
	v_or_b32_e32 v3, 16, v4
	ds_bpermute_b32 v3, v3, v1
	s_wait_dscnt 0x0
	v_add_nc_u32_e32 v1, v3, v1
.LBB300_221:
	s_or_b32 exec_lo, exec_lo, s4
.LBB300_222:
	v_cmp_eq_u32_e64 s2, 0, v0
	s_and_saveexec_b32 s3, s2
	s_cbranch_execnz .LBB300_225
	s_branch .LBB300_226
.LBB300_223:
                                        ; implicit-def: $vgpr1
                                        ; implicit-def: $sgpr34_sgpr35
.LBB300_224:
	s_delay_alu instid0(VALU_DEP_1)
	s_and_saveexec_b32 s3, s2
	s_cbranch_execz .LBB300_226
.LBB300_225:
	s_load_b96 s[0:2], s[0:1], 0x18
	s_lshl_b64 s[4:5], s[34:35], 2
	s_cmp_lg_u64 s[38:39], 0
	s_cselect_b32 vcc_lo, -1, 0
	s_wait_alu 0xfffe
	v_dual_cndmask_b32 v0, 0, v1 :: v_dual_mov_b32 v1, 0
	s_wait_kmcnt 0x0
	s_delay_alu instid0(VALU_DEP_1)
	v_add_nc_u32_e32 v0, s2, v0
	s_add_nc_u64 s[0:1], s[0:1], s[4:5]
	global_store_b32 v1, v0, s[0:1]
.LBB300_226:
	s_endpgm
.LBB300_227:
                                        ; implicit-def: $vgpr1
	s_cbranch_execz .LBB300_222
; %bb.228:
	s_sub_co_i32 s4, s38, s2
	s_mov_b32 s5, exec_lo
                                        ; implicit-def: $vgpr1
	v_cmpx_gt_u32_e64 s4, v0
	s_cbranch_execz .LBB300_230
; %bb.229:
	v_lshlrev_b32_e32 v1, 2, v0
	s_lshl_b64 s[2:3], s[2:3], 2
	s_delay_alu instid0(SALU_CYCLE_1)
	s_add_nc_u64 s[2:3], s[36:37], s[2:3]
	global_load_b32 v1, v1, s[2:3]
.LBB300_230:
	s_or_b32 exec_lo, exec_lo, s5
	v_cmp_ne_u32_e32 vcc_lo, 31, v2
	s_min_u32 s2, s4, 0x100
	v_add_nc_u32_e32 v5, 1, v2
	s_mov_b32 s3, exec_lo
	v_add_co_ci_u32_e64 v3, null, 0, v2, vcc_lo
	v_cmp_gt_u32_e32 vcc_lo, 30, v2
	s_delay_alu instid0(VALU_DEP_2)
	v_lshlrev_b32_e32 v3, 2, v3
	s_wait_alu 0xfffd
	v_cndmask_b32_e64 v6, 0, 2, vcc_lo
	s_wait_loadcnt 0x0
	ds_bpermute_b32 v3, v3, v1
	v_and_b32_e32 v4, 0xe0, v0
	s_delay_alu instid0(VALU_DEP_1) | instskip(NEXT) | instid1(VALU_DEP_1)
	v_sub_nc_u32_e64 v4, s2, v4 clamp
	v_cmp_lt_u32_e32 vcc_lo, v5, v4
	v_add_lshl_u32 v5, v6, v2, 2
	s_wait_dscnt 0x0
	s_wait_alu 0xfffd
	v_cndmask_b32_e32 v3, 0, v3, vcc_lo
	v_cmp_gt_u32_e32 vcc_lo, 28, v2
	s_delay_alu instid0(VALU_DEP_2) | instskip(SKIP_4) | instid1(VALU_DEP_1)
	v_add_nc_u32_e32 v1, v3, v1
	s_wait_alu 0xfffd
	v_cndmask_b32_e64 v6, 0, 4, vcc_lo
	ds_bpermute_b32 v3, v5, v1
	v_add_nc_u32_e32 v5, 2, v2
	v_cmp_lt_u32_e32 vcc_lo, v5, v4
	v_add_lshl_u32 v5, v6, v2, 2
	s_wait_dscnt 0x0
	s_wait_alu 0xfffd
	v_cndmask_b32_e32 v3, 0, v3, vcc_lo
	v_cmp_gt_u32_e32 vcc_lo, 24, v2
	s_delay_alu instid0(VALU_DEP_2) | instskip(SKIP_4) | instid1(VALU_DEP_1)
	v_add_nc_u32_e32 v1, v1, v3
	s_wait_alu 0xfffd
	v_cndmask_b32_e64 v6, 0, 8, vcc_lo
	ds_bpermute_b32 v3, v5, v1
	v_add_nc_u32_e32 v5, 4, v2
	v_cmp_lt_u32_e32 vcc_lo, v5, v4
	v_add_lshl_u32 v5, v6, v2, 2
	s_wait_dscnt 0x0
	s_wait_alu 0xfffd
	v_dual_cndmask_b32 v3, 0, v3 :: v_dual_add_nc_u32 v6, 8, v2
	s_delay_alu instid0(VALU_DEP_1) | instskip(NEXT) | instid1(VALU_DEP_2)
	v_cmp_lt_u32_e32 vcc_lo, v6, v4
	v_add_nc_u32_e32 v1, v1, v3
	v_lshlrev_b32_e32 v3, 2, v2
	ds_bpermute_b32 v5, v5, v1
	v_or_b32_e32 v6, 64, v3
	s_wait_dscnt 0x0
	s_wait_alu 0xfffd
	v_cndmask_b32_e32 v5, 0, v5, vcc_lo
	s_delay_alu instid0(VALU_DEP_1) | instskip(SKIP_2) | instid1(VALU_DEP_1)
	v_add_nc_u32_e32 v1, v1, v5
	ds_bpermute_b32 v5, v6, v1
	v_add_nc_u32_e32 v6, 16, v2
	v_cmp_lt_u32_e32 vcc_lo, v6, v4
	s_wait_dscnt 0x0
	s_wait_alu 0xfffd
	v_cndmask_b32_e32 v4, 0, v5, vcc_lo
	s_delay_alu instid0(VALU_DEP_1)
	v_add_nc_u32_e32 v1, v1, v4
	v_cmpx_eq_u32_e32 0, v2
; %bb.231:
	v_lshrrev_b32_e32 v4, 3, v0
	s_delay_alu instid0(VALU_DEP_1)
	v_and_b32_e32 v4, 28, v4
	ds_store_b32 v4, v1 offset:192
; %bb.232:
	s_or_b32 exec_lo, exec_lo, s3
	s_delay_alu instid0(SALU_CYCLE_1)
	s_mov_b32 s3, exec_lo
	s_wait_dscnt 0x0
	s_barrier_signal -1
	s_barrier_wait -1
	global_inv scope:SCOPE_SE
	v_cmpx_gt_u32_e32 8, v0
	s_cbranch_execz .LBB300_234
; %bb.233:
	ds_load_b32 v1, v3 offset:192
	v_and_b32_e32 v4, 7, v2
	s_add_co_i32 s2, s2, 31
	s_wait_alu 0xfffe
	s_lshr_b32 s2, s2, 5
	s_delay_alu instid0(VALU_DEP_1) | instskip(SKIP_4) | instid1(VALU_DEP_2)
	v_cmp_ne_u32_e32 vcc_lo, 7, v4
	v_add_nc_u32_e32 v6, 1, v4
	s_wait_alu 0xfffd
	v_add_co_ci_u32_e64 v5, null, 0, v2, vcc_lo
	v_cmp_gt_u32_e32 vcc_lo, 6, v4
	v_lshlrev_b32_e32 v5, 2, v5
	s_wait_alu 0xfffd
	v_cndmask_b32_e64 v7, 0, 2, vcc_lo
	s_wait_alu 0xfffe
	v_cmp_gt_u32_e32 vcc_lo, s2, v6
	s_wait_dscnt 0x0
	ds_bpermute_b32 v5, v5, v1
	v_add_lshl_u32 v2, v7, v2, 2
	s_wait_dscnt 0x0
	s_wait_alu 0xfffd
	v_cndmask_b32_e32 v5, 0, v5, vcc_lo
	s_delay_alu instid0(VALU_DEP_1)
	v_add_nc_u32_e32 v1, v5, v1
	v_add_nc_u32_e32 v5, 2, v4
	ds_bpermute_b32 v2, v2, v1
	v_cmp_gt_u32_e32 vcc_lo, s2, v5
	s_wait_dscnt 0x0
	s_wait_alu 0xfffd
	v_cndmask_b32_e32 v2, 0, v2, vcc_lo
	s_delay_alu instid0(VALU_DEP_1)
	v_add_nc_u32_e32 v1, v1, v2
	v_or_b32_e32 v2, 16, v3
	v_add_nc_u32_e32 v3, 4, v4
	ds_bpermute_b32 v2, v2, v1
	v_cmp_gt_u32_e32 vcc_lo, s2, v3
	s_wait_dscnt 0x0
	s_wait_alu 0xfffd
	v_cndmask_b32_e32 v2, 0, v2, vcc_lo
	s_delay_alu instid0(VALU_DEP_1)
	v_add_nc_u32_e32 v1, v1, v2
.LBB300_234:
	s_wait_alu 0xfffe
	s_or_b32 exec_lo, exec_lo, s3
	v_cmp_eq_u32_e64 s2, 0, v0
	s_and_saveexec_b32 s3, s2
	s_cbranch_execnz .LBB300_225
	s_branch .LBB300_226
	.section	.rodata,"a",@progbits
	.p2align	6, 0x0
	.amdhsa_kernel _ZN7rocprim17ROCPRIM_400000_NS6detail17trampoline_kernelINS0_14default_configENS1_22reduce_config_selectorIiEEZNS1_11reduce_implILb1ES3_PiS7_iN6hipcub16HIPCUB_304000_NS6detail34convert_binary_result_type_wrapperINS9_3SumENS9_22TransformInputIteratorIbN2at6native12_GLOBAL__N_19NonZeroOpIsEEPKslEEiEEEE10hipError_tPvRmT1_T2_T3_mT4_P12ihipStream_tbEUlT_E1_NS1_11comp_targetILNS1_3genE10ELNS1_11target_archE1201ELNS1_3gpuE5ELNS1_3repE0EEENS1_30default_config_static_selectorELNS0_4arch9wavefront6targetE0EEEvSQ_
		.amdhsa_group_segment_fixed_size 224
		.amdhsa_private_segment_fixed_size 0
		.amdhsa_kernarg_size 40
		.amdhsa_user_sgpr_count 2
		.amdhsa_user_sgpr_dispatch_ptr 0
		.amdhsa_user_sgpr_queue_ptr 0
		.amdhsa_user_sgpr_kernarg_segment_ptr 1
		.amdhsa_user_sgpr_dispatch_id 0
		.amdhsa_user_sgpr_private_segment_size 0
		.amdhsa_wavefront_size32 1
		.amdhsa_uses_dynamic_stack 0
		.amdhsa_enable_private_segment 0
		.amdhsa_system_sgpr_workgroup_id_x 1
		.amdhsa_system_sgpr_workgroup_id_y 0
		.amdhsa_system_sgpr_workgroup_id_z 0
		.amdhsa_system_sgpr_workgroup_info 0
		.amdhsa_system_vgpr_workitem_id 0
		.amdhsa_next_free_vgpr 34
		.amdhsa_next_free_sgpr 45
		.amdhsa_reserve_vcc 1
		.amdhsa_float_round_mode_32 0
		.amdhsa_float_round_mode_16_64 0
		.amdhsa_float_denorm_mode_32 3
		.amdhsa_float_denorm_mode_16_64 3
		.amdhsa_fp16_overflow 0
		.amdhsa_workgroup_processor_mode 1
		.amdhsa_memory_ordered 1
		.amdhsa_forward_progress 1
		.amdhsa_inst_pref_size 93
		.amdhsa_round_robin_scheduling 0
		.amdhsa_exception_fp_ieee_invalid_op 0
		.amdhsa_exception_fp_denorm_src 0
		.amdhsa_exception_fp_ieee_div_zero 0
		.amdhsa_exception_fp_ieee_overflow 0
		.amdhsa_exception_fp_ieee_underflow 0
		.amdhsa_exception_fp_ieee_inexact 0
		.amdhsa_exception_int_div_zero 0
	.end_amdhsa_kernel
	.section	.text._ZN7rocprim17ROCPRIM_400000_NS6detail17trampoline_kernelINS0_14default_configENS1_22reduce_config_selectorIiEEZNS1_11reduce_implILb1ES3_PiS7_iN6hipcub16HIPCUB_304000_NS6detail34convert_binary_result_type_wrapperINS9_3SumENS9_22TransformInputIteratorIbN2at6native12_GLOBAL__N_19NonZeroOpIsEEPKslEEiEEEE10hipError_tPvRmT1_T2_T3_mT4_P12ihipStream_tbEUlT_E1_NS1_11comp_targetILNS1_3genE10ELNS1_11target_archE1201ELNS1_3gpuE5ELNS1_3repE0EEENS1_30default_config_static_selectorELNS0_4arch9wavefront6targetE0EEEvSQ_,"axG",@progbits,_ZN7rocprim17ROCPRIM_400000_NS6detail17trampoline_kernelINS0_14default_configENS1_22reduce_config_selectorIiEEZNS1_11reduce_implILb1ES3_PiS7_iN6hipcub16HIPCUB_304000_NS6detail34convert_binary_result_type_wrapperINS9_3SumENS9_22TransformInputIteratorIbN2at6native12_GLOBAL__N_19NonZeroOpIsEEPKslEEiEEEE10hipError_tPvRmT1_T2_T3_mT4_P12ihipStream_tbEUlT_E1_NS1_11comp_targetILNS1_3genE10ELNS1_11target_archE1201ELNS1_3gpuE5ELNS1_3repE0EEENS1_30default_config_static_selectorELNS0_4arch9wavefront6targetE0EEEvSQ_,comdat
.Lfunc_end300:
	.size	_ZN7rocprim17ROCPRIM_400000_NS6detail17trampoline_kernelINS0_14default_configENS1_22reduce_config_selectorIiEEZNS1_11reduce_implILb1ES3_PiS7_iN6hipcub16HIPCUB_304000_NS6detail34convert_binary_result_type_wrapperINS9_3SumENS9_22TransformInputIteratorIbN2at6native12_GLOBAL__N_19NonZeroOpIsEEPKslEEiEEEE10hipError_tPvRmT1_T2_T3_mT4_P12ihipStream_tbEUlT_E1_NS1_11comp_targetILNS1_3genE10ELNS1_11target_archE1201ELNS1_3gpuE5ELNS1_3repE0EEENS1_30default_config_static_selectorELNS0_4arch9wavefront6targetE0EEEvSQ_, .Lfunc_end300-_ZN7rocprim17ROCPRIM_400000_NS6detail17trampoline_kernelINS0_14default_configENS1_22reduce_config_selectorIiEEZNS1_11reduce_implILb1ES3_PiS7_iN6hipcub16HIPCUB_304000_NS6detail34convert_binary_result_type_wrapperINS9_3SumENS9_22TransformInputIteratorIbN2at6native12_GLOBAL__N_19NonZeroOpIsEEPKslEEiEEEE10hipError_tPvRmT1_T2_T3_mT4_P12ihipStream_tbEUlT_E1_NS1_11comp_targetILNS1_3genE10ELNS1_11target_archE1201ELNS1_3gpuE5ELNS1_3repE0EEENS1_30default_config_static_selectorELNS0_4arch9wavefront6targetE0EEEvSQ_
                                        ; -- End function
	.set _ZN7rocprim17ROCPRIM_400000_NS6detail17trampoline_kernelINS0_14default_configENS1_22reduce_config_selectorIiEEZNS1_11reduce_implILb1ES3_PiS7_iN6hipcub16HIPCUB_304000_NS6detail34convert_binary_result_type_wrapperINS9_3SumENS9_22TransformInputIteratorIbN2at6native12_GLOBAL__N_19NonZeroOpIsEEPKslEEiEEEE10hipError_tPvRmT1_T2_T3_mT4_P12ihipStream_tbEUlT_E1_NS1_11comp_targetILNS1_3genE10ELNS1_11target_archE1201ELNS1_3gpuE5ELNS1_3repE0EEENS1_30default_config_static_selectorELNS0_4arch9wavefront6targetE0EEEvSQ_.num_vgpr, 34
	.set _ZN7rocprim17ROCPRIM_400000_NS6detail17trampoline_kernelINS0_14default_configENS1_22reduce_config_selectorIiEEZNS1_11reduce_implILb1ES3_PiS7_iN6hipcub16HIPCUB_304000_NS6detail34convert_binary_result_type_wrapperINS9_3SumENS9_22TransformInputIteratorIbN2at6native12_GLOBAL__N_19NonZeroOpIsEEPKslEEiEEEE10hipError_tPvRmT1_T2_T3_mT4_P12ihipStream_tbEUlT_E1_NS1_11comp_targetILNS1_3genE10ELNS1_11target_archE1201ELNS1_3gpuE5ELNS1_3repE0EEENS1_30default_config_static_selectorELNS0_4arch9wavefront6targetE0EEEvSQ_.num_agpr, 0
	.set _ZN7rocprim17ROCPRIM_400000_NS6detail17trampoline_kernelINS0_14default_configENS1_22reduce_config_selectorIiEEZNS1_11reduce_implILb1ES3_PiS7_iN6hipcub16HIPCUB_304000_NS6detail34convert_binary_result_type_wrapperINS9_3SumENS9_22TransformInputIteratorIbN2at6native12_GLOBAL__N_19NonZeroOpIsEEPKslEEiEEEE10hipError_tPvRmT1_T2_T3_mT4_P12ihipStream_tbEUlT_E1_NS1_11comp_targetILNS1_3genE10ELNS1_11target_archE1201ELNS1_3gpuE5ELNS1_3repE0EEENS1_30default_config_static_selectorELNS0_4arch9wavefront6targetE0EEEvSQ_.numbered_sgpr, 45
	.set _ZN7rocprim17ROCPRIM_400000_NS6detail17trampoline_kernelINS0_14default_configENS1_22reduce_config_selectorIiEEZNS1_11reduce_implILb1ES3_PiS7_iN6hipcub16HIPCUB_304000_NS6detail34convert_binary_result_type_wrapperINS9_3SumENS9_22TransformInputIteratorIbN2at6native12_GLOBAL__N_19NonZeroOpIsEEPKslEEiEEEE10hipError_tPvRmT1_T2_T3_mT4_P12ihipStream_tbEUlT_E1_NS1_11comp_targetILNS1_3genE10ELNS1_11target_archE1201ELNS1_3gpuE5ELNS1_3repE0EEENS1_30default_config_static_selectorELNS0_4arch9wavefront6targetE0EEEvSQ_.num_named_barrier, 0
	.set _ZN7rocprim17ROCPRIM_400000_NS6detail17trampoline_kernelINS0_14default_configENS1_22reduce_config_selectorIiEEZNS1_11reduce_implILb1ES3_PiS7_iN6hipcub16HIPCUB_304000_NS6detail34convert_binary_result_type_wrapperINS9_3SumENS9_22TransformInputIteratorIbN2at6native12_GLOBAL__N_19NonZeroOpIsEEPKslEEiEEEE10hipError_tPvRmT1_T2_T3_mT4_P12ihipStream_tbEUlT_E1_NS1_11comp_targetILNS1_3genE10ELNS1_11target_archE1201ELNS1_3gpuE5ELNS1_3repE0EEENS1_30default_config_static_selectorELNS0_4arch9wavefront6targetE0EEEvSQ_.private_seg_size, 0
	.set _ZN7rocprim17ROCPRIM_400000_NS6detail17trampoline_kernelINS0_14default_configENS1_22reduce_config_selectorIiEEZNS1_11reduce_implILb1ES3_PiS7_iN6hipcub16HIPCUB_304000_NS6detail34convert_binary_result_type_wrapperINS9_3SumENS9_22TransformInputIteratorIbN2at6native12_GLOBAL__N_19NonZeroOpIsEEPKslEEiEEEE10hipError_tPvRmT1_T2_T3_mT4_P12ihipStream_tbEUlT_E1_NS1_11comp_targetILNS1_3genE10ELNS1_11target_archE1201ELNS1_3gpuE5ELNS1_3repE0EEENS1_30default_config_static_selectorELNS0_4arch9wavefront6targetE0EEEvSQ_.uses_vcc, 1
	.set _ZN7rocprim17ROCPRIM_400000_NS6detail17trampoline_kernelINS0_14default_configENS1_22reduce_config_selectorIiEEZNS1_11reduce_implILb1ES3_PiS7_iN6hipcub16HIPCUB_304000_NS6detail34convert_binary_result_type_wrapperINS9_3SumENS9_22TransformInputIteratorIbN2at6native12_GLOBAL__N_19NonZeroOpIsEEPKslEEiEEEE10hipError_tPvRmT1_T2_T3_mT4_P12ihipStream_tbEUlT_E1_NS1_11comp_targetILNS1_3genE10ELNS1_11target_archE1201ELNS1_3gpuE5ELNS1_3repE0EEENS1_30default_config_static_selectorELNS0_4arch9wavefront6targetE0EEEvSQ_.uses_flat_scratch, 0
	.set _ZN7rocprim17ROCPRIM_400000_NS6detail17trampoline_kernelINS0_14default_configENS1_22reduce_config_selectorIiEEZNS1_11reduce_implILb1ES3_PiS7_iN6hipcub16HIPCUB_304000_NS6detail34convert_binary_result_type_wrapperINS9_3SumENS9_22TransformInputIteratorIbN2at6native12_GLOBAL__N_19NonZeroOpIsEEPKslEEiEEEE10hipError_tPvRmT1_T2_T3_mT4_P12ihipStream_tbEUlT_E1_NS1_11comp_targetILNS1_3genE10ELNS1_11target_archE1201ELNS1_3gpuE5ELNS1_3repE0EEENS1_30default_config_static_selectorELNS0_4arch9wavefront6targetE0EEEvSQ_.has_dyn_sized_stack, 0
	.set _ZN7rocprim17ROCPRIM_400000_NS6detail17trampoline_kernelINS0_14default_configENS1_22reduce_config_selectorIiEEZNS1_11reduce_implILb1ES3_PiS7_iN6hipcub16HIPCUB_304000_NS6detail34convert_binary_result_type_wrapperINS9_3SumENS9_22TransformInputIteratorIbN2at6native12_GLOBAL__N_19NonZeroOpIsEEPKslEEiEEEE10hipError_tPvRmT1_T2_T3_mT4_P12ihipStream_tbEUlT_E1_NS1_11comp_targetILNS1_3genE10ELNS1_11target_archE1201ELNS1_3gpuE5ELNS1_3repE0EEENS1_30default_config_static_selectorELNS0_4arch9wavefront6targetE0EEEvSQ_.has_recursion, 0
	.set _ZN7rocprim17ROCPRIM_400000_NS6detail17trampoline_kernelINS0_14default_configENS1_22reduce_config_selectorIiEEZNS1_11reduce_implILb1ES3_PiS7_iN6hipcub16HIPCUB_304000_NS6detail34convert_binary_result_type_wrapperINS9_3SumENS9_22TransformInputIteratorIbN2at6native12_GLOBAL__N_19NonZeroOpIsEEPKslEEiEEEE10hipError_tPvRmT1_T2_T3_mT4_P12ihipStream_tbEUlT_E1_NS1_11comp_targetILNS1_3genE10ELNS1_11target_archE1201ELNS1_3gpuE5ELNS1_3repE0EEENS1_30default_config_static_selectorELNS0_4arch9wavefront6targetE0EEEvSQ_.has_indirect_call, 0
	.section	.AMDGPU.csdata,"",@progbits
; Kernel info:
; codeLenInByte = 11904
; TotalNumSgprs: 47
; NumVgprs: 34
; ScratchSize: 0
; MemoryBound: 0
; FloatMode: 240
; IeeeMode: 1
; LDSByteSize: 224 bytes/workgroup (compile time only)
; SGPRBlocks: 0
; VGPRBlocks: 4
; NumSGPRsForWavesPerEU: 47
; NumVGPRsForWavesPerEU: 34
; Occupancy: 16
; WaveLimiterHint : 1
; COMPUTE_PGM_RSRC2:SCRATCH_EN: 0
; COMPUTE_PGM_RSRC2:USER_SGPR: 2
; COMPUTE_PGM_RSRC2:TRAP_HANDLER: 0
; COMPUTE_PGM_RSRC2:TGID_X_EN: 1
; COMPUTE_PGM_RSRC2:TGID_Y_EN: 0
; COMPUTE_PGM_RSRC2:TGID_Z_EN: 0
; COMPUTE_PGM_RSRC2:TIDIG_COMP_CNT: 0
	.section	.text._ZN7rocprim17ROCPRIM_400000_NS6detail17trampoline_kernelINS0_14default_configENS1_22reduce_config_selectorIiEEZNS1_11reduce_implILb1ES3_PiS7_iN6hipcub16HIPCUB_304000_NS6detail34convert_binary_result_type_wrapperINS9_3SumENS9_22TransformInputIteratorIbN2at6native12_GLOBAL__N_19NonZeroOpIsEEPKslEEiEEEE10hipError_tPvRmT1_T2_T3_mT4_P12ihipStream_tbEUlT_E1_NS1_11comp_targetILNS1_3genE10ELNS1_11target_archE1200ELNS1_3gpuE4ELNS1_3repE0EEENS1_30default_config_static_selectorELNS0_4arch9wavefront6targetE0EEEvSQ_,"axG",@progbits,_ZN7rocprim17ROCPRIM_400000_NS6detail17trampoline_kernelINS0_14default_configENS1_22reduce_config_selectorIiEEZNS1_11reduce_implILb1ES3_PiS7_iN6hipcub16HIPCUB_304000_NS6detail34convert_binary_result_type_wrapperINS9_3SumENS9_22TransformInputIteratorIbN2at6native12_GLOBAL__N_19NonZeroOpIsEEPKslEEiEEEE10hipError_tPvRmT1_T2_T3_mT4_P12ihipStream_tbEUlT_E1_NS1_11comp_targetILNS1_3genE10ELNS1_11target_archE1200ELNS1_3gpuE4ELNS1_3repE0EEENS1_30default_config_static_selectorELNS0_4arch9wavefront6targetE0EEEvSQ_,comdat
	.globl	_ZN7rocprim17ROCPRIM_400000_NS6detail17trampoline_kernelINS0_14default_configENS1_22reduce_config_selectorIiEEZNS1_11reduce_implILb1ES3_PiS7_iN6hipcub16HIPCUB_304000_NS6detail34convert_binary_result_type_wrapperINS9_3SumENS9_22TransformInputIteratorIbN2at6native12_GLOBAL__N_19NonZeroOpIsEEPKslEEiEEEE10hipError_tPvRmT1_T2_T3_mT4_P12ihipStream_tbEUlT_E1_NS1_11comp_targetILNS1_3genE10ELNS1_11target_archE1200ELNS1_3gpuE4ELNS1_3repE0EEENS1_30default_config_static_selectorELNS0_4arch9wavefront6targetE0EEEvSQ_ ; -- Begin function _ZN7rocprim17ROCPRIM_400000_NS6detail17trampoline_kernelINS0_14default_configENS1_22reduce_config_selectorIiEEZNS1_11reduce_implILb1ES3_PiS7_iN6hipcub16HIPCUB_304000_NS6detail34convert_binary_result_type_wrapperINS9_3SumENS9_22TransformInputIteratorIbN2at6native12_GLOBAL__N_19NonZeroOpIsEEPKslEEiEEEE10hipError_tPvRmT1_T2_T3_mT4_P12ihipStream_tbEUlT_E1_NS1_11comp_targetILNS1_3genE10ELNS1_11target_archE1200ELNS1_3gpuE4ELNS1_3repE0EEENS1_30default_config_static_selectorELNS0_4arch9wavefront6targetE0EEEvSQ_
	.p2align	8
	.type	_ZN7rocprim17ROCPRIM_400000_NS6detail17trampoline_kernelINS0_14default_configENS1_22reduce_config_selectorIiEEZNS1_11reduce_implILb1ES3_PiS7_iN6hipcub16HIPCUB_304000_NS6detail34convert_binary_result_type_wrapperINS9_3SumENS9_22TransformInputIteratorIbN2at6native12_GLOBAL__N_19NonZeroOpIsEEPKslEEiEEEE10hipError_tPvRmT1_T2_T3_mT4_P12ihipStream_tbEUlT_E1_NS1_11comp_targetILNS1_3genE10ELNS1_11target_archE1200ELNS1_3gpuE4ELNS1_3repE0EEENS1_30default_config_static_selectorELNS0_4arch9wavefront6targetE0EEEvSQ_,@function
_ZN7rocprim17ROCPRIM_400000_NS6detail17trampoline_kernelINS0_14default_configENS1_22reduce_config_selectorIiEEZNS1_11reduce_implILb1ES3_PiS7_iN6hipcub16HIPCUB_304000_NS6detail34convert_binary_result_type_wrapperINS9_3SumENS9_22TransformInputIteratorIbN2at6native12_GLOBAL__N_19NonZeroOpIsEEPKslEEiEEEE10hipError_tPvRmT1_T2_T3_mT4_P12ihipStream_tbEUlT_E1_NS1_11comp_targetILNS1_3genE10ELNS1_11target_archE1200ELNS1_3gpuE4ELNS1_3repE0EEENS1_30default_config_static_selectorELNS0_4arch9wavefront6targetE0EEEvSQ_: ; @_ZN7rocprim17ROCPRIM_400000_NS6detail17trampoline_kernelINS0_14default_configENS1_22reduce_config_selectorIiEEZNS1_11reduce_implILb1ES3_PiS7_iN6hipcub16HIPCUB_304000_NS6detail34convert_binary_result_type_wrapperINS9_3SumENS9_22TransformInputIteratorIbN2at6native12_GLOBAL__N_19NonZeroOpIsEEPKslEEiEEEE10hipError_tPvRmT1_T2_T3_mT4_P12ihipStream_tbEUlT_E1_NS1_11comp_targetILNS1_3genE10ELNS1_11target_archE1200ELNS1_3gpuE4ELNS1_3repE0EEENS1_30default_config_static_selectorELNS0_4arch9wavefront6targetE0EEEvSQ_
; %bb.0:
	.section	.rodata,"a",@progbits
	.p2align	6, 0x0
	.amdhsa_kernel _ZN7rocprim17ROCPRIM_400000_NS6detail17trampoline_kernelINS0_14default_configENS1_22reduce_config_selectorIiEEZNS1_11reduce_implILb1ES3_PiS7_iN6hipcub16HIPCUB_304000_NS6detail34convert_binary_result_type_wrapperINS9_3SumENS9_22TransformInputIteratorIbN2at6native12_GLOBAL__N_19NonZeroOpIsEEPKslEEiEEEE10hipError_tPvRmT1_T2_T3_mT4_P12ihipStream_tbEUlT_E1_NS1_11comp_targetILNS1_3genE10ELNS1_11target_archE1200ELNS1_3gpuE4ELNS1_3repE0EEENS1_30default_config_static_selectorELNS0_4arch9wavefront6targetE0EEEvSQ_
		.amdhsa_group_segment_fixed_size 0
		.amdhsa_private_segment_fixed_size 0
		.amdhsa_kernarg_size 40
		.amdhsa_user_sgpr_count 2
		.amdhsa_user_sgpr_dispatch_ptr 0
		.amdhsa_user_sgpr_queue_ptr 0
		.amdhsa_user_sgpr_kernarg_segment_ptr 1
		.amdhsa_user_sgpr_dispatch_id 0
		.amdhsa_user_sgpr_private_segment_size 0
		.amdhsa_wavefront_size32 1
		.amdhsa_uses_dynamic_stack 0
		.amdhsa_enable_private_segment 0
		.amdhsa_system_sgpr_workgroup_id_x 1
		.amdhsa_system_sgpr_workgroup_id_y 0
		.amdhsa_system_sgpr_workgroup_id_z 0
		.amdhsa_system_sgpr_workgroup_info 0
		.amdhsa_system_vgpr_workitem_id 0
		.amdhsa_next_free_vgpr 1
		.amdhsa_next_free_sgpr 1
		.amdhsa_reserve_vcc 0
		.amdhsa_float_round_mode_32 0
		.amdhsa_float_round_mode_16_64 0
		.amdhsa_float_denorm_mode_32 3
		.amdhsa_float_denorm_mode_16_64 3
		.amdhsa_fp16_overflow 0
		.amdhsa_workgroup_processor_mode 1
		.amdhsa_memory_ordered 1
		.amdhsa_forward_progress 1
		.amdhsa_inst_pref_size 0
		.amdhsa_round_robin_scheduling 0
		.amdhsa_exception_fp_ieee_invalid_op 0
		.amdhsa_exception_fp_denorm_src 0
		.amdhsa_exception_fp_ieee_div_zero 0
		.amdhsa_exception_fp_ieee_overflow 0
		.amdhsa_exception_fp_ieee_underflow 0
		.amdhsa_exception_fp_ieee_inexact 0
		.amdhsa_exception_int_div_zero 0
	.end_amdhsa_kernel
	.section	.text._ZN7rocprim17ROCPRIM_400000_NS6detail17trampoline_kernelINS0_14default_configENS1_22reduce_config_selectorIiEEZNS1_11reduce_implILb1ES3_PiS7_iN6hipcub16HIPCUB_304000_NS6detail34convert_binary_result_type_wrapperINS9_3SumENS9_22TransformInputIteratorIbN2at6native12_GLOBAL__N_19NonZeroOpIsEEPKslEEiEEEE10hipError_tPvRmT1_T2_T3_mT4_P12ihipStream_tbEUlT_E1_NS1_11comp_targetILNS1_3genE10ELNS1_11target_archE1200ELNS1_3gpuE4ELNS1_3repE0EEENS1_30default_config_static_selectorELNS0_4arch9wavefront6targetE0EEEvSQ_,"axG",@progbits,_ZN7rocprim17ROCPRIM_400000_NS6detail17trampoline_kernelINS0_14default_configENS1_22reduce_config_selectorIiEEZNS1_11reduce_implILb1ES3_PiS7_iN6hipcub16HIPCUB_304000_NS6detail34convert_binary_result_type_wrapperINS9_3SumENS9_22TransformInputIteratorIbN2at6native12_GLOBAL__N_19NonZeroOpIsEEPKslEEiEEEE10hipError_tPvRmT1_T2_T3_mT4_P12ihipStream_tbEUlT_E1_NS1_11comp_targetILNS1_3genE10ELNS1_11target_archE1200ELNS1_3gpuE4ELNS1_3repE0EEENS1_30default_config_static_selectorELNS0_4arch9wavefront6targetE0EEEvSQ_,comdat
.Lfunc_end301:
	.size	_ZN7rocprim17ROCPRIM_400000_NS6detail17trampoline_kernelINS0_14default_configENS1_22reduce_config_selectorIiEEZNS1_11reduce_implILb1ES3_PiS7_iN6hipcub16HIPCUB_304000_NS6detail34convert_binary_result_type_wrapperINS9_3SumENS9_22TransformInputIteratorIbN2at6native12_GLOBAL__N_19NonZeroOpIsEEPKslEEiEEEE10hipError_tPvRmT1_T2_T3_mT4_P12ihipStream_tbEUlT_E1_NS1_11comp_targetILNS1_3genE10ELNS1_11target_archE1200ELNS1_3gpuE4ELNS1_3repE0EEENS1_30default_config_static_selectorELNS0_4arch9wavefront6targetE0EEEvSQ_, .Lfunc_end301-_ZN7rocprim17ROCPRIM_400000_NS6detail17trampoline_kernelINS0_14default_configENS1_22reduce_config_selectorIiEEZNS1_11reduce_implILb1ES3_PiS7_iN6hipcub16HIPCUB_304000_NS6detail34convert_binary_result_type_wrapperINS9_3SumENS9_22TransformInputIteratorIbN2at6native12_GLOBAL__N_19NonZeroOpIsEEPKslEEiEEEE10hipError_tPvRmT1_T2_T3_mT4_P12ihipStream_tbEUlT_E1_NS1_11comp_targetILNS1_3genE10ELNS1_11target_archE1200ELNS1_3gpuE4ELNS1_3repE0EEENS1_30default_config_static_selectorELNS0_4arch9wavefront6targetE0EEEvSQ_
                                        ; -- End function
	.set _ZN7rocprim17ROCPRIM_400000_NS6detail17trampoline_kernelINS0_14default_configENS1_22reduce_config_selectorIiEEZNS1_11reduce_implILb1ES3_PiS7_iN6hipcub16HIPCUB_304000_NS6detail34convert_binary_result_type_wrapperINS9_3SumENS9_22TransformInputIteratorIbN2at6native12_GLOBAL__N_19NonZeroOpIsEEPKslEEiEEEE10hipError_tPvRmT1_T2_T3_mT4_P12ihipStream_tbEUlT_E1_NS1_11comp_targetILNS1_3genE10ELNS1_11target_archE1200ELNS1_3gpuE4ELNS1_3repE0EEENS1_30default_config_static_selectorELNS0_4arch9wavefront6targetE0EEEvSQ_.num_vgpr, 0
	.set _ZN7rocprim17ROCPRIM_400000_NS6detail17trampoline_kernelINS0_14default_configENS1_22reduce_config_selectorIiEEZNS1_11reduce_implILb1ES3_PiS7_iN6hipcub16HIPCUB_304000_NS6detail34convert_binary_result_type_wrapperINS9_3SumENS9_22TransformInputIteratorIbN2at6native12_GLOBAL__N_19NonZeroOpIsEEPKslEEiEEEE10hipError_tPvRmT1_T2_T3_mT4_P12ihipStream_tbEUlT_E1_NS1_11comp_targetILNS1_3genE10ELNS1_11target_archE1200ELNS1_3gpuE4ELNS1_3repE0EEENS1_30default_config_static_selectorELNS0_4arch9wavefront6targetE0EEEvSQ_.num_agpr, 0
	.set _ZN7rocprim17ROCPRIM_400000_NS6detail17trampoline_kernelINS0_14default_configENS1_22reduce_config_selectorIiEEZNS1_11reduce_implILb1ES3_PiS7_iN6hipcub16HIPCUB_304000_NS6detail34convert_binary_result_type_wrapperINS9_3SumENS9_22TransformInputIteratorIbN2at6native12_GLOBAL__N_19NonZeroOpIsEEPKslEEiEEEE10hipError_tPvRmT1_T2_T3_mT4_P12ihipStream_tbEUlT_E1_NS1_11comp_targetILNS1_3genE10ELNS1_11target_archE1200ELNS1_3gpuE4ELNS1_3repE0EEENS1_30default_config_static_selectorELNS0_4arch9wavefront6targetE0EEEvSQ_.numbered_sgpr, 0
	.set _ZN7rocprim17ROCPRIM_400000_NS6detail17trampoline_kernelINS0_14default_configENS1_22reduce_config_selectorIiEEZNS1_11reduce_implILb1ES3_PiS7_iN6hipcub16HIPCUB_304000_NS6detail34convert_binary_result_type_wrapperINS9_3SumENS9_22TransformInputIteratorIbN2at6native12_GLOBAL__N_19NonZeroOpIsEEPKslEEiEEEE10hipError_tPvRmT1_T2_T3_mT4_P12ihipStream_tbEUlT_E1_NS1_11comp_targetILNS1_3genE10ELNS1_11target_archE1200ELNS1_3gpuE4ELNS1_3repE0EEENS1_30default_config_static_selectorELNS0_4arch9wavefront6targetE0EEEvSQ_.num_named_barrier, 0
	.set _ZN7rocprim17ROCPRIM_400000_NS6detail17trampoline_kernelINS0_14default_configENS1_22reduce_config_selectorIiEEZNS1_11reduce_implILb1ES3_PiS7_iN6hipcub16HIPCUB_304000_NS6detail34convert_binary_result_type_wrapperINS9_3SumENS9_22TransformInputIteratorIbN2at6native12_GLOBAL__N_19NonZeroOpIsEEPKslEEiEEEE10hipError_tPvRmT1_T2_T3_mT4_P12ihipStream_tbEUlT_E1_NS1_11comp_targetILNS1_3genE10ELNS1_11target_archE1200ELNS1_3gpuE4ELNS1_3repE0EEENS1_30default_config_static_selectorELNS0_4arch9wavefront6targetE0EEEvSQ_.private_seg_size, 0
	.set _ZN7rocprim17ROCPRIM_400000_NS6detail17trampoline_kernelINS0_14default_configENS1_22reduce_config_selectorIiEEZNS1_11reduce_implILb1ES3_PiS7_iN6hipcub16HIPCUB_304000_NS6detail34convert_binary_result_type_wrapperINS9_3SumENS9_22TransformInputIteratorIbN2at6native12_GLOBAL__N_19NonZeroOpIsEEPKslEEiEEEE10hipError_tPvRmT1_T2_T3_mT4_P12ihipStream_tbEUlT_E1_NS1_11comp_targetILNS1_3genE10ELNS1_11target_archE1200ELNS1_3gpuE4ELNS1_3repE0EEENS1_30default_config_static_selectorELNS0_4arch9wavefront6targetE0EEEvSQ_.uses_vcc, 0
	.set _ZN7rocprim17ROCPRIM_400000_NS6detail17trampoline_kernelINS0_14default_configENS1_22reduce_config_selectorIiEEZNS1_11reduce_implILb1ES3_PiS7_iN6hipcub16HIPCUB_304000_NS6detail34convert_binary_result_type_wrapperINS9_3SumENS9_22TransformInputIteratorIbN2at6native12_GLOBAL__N_19NonZeroOpIsEEPKslEEiEEEE10hipError_tPvRmT1_T2_T3_mT4_P12ihipStream_tbEUlT_E1_NS1_11comp_targetILNS1_3genE10ELNS1_11target_archE1200ELNS1_3gpuE4ELNS1_3repE0EEENS1_30default_config_static_selectorELNS0_4arch9wavefront6targetE0EEEvSQ_.uses_flat_scratch, 0
	.set _ZN7rocprim17ROCPRIM_400000_NS6detail17trampoline_kernelINS0_14default_configENS1_22reduce_config_selectorIiEEZNS1_11reduce_implILb1ES3_PiS7_iN6hipcub16HIPCUB_304000_NS6detail34convert_binary_result_type_wrapperINS9_3SumENS9_22TransformInputIteratorIbN2at6native12_GLOBAL__N_19NonZeroOpIsEEPKslEEiEEEE10hipError_tPvRmT1_T2_T3_mT4_P12ihipStream_tbEUlT_E1_NS1_11comp_targetILNS1_3genE10ELNS1_11target_archE1200ELNS1_3gpuE4ELNS1_3repE0EEENS1_30default_config_static_selectorELNS0_4arch9wavefront6targetE0EEEvSQ_.has_dyn_sized_stack, 0
	.set _ZN7rocprim17ROCPRIM_400000_NS6detail17trampoline_kernelINS0_14default_configENS1_22reduce_config_selectorIiEEZNS1_11reduce_implILb1ES3_PiS7_iN6hipcub16HIPCUB_304000_NS6detail34convert_binary_result_type_wrapperINS9_3SumENS9_22TransformInputIteratorIbN2at6native12_GLOBAL__N_19NonZeroOpIsEEPKslEEiEEEE10hipError_tPvRmT1_T2_T3_mT4_P12ihipStream_tbEUlT_E1_NS1_11comp_targetILNS1_3genE10ELNS1_11target_archE1200ELNS1_3gpuE4ELNS1_3repE0EEENS1_30default_config_static_selectorELNS0_4arch9wavefront6targetE0EEEvSQ_.has_recursion, 0
	.set _ZN7rocprim17ROCPRIM_400000_NS6detail17trampoline_kernelINS0_14default_configENS1_22reduce_config_selectorIiEEZNS1_11reduce_implILb1ES3_PiS7_iN6hipcub16HIPCUB_304000_NS6detail34convert_binary_result_type_wrapperINS9_3SumENS9_22TransformInputIteratorIbN2at6native12_GLOBAL__N_19NonZeroOpIsEEPKslEEiEEEE10hipError_tPvRmT1_T2_T3_mT4_P12ihipStream_tbEUlT_E1_NS1_11comp_targetILNS1_3genE10ELNS1_11target_archE1200ELNS1_3gpuE4ELNS1_3repE0EEENS1_30default_config_static_selectorELNS0_4arch9wavefront6targetE0EEEvSQ_.has_indirect_call, 0
	.section	.AMDGPU.csdata,"",@progbits
; Kernel info:
; codeLenInByte = 0
; TotalNumSgprs: 0
; NumVgprs: 0
; ScratchSize: 0
; MemoryBound: 0
; FloatMode: 240
; IeeeMode: 1
; LDSByteSize: 0 bytes/workgroup (compile time only)
; SGPRBlocks: 0
; VGPRBlocks: 0
; NumSGPRsForWavesPerEU: 1
; NumVGPRsForWavesPerEU: 1
; Occupancy: 16
; WaveLimiterHint : 0
; COMPUTE_PGM_RSRC2:SCRATCH_EN: 0
; COMPUTE_PGM_RSRC2:USER_SGPR: 2
; COMPUTE_PGM_RSRC2:TRAP_HANDLER: 0
; COMPUTE_PGM_RSRC2:TGID_X_EN: 1
; COMPUTE_PGM_RSRC2:TGID_Y_EN: 0
; COMPUTE_PGM_RSRC2:TGID_Z_EN: 0
; COMPUTE_PGM_RSRC2:TIDIG_COMP_CNT: 0
	.section	.text._ZN7rocprim17ROCPRIM_400000_NS6detail17trampoline_kernelINS0_14default_configENS1_22reduce_config_selectorIiEEZNS1_11reduce_implILb1ES3_PiS7_iN6hipcub16HIPCUB_304000_NS6detail34convert_binary_result_type_wrapperINS9_3SumENS9_22TransformInputIteratorIbN2at6native12_GLOBAL__N_19NonZeroOpIsEEPKslEEiEEEE10hipError_tPvRmT1_T2_T3_mT4_P12ihipStream_tbEUlT_E1_NS1_11comp_targetILNS1_3genE9ELNS1_11target_archE1100ELNS1_3gpuE3ELNS1_3repE0EEENS1_30default_config_static_selectorELNS0_4arch9wavefront6targetE0EEEvSQ_,"axG",@progbits,_ZN7rocprim17ROCPRIM_400000_NS6detail17trampoline_kernelINS0_14default_configENS1_22reduce_config_selectorIiEEZNS1_11reduce_implILb1ES3_PiS7_iN6hipcub16HIPCUB_304000_NS6detail34convert_binary_result_type_wrapperINS9_3SumENS9_22TransformInputIteratorIbN2at6native12_GLOBAL__N_19NonZeroOpIsEEPKslEEiEEEE10hipError_tPvRmT1_T2_T3_mT4_P12ihipStream_tbEUlT_E1_NS1_11comp_targetILNS1_3genE9ELNS1_11target_archE1100ELNS1_3gpuE3ELNS1_3repE0EEENS1_30default_config_static_selectorELNS0_4arch9wavefront6targetE0EEEvSQ_,comdat
	.globl	_ZN7rocprim17ROCPRIM_400000_NS6detail17trampoline_kernelINS0_14default_configENS1_22reduce_config_selectorIiEEZNS1_11reduce_implILb1ES3_PiS7_iN6hipcub16HIPCUB_304000_NS6detail34convert_binary_result_type_wrapperINS9_3SumENS9_22TransformInputIteratorIbN2at6native12_GLOBAL__N_19NonZeroOpIsEEPKslEEiEEEE10hipError_tPvRmT1_T2_T3_mT4_P12ihipStream_tbEUlT_E1_NS1_11comp_targetILNS1_3genE9ELNS1_11target_archE1100ELNS1_3gpuE3ELNS1_3repE0EEENS1_30default_config_static_selectorELNS0_4arch9wavefront6targetE0EEEvSQ_ ; -- Begin function _ZN7rocprim17ROCPRIM_400000_NS6detail17trampoline_kernelINS0_14default_configENS1_22reduce_config_selectorIiEEZNS1_11reduce_implILb1ES3_PiS7_iN6hipcub16HIPCUB_304000_NS6detail34convert_binary_result_type_wrapperINS9_3SumENS9_22TransformInputIteratorIbN2at6native12_GLOBAL__N_19NonZeroOpIsEEPKslEEiEEEE10hipError_tPvRmT1_T2_T3_mT4_P12ihipStream_tbEUlT_E1_NS1_11comp_targetILNS1_3genE9ELNS1_11target_archE1100ELNS1_3gpuE3ELNS1_3repE0EEENS1_30default_config_static_selectorELNS0_4arch9wavefront6targetE0EEEvSQ_
	.p2align	8
	.type	_ZN7rocprim17ROCPRIM_400000_NS6detail17trampoline_kernelINS0_14default_configENS1_22reduce_config_selectorIiEEZNS1_11reduce_implILb1ES3_PiS7_iN6hipcub16HIPCUB_304000_NS6detail34convert_binary_result_type_wrapperINS9_3SumENS9_22TransformInputIteratorIbN2at6native12_GLOBAL__N_19NonZeroOpIsEEPKslEEiEEEE10hipError_tPvRmT1_T2_T3_mT4_P12ihipStream_tbEUlT_E1_NS1_11comp_targetILNS1_3genE9ELNS1_11target_archE1100ELNS1_3gpuE3ELNS1_3repE0EEENS1_30default_config_static_selectorELNS0_4arch9wavefront6targetE0EEEvSQ_,@function
_ZN7rocprim17ROCPRIM_400000_NS6detail17trampoline_kernelINS0_14default_configENS1_22reduce_config_selectorIiEEZNS1_11reduce_implILb1ES3_PiS7_iN6hipcub16HIPCUB_304000_NS6detail34convert_binary_result_type_wrapperINS9_3SumENS9_22TransformInputIteratorIbN2at6native12_GLOBAL__N_19NonZeroOpIsEEPKslEEiEEEE10hipError_tPvRmT1_T2_T3_mT4_P12ihipStream_tbEUlT_E1_NS1_11comp_targetILNS1_3genE9ELNS1_11target_archE1100ELNS1_3gpuE3ELNS1_3repE0EEENS1_30default_config_static_selectorELNS0_4arch9wavefront6targetE0EEEvSQ_: ; @_ZN7rocprim17ROCPRIM_400000_NS6detail17trampoline_kernelINS0_14default_configENS1_22reduce_config_selectorIiEEZNS1_11reduce_implILb1ES3_PiS7_iN6hipcub16HIPCUB_304000_NS6detail34convert_binary_result_type_wrapperINS9_3SumENS9_22TransformInputIteratorIbN2at6native12_GLOBAL__N_19NonZeroOpIsEEPKslEEiEEEE10hipError_tPvRmT1_T2_T3_mT4_P12ihipStream_tbEUlT_E1_NS1_11comp_targetILNS1_3genE9ELNS1_11target_archE1100ELNS1_3gpuE3ELNS1_3repE0EEENS1_30default_config_static_selectorELNS0_4arch9wavefront6targetE0EEEvSQ_
; %bb.0:
	.section	.rodata,"a",@progbits
	.p2align	6, 0x0
	.amdhsa_kernel _ZN7rocprim17ROCPRIM_400000_NS6detail17trampoline_kernelINS0_14default_configENS1_22reduce_config_selectorIiEEZNS1_11reduce_implILb1ES3_PiS7_iN6hipcub16HIPCUB_304000_NS6detail34convert_binary_result_type_wrapperINS9_3SumENS9_22TransformInputIteratorIbN2at6native12_GLOBAL__N_19NonZeroOpIsEEPKslEEiEEEE10hipError_tPvRmT1_T2_T3_mT4_P12ihipStream_tbEUlT_E1_NS1_11comp_targetILNS1_3genE9ELNS1_11target_archE1100ELNS1_3gpuE3ELNS1_3repE0EEENS1_30default_config_static_selectorELNS0_4arch9wavefront6targetE0EEEvSQ_
		.amdhsa_group_segment_fixed_size 0
		.amdhsa_private_segment_fixed_size 0
		.amdhsa_kernarg_size 40
		.amdhsa_user_sgpr_count 2
		.amdhsa_user_sgpr_dispatch_ptr 0
		.amdhsa_user_sgpr_queue_ptr 0
		.amdhsa_user_sgpr_kernarg_segment_ptr 1
		.amdhsa_user_sgpr_dispatch_id 0
		.amdhsa_user_sgpr_private_segment_size 0
		.amdhsa_wavefront_size32 1
		.amdhsa_uses_dynamic_stack 0
		.amdhsa_enable_private_segment 0
		.amdhsa_system_sgpr_workgroup_id_x 1
		.amdhsa_system_sgpr_workgroup_id_y 0
		.amdhsa_system_sgpr_workgroup_id_z 0
		.amdhsa_system_sgpr_workgroup_info 0
		.amdhsa_system_vgpr_workitem_id 0
		.amdhsa_next_free_vgpr 1
		.amdhsa_next_free_sgpr 1
		.amdhsa_reserve_vcc 0
		.amdhsa_float_round_mode_32 0
		.amdhsa_float_round_mode_16_64 0
		.amdhsa_float_denorm_mode_32 3
		.amdhsa_float_denorm_mode_16_64 3
		.amdhsa_fp16_overflow 0
		.amdhsa_workgroup_processor_mode 1
		.amdhsa_memory_ordered 1
		.amdhsa_forward_progress 1
		.amdhsa_inst_pref_size 0
		.amdhsa_round_robin_scheduling 0
		.amdhsa_exception_fp_ieee_invalid_op 0
		.amdhsa_exception_fp_denorm_src 0
		.amdhsa_exception_fp_ieee_div_zero 0
		.amdhsa_exception_fp_ieee_overflow 0
		.amdhsa_exception_fp_ieee_underflow 0
		.amdhsa_exception_fp_ieee_inexact 0
		.amdhsa_exception_int_div_zero 0
	.end_amdhsa_kernel
	.section	.text._ZN7rocprim17ROCPRIM_400000_NS6detail17trampoline_kernelINS0_14default_configENS1_22reduce_config_selectorIiEEZNS1_11reduce_implILb1ES3_PiS7_iN6hipcub16HIPCUB_304000_NS6detail34convert_binary_result_type_wrapperINS9_3SumENS9_22TransformInputIteratorIbN2at6native12_GLOBAL__N_19NonZeroOpIsEEPKslEEiEEEE10hipError_tPvRmT1_T2_T3_mT4_P12ihipStream_tbEUlT_E1_NS1_11comp_targetILNS1_3genE9ELNS1_11target_archE1100ELNS1_3gpuE3ELNS1_3repE0EEENS1_30default_config_static_selectorELNS0_4arch9wavefront6targetE0EEEvSQ_,"axG",@progbits,_ZN7rocprim17ROCPRIM_400000_NS6detail17trampoline_kernelINS0_14default_configENS1_22reduce_config_selectorIiEEZNS1_11reduce_implILb1ES3_PiS7_iN6hipcub16HIPCUB_304000_NS6detail34convert_binary_result_type_wrapperINS9_3SumENS9_22TransformInputIteratorIbN2at6native12_GLOBAL__N_19NonZeroOpIsEEPKslEEiEEEE10hipError_tPvRmT1_T2_T3_mT4_P12ihipStream_tbEUlT_E1_NS1_11comp_targetILNS1_3genE9ELNS1_11target_archE1100ELNS1_3gpuE3ELNS1_3repE0EEENS1_30default_config_static_selectorELNS0_4arch9wavefront6targetE0EEEvSQ_,comdat
.Lfunc_end302:
	.size	_ZN7rocprim17ROCPRIM_400000_NS6detail17trampoline_kernelINS0_14default_configENS1_22reduce_config_selectorIiEEZNS1_11reduce_implILb1ES3_PiS7_iN6hipcub16HIPCUB_304000_NS6detail34convert_binary_result_type_wrapperINS9_3SumENS9_22TransformInputIteratorIbN2at6native12_GLOBAL__N_19NonZeroOpIsEEPKslEEiEEEE10hipError_tPvRmT1_T2_T3_mT4_P12ihipStream_tbEUlT_E1_NS1_11comp_targetILNS1_3genE9ELNS1_11target_archE1100ELNS1_3gpuE3ELNS1_3repE0EEENS1_30default_config_static_selectorELNS0_4arch9wavefront6targetE0EEEvSQ_, .Lfunc_end302-_ZN7rocprim17ROCPRIM_400000_NS6detail17trampoline_kernelINS0_14default_configENS1_22reduce_config_selectorIiEEZNS1_11reduce_implILb1ES3_PiS7_iN6hipcub16HIPCUB_304000_NS6detail34convert_binary_result_type_wrapperINS9_3SumENS9_22TransformInputIteratorIbN2at6native12_GLOBAL__N_19NonZeroOpIsEEPKslEEiEEEE10hipError_tPvRmT1_T2_T3_mT4_P12ihipStream_tbEUlT_E1_NS1_11comp_targetILNS1_3genE9ELNS1_11target_archE1100ELNS1_3gpuE3ELNS1_3repE0EEENS1_30default_config_static_selectorELNS0_4arch9wavefront6targetE0EEEvSQ_
                                        ; -- End function
	.set _ZN7rocprim17ROCPRIM_400000_NS6detail17trampoline_kernelINS0_14default_configENS1_22reduce_config_selectorIiEEZNS1_11reduce_implILb1ES3_PiS7_iN6hipcub16HIPCUB_304000_NS6detail34convert_binary_result_type_wrapperINS9_3SumENS9_22TransformInputIteratorIbN2at6native12_GLOBAL__N_19NonZeroOpIsEEPKslEEiEEEE10hipError_tPvRmT1_T2_T3_mT4_P12ihipStream_tbEUlT_E1_NS1_11comp_targetILNS1_3genE9ELNS1_11target_archE1100ELNS1_3gpuE3ELNS1_3repE0EEENS1_30default_config_static_selectorELNS0_4arch9wavefront6targetE0EEEvSQ_.num_vgpr, 0
	.set _ZN7rocprim17ROCPRIM_400000_NS6detail17trampoline_kernelINS0_14default_configENS1_22reduce_config_selectorIiEEZNS1_11reduce_implILb1ES3_PiS7_iN6hipcub16HIPCUB_304000_NS6detail34convert_binary_result_type_wrapperINS9_3SumENS9_22TransformInputIteratorIbN2at6native12_GLOBAL__N_19NonZeroOpIsEEPKslEEiEEEE10hipError_tPvRmT1_T2_T3_mT4_P12ihipStream_tbEUlT_E1_NS1_11comp_targetILNS1_3genE9ELNS1_11target_archE1100ELNS1_3gpuE3ELNS1_3repE0EEENS1_30default_config_static_selectorELNS0_4arch9wavefront6targetE0EEEvSQ_.num_agpr, 0
	.set _ZN7rocprim17ROCPRIM_400000_NS6detail17trampoline_kernelINS0_14default_configENS1_22reduce_config_selectorIiEEZNS1_11reduce_implILb1ES3_PiS7_iN6hipcub16HIPCUB_304000_NS6detail34convert_binary_result_type_wrapperINS9_3SumENS9_22TransformInputIteratorIbN2at6native12_GLOBAL__N_19NonZeroOpIsEEPKslEEiEEEE10hipError_tPvRmT1_T2_T3_mT4_P12ihipStream_tbEUlT_E1_NS1_11comp_targetILNS1_3genE9ELNS1_11target_archE1100ELNS1_3gpuE3ELNS1_3repE0EEENS1_30default_config_static_selectorELNS0_4arch9wavefront6targetE0EEEvSQ_.numbered_sgpr, 0
	.set _ZN7rocprim17ROCPRIM_400000_NS6detail17trampoline_kernelINS0_14default_configENS1_22reduce_config_selectorIiEEZNS1_11reduce_implILb1ES3_PiS7_iN6hipcub16HIPCUB_304000_NS6detail34convert_binary_result_type_wrapperINS9_3SumENS9_22TransformInputIteratorIbN2at6native12_GLOBAL__N_19NonZeroOpIsEEPKslEEiEEEE10hipError_tPvRmT1_T2_T3_mT4_P12ihipStream_tbEUlT_E1_NS1_11comp_targetILNS1_3genE9ELNS1_11target_archE1100ELNS1_3gpuE3ELNS1_3repE0EEENS1_30default_config_static_selectorELNS0_4arch9wavefront6targetE0EEEvSQ_.num_named_barrier, 0
	.set _ZN7rocprim17ROCPRIM_400000_NS6detail17trampoline_kernelINS0_14default_configENS1_22reduce_config_selectorIiEEZNS1_11reduce_implILb1ES3_PiS7_iN6hipcub16HIPCUB_304000_NS6detail34convert_binary_result_type_wrapperINS9_3SumENS9_22TransformInputIteratorIbN2at6native12_GLOBAL__N_19NonZeroOpIsEEPKslEEiEEEE10hipError_tPvRmT1_T2_T3_mT4_P12ihipStream_tbEUlT_E1_NS1_11comp_targetILNS1_3genE9ELNS1_11target_archE1100ELNS1_3gpuE3ELNS1_3repE0EEENS1_30default_config_static_selectorELNS0_4arch9wavefront6targetE0EEEvSQ_.private_seg_size, 0
	.set _ZN7rocprim17ROCPRIM_400000_NS6detail17trampoline_kernelINS0_14default_configENS1_22reduce_config_selectorIiEEZNS1_11reduce_implILb1ES3_PiS7_iN6hipcub16HIPCUB_304000_NS6detail34convert_binary_result_type_wrapperINS9_3SumENS9_22TransformInputIteratorIbN2at6native12_GLOBAL__N_19NonZeroOpIsEEPKslEEiEEEE10hipError_tPvRmT1_T2_T3_mT4_P12ihipStream_tbEUlT_E1_NS1_11comp_targetILNS1_3genE9ELNS1_11target_archE1100ELNS1_3gpuE3ELNS1_3repE0EEENS1_30default_config_static_selectorELNS0_4arch9wavefront6targetE0EEEvSQ_.uses_vcc, 0
	.set _ZN7rocprim17ROCPRIM_400000_NS6detail17trampoline_kernelINS0_14default_configENS1_22reduce_config_selectorIiEEZNS1_11reduce_implILb1ES3_PiS7_iN6hipcub16HIPCUB_304000_NS6detail34convert_binary_result_type_wrapperINS9_3SumENS9_22TransformInputIteratorIbN2at6native12_GLOBAL__N_19NonZeroOpIsEEPKslEEiEEEE10hipError_tPvRmT1_T2_T3_mT4_P12ihipStream_tbEUlT_E1_NS1_11comp_targetILNS1_3genE9ELNS1_11target_archE1100ELNS1_3gpuE3ELNS1_3repE0EEENS1_30default_config_static_selectorELNS0_4arch9wavefront6targetE0EEEvSQ_.uses_flat_scratch, 0
	.set _ZN7rocprim17ROCPRIM_400000_NS6detail17trampoline_kernelINS0_14default_configENS1_22reduce_config_selectorIiEEZNS1_11reduce_implILb1ES3_PiS7_iN6hipcub16HIPCUB_304000_NS6detail34convert_binary_result_type_wrapperINS9_3SumENS9_22TransformInputIteratorIbN2at6native12_GLOBAL__N_19NonZeroOpIsEEPKslEEiEEEE10hipError_tPvRmT1_T2_T3_mT4_P12ihipStream_tbEUlT_E1_NS1_11comp_targetILNS1_3genE9ELNS1_11target_archE1100ELNS1_3gpuE3ELNS1_3repE0EEENS1_30default_config_static_selectorELNS0_4arch9wavefront6targetE0EEEvSQ_.has_dyn_sized_stack, 0
	.set _ZN7rocprim17ROCPRIM_400000_NS6detail17trampoline_kernelINS0_14default_configENS1_22reduce_config_selectorIiEEZNS1_11reduce_implILb1ES3_PiS7_iN6hipcub16HIPCUB_304000_NS6detail34convert_binary_result_type_wrapperINS9_3SumENS9_22TransformInputIteratorIbN2at6native12_GLOBAL__N_19NonZeroOpIsEEPKslEEiEEEE10hipError_tPvRmT1_T2_T3_mT4_P12ihipStream_tbEUlT_E1_NS1_11comp_targetILNS1_3genE9ELNS1_11target_archE1100ELNS1_3gpuE3ELNS1_3repE0EEENS1_30default_config_static_selectorELNS0_4arch9wavefront6targetE0EEEvSQ_.has_recursion, 0
	.set _ZN7rocprim17ROCPRIM_400000_NS6detail17trampoline_kernelINS0_14default_configENS1_22reduce_config_selectorIiEEZNS1_11reduce_implILb1ES3_PiS7_iN6hipcub16HIPCUB_304000_NS6detail34convert_binary_result_type_wrapperINS9_3SumENS9_22TransformInputIteratorIbN2at6native12_GLOBAL__N_19NonZeroOpIsEEPKslEEiEEEE10hipError_tPvRmT1_T2_T3_mT4_P12ihipStream_tbEUlT_E1_NS1_11comp_targetILNS1_3genE9ELNS1_11target_archE1100ELNS1_3gpuE3ELNS1_3repE0EEENS1_30default_config_static_selectorELNS0_4arch9wavefront6targetE0EEEvSQ_.has_indirect_call, 0
	.section	.AMDGPU.csdata,"",@progbits
; Kernel info:
; codeLenInByte = 0
; TotalNumSgprs: 0
; NumVgprs: 0
; ScratchSize: 0
; MemoryBound: 0
; FloatMode: 240
; IeeeMode: 1
; LDSByteSize: 0 bytes/workgroup (compile time only)
; SGPRBlocks: 0
; VGPRBlocks: 0
; NumSGPRsForWavesPerEU: 1
; NumVGPRsForWavesPerEU: 1
; Occupancy: 16
; WaveLimiterHint : 0
; COMPUTE_PGM_RSRC2:SCRATCH_EN: 0
; COMPUTE_PGM_RSRC2:USER_SGPR: 2
; COMPUTE_PGM_RSRC2:TRAP_HANDLER: 0
; COMPUTE_PGM_RSRC2:TGID_X_EN: 1
; COMPUTE_PGM_RSRC2:TGID_Y_EN: 0
; COMPUTE_PGM_RSRC2:TGID_Z_EN: 0
; COMPUTE_PGM_RSRC2:TIDIG_COMP_CNT: 0
	.section	.text._ZN7rocprim17ROCPRIM_400000_NS6detail17trampoline_kernelINS0_14default_configENS1_22reduce_config_selectorIiEEZNS1_11reduce_implILb1ES3_PiS7_iN6hipcub16HIPCUB_304000_NS6detail34convert_binary_result_type_wrapperINS9_3SumENS9_22TransformInputIteratorIbN2at6native12_GLOBAL__N_19NonZeroOpIsEEPKslEEiEEEE10hipError_tPvRmT1_T2_T3_mT4_P12ihipStream_tbEUlT_E1_NS1_11comp_targetILNS1_3genE8ELNS1_11target_archE1030ELNS1_3gpuE2ELNS1_3repE0EEENS1_30default_config_static_selectorELNS0_4arch9wavefront6targetE0EEEvSQ_,"axG",@progbits,_ZN7rocprim17ROCPRIM_400000_NS6detail17trampoline_kernelINS0_14default_configENS1_22reduce_config_selectorIiEEZNS1_11reduce_implILb1ES3_PiS7_iN6hipcub16HIPCUB_304000_NS6detail34convert_binary_result_type_wrapperINS9_3SumENS9_22TransformInputIteratorIbN2at6native12_GLOBAL__N_19NonZeroOpIsEEPKslEEiEEEE10hipError_tPvRmT1_T2_T3_mT4_P12ihipStream_tbEUlT_E1_NS1_11comp_targetILNS1_3genE8ELNS1_11target_archE1030ELNS1_3gpuE2ELNS1_3repE0EEENS1_30default_config_static_selectorELNS0_4arch9wavefront6targetE0EEEvSQ_,comdat
	.globl	_ZN7rocprim17ROCPRIM_400000_NS6detail17trampoline_kernelINS0_14default_configENS1_22reduce_config_selectorIiEEZNS1_11reduce_implILb1ES3_PiS7_iN6hipcub16HIPCUB_304000_NS6detail34convert_binary_result_type_wrapperINS9_3SumENS9_22TransformInputIteratorIbN2at6native12_GLOBAL__N_19NonZeroOpIsEEPKslEEiEEEE10hipError_tPvRmT1_T2_T3_mT4_P12ihipStream_tbEUlT_E1_NS1_11comp_targetILNS1_3genE8ELNS1_11target_archE1030ELNS1_3gpuE2ELNS1_3repE0EEENS1_30default_config_static_selectorELNS0_4arch9wavefront6targetE0EEEvSQ_ ; -- Begin function _ZN7rocprim17ROCPRIM_400000_NS6detail17trampoline_kernelINS0_14default_configENS1_22reduce_config_selectorIiEEZNS1_11reduce_implILb1ES3_PiS7_iN6hipcub16HIPCUB_304000_NS6detail34convert_binary_result_type_wrapperINS9_3SumENS9_22TransformInputIteratorIbN2at6native12_GLOBAL__N_19NonZeroOpIsEEPKslEEiEEEE10hipError_tPvRmT1_T2_T3_mT4_P12ihipStream_tbEUlT_E1_NS1_11comp_targetILNS1_3genE8ELNS1_11target_archE1030ELNS1_3gpuE2ELNS1_3repE0EEENS1_30default_config_static_selectorELNS0_4arch9wavefront6targetE0EEEvSQ_
	.p2align	8
	.type	_ZN7rocprim17ROCPRIM_400000_NS6detail17trampoline_kernelINS0_14default_configENS1_22reduce_config_selectorIiEEZNS1_11reduce_implILb1ES3_PiS7_iN6hipcub16HIPCUB_304000_NS6detail34convert_binary_result_type_wrapperINS9_3SumENS9_22TransformInputIteratorIbN2at6native12_GLOBAL__N_19NonZeroOpIsEEPKslEEiEEEE10hipError_tPvRmT1_T2_T3_mT4_P12ihipStream_tbEUlT_E1_NS1_11comp_targetILNS1_3genE8ELNS1_11target_archE1030ELNS1_3gpuE2ELNS1_3repE0EEENS1_30default_config_static_selectorELNS0_4arch9wavefront6targetE0EEEvSQ_,@function
_ZN7rocprim17ROCPRIM_400000_NS6detail17trampoline_kernelINS0_14default_configENS1_22reduce_config_selectorIiEEZNS1_11reduce_implILb1ES3_PiS7_iN6hipcub16HIPCUB_304000_NS6detail34convert_binary_result_type_wrapperINS9_3SumENS9_22TransformInputIteratorIbN2at6native12_GLOBAL__N_19NonZeroOpIsEEPKslEEiEEEE10hipError_tPvRmT1_T2_T3_mT4_P12ihipStream_tbEUlT_E1_NS1_11comp_targetILNS1_3genE8ELNS1_11target_archE1030ELNS1_3gpuE2ELNS1_3repE0EEENS1_30default_config_static_selectorELNS0_4arch9wavefront6targetE0EEEvSQ_: ; @_ZN7rocprim17ROCPRIM_400000_NS6detail17trampoline_kernelINS0_14default_configENS1_22reduce_config_selectorIiEEZNS1_11reduce_implILb1ES3_PiS7_iN6hipcub16HIPCUB_304000_NS6detail34convert_binary_result_type_wrapperINS9_3SumENS9_22TransformInputIteratorIbN2at6native12_GLOBAL__N_19NonZeroOpIsEEPKslEEiEEEE10hipError_tPvRmT1_T2_T3_mT4_P12ihipStream_tbEUlT_E1_NS1_11comp_targetILNS1_3genE8ELNS1_11target_archE1030ELNS1_3gpuE2ELNS1_3repE0EEENS1_30default_config_static_selectorELNS0_4arch9wavefront6targetE0EEEvSQ_
; %bb.0:
	.section	.rodata,"a",@progbits
	.p2align	6, 0x0
	.amdhsa_kernel _ZN7rocprim17ROCPRIM_400000_NS6detail17trampoline_kernelINS0_14default_configENS1_22reduce_config_selectorIiEEZNS1_11reduce_implILb1ES3_PiS7_iN6hipcub16HIPCUB_304000_NS6detail34convert_binary_result_type_wrapperINS9_3SumENS9_22TransformInputIteratorIbN2at6native12_GLOBAL__N_19NonZeroOpIsEEPKslEEiEEEE10hipError_tPvRmT1_T2_T3_mT4_P12ihipStream_tbEUlT_E1_NS1_11comp_targetILNS1_3genE8ELNS1_11target_archE1030ELNS1_3gpuE2ELNS1_3repE0EEENS1_30default_config_static_selectorELNS0_4arch9wavefront6targetE0EEEvSQ_
		.amdhsa_group_segment_fixed_size 0
		.amdhsa_private_segment_fixed_size 0
		.amdhsa_kernarg_size 40
		.amdhsa_user_sgpr_count 2
		.amdhsa_user_sgpr_dispatch_ptr 0
		.amdhsa_user_sgpr_queue_ptr 0
		.amdhsa_user_sgpr_kernarg_segment_ptr 1
		.amdhsa_user_sgpr_dispatch_id 0
		.amdhsa_user_sgpr_private_segment_size 0
		.amdhsa_wavefront_size32 1
		.amdhsa_uses_dynamic_stack 0
		.amdhsa_enable_private_segment 0
		.amdhsa_system_sgpr_workgroup_id_x 1
		.amdhsa_system_sgpr_workgroup_id_y 0
		.amdhsa_system_sgpr_workgroup_id_z 0
		.amdhsa_system_sgpr_workgroup_info 0
		.amdhsa_system_vgpr_workitem_id 0
		.amdhsa_next_free_vgpr 1
		.amdhsa_next_free_sgpr 1
		.amdhsa_reserve_vcc 0
		.amdhsa_float_round_mode_32 0
		.amdhsa_float_round_mode_16_64 0
		.amdhsa_float_denorm_mode_32 3
		.amdhsa_float_denorm_mode_16_64 3
		.amdhsa_fp16_overflow 0
		.amdhsa_workgroup_processor_mode 1
		.amdhsa_memory_ordered 1
		.amdhsa_forward_progress 1
		.amdhsa_inst_pref_size 0
		.amdhsa_round_robin_scheduling 0
		.amdhsa_exception_fp_ieee_invalid_op 0
		.amdhsa_exception_fp_denorm_src 0
		.amdhsa_exception_fp_ieee_div_zero 0
		.amdhsa_exception_fp_ieee_overflow 0
		.amdhsa_exception_fp_ieee_underflow 0
		.amdhsa_exception_fp_ieee_inexact 0
		.amdhsa_exception_int_div_zero 0
	.end_amdhsa_kernel
	.section	.text._ZN7rocprim17ROCPRIM_400000_NS6detail17trampoline_kernelINS0_14default_configENS1_22reduce_config_selectorIiEEZNS1_11reduce_implILb1ES3_PiS7_iN6hipcub16HIPCUB_304000_NS6detail34convert_binary_result_type_wrapperINS9_3SumENS9_22TransformInputIteratorIbN2at6native12_GLOBAL__N_19NonZeroOpIsEEPKslEEiEEEE10hipError_tPvRmT1_T2_T3_mT4_P12ihipStream_tbEUlT_E1_NS1_11comp_targetILNS1_3genE8ELNS1_11target_archE1030ELNS1_3gpuE2ELNS1_3repE0EEENS1_30default_config_static_selectorELNS0_4arch9wavefront6targetE0EEEvSQ_,"axG",@progbits,_ZN7rocprim17ROCPRIM_400000_NS6detail17trampoline_kernelINS0_14default_configENS1_22reduce_config_selectorIiEEZNS1_11reduce_implILb1ES3_PiS7_iN6hipcub16HIPCUB_304000_NS6detail34convert_binary_result_type_wrapperINS9_3SumENS9_22TransformInputIteratorIbN2at6native12_GLOBAL__N_19NonZeroOpIsEEPKslEEiEEEE10hipError_tPvRmT1_T2_T3_mT4_P12ihipStream_tbEUlT_E1_NS1_11comp_targetILNS1_3genE8ELNS1_11target_archE1030ELNS1_3gpuE2ELNS1_3repE0EEENS1_30default_config_static_selectorELNS0_4arch9wavefront6targetE0EEEvSQ_,comdat
.Lfunc_end303:
	.size	_ZN7rocprim17ROCPRIM_400000_NS6detail17trampoline_kernelINS0_14default_configENS1_22reduce_config_selectorIiEEZNS1_11reduce_implILb1ES3_PiS7_iN6hipcub16HIPCUB_304000_NS6detail34convert_binary_result_type_wrapperINS9_3SumENS9_22TransformInputIteratorIbN2at6native12_GLOBAL__N_19NonZeroOpIsEEPKslEEiEEEE10hipError_tPvRmT1_T2_T3_mT4_P12ihipStream_tbEUlT_E1_NS1_11comp_targetILNS1_3genE8ELNS1_11target_archE1030ELNS1_3gpuE2ELNS1_3repE0EEENS1_30default_config_static_selectorELNS0_4arch9wavefront6targetE0EEEvSQ_, .Lfunc_end303-_ZN7rocprim17ROCPRIM_400000_NS6detail17trampoline_kernelINS0_14default_configENS1_22reduce_config_selectorIiEEZNS1_11reduce_implILb1ES3_PiS7_iN6hipcub16HIPCUB_304000_NS6detail34convert_binary_result_type_wrapperINS9_3SumENS9_22TransformInputIteratorIbN2at6native12_GLOBAL__N_19NonZeroOpIsEEPKslEEiEEEE10hipError_tPvRmT1_T2_T3_mT4_P12ihipStream_tbEUlT_E1_NS1_11comp_targetILNS1_3genE8ELNS1_11target_archE1030ELNS1_3gpuE2ELNS1_3repE0EEENS1_30default_config_static_selectorELNS0_4arch9wavefront6targetE0EEEvSQ_
                                        ; -- End function
	.set _ZN7rocprim17ROCPRIM_400000_NS6detail17trampoline_kernelINS0_14default_configENS1_22reduce_config_selectorIiEEZNS1_11reduce_implILb1ES3_PiS7_iN6hipcub16HIPCUB_304000_NS6detail34convert_binary_result_type_wrapperINS9_3SumENS9_22TransformInputIteratorIbN2at6native12_GLOBAL__N_19NonZeroOpIsEEPKslEEiEEEE10hipError_tPvRmT1_T2_T3_mT4_P12ihipStream_tbEUlT_E1_NS1_11comp_targetILNS1_3genE8ELNS1_11target_archE1030ELNS1_3gpuE2ELNS1_3repE0EEENS1_30default_config_static_selectorELNS0_4arch9wavefront6targetE0EEEvSQ_.num_vgpr, 0
	.set _ZN7rocprim17ROCPRIM_400000_NS6detail17trampoline_kernelINS0_14default_configENS1_22reduce_config_selectorIiEEZNS1_11reduce_implILb1ES3_PiS7_iN6hipcub16HIPCUB_304000_NS6detail34convert_binary_result_type_wrapperINS9_3SumENS9_22TransformInputIteratorIbN2at6native12_GLOBAL__N_19NonZeroOpIsEEPKslEEiEEEE10hipError_tPvRmT1_T2_T3_mT4_P12ihipStream_tbEUlT_E1_NS1_11comp_targetILNS1_3genE8ELNS1_11target_archE1030ELNS1_3gpuE2ELNS1_3repE0EEENS1_30default_config_static_selectorELNS0_4arch9wavefront6targetE0EEEvSQ_.num_agpr, 0
	.set _ZN7rocprim17ROCPRIM_400000_NS6detail17trampoline_kernelINS0_14default_configENS1_22reduce_config_selectorIiEEZNS1_11reduce_implILb1ES3_PiS7_iN6hipcub16HIPCUB_304000_NS6detail34convert_binary_result_type_wrapperINS9_3SumENS9_22TransformInputIteratorIbN2at6native12_GLOBAL__N_19NonZeroOpIsEEPKslEEiEEEE10hipError_tPvRmT1_T2_T3_mT4_P12ihipStream_tbEUlT_E1_NS1_11comp_targetILNS1_3genE8ELNS1_11target_archE1030ELNS1_3gpuE2ELNS1_3repE0EEENS1_30default_config_static_selectorELNS0_4arch9wavefront6targetE0EEEvSQ_.numbered_sgpr, 0
	.set _ZN7rocprim17ROCPRIM_400000_NS6detail17trampoline_kernelINS0_14default_configENS1_22reduce_config_selectorIiEEZNS1_11reduce_implILb1ES3_PiS7_iN6hipcub16HIPCUB_304000_NS6detail34convert_binary_result_type_wrapperINS9_3SumENS9_22TransformInputIteratorIbN2at6native12_GLOBAL__N_19NonZeroOpIsEEPKslEEiEEEE10hipError_tPvRmT1_T2_T3_mT4_P12ihipStream_tbEUlT_E1_NS1_11comp_targetILNS1_3genE8ELNS1_11target_archE1030ELNS1_3gpuE2ELNS1_3repE0EEENS1_30default_config_static_selectorELNS0_4arch9wavefront6targetE0EEEvSQ_.num_named_barrier, 0
	.set _ZN7rocprim17ROCPRIM_400000_NS6detail17trampoline_kernelINS0_14default_configENS1_22reduce_config_selectorIiEEZNS1_11reduce_implILb1ES3_PiS7_iN6hipcub16HIPCUB_304000_NS6detail34convert_binary_result_type_wrapperINS9_3SumENS9_22TransformInputIteratorIbN2at6native12_GLOBAL__N_19NonZeroOpIsEEPKslEEiEEEE10hipError_tPvRmT1_T2_T3_mT4_P12ihipStream_tbEUlT_E1_NS1_11comp_targetILNS1_3genE8ELNS1_11target_archE1030ELNS1_3gpuE2ELNS1_3repE0EEENS1_30default_config_static_selectorELNS0_4arch9wavefront6targetE0EEEvSQ_.private_seg_size, 0
	.set _ZN7rocprim17ROCPRIM_400000_NS6detail17trampoline_kernelINS0_14default_configENS1_22reduce_config_selectorIiEEZNS1_11reduce_implILb1ES3_PiS7_iN6hipcub16HIPCUB_304000_NS6detail34convert_binary_result_type_wrapperINS9_3SumENS9_22TransformInputIteratorIbN2at6native12_GLOBAL__N_19NonZeroOpIsEEPKslEEiEEEE10hipError_tPvRmT1_T2_T3_mT4_P12ihipStream_tbEUlT_E1_NS1_11comp_targetILNS1_3genE8ELNS1_11target_archE1030ELNS1_3gpuE2ELNS1_3repE0EEENS1_30default_config_static_selectorELNS0_4arch9wavefront6targetE0EEEvSQ_.uses_vcc, 0
	.set _ZN7rocprim17ROCPRIM_400000_NS6detail17trampoline_kernelINS0_14default_configENS1_22reduce_config_selectorIiEEZNS1_11reduce_implILb1ES3_PiS7_iN6hipcub16HIPCUB_304000_NS6detail34convert_binary_result_type_wrapperINS9_3SumENS9_22TransformInputIteratorIbN2at6native12_GLOBAL__N_19NonZeroOpIsEEPKslEEiEEEE10hipError_tPvRmT1_T2_T3_mT4_P12ihipStream_tbEUlT_E1_NS1_11comp_targetILNS1_3genE8ELNS1_11target_archE1030ELNS1_3gpuE2ELNS1_3repE0EEENS1_30default_config_static_selectorELNS0_4arch9wavefront6targetE0EEEvSQ_.uses_flat_scratch, 0
	.set _ZN7rocprim17ROCPRIM_400000_NS6detail17trampoline_kernelINS0_14default_configENS1_22reduce_config_selectorIiEEZNS1_11reduce_implILb1ES3_PiS7_iN6hipcub16HIPCUB_304000_NS6detail34convert_binary_result_type_wrapperINS9_3SumENS9_22TransformInputIteratorIbN2at6native12_GLOBAL__N_19NonZeroOpIsEEPKslEEiEEEE10hipError_tPvRmT1_T2_T3_mT4_P12ihipStream_tbEUlT_E1_NS1_11comp_targetILNS1_3genE8ELNS1_11target_archE1030ELNS1_3gpuE2ELNS1_3repE0EEENS1_30default_config_static_selectorELNS0_4arch9wavefront6targetE0EEEvSQ_.has_dyn_sized_stack, 0
	.set _ZN7rocprim17ROCPRIM_400000_NS6detail17trampoline_kernelINS0_14default_configENS1_22reduce_config_selectorIiEEZNS1_11reduce_implILb1ES3_PiS7_iN6hipcub16HIPCUB_304000_NS6detail34convert_binary_result_type_wrapperINS9_3SumENS9_22TransformInputIteratorIbN2at6native12_GLOBAL__N_19NonZeroOpIsEEPKslEEiEEEE10hipError_tPvRmT1_T2_T3_mT4_P12ihipStream_tbEUlT_E1_NS1_11comp_targetILNS1_3genE8ELNS1_11target_archE1030ELNS1_3gpuE2ELNS1_3repE0EEENS1_30default_config_static_selectorELNS0_4arch9wavefront6targetE0EEEvSQ_.has_recursion, 0
	.set _ZN7rocprim17ROCPRIM_400000_NS6detail17trampoline_kernelINS0_14default_configENS1_22reduce_config_selectorIiEEZNS1_11reduce_implILb1ES3_PiS7_iN6hipcub16HIPCUB_304000_NS6detail34convert_binary_result_type_wrapperINS9_3SumENS9_22TransformInputIteratorIbN2at6native12_GLOBAL__N_19NonZeroOpIsEEPKslEEiEEEE10hipError_tPvRmT1_T2_T3_mT4_P12ihipStream_tbEUlT_E1_NS1_11comp_targetILNS1_3genE8ELNS1_11target_archE1030ELNS1_3gpuE2ELNS1_3repE0EEENS1_30default_config_static_selectorELNS0_4arch9wavefront6targetE0EEEvSQ_.has_indirect_call, 0
	.section	.AMDGPU.csdata,"",@progbits
; Kernel info:
; codeLenInByte = 0
; TotalNumSgprs: 0
; NumVgprs: 0
; ScratchSize: 0
; MemoryBound: 0
; FloatMode: 240
; IeeeMode: 1
; LDSByteSize: 0 bytes/workgroup (compile time only)
; SGPRBlocks: 0
; VGPRBlocks: 0
; NumSGPRsForWavesPerEU: 1
; NumVGPRsForWavesPerEU: 1
; Occupancy: 16
; WaveLimiterHint : 0
; COMPUTE_PGM_RSRC2:SCRATCH_EN: 0
; COMPUTE_PGM_RSRC2:USER_SGPR: 2
; COMPUTE_PGM_RSRC2:TRAP_HANDLER: 0
; COMPUTE_PGM_RSRC2:TGID_X_EN: 1
; COMPUTE_PGM_RSRC2:TGID_Y_EN: 0
; COMPUTE_PGM_RSRC2:TGID_Z_EN: 0
; COMPUTE_PGM_RSRC2:TIDIG_COMP_CNT: 0
	.section	.text._ZN7rocprim17ROCPRIM_400000_NS6detail17trampoline_kernelINS0_14default_configENS1_22reduce_config_selectorIbEEZNS1_11reduce_implILb1ES3_N6hipcub16HIPCUB_304000_NS22TransformInputIteratorIbN2at6native12_GLOBAL__N_19NonZeroOpIsEEPKslEEPiiNS8_6detail34convert_binary_result_type_wrapperINS8_3SumESH_iEEEE10hipError_tPvRmT1_T2_T3_mT4_P12ihipStream_tbEUlT_E0_NS1_11comp_targetILNS1_3genE0ELNS1_11target_archE4294967295ELNS1_3gpuE0ELNS1_3repE0EEENS1_30default_config_static_selectorELNS0_4arch9wavefront6targetE0EEEvSQ_,"axG",@progbits,_ZN7rocprim17ROCPRIM_400000_NS6detail17trampoline_kernelINS0_14default_configENS1_22reduce_config_selectorIbEEZNS1_11reduce_implILb1ES3_N6hipcub16HIPCUB_304000_NS22TransformInputIteratorIbN2at6native12_GLOBAL__N_19NonZeroOpIsEEPKslEEPiiNS8_6detail34convert_binary_result_type_wrapperINS8_3SumESH_iEEEE10hipError_tPvRmT1_T2_T3_mT4_P12ihipStream_tbEUlT_E0_NS1_11comp_targetILNS1_3genE0ELNS1_11target_archE4294967295ELNS1_3gpuE0ELNS1_3repE0EEENS1_30default_config_static_selectorELNS0_4arch9wavefront6targetE0EEEvSQ_,comdat
	.globl	_ZN7rocprim17ROCPRIM_400000_NS6detail17trampoline_kernelINS0_14default_configENS1_22reduce_config_selectorIbEEZNS1_11reduce_implILb1ES3_N6hipcub16HIPCUB_304000_NS22TransformInputIteratorIbN2at6native12_GLOBAL__N_19NonZeroOpIsEEPKslEEPiiNS8_6detail34convert_binary_result_type_wrapperINS8_3SumESH_iEEEE10hipError_tPvRmT1_T2_T3_mT4_P12ihipStream_tbEUlT_E0_NS1_11comp_targetILNS1_3genE0ELNS1_11target_archE4294967295ELNS1_3gpuE0ELNS1_3repE0EEENS1_30default_config_static_selectorELNS0_4arch9wavefront6targetE0EEEvSQ_ ; -- Begin function _ZN7rocprim17ROCPRIM_400000_NS6detail17trampoline_kernelINS0_14default_configENS1_22reduce_config_selectorIbEEZNS1_11reduce_implILb1ES3_N6hipcub16HIPCUB_304000_NS22TransformInputIteratorIbN2at6native12_GLOBAL__N_19NonZeroOpIsEEPKslEEPiiNS8_6detail34convert_binary_result_type_wrapperINS8_3SumESH_iEEEE10hipError_tPvRmT1_T2_T3_mT4_P12ihipStream_tbEUlT_E0_NS1_11comp_targetILNS1_3genE0ELNS1_11target_archE4294967295ELNS1_3gpuE0ELNS1_3repE0EEENS1_30default_config_static_selectorELNS0_4arch9wavefront6targetE0EEEvSQ_
	.p2align	8
	.type	_ZN7rocprim17ROCPRIM_400000_NS6detail17trampoline_kernelINS0_14default_configENS1_22reduce_config_selectorIbEEZNS1_11reduce_implILb1ES3_N6hipcub16HIPCUB_304000_NS22TransformInputIteratorIbN2at6native12_GLOBAL__N_19NonZeroOpIsEEPKslEEPiiNS8_6detail34convert_binary_result_type_wrapperINS8_3SumESH_iEEEE10hipError_tPvRmT1_T2_T3_mT4_P12ihipStream_tbEUlT_E0_NS1_11comp_targetILNS1_3genE0ELNS1_11target_archE4294967295ELNS1_3gpuE0ELNS1_3repE0EEENS1_30default_config_static_selectorELNS0_4arch9wavefront6targetE0EEEvSQ_,@function
_ZN7rocprim17ROCPRIM_400000_NS6detail17trampoline_kernelINS0_14default_configENS1_22reduce_config_selectorIbEEZNS1_11reduce_implILb1ES3_N6hipcub16HIPCUB_304000_NS22TransformInputIteratorIbN2at6native12_GLOBAL__N_19NonZeroOpIsEEPKslEEPiiNS8_6detail34convert_binary_result_type_wrapperINS8_3SumESH_iEEEE10hipError_tPvRmT1_T2_T3_mT4_P12ihipStream_tbEUlT_E0_NS1_11comp_targetILNS1_3genE0ELNS1_11target_archE4294967295ELNS1_3gpuE0ELNS1_3repE0EEENS1_30default_config_static_selectorELNS0_4arch9wavefront6targetE0EEEvSQ_: ; @_ZN7rocprim17ROCPRIM_400000_NS6detail17trampoline_kernelINS0_14default_configENS1_22reduce_config_selectorIbEEZNS1_11reduce_implILb1ES3_N6hipcub16HIPCUB_304000_NS22TransformInputIteratorIbN2at6native12_GLOBAL__N_19NonZeroOpIsEEPKslEEPiiNS8_6detail34convert_binary_result_type_wrapperINS8_3SumESH_iEEEE10hipError_tPvRmT1_T2_T3_mT4_P12ihipStream_tbEUlT_E0_NS1_11comp_targetILNS1_3genE0ELNS1_11target_archE4294967295ELNS1_3gpuE0ELNS1_3repE0EEENS1_30default_config_static_selectorELNS0_4arch9wavefront6targetE0EEEvSQ_
; %bb.0:
	.section	.rodata,"a",@progbits
	.p2align	6, 0x0
	.amdhsa_kernel _ZN7rocprim17ROCPRIM_400000_NS6detail17trampoline_kernelINS0_14default_configENS1_22reduce_config_selectorIbEEZNS1_11reduce_implILb1ES3_N6hipcub16HIPCUB_304000_NS22TransformInputIteratorIbN2at6native12_GLOBAL__N_19NonZeroOpIsEEPKslEEPiiNS8_6detail34convert_binary_result_type_wrapperINS8_3SumESH_iEEEE10hipError_tPvRmT1_T2_T3_mT4_P12ihipStream_tbEUlT_E0_NS1_11comp_targetILNS1_3genE0ELNS1_11target_archE4294967295ELNS1_3gpuE0ELNS1_3repE0EEENS1_30default_config_static_selectorELNS0_4arch9wavefront6targetE0EEEvSQ_
		.amdhsa_group_segment_fixed_size 0
		.amdhsa_private_segment_fixed_size 0
		.amdhsa_kernarg_size 64
		.amdhsa_user_sgpr_count 2
		.amdhsa_user_sgpr_dispatch_ptr 0
		.amdhsa_user_sgpr_queue_ptr 0
		.amdhsa_user_sgpr_kernarg_segment_ptr 1
		.amdhsa_user_sgpr_dispatch_id 0
		.amdhsa_user_sgpr_private_segment_size 0
		.amdhsa_wavefront_size32 1
		.amdhsa_uses_dynamic_stack 0
		.amdhsa_enable_private_segment 0
		.amdhsa_system_sgpr_workgroup_id_x 1
		.amdhsa_system_sgpr_workgroup_id_y 0
		.amdhsa_system_sgpr_workgroup_id_z 0
		.amdhsa_system_sgpr_workgroup_info 0
		.amdhsa_system_vgpr_workitem_id 0
		.amdhsa_next_free_vgpr 1
		.amdhsa_next_free_sgpr 1
		.amdhsa_reserve_vcc 0
		.amdhsa_float_round_mode_32 0
		.amdhsa_float_round_mode_16_64 0
		.amdhsa_float_denorm_mode_32 3
		.amdhsa_float_denorm_mode_16_64 3
		.amdhsa_fp16_overflow 0
		.amdhsa_workgroup_processor_mode 1
		.amdhsa_memory_ordered 1
		.amdhsa_forward_progress 1
		.amdhsa_inst_pref_size 0
		.amdhsa_round_robin_scheduling 0
		.amdhsa_exception_fp_ieee_invalid_op 0
		.amdhsa_exception_fp_denorm_src 0
		.amdhsa_exception_fp_ieee_div_zero 0
		.amdhsa_exception_fp_ieee_overflow 0
		.amdhsa_exception_fp_ieee_underflow 0
		.amdhsa_exception_fp_ieee_inexact 0
		.amdhsa_exception_int_div_zero 0
	.end_amdhsa_kernel
	.section	.text._ZN7rocprim17ROCPRIM_400000_NS6detail17trampoline_kernelINS0_14default_configENS1_22reduce_config_selectorIbEEZNS1_11reduce_implILb1ES3_N6hipcub16HIPCUB_304000_NS22TransformInputIteratorIbN2at6native12_GLOBAL__N_19NonZeroOpIsEEPKslEEPiiNS8_6detail34convert_binary_result_type_wrapperINS8_3SumESH_iEEEE10hipError_tPvRmT1_T2_T3_mT4_P12ihipStream_tbEUlT_E0_NS1_11comp_targetILNS1_3genE0ELNS1_11target_archE4294967295ELNS1_3gpuE0ELNS1_3repE0EEENS1_30default_config_static_selectorELNS0_4arch9wavefront6targetE0EEEvSQ_,"axG",@progbits,_ZN7rocprim17ROCPRIM_400000_NS6detail17trampoline_kernelINS0_14default_configENS1_22reduce_config_selectorIbEEZNS1_11reduce_implILb1ES3_N6hipcub16HIPCUB_304000_NS22TransformInputIteratorIbN2at6native12_GLOBAL__N_19NonZeroOpIsEEPKslEEPiiNS8_6detail34convert_binary_result_type_wrapperINS8_3SumESH_iEEEE10hipError_tPvRmT1_T2_T3_mT4_P12ihipStream_tbEUlT_E0_NS1_11comp_targetILNS1_3genE0ELNS1_11target_archE4294967295ELNS1_3gpuE0ELNS1_3repE0EEENS1_30default_config_static_selectorELNS0_4arch9wavefront6targetE0EEEvSQ_,comdat
.Lfunc_end304:
	.size	_ZN7rocprim17ROCPRIM_400000_NS6detail17trampoline_kernelINS0_14default_configENS1_22reduce_config_selectorIbEEZNS1_11reduce_implILb1ES3_N6hipcub16HIPCUB_304000_NS22TransformInputIteratorIbN2at6native12_GLOBAL__N_19NonZeroOpIsEEPKslEEPiiNS8_6detail34convert_binary_result_type_wrapperINS8_3SumESH_iEEEE10hipError_tPvRmT1_T2_T3_mT4_P12ihipStream_tbEUlT_E0_NS1_11comp_targetILNS1_3genE0ELNS1_11target_archE4294967295ELNS1_3gpuE0ELNS1_3repE0EEENS1_30default_config_static_selectorELNS0_4arch9wavefront6targetE0EEEvSQ_, .Lfunc_end304-_ZN7rocprim17ROCPRIM_400000_NS6detail17trampoline_kernelINS0_14default_configENS1_22reduce_config_selectorIbEEZNS1_11reduce_implILb1ES3_N6hipcub16HIPCUB_304000_NS22TransformInputIteratorIbN2at6native12_GLOBAL__N_19NonZeroOpIsEEPKslEEPiiNS8_6detail34convert_binary_result_type_wrapperINS8_3SumESH_iEEEE10hipError_tPvRmT1_T2_T3_mT4_P12ihipStream_tbEUlT_E0_NS1_11comp_targetILNS1_3genE0ELNS1_11target_archE4294967295ELNS1_3gpuE0ELNS1_3repE0EEENS1_30default_config_static_selectorELNS0_4arch9wavefront6targetE0EEEvSQ_
                                        ; -- End function
	.set _ZN7rocprim17ROCPRIM_400000_NS6detail17trampoline_kernelINS0_14default_configENS1_22reduce_config_selectorIbEEZNS1_11reduce_implILb1ES3_N6hipcub16HIPCUB_304000_NS22TransformInputIteratorIbN2at6native12_GLOBAL__N_19NonZeroOpIsEEPKslEEPiiNS8_6detail34convert_binary_result_type_wrapperINS8_3SumESH_iEEEE10hipError_tPvRmT1_T2_T3_mT4_P12ihipStream_tbEUlT_E0_NS1_11comp_targetILNS1_3genE0ELNS1_11target_archE4294967295ELNS1_3gpuE0ELNS1_3repE0EEENS1_30default_config_static_selectorELNS0_4arch9wavefront6targetE0EEEvSQ_.num_vgpr, 0
	.set _ZN7rocprim17ROCPRIM_400000_NS6detail17trampoline_kernelINS0_14default_configENS1_22reduce_config_selectorIbEEZNS1_11reduce_implILb1ES3_N6hipcub16HIPCUB_304000_NS22TransformInputIteratorIbN2at6native12_GLOBAL__N_19NonZeroOpIsEEPKslEEPiiNS8_6detail34convert_binary_result_type_wrapperINS8_3SumESH_iEEEE10hipError_tPvRmT1_T2_T3_mT4_P12ihipStream_tbEUlT_E0_NS1_11comp_targetILNS1_3genE0ELNS1_11target_archE4294967295ELNS1_3gpuE0ELNS1_3repE0EEENS1_30default_config_static_selectorELNS0_4arch9wavefront6targetE0EEEvSQ_.num_agpr, 0
	.set _ZN7rocprim17ROCPRIM_400000_NS6detail17trampoline_kernelINS0_14default_configENS1_22reduce_config_selectorIbEEZNS1_11reduce_implILb1ES3_N6hipcub16HIPCUB_304000_NS22TransformInputIteratorIbN2at6native12_GLOBAL__N_19NonZeroOpIsEEPKslEEPiiNS8_6detail34convert_binary_result_type_wrapperINS8_3SumESH_iEEEE10hipError_tPvRmT1_T2_T3_mT4_P12ihipStream_tbEUlT_E0_NS1_11comp_targetILNS1_3genE0ELNS1_11target_archE4294967295ELNS1_3gpuE0ELNS1_3repE0EEENS1_30default_config_static_selectorELNS0_4arch9wavefront6targetE0EEEvSQ_.numbered_sgpr, 0
	.set _ZN7rocprim17ROCPRIM_400000_NS6detail17trampoline_kernelINS0_14default_configENS1_22reduce_config_selectorIbEEZNS1_11reduce_implILb1ES3_N6hipcub16HIPCUB_304000_NS22TransformInputIteratorIbN2at6native12_GLOBAL__N_19NonZeroOpIsEEPKslEEPiiNS8_6detail34convert_binary_result_type_wrapperINS8_3SumESH_iEEEE10hipError_tPvRmT1_T2_T3_mT4_P12ihipStream_tbEUlT_E0_NS1_11comp_targetILNS1_3genE0ELNS1_11target_archE4294967295ELNS1_3gpuE0ELNS1_3repE0EEENS1_30default_config_static_selectorELNS0_4arch9wavefront6targetE0EEEvSQ_.num_named_barrier, 0
	.set _ZN7rocprim17ROCPRIM_400000_NS6detail17trampoline_kernelINS0_14default_configENS1_22reduce_config_selectorIbEEZNS1_11reduce_implILb1ES3_N6hipcub16HIPCUB_304000_NS22TransformInputIteratorIbN2at6native12_GLOBAL__N_19NonZeroOpIsEEPKslEEPiiNS8_6detail34convert_binary_result_type_wrapperINS8_3SumESH_iEEEE10hipError_tPvRmT1_T2_T3_mT4_P12ihipStream_tbEUlT_E0_NS1_11comp_targetILNS1_3genE0ELNS1_11target_archE4294967295ELNS1_3gpuE0ELNS1_3repE0EEENS1_30default_config_static_selectorELNS0_4arch9wavefront6targetE0EEEvSQ_.private_seg_size, 0
	.set _ZN7rocprim17ROCPRIM_400000_NS6detail17trampoline_kernelINS0_14default_configENS1_22reduce_config_selectorIbEEZNS1_11reduce_implILb1ES3_N6hipcub16HIPCUB_304000_NS22TransformInputIteratorIbN2at6native12_GLOBAL__N_19NonZeroOpIsEEPKslEEPiiNS8_6detail34convert_binary_result_type_wrapperINS8_3SumESH_iEEEE10hipError_tPvRmT1_T2_T3_mT4_P12ihipStream_tbEUlT_E0_NS1_11comp_targetILNS1_3genE0ELNS1_11target_archE4294967295ELNS1_3gpuE0ELNS1_3repE0EEENS1_30default_config_static_selectorELNS0_4arch9wavefront6targetE0EEEvSQ_.uses_vcc, 0
	.set _ZN7rocprim17ROCPRIM_400000_NS6detail17trampoline_kernelINS0_14default_configENS1_22reduce_config_selectorIbEEZNS1_11reduce_implILb1ES3_N6hipcub16HIPCUB_304000_NS22TransformInputIteratorIbN2at6native12_GLOBAL__N_19NonZeroOpIsEEPKslEEPiiNS8_6detail34convert_binary_result_type_wrapperINS8_3SumESH_iEEEE10hipError_tPvRmT1_T2_T3_mT4_P12ihipStream_tbEUlT_E0_NS1_11comp_targetILNS1_3genE0ELNS1_11target_archE4294967295ELNS1_3gpuE0ELNS1_3repE0EEENS1_30default_config_static_selectorELNS0_4arch9wavefront6targetE0EEEvSQ_.uses_flat_scratch, 0
	.set _ZN7rocprim17ROCPRIM_400000_NS6detail17trampoline_kernelINS0_14default_configENS1_22reduce_config_selectorIbEEZNS1_11reduce_implILb1ES3_N6hipcub16HIPCUB_304000_NS22TransformInputIteratorIbN2at6native12_GLOBAL__N_19NonZeroOpIsEEPKslEEPiiNS8_6detail34convert_binary_result_type_wrapperINS8_3SumESH_iEEEE10hipError_tPvRmT1_T2_T3_mT4_P12ihipStream_tbEUlT_E0_NS1_11comp_targetILNS1_3genE0ELNS1_11target_archE4294967295ELNS1_3gpuE0ELNS1_3repE0EEENS1_30default_config_static_selectorELNS0_4arch9wavefront6targetE0EEEvSQ_.has_dyn_sized_stack, 0
	.set _ZN7rocprim17ROCPRIM_400000_NS6detail17trampoline_kernelINS0_14default_configENS1_22reduce_config_selectorIbEEZNS1_11reduce_implILb1ES3_N6hipcub16HIPCUB_304000_NS22TransformInputIteratorIbN2at6native12_GLOBAL__N_19NonZeroOpIsEEPKslEEPiiNS8_6detail34convert_binary_result_type_wrapperINS8_3SumESH_iEEEE10hipError_tPvRmT1_T2_T3_mT4_P12ihipStream_tbEUlT_E0_NS1_11comp_targetILNS1_3genE0ELNS1_11target_archE4294967295ELNS1_3gpuE0ELNS1_3repE0EEENS1_30default_config_static_selectorELNS0_4arch9wavefront6targetE0EEEvSQ_.has_recursion, 0
	.set _ZN7rocprim17ROCPRIM_400000_NS6detail17trampoline_kernelINS0_14default_configENS1_22reduce_config_selectorIbEEZNS1_11reduce_implILb1ES3_N6hipcub16HIPCUB_304000_NS22TransformInputIteratorIbN2at6native12_GLOBAL__N_19NonZeroOpIsEEPKslEEPiiNS8_6detail34convert_binary_result_type_wrapperINS8_3SumESH_iEEEE10hipError_tPvRmT1_T2_T3_mT4_P12ihipStream_tbEUlT_E0_NS1_11comp_targetILNS1_3genE0ELNS1_11target_archE4294967295ELNS1_3gpuE0ELNS1_3repE0EEENS1_30default_config_static_selectorELNS0_4arch9wavefront6targetE0EEEvSQ_.has_indirect_call, 0
	.section	.AMDGPU.csdata,"",@progbits
; Kernel info:
; codeLenInByte = 0
; TotalNumSgprs: 0
; NumVgprs: 0
; ScratchSize: 0
; MemoryBound: 0
; FloatMode: 240
; IeeeMode: 1
; LDSByteSize: 0 bytes/workgroup (compile time only)
; SGPRBlocks: 0
; VGPRBlocks: 0
; NumSGPRsForWavesPerEU: 1
; NumVGPRsForWavesPerEU: 1
; Occupancy: 16
; WaveLimiterHint : 0
; COMPUTE_PGM_RSRC2:SCRATCH_EN: 0
; COMPUTE_PGM_RSRC2:USER_SGPR: 2
; COMPUTE_PGM_RSRC2:TRAP_HANDLER: 0
; COMPUTE_PGM_RSRC2:TGID_X_EN: 1
; COMPUTE_PGM_RSRC2:TGID_Y_EN: 0
; COMPUTE_PGM_RSRC2:TGID_Z_EN: 0
; COMPUTE_PGM_RSRC2:TIDIG_COMP_CNT: 0
	.section	.text._ZN7rocprim17ROCPRIM_400000_NS6detail17trampoline_kernelINS0_14default_configENS1_22reduce_config_selectorIbEEZNS1_11reduce_implILb1ES3_N6hipcub16HIPCUB_304000_NS22TransformInputIteratorIbN2at6native12_GLOBAL__N_19NonZeroOpIsEEPKslEEPiiNS8_6detail34convert_binary_result_type_wrapperINS8_3SumESH_iEEEE10hipError_tPvRmT1_T2_T3_mT4_P12ihipStream_tbEUlT_E0_NS1_11comp_targetILNS1_3genE5ELNS1_11target_archE942ELNS1_3gpuE9ELNS1_3repE0EEENS1_30default_config_static_selectorELNS0_4arch9wavefront6targetE0EEEvSQ_,"axG",@progbits,_ZN7rocprim17ROCPRIM_400000_NS6detail17trampoline_kernelINS0_14default_configENS1_22reduce_config_selectorIbEEZNS1_11reduce_implILb1ES3_N6hipcub16HIPCUB_304000_NS22TransformInputIteratorIbN2at6native12_GLOBAL__N_19NonZeroOpIsEEPKslEEPiiNS8_6detail34convert_binary_result_type_wrapperINS8_3SumESH_iEEEE10hipError_tPvRmT1_T2_T3_mT4_P12ihipStream_tbEUlT_E0_NS1_11comp_targetILNS1_3genE5ELNS1_11target_archE942ELNS1_3gpuE9ELNS1_3repE0EEENS1_30default_config_static_selectorELNS0_4arch9wavefront6targetE0EEEvSQ_,comdat
	.globl	_ZN7rocprim17ROCPRIM_400000_NS6detail17trampoline_kernelINS0_14default_configENS1_22reduce_config_selectorIbEEZNS1_11reduce_implILb1ES3_N6hipcub16HIPCUB_304000_NS22TransformInputIteratorIbN2at6native12_GLOBAL__N_19NonZeroOpIsEEPKslEEPiiNS8_6detail34convert_binary_result_type_wrapperINS8_3SumESH_iEEEE10hipError_tPvRmT1_T2_T3_mT4_P12ihipStream_tbEUlT_E0_NS1_11comp_targetILNS1_3genE5ELNS1_11target_archE942ELNS1_3gpuE9ELNS1_3repE0EEENS1_30default_config_static_selectorELNS0_4arch9wavefront6targetE0EEEvSQ_ ; -- Begin function _ZN7rocprim17ROCPRIM_400000_NS6detail17trampoline_kernelINS0_14default_configENS1_22reduce_config_selectorIbEEZNS1_11reduce_implILb1ES3_N6hipcub16HIPCUB_304000_NS22TransformInputIteratorIbN2at6native12_GLOBAL__N_19NonZeroOpIsEEPKslEEPiiNS8_6detail34convert_binary_result_type_wrapperINS8_3SumESH_iEEEE10hipError_tPvRmT1_T2_T3_mT4_P12ihipStream_tbEUlT_E0_NS1_11comp_targetILNS1_3genE5ELNS1_11target_archE942ELNS1_3gpuE9ELNS1_3repE0EEENS1_30default_config_static_selectorELNS0_4arch9wavefront6targetE0EEEvSQ_
	.p2align	8
	.type	_ZN7rocprim17ROCPRIM_400000_NS6detail17trampoline_kernelINS0_14default_configENS1_22reduce_config_selectorIbEEZNS1_11reduce_implILb1ES3_N6hipcub16HIPCUB_304000_NS22TransformInputIteratorIbN2at6native12_GLOBAL__N_19NonZeroOpIsEEPKslEEPiiNS8_6detail34convert_binary_result_type_wrapperINS8_3SumESH_iEEEE10hipError_tPvRmT1_T2_T3_mT4_P12ihipStream_tbEUlT_E0_NS1_11comp_targetILNS1_3genE5ELNS1_11target_archE942ELNS1_3gpuE9ELNS1_3repE0EEENS1_30default_config_static_selectorELNS0_4arch9wavefront6targetE0EEEvSQ_,@function
_ZN7rocprim17ROCPRIM_400000_NS6detail17trampoline_kernelINS0_14default_configENS1_22reduce_config_selectorIbEEZNS1_11reduce_implILb1ES3_N6hipcub16HIPCUB_304000_NS22TransformInputIteratorIbN2at6native12_GLOBAL__N_19NonZeroOpIsEEPKslEEPiiNS8_6detail34convert_binary_result_type_wrapperINS8_3SumESH_iEEEE10hipError_tPvRmT1_T2_T3_mT4_P12ihipStream_tbEUlT_E0_NS1_11comp_targetILNS1_3genE5ELNS1_11target_archE942ELNS1_3gpuE9ELNS1_3repE0EEENS1_30default_config_static_selectorELNS0_4arch9wavefront6targetE0EEEvSQ_: ; @_ZN7rocprim17ROCPRIM_400000_NS6detail17trampoline_kernelINS0_14default_configENS1_22reduce_config_selectorIbEEZNS1_11reduce_implILb1ES3_N6hipcub16HIPCUB_304000_NS22TransformInputIteratorIbN2at6native12_GLOBAL__N_19NonZeroOpIsEEPKslEEPiiNS8_6detail34convert_binary_result_type_wrapperINS8_3SumESH_iEEEE10hipError_tPvRmT1_T2_T3_mT4_P12ihipStream_tbEUlT_E0_NS1_11comp_targetILNS1_3genE5ELNS1_11target_archE942ELNS1_3gpuE9ELNS1_3repE0EEENS1_30default_config_static_selectorELNS0_4arch9wavefront6targetE0EEEvSQ_
; %bb.0:
	.section	.rodata,"a",@progbits
	.p2align	6, 0x0
	.amdhsa_kernel _ZN7rocprim17ROCPRIM_400000_NS6detail17trampoline_kernelINS0_14default_configENS1_22reduce_config_selectorIbEEZNS1_11reduce_implILb1ES3_N6hipcub16HIPCUB_304000_NS22TransformInputIteratorIbN2at6native12_GLOBAL__N_19NonZeroOpIsEEPKslEEPiiNS8_6detail34convert_binary_result_type_wrapperINS8_3SumESH_iEEEE10hipError_tPvRmT1_T2_T3_mT4_P12ihipStream_tbEUlT_E0_NS1_11comp_targetILNS1_3genE5ELNS1_11target_archE942ELNS1_3gpuE9ELNS1_3repE0EEENS1_30default_config_static_selectorELNS0_4arch9wavefront6targetE0EEEvSQ_
		.amdhsa_group_segment_fixed_size 0
		.amdhsa_private_segment_fixed_size 0
		.amdhsa_kernarg_size 64
		.amdhsa_user_sgpr_count 2
		.amdhsa_user_sgpr_dispatch_ptr 0
		.amdhsa_user_sgpr_queue_ptr 0
		.amdhsa_user_sgpr_kernarg_segment_ptr 1
		.amdhsa_user_sgpr_dispatch_id 0
		.amdhsa_user_sgpr_private_segment_size 0
		.amdhsa_wavefront_size32 1
		.amdhsa_uses_dynamic_stack 0
		.amdhsa_enable_private_segment 0
		.amdhsa_system_sgpr_workgroup_id_x 1
		.amdhsa_system_sgpr_workgroup_id_y 0
		.amdhsa_system_sgpr_workgroup_id_z 0
		.amdhsa_system_sgpr_workgroup_info 0
		.amdhsa_system_vgpr_workitem_id 0
		.amdhsa_next_free_vgpr 1
		.amdhsa_next_free_sgpr 1
		.amdhsa_reserve_vcc 0
		.amdhsa_float_round_mode_32 0
		.amdhsa_float_round_mode_16_64 0
		.amdhsa_float_denorm_mode_32 3
		.amdhsa_float_denorm_mode_16_64 3
		.amdhsa_fp16_overflow 0
		.amdhsa_workgroup_processor_mode 1
		.amdhsa_memory_ordered 1
		.amdhsa_forward_progress 1
		.amdhsa_inst_pref_size 0
		.amdhsa_round_robin_scheduling 0
		.amdhsa_exception_fp_ieee_invalid_op 0
		.amdhsa_exception_fp_denorm_src 0
		.amdhsa_exception_fp_ieee_div_zero 0
		.amdhsa_exception_fp_ieee_overflow 0
		.amdhsa_exception_fp_ieee_underflow 0
		.amdhsa_exception_fp_ieee_inexact 0
		.amdhsa_exception_int_div_zero 0
	.end_amdhsa_kernel
	.section	.text._ZN7rocprim17ROCPRIM_400000_NS6detail17trampoline_kernelINS0_14default_configENS1_22reduce_config_selectorIbEEZNS1_11reduce_implILb1ES3_N6hipcub16HIPCUB_304000_NS22TransformInputIteratorIbN2at6native12_GLOBAL__N_19NonZeroOpIsEEPKslEEPiiNS8_6detail34convert_binary_result_type_wrapperINS8_3SumESH_iEEEE10hipError_tPvRmT1_T2_T3_mT4_P12ihipStream_tbEUlT_E0_NS1_11comp_targetILNS1_3genE5ELNS1_11target_archE942ELNS1_3gpuE9ELNS1_3repE0EEENS1_30default_config_static_selectorELNS0_4arch9wavefront6targetE0EEEvSQ_,"axG",@progbits,_ZN7rocprim17ROCPRIM_400000_NS6detail17trampoline_kernelINS0_14default_configENS1_22reduce_config_selectorIbEEZNS1_11reduce_implILb1ES3_N6hipcub16HIPCUB_304000_NS22TransformInputIteratorIbN2at6native12_GLOBAL__N_19NonZeroOpIsEEPKslEEPiiNS8_6detail34convert_binary_result_type_wrapperINS8_3SumESH_iEEEE10hipError_tPvRmT1_T2_T3_mT4_P12ihipStream_tbEUlT_E0_NS1_11comp_targetILNS1_3genE5ELNS1_11target_archE942ELNS1_3gpuE9ELNS1_3repE0EEENS1_30default_config_static_selectorELNS0_4arch9wavefront6targetE0EEEvSQ_,comdat
.Lfunc_end305:
	.size	_ZN7rocprim17ROCPRIM_400000_NS6detail17trampoline_kernelINS0_14default_configENS1_22reduce_config_selectorIbEEZNS1_11reduce_implILb1ES3_N6hipcub16HIPCUB_304000_NS22TransformInputIteratorIbN2at6native12_GLOBAL__N_19NonZeroOpIsEEPKslEEPiiNS8_6detail34convert_binary_result_type_wrapperINS8_3SumESH_iEEEE10hipError_tPvRmT1_T2_T3_mT4_P12ihipStream_tbEUlT_E0_NS1_11comp_targetILNS1_3genE5ELNS1_11target_archE942ELNS1_3gpuE9ELNS1_3repE0EEENS1_30default_config_static_selectorELNS0_4arch9wavefront6targetE0EEEvSQ_, .Lfunc_end305-_ZN7rocprim17ROCPRIM_400000_NS6detail17trampoline_kernelINS0_14default_configENS1_22reduce_config_selectorIbEEZNS1_11reduce_implILb1ES3_N6hipcub16HIPCUB_304000_NS22TransformInputIteratorIbN2at6native12_GLOBAL__N_19NonZeroOpIsEEPKslEEPiiNS8_6detail34convert_binary_result_type_wrapperINS8_3SumESH_iEEEE10hipError_tPvRmT1_T2_T3_mT4_P12ihipStream_tbEUlT_E0_NS1_11comp_targetILNS1_3genE5ELNS1_11target_archE942ELNS1_3gpuE9ELNS1_3repE0EEENS1_30default_config_static_selectorELNS0_4arch9wavefront6targetE0EEEvSQ_
                                        ; -- End function
	.set _ZN7rocprim17ROCPRIM_400000_NS6detail17trampoline_kernelINS0_14default_configENS1_22reduce_config_selectorIbEEZNS1_11reduce_implILb1ES3_N6hipcub16HIPCUB_304000_NS22TransformInputIteratorIbN2at6native12_GLOBAL__N_19NonZeroOpIsEEPKslEEPiiNS8_6detail34convert_binary_result_type_wrapperINS8_3SumESH_iEEEE10hipError_tPvRmT1_T2_T3_mT4_P12ihipStream_tbEUlT_E0_NS1_11comp_targetILNS1_3genE5ELNS1_11target_archE942ELNS1_3gpuE9ELNS1_3repE0EEENS1_30default_config_static_selectorELNS0_4arch9wavefront6targetE0EEEvSQ_.num_vgpr, 0
	.set _ZN7rocprim17ROCPRIM_400000_NS6detail17trampoline_kernelINS0_14default_configENS1_22reduce_config_selectorIbEEZNS1_11reduce_implILb1ES3_N6hipcub16HIPCUB_304000_NS22TransformInputIteratorIbN2at6native12_GLOBAL__N_19NonZeroOpIsEEPKslEEPiiNS8_6detail34convert_binary_result_type_wrapperINS8_3SumESH_iEEEE10hipError_tPvRmT1_T2_T3_mT4_P12ihipStream_tbEUlT_E0_NS1_11comp_targetILNS1_3genE5ELNS1_11target_archE942ELNS1_3gpuE9ELNS1_3repE0EEENS1_30default_config_static_selectorELNS0_4arch9wavefront6targetE0EEEvSQ_.num_agpr, 0
	.set _ZN7rocprim17ROCPRIM_400000_NS6detail17trampoline_kernelINS0_14default_configENS1_22reduce_config_selectorIbEEZNS1_11reduce_implILb1ES3_N6hipcub16HIPCUB_304000_NS22TransformInputIteratorIbN2at6native12_GLOBAL__N_19NonZeroOpIsEEPKslEEPiiNS8_6detail34convert_binary_result_type_wrapperINS8_3SumESH_iEEEE10hipError_tPvRmT1_T2_T3_mT4_P12ihipStream_tbEUlT_E0_NS1_11comp_targetILNS1_3genE5ELNS1_11target_archE942ELNS1_3gpuE9ELNS1_3repE0EEENS1_30default_config_static_selectorELNS0_4arch9wavefront6targetE0EEEvSQ_.numbered_sgpr, 0
	.set _ZN7rocprim17ROCPRIM_400000_NS6detail17trampoline_kernelINS0_14default_configENS1_22reduce_config_selectorIbEEZNS1_11reduce_implILb1ES3_N6hipcub16HIPCUB_304000_NS22TransformInputIteratorIbN2at6native12_GLOBAL__N_19NonZeroOpIsEEPKslEEPiiNS8_6detail34convert_binary_result_type_wrapperINS8_3SumESH_iEEEE10hipError_tPvRmT1_T2_T3_mT4_P12ihipStream_tbEUlT_E0_NS1_11comp_targetILNS1_3genE5ELNS1_11target_archE942ELNS1_3gpuE9ELNS1_3repE0EEENS1_30default_config_static_selectorELNS0_4arch9wavefront6targetE0EEEvSQ_.num_named_barrier, 0
	.set _ZN7rocprim17ROCPRIM_400000_NS6detail17trampoline_kernelINS0_14default_configENS1_22reduce_config_selectorIbEEZNS1_11reduce_implILb1ES3_N6hipcub16HIPCUB_304000_NS22TransformInputIteratorIbN2at6native12_GLOBAL__N_19NonZeroOpIsEEPKslEEPiiNS8_6detail34convert_binary_result_type_wrapperINS8_3SumESH_iEEEE10hipError_tPvRmT1_T2_T3_mT4_P12ihipStream_tbEUlT_E0_NS1_11comp_targetILNS1_3genE5ELNS1_11target_archE942ELNS1_3gpuE9ELNS1_3repE0EEENS1_30default_config_static_selectorELNS0_4arch9wavefront6targetE0EEEvSQ_.private_seg_size, 0
	.set _ZN7rocprim17ROCPRIM_400000_NS6detail17trampoline_kernelINS0_14default_configENS1_22reduce_config_selectorIbEEZNS1_11reduce_implILb1ES3_N6hipcub16HIPCUB_304000_NS22TransformInputIteratorIbN2at6native12_GLOBAL__N_19NonZeroOpIsEEPKslEEPiiNS8_6detail34convert_binary_result_type_wrapperINS8_3SumESH_iEEEE10hipError_tPvRmT1_T2_T3_mT4_P12ihipStream_tbEUlT_E0_NS1_11comp_targetILNS1_3genE5ELNS1_11target_archE942ELNS1_3gpuE9ELNS1_3repE0EEENS1_30default_config_static_selectorELNS0_4arch9wavefront6targetE0EEEvSQ_.uses_vcc, 0
	.set _ZN7rocprim17ROCPRIM_400000_NS6detail17trampoline_kernelINS0_14default_configENS1_22reduce_config_selectorIbEEZNS1_11reduce_implILb1ES3_N6hipcub16HIPCUB_304000_NS22TransformInputIteratorIbN2at6native12_GLOBAL__N_19NonZeroOpIsEEPKslEEPiiNS8_6detail34convert_binary_result_type_wrapperINS8_3SumESH_iEEEE10hipError_tPvRmT1_T2_T3_mT4_P12ihipStream_tbEUlT_E0_NS1_11comp_targetILNS1_3genE5ELNS1_11target_archE942ELNS1_3gpuE9ELNS1_3repE0EEENS1_30default_config_static_selectorELNS0_4arch9wavefront6targetE0EEEvSQ_.uses_flat_scratch, 0
	.set _ZN7rocprim17ROCPRIM_400000_NS6detail17trampoline_kernelINS0_14default_configENS1_22reduce_config_selectorIbEEZNS1_11reduce_implILb1ES3_N6hipcub16HIPCUB_304000_NS22TransformInputIteratorIbN2at6native12_GLOBAL__N_19NonZeroOpIsEEPKslEEPiiNS8_6detail34convert_binary_result_type_wrapperINS8_3SumESH_iEEEE10hipError_tPvRmT1_T2_T3_mT4_P12ihipStream_tbEUlT_E0_NS1_11comp_targetILNS1_3genE5ELNS1_11target_archE942ELNS1_3gpuE9ELNS1_3repE0EEENS1_30default_config_static_selectorELNS0_4arch9wavefront6targetE0EEEvSQ_.has_dyn_sized_stack, 0
	.set _ZN7rocprim17ROCPRIM_400000_NS6detail17trampoline_kernelINS0_14default_configENS1_22reduce_config_selectorIbEEZNS1_11reduce_implILb1ES3_N6hipcub16HIPCUB_304000_NS22TransformInputIteratorIbN2at6native12_GLOBAL__N_19NonZeroOpIsEEPKslEEPiiNS8_6detail34convert_binary_result_type_wrapperINS8_3SumESH_iEEEE10hipError_tPvRmT1_T2_T3_mT4_P12ihipStream_tbEUlT_E0_NS1_11comp_targetILNS1_3genE5ELNS1_11target_archE942ELNS1_3gpuE9ELNS1_3repE0EEENS1_30default_config_static_selectorELNS0_4arch9wavefront6targetE0EEEvSQ_.has_recursion, 0
	.set _ZN7rocprim17ROCPRIM_400000_NS6detail17trampoline_kernelINS0_14default_configENS1_22reduce_config_selectorIbEEZNS1_11reduce_implILb1ES3_N6hipcub16HIPCUB_304000_NS22TransformInputIteratorIbN2at6native12_GLOBAL__N_19NonZeroOpIsEEPKslEEPiiNS8_6detail34convert_binary_result_type_wrapperINS8_3SumESH_iEEEE10hipError_tPvRmT1_T2_T3_mT4_P12ihipStream_tbEUlT_E0_NS1_11comp_targetILNS1_3genE5ELNS1_11target_archE942ELNS1_3gpuE9ELNS1_3repE0EEENS1_30default_config_static_selectorELNS0_4arch9wavefront6targetE0EEEvSQ_.has_indirect_call, 0
	.section	.AMDGPU.csdata,"",@progbits
; Kernel info:
; codeLenInByte = 0
; TotalNumSgprs: 0
; NumVgprs: 0
; ScratchSize: 0
; MemoryBound: 0
; FloatMode: 240
; IeeeMode: 1
; LDSByteSize: 0 bytes/workgroup (compile time only)
; SGPRBlocks: 0
; VGPRBlocks: 0
; NumSGPRsForWavesPerEU: 1
; NumVGPRsForWavesPerEU: 1
; Occupancy: 16
; WaveLimiterHint : 0
; COMPUTE_PGM_RSRC2:SCRATCH_EN: 0
; COMPUTE_PGM_RSRC2:USER_SGPR: 2
; COMPUTE_PGM_RSRC2:TRAP_HANDLER: 0
; COMPUTE_PGM_RSRC2:TGID_X_EN: 1
; COMPUTE_PGM_RSRC2:TGID_Y_EN: 0
; COMPUTE_PGM_RSRC2:TGID_Z_EN: 0
; COMPUTE_PGM_RSRC2:TIDIG_COMP_CNT: 0
	.section	.text._ZN7rocprim17ROCPRIM_400000_NS6detail17trampoline_kernelINS0_14default_configENS1_22reduce_config_selectorIbEEZNS1_11reduce_implILb1ES3_N6hipcub16HIPCUB_304000_NS22TransformInputIteratorIbN2at6native12_GLOBAL__N_19NonZeroOpIsEEPKslEEPiiNS8_6detail34convert_binary_result_type_wrapperINS8_3SumESH_iEEEE10hipError_tPvRmT1_T2_T3_mT4_P12ihipStream_tbEUlT_E0_NS1_11comp_targetILNS1_3genE4ELNS1_11target_archE910ELNS1_3gpuE8ELNS1_3repE0EEENS1_30default_config_static_selectorELNS0_4arch9wavefront6targetE0EEEvSQ_,"axG",@progbits,_ZN7rocprim17ROCPRIM_400000_NS6detail17trampoline_kernelINS0_14default_configENS1_22reduce_config_selectorIbEEZNS1_11reduce_implILb1ES3_N6hipcub16HIPCUB_304000_NS22TransformInputIteratorIbN2at6native12_GLOBAL__N_19NonZeroOpIsEEPKslEEPiiNS8_6detail34convert_binary_result_type_wrapperINS8_3SumESH_iEEEE10hipError_tPvRmT1_T2_T3_mT4_P12ihipStream_tbEUlT_E0_NS1_11comp_targetILNS1_3genE4ELNS1_11target_archE910ELNS1_3gpuE8ELNS1_3repE0EEENS1_30default_config_static_selectorELNS0_4arch9wavefront6targetE0EEEvSQ_,comdat
	.globl	_ZN7rocprim17ROCPRIM_400000_NS6detail17trampoline_kernelINS0_14default_configENS1_22reduce_config_selectorIbEEZNS1_11reduce_implILb1ES3_N6hipcub16HIPCUB_304000_NS22TransformInputIteratorIbN2at6native12_GLOBAL__N_19NonZeroOpIsEEPKslEEPiiNS8_6detail34convert_binary_result_type_wrapperINS8_3SumESH_iEEEE10hipError_tPvRmT1_T2_T3_mT4_P12ihipStream_tbEUlT_E0_NS1_11comp_targetILNS1_3genE4ELNS1_11target_archE910ELNS1_3gpuE8ELNS1_3repE0EEENS1_30default_config_static_selectorELNS0_4arch9wavefront6targetE0EEEvSQ_ ; -- Begin function _ZN7rocprim17ROCPRIM_400000_NS6detail17trampoline_kernelINS0_14default_configENS1_22reduce_config_selectorIbEEZNS1_11reduce_implILb1ES3_N6hipcub16HIPCUB_304000_NS22TransformInputIteratorIbN2at6native12_GLOBAL__N_19NonZeroOpIsEEPKslEEPiiNS8_6detail34convert_binary_result_type_wrapperINS8_3SumESH_iEEEE10hipError_tPvRmT1_T2_T3_mT4_P12ihipStream_tbEUlT_E0_NS1_11comp_targetILNS1_3genE4ELNS1_11target_archE910ELNS1_3gpuE8ELNS1_3repE0EEENS1_30default_config_static_selectorELNS0_4arch9wavefront6targetE0EEEvSQ_
	.p2align	8
	.type	_ZN7rocprim17ROCPRIM_400000_NS6detail17trampoline_kernelINS0_14default_configENS1_22reduce_config_selectorIbEEZNS1_11reduce_implILb1ES3_N6hipcub16HIPCUB_304000_NS22TransformInputIteratorIbN2at6native12_GLOBAL__N_19NonZeroOpIsEEPKslEEPiiNS8_6detail34convert_binary_result_type_wrapperINS8_3SumESH_iEEEE10hipError_tPvRmT1_T2_T3_mT4_P12ihipStream_tbEUlT_E0_NS1_11comp_targetILNS1_3genE4ELNS1_11target_archE910ELNS1_3gpuE8ELNS1_3repE0EEENS1_30default_config_static_selectorELNS0_4arch9wavefront6targetE0EEEvSQ_,@function
_ZN7rocprim17ROCPRIM_400000_NS6detail17trampoline_kernelINS0_14default_configENS1_22reduce_config_selectorIbEEZNS1_11reduce_implILb1ES3_N6hipcub16HIPCUB_304000_NS22TransformInputIteratorIbN2at6native12_GLOBAL__N_19NonZeroOpIsEEPKslEEPiiNS8_6detail34convert_binary_result_type_wrapperINS8_3SumESH_iEEEE10hipError_tPvRmT1_T2_T3_mT4_P12ihipStream_tbEUlT_E0_NS1_11comp_targetILNS1_3genE4ELNS1_11target_archE910ELNS1_3gpuE8ELNS1_3repE0EEENS1_30default_config_static_selectorELNS0_4arch9wavefront6targetE0EEEvSQ_: ; @_ZN7rocprim17ROCPRIM_400000_NS6detail17trampoline_kernelINS0_14default_configENS1_22reduce_config_selectorIbEEZNS1_11reduce_implILb1ES3_N6hipcub16HIPCUB_304000_NS22TransformInputIteratorIbN2at6native12_GLOBAL__N_19NonZeroOpIsEEPKslEEPiiNS8_6detail34convert_binary_result_type_wrapperINS8_3SumESH_iEEEE10hipError_tPvRmT1_T2_T3_mT4_P12ihipStream_tbEUlT_E0_NS1_11comp_targetILNS1_3genE4ELNS1_11target_archE910ELNS1_3gpuE8ELNS1_3repE0EEENS1_30default_config_static_selectorELNS0_4arch9wavefront6targetE0EEEvSQ_
; %bb.0:
	.section	.rodata,"a",@progbits
	.p2align	6, 0x0
	.amdhsa_kernel _ZN7rocprim17ROCPRIM_400000_NS6detail17trampoline_kernelINS0_14default_configENS1_22reduce_config_selectorIbEEZNS1_11reduce_implILb1ES3_N6hipcub16HIPCUB_304000_NS22TransformInputIteratorIbN2at6native12_GLOBAL__N_19NonZeroOpIsEEPKslEEPiiNS8_6detail34convert_binary_result_type_wrapperINS8_3SumESH_iEEEE10hipError_tPvRmT1_T2_T3_mT4_P12ihipStream_tbEUlT_E0_NS1_11comp_targetILNS1_3genE4ELNS1_11target_archE910ELNS1_3gpuE8ELNS1_3repE0EEENS1_30default_config_static_selectorELNS0_4arch9wavefront6targetE0EEEvSQ_
		.amdhsa_group_segment_fixed_size 0
		.amdhsa_private_segment_fixed_size 0
		.amdhsa_kernarg_size 64
		.amdhsa_user_sgpr_count 2
		.amdhsa_user_sgpr_dispatch_ptr 0
		.amdhsa_user_sgpr_queue_ptr 0
		.amdhsa_user_sgpr_kernarg_segment_ptr 1
		.amdhsa_user_sgpr_dispatch_id 0
		.amdhsa_user_sgpr_private_segment_size 0
		.amdhsa_wavefront_size32 1
		.amdhsa_uses_dynamic_stack 0
		.amdhsa_enable_private_segment 0
		.amdhsa_system_sgpr_workgroup_id_x 1
		.amdhsa_system_sgpr_workgroup_id_y 0
		.amdhsa_system_sgpr_workgroup_id_z 0
		.amdhsa_system_sgpr_workgroup_info 0
		.amdhsa_system_vgpr_workitem_id 0
		.amdhsa_next_free_vgpr 1
		.amdhsa_next_free_sgpr 1
		.amdhsa_reserve_vcc 0
		.amdhsa_float_round_mode_32 0
		.amdhsa_float_round_mode_16_64 0
		.amdhsa_float_denorm_mode_32 3
		.amdhsa_float_denorm_mode_16_64 3
		.amdhsa_fp16_overflow 0
		.amdhsa_workgroup_processor_mode 1
		.amdhsa_memory_ordered 1
		.amdhsa_forward_progress 1
		.amdhsa_inst_pref_size 0
		.amdhsa_round_robin_scheduling 0
		.amdhsa_exception_fp_ieee_invalid_op 0
		.amdhsa_exception_fp_denorm_src 0
		.amdhsa_exception_fp_ieee_div_zero 0
		.amdhsa_exception_fp_ieee_overflow 0
		.amdhsa_exception_fp_ieee_underflow 0
		.amdhsa_exception_fp_ieee_inexact 0
		.amdhsa_exception_int_div_zero 0
	.end_amdhsa_kernel
	.section	.text._ZN7rocprim17ROCPRIM_400000_NS6detail17trampoline_kernelINS0_14default_configENS1_22reduce_config_selectorIbEEZNS1_11reduce_implILb1ES3_N6hipcub16HIPCUB_304000_NS22TransformInputIteratorIbN2at6native12_GLOBAL__N_19NonZeroOpIsEEPKslEEPiiNS8_6detail34convert_binary_result_type_wrapperINS8_3SumESH_iEEEE10hipError_tPvRmT1_T2_T3_mT4_P12ihipStream_tbEUlT_E0_NS1_11comp_targetILNS1_3genE4ELNS1_11target_archE910ELNS1_3gpuE8ELNS1_3repE0EEENS1_30default_config_static_selectorELNS0_4arch9wavefront6targetE0EEEvSQ_,"axG",@progbits,_ZN7rocprim17ROCPRIM_400000_NS6detail17trampoline_kernelINS0_14default_configENS1_22reduce_config_selectorIbEEZNS1_11reduce_implILb1ES3_N6hipcub16HIPCUB_304000_NS22TransformInputIteratorIbN2at6native12_GLOBAL__N_19NonZeroOpIsEEPKslEEPiiNS8_6detail34convert_binary_result_type_wrapperINS8_3SumESH_iEEEE10hipError_tPvRmT1_T2_T3_mT4_P12ihipStream_tbEUlT_E0_NS1_11comp_targetILNS1_3genE4ELNS1_11target_archE910ELNS1_3gpuE8ELNS1_3repE0EEENS1_30default_config_static_selectorELNS0_4arch9wavefront6targetE0EEEvSQ_,comdat
.Lfunc_end306:
	.size	_ZN7rocprim17ROCPRIM_400000_NS6detail17trampoline_kernelINS0_14default_configENS1_22reduce_config_selectorIbEEZNS1_11reduce_implILb1ES3_N6hipcub16HIPCUB_304000_NS22TransformInputIteratorIbN2at6native12_GLOBAL__N_19NonZeroOpIsEEPKslEEPiiNS8_6detail34convert_binary_result_type_wrapperINS8_3SumESH_iEEEE10hipError_tPvRmT1_T2_T3_mT4_P12ihipStream_tbEUlT_E0_NS1_11comp_targetILNS1_3genE4ELNS1_11target_archE910ELNS1_3gpuE8ELNS1_3repE0EEENS1_30default_config_static_selectorELNS0_4arch9wavefront6targetE0EEEvSQ_, .Lfunc_end306-_ZN7rocprim17ROCPRIM_400000_NS6detail17trampoline_kernelINS0_14default_configENS1_22reduce_config_selectorIbEEZNS1_11reduce_implILb1ES3_N6hipcub16HIPCUB_304000_NS22TransformInputIteratorIbN2at6native12_GLOBAL__N_19NonZeroOpIsEEPKslEEPiiNS8_6detail34convert_binary_result_type_wrapperINS8_3SumESH_iEEEE10hipError_tPvRmT1_T2_T3_mT4_P12ihipStream_tbEUlT_E0_NS1_11comp_targetILNS1_3genE4ELNS1_11target_archE910ELNS1_3gpuE8ELNS1_3repE0EEENS1_30default_config_static_selectorELNS0_4arch9wavefront6targetE0EEEvSQ_
                                        ; -- End function
	.set _ZN7rocprim17ROCPRIM_400000_NS6detail17trampoline_kernelINS0_14default_configENS1_22reduce_config_selectorIbEEZNS1_11reduce_implILb1ES3_N6hipcub16HIPCUB_304000_NS22TransformInputIteratorIbN2at6native12_GLOBAL__N_19NonZeroOpIsEEPKslEEPiiNS8_6detail34convert_binary_result_type_wrapperINS8_3SumESH_iEEEE10hipError_tPvRmT1_T2_T3_mT4_P12ihipStream_tbEUlT_E0_NS1_11comp_targetILNS1_3genE4ELNS1_11target_archE910ELNS1_3gpuE8ELNS1_3repE0EEENS1_30default_config_static_selectorELNS0_4arch9wavefront6targetE0EEEvSQ_.num_vgpr, 0
	.set _ZN7rocprim17ROCPRIM_400000_NS6detail17trampoline_kernelINS0_14default_configENS1_22reduce_config_selectorIbEEZNS1_11reduce_implILb1ES3_N6hipcub16HIPCUB_304000_NS22TransformInputIteratorIbN2at6native12_GLOBAL__N_19NonZeroOpIsEEPKslEEPiiNS8_6detail34convert_binary_result_type_wrapperINS8_3SumESH_iEEEE10hipError_tPvRmT1_T2_T3_mT4_P12ihipStream_tbEUlT_E0_NS1_11comp_targetILNS1_3genE4ELNS1_11target_archE910ELNS1_3gpuE8ELNS1_3repE0EEENS1_30default_config_static_selectorELNS0_4arch9wavefront6targetE0EEEvSQ_.num_agpr, 0
	.set _ZN7rocprim17ROCPRIM_400000_NS6detail17trampoline_kernelINS0_14default_configENS1_22reduce_config_selectorIbEEZNS1_11reduce_implILb1ES3_N6hipcub16HIPCUB_304000_NS22TransformInputIteratorIbN2at6native12_GLOBAL__N_19NonZeroOpIsEEPKslEEPiiNS8_6detail34convert_binary_result_type_wrapperINS8_3SumESH_iEEEE10hipError_tPvRmT1_T2_T3_mT4_P12ihipStream_tbEUlT_E0_NS1_11comp_targetILNS1_3genE4ELNS1_11target_archE910ELNS1_3gpuE8ELNS1_3repE0EEENS1_30default_config_static_selectorELNS0_4arch9wavefront6targetE0EEEvSQ_.numbered_sgpr, 0
	.set _ZN7rocprim17ROCPRIM_400000_NS6detail17trampoline_kernelINS0_14default_configENS1_22reduce_config_selectorIbEEZNS1_11reduce_implILb1ES3_N6hipcub16HIPCUB_304000_NS22TransformInputIteratorIbN2at6native12_GLOBAL__N_19NonZeroOpIsEEPKslEEPiiNS8_6detail34convert_binary_result_type_wrapperINS8_3SumESH_iEEEE10hipError_tPvRmT1_T2_T3_mT4_P12ihipStream_tbEUlT_E0_NS1_11comp_targetILNS1_3genE4ELNS1_11target_archE910ELNS1_3gpuE8ELNS1_3repE0EEENS1_30default_config_static_selectorELNS0_4arch9wavefront6targetE0EEEvSQ_.num_named_barrier, 0
	.set _ZN7rocprim17ROCPRIM_400000_NS6detail17trampoline_kernelINS0_14default_configENS1_22reduce_config_selectorIbEEZNS1_11reduce_implILb1ES3_N6hipcub16HIPCUB_304000_NS22TransformInputIteratorIbN2at6native12_GLOBAL__N_19NonZeroOpIsEEPKslEEPiiNS8_6detail34convert_binary_result_type_wrapperINS8_3SumESH_iEEEE10hipError_tPvRmT1_T2_T3_mT4_P12ihipStream_tbEUlT_E0_NS1_11comp_targetILNS1_3genE4ELNS1_11target_archE910ELNS1_3gpuE8ELNS1_3repE0EEENS1_30default_config_static_selectorELNS0_4arch9wavefront6targetE0EEEvSQ_.private_seg_size, 0
	.set _ZN7rocprim17ROCPRIM_400000_NS6detail17trampoline_kernelINS0_14default_configENS1_22reduce_config_selectorIbEEZNS1_11reduce_implILb1ES3_N6hipcub16HIPCUB_304000_NS22TransformInputIteratorIbN2at6native12_GLOBAL__N_19NonZeroOpIsEEPKslEEPiiNS8_6detail34convert_binary_result_type_wrapperINS8_3SumESH_iEEEE10hipError_tPvRmT1_T2_T3_mT4_P12ihipStream_tbEUlT_E0_NS1_11comp_targetILNS1_3genE4ELNS1_11target_archE910ELNS1_3gpuE8ELNS1_3repE0EEENS1_30default_config_static_selectorELNS0_4arch9wavefront6targetE0EEEvSQ_.uses_vcc, 0
	.set _ZN7rocprim17ROCPRIM_400000_NS6detail17trampoline_kernelINS0_14default_configENS1_22reduce_config_selectorIbEEZNS1_11reduce_implILb1ES3_N6hipcub16HIPCUB_304000_NS22TransformInputIteratorIbN2at6native12_GLOBAL__N_19NonZeroOpIsEEPKslEEPiiNS8_6detail34convert_binary_result_type_wrapperINS8_3SumESH_iEEEE10hipError_tPvRmT1_T2_T3_mT4_P12ihipStream_tbEUlT_E0_NS1_11comp_targetILNS1_3genE4ELNS1_11target_archE910ELNS1_3gpuE8ELNS1_3repE0EEENS1_30default_config_static_selectorELNS0_4arch9wavefront6targetE0EEEvSQ_.uses_flat_scratch, 0
	.set _ZN7rocprim17ROCPRIM_400000_NS6detail17trampoline_kernelINS0_14default_configENS1_22reduce_config_selectorIbEEZNS1_11reduce_implILb1ES3_N6hipcub16HIPCUB_304000_NS22TransformInputIteratorIbN2at6native12_GLOBAL__N_19NonZeroOpIsEEPKslEEPiiNS8_6detail34convert_binary_result_type_wrapperINS8_3SumESH_iEEEE10hipError_tPvRmT1_T2_T3_mT4_P12ihipStream_tbEUlT_E0_NS1_11comp_targetILNS1_3genE4ELNS1_11target_archE910ELNS1_3gpuE8ELNS1_3repE0EEENS1_30default_config_static_selectorELNS0_4arch9wavefront6targetE0EEEvSQ_.has_dyn_sized_stack, 0
	.set _ZN7rocprim17ROCPRIM_400000_NS6detail17trampoline_kernelINS0_14default_configENS1_22reduce_config_selectorIbEEZNS1_11reduce_implILb1ES3_N6hipcub16HIPCUB_304000_NS22TransformInputIteratorIbN2at6native12_GLOBAL__N_19NonZeroOpIsEEPKslEEPiiNS8_6detail34convert_binary_result_type_wrapperINS8_3SumESH_iEEEE10hipError_tPvRmT1_T2_T3_mT4_P12ihipStream_tbEUlT_E0_NS1_11comp_targetILNS1_3genE4ELNS1_11target_archE910ELNS1_3gpuE8ELNS1_3repE0EEENS1_30default_config_static_selectorELNS0_4arch9wavefront6targetE0EEEvSQ_.has_recursion, 0
	.set _ZN7rocprim17ROCPRIM_400000_NS6detail17trampoline_kernelINS0_14default_configENS1_22reduce_config_selectorIbEEZNS1_11reduce_implILb1ES3_N6hipcub16HIPCUB_304000_NS22TransformInputIteratorIbN2at6native12_GLOBAL__N_19NonZeroOpIsEEPKslEEPiiNS8_6detail34convert_binary_result_type_wrapperINS8_3SumESH_iEEEE10hipError_tPvRmT1_T2_T3_mT4_P12ihipStream_tbEUlT_E0_NS1_11comp_targetILNS1_3genE4ELNS1_11target_archE910ELNS1_3gpuE8ELNS1_3repE0EEENS1_30default_config_static_selectorELNS0_4arch9wavefront6targetE0EEEvSQ_.has_indirect_call, 0
	.section	.AMDGPU.csdata,"",@progbits
; Kernel info:
; codeLenInByte = 0
; TotalNumSgprs: 0
; NumVgprs: 0
; ScratchSize: 0
; MemoryBound: 0
; FloatMode: 240
; IeeeMode: 1
; LDSByteSize: 0 bytes/workgroup (compile time only)
; SGPRBlocks: 0
; VGPRBlocks: 0
; NumSGPRsForWavesPerEU: 1
; NumVGPRsForWavesPerEU: 1
; Occupancy: 16
; WaveLimiterHint : 0
; COMPUTE_PGM_RSRC2:SCRATCH_EN: 0
; COMPUTE_PGM_RSRC2:USER_SGPR: 2
; COMPUTE_PGM_RSRC2:TRAP_HANDLER: 0
; COMPUTE_PGM_RSRC2:TGID_X_EN: 1
; COMPUTE_PGM_RSRC2:TGID_Y_EN: 0
; COMPUTE_PGM_RSRC2:TGID_Z_EN: 0
; COMPUTE_PGM_RSRC2:TIDIG_COMP_CNT: 0
	.section	.text._ZN7rocprim17ROCPRIM_400000_NS6detail17trampoline_kernelINS0_14default_configENS1_22reduce_config_selectorIbEEZNS1_11reduce_implILb1ES3_N6hipcub16HIPCUB_304000_NS22TransformInputIteratorIbN2at6native12_GLOBAL__N_19NonZeroOpIsEEPKslEEPiiNS8_6detail34convert_binary_result_type_wrapperINS8_3SumESH_iEEEE10hipError_tPvRmT1_T2_T3_mT4_P12ihipStream_tbEUlT_E0_NS1_11comp_targetILNS1_3genE3ELNS1_11target_archE908ELNS1_3gpuE7ELNS1_3repE0EEENS1_30default_config_static_selectorELNS0_4arch9wavefront6targetE0EEEvSQ_,"axG",@progbits,_ZN7rocprim17ROCPRIM_400000_NS6detail17trampoline_kernelINS0_14default_configENS1_22reduce_config_selectorIbEEZNS1_11reduce_implILb1ES3_N6hipcub16HIPCUB_304000_NS22TransformInputIteratorIbN2at6native12_GLOBAL__N_19NonZeroOpIsEEPKslEEPiiNS8_6detail34convert_binary_result_type_wrapperINS8_3SumESH_iEEEE10hipError_tPvRmT1_T2_T3_mT4_P12ihipStream_tbEUlT_E0_NS1_11comp_targetILNS1_3genE3ELNS1_11target_archE908ELNS1_3gpuE7ELNS1_3repE0EEENS1_30default_config_static_selectorELNS0_4arch9wavefront6targetE0EEEvSQ_,comdat
	.globl	_ZN7rocprim17ROCPRIM_400000_NS6detail17trampoline_kernelINS0_14default_configENS1_22reduce_config_selectorIbEEZNS1_11reduce_implILb1ES3_N6hipcub16HIPCUB_304000_NS22TransformInputIteratorIbN2at6native12_GLOBAL__N_19NonZeroOpIsEEPKslEEPiiNS8_6detail34convert_binary_result_type_wrapperINS8_3SumESH_iEEEE10hipError_tPvRmT1_T2_T3_mT4_P12ihipStream_tbEUlT_E0_NS1_11comp_targetILNS1_3genE3ELNS1_11target_archE908ELNS1_3gpuE7ELNS1_3repE0EEENS1_30default_config_static_selectorELNS0_4arch9wavefront6targetE0EEEvSQ_ ; -- Begin function _ZN7rocprim17ROCPRIM_400000_NS6detail17trampoline_kernelINS0_14default_configENS1_22reduce_config_selectorIbEEZNS1_11reduce_implILb1ES3_N6hipcub16HIPCUB_304000_NS22TransformInputIteratorIbN2at6native12_GLOBAL__N_19NonZeroOpIsEEPKslEEPiiNS8_6detail34convert_binary_result_type_wrapperINS8_3SumESH_iEEEE10hipError_tPvRmT1_T2_T3_mT4_P12ihipStream_tbEUlT_E0_NS1_11comp_targetILNS1_3genE3ELNS1_11target_archE908ELNS1_3gpuE7ELNS1_3repE0EEENS1_30default_config_static_selectorELNS0_4arch9wavefront6targetE0EEEvSQ_
	.p2align	8
	.type	_ZN7rocprim17ROCPRIM_400000_NS6detail17trampoline_kernelINS0_14default_configENS1_22reduce_config_selectorIbEEZNS1_11reduce_implILb1ES3_N6hipcub16HIPCUB_304000_NS22TransformInputIteratorIbN2at6native12_GLOBAL__N_19NonZeroOpIsEEPKslEEPiiNS8_6detail34convert_binary_result_type_wrapperINS8_3SumESH_iEEEE10hipError_tPvRmT1_T2_T3_mT4_P12ihipStream_tbEUlT_E0_NS1_11comp_targetILNS1_3genE3ELNS1_11target_archE908ELNS1_3gpuE7ELNS1_3repE0EEENS1_30default_config_static_selectorELNS0_4arch9wavefront6targetE0EEEvSQ_,@function
_ZN7rocprim17ROCPRIM_400000_NS6detail17trampoline_kernelINS0_14default_configENS1_22reduce_config_selectorIbEEZNS1_11reduce_implILb1ES3_N6hipcub16HIPCUB_304000_NS22TransformInputIteratorIbN2at6native12_GLOBAL__N_19NonZeroOpIsEEPKslEEPiiNS8_6detail34convert_binary_result_type_wrapperINS8_3SumESH_iEEEE10hipError_tPvRmT1_T2_T3_mT4_P12ihipStream_tbEUlT_E0_NS1_11comp_targetILNS1_3genE3ELNS1_11target_archE908ELNS1_3gpuE7ELNS1_3repE0EEENS1_30default_config_static_selectorELNS0_4arch9wavefront6targetE0EEEvSQ_: ; @_ZN7rocprim17ROCPRIM_400000_NS6detail17trampoline_kernelINS0_14default_configENS1_22reduce_config_selectorIbEEZNS1_11reduce_implILb1ES3_N6hipcub16HIPCUB_304000_NS22TransformInputIteratorIbN2at6native12_GLOBAL__N_19NonZeroOpIsEEPKslEEPiiNS8_6detail34convert_binary_result_type_wrapperINS8_3SumESH_iEEEE10hipError_tPvRmT1_T2_T3_mT4_P12ihipStream_tbEUlT_E0_NS1_11comp_targetILNS1_3genE3ELNS1_11target_archE908ELNS1_3gpuE7ELNS1_3repE0EEENS1_30default_config_static_selectorELNS0_4arch9wavefront6targetE0EEEvSQ_
; %bb.0:
	.section	.rodata,"a",@progbits
	.p2align	6, 0x0
	.amdhsa_kernel _ZN7rocprim17ROCPRIM_400000_NS6detail17trampoline_kernelINS0_14default_configENS1_22reduce_config_selectorIbEEZNS1_11reduce_implILb1ES3_N6hipcub16HIPCUB_304000_NS22TransformInputIteratorIbN2at6native12_GLOBAL__N_19NonZeroOpIsEEPKslEEPiiNS8_6detail34convert_binary_result_type_wrapperINS8_3SumESH_iEEEE10hipError_tPvRmT1_T2_T3_mT4_P12ihipStream_tbEUlT_E0_NS1_11comp_targetILNS1_3genE3ELNS1_11target_archE908ELNS1_3gpuE7ELNS1_3repE0EEENS1_30default_config_static_selectorELNS0_4arch9wavefront6targetE0EEEvSQ_
		.amdhsa_group_segment_fixed_size 0
		.amdhsa_private_segment_fixed_size 0
		.amdhsa_kernarg_size 64
		.amdhsa_user_sgpr_count 2
		.amdhsa_user_sgpr_dispatch_ptr 0
		.amdhsa_user_sgpr_queue_ptr 0
		.amdhsa_user_sgpr_kernarg_segment_ptr 1
		.amdhsa_user_sgpr_dispatch_id 0
		.amdhsa_user_sgpr_private_segment_size 0
		.amdhsa_wavefront_size32 1
		.amdhsa_uses_dynamic_stack 0
		.amdhsa_enable_private_segment 0
		.amdhsa_system_sgpr_workgroup_id_x 1
		.amdhsa_system_sgpr_workgroup_id_y 0
		.amdhsa_system_sgpr_workgroup_id_z 0
		.amdhsa_system_sgpr_workgroup_info 0
		.amdhsa_system_vgpr_workitem_id 0
		.amdhsa_next_free_vgpr 1
		.amdhsa_next_free_sgpr 1
		.amdhsa_reserve_vcc 0
		.amdhsa_float_round_mode_32 0
		.amdhsa_float_round_mode_16_64 0
		.amdhsa_float_denorm_mode_32 3
		.amdhsa_float_denorm_mode_16_64 3
		.amdhsa_fp16_overflow 0
		.amdhsa_workgroup_processor_mode 1
		.amdhsa_memory_ordered 1
		.amdhsa_forward_progress 1
		.amdhsa_inst_pref_size 0
		.amdhsa_round_robin_scheduling 0
		.amdhsa_exception_fp_ieee_invalid_op 0
		.amdhsa_exception_fp_denorm_src 0
		.amdhsa_exception_fp_ieee_div_zero 0
		.amdhsa_exception_fp_ieee_overflow 0
		.amdhsa_exception_fp_ieee_underflow 0
		.amdhsa_exception_fp_ieee_inexact 0
		.amdhsa_exception_int_div_zero 0
	.end_amdhsa_kernel
	.section	.text._ZN7rocprim17ROCPRIM_400000_NS6detail17trampoline_kernelINS0_14default_configENS1_22reduce_config_selectorIbEEZNS1_11reduce_implILb1ES3_N6hipcub16HIPCUB_304000_NS22TransformInputIteratorIbN2at6native12_GLOBAL__N_19NonZeroOpIsEEPKslEEPiiNS8_6detail34convert_binary_result_type_wrapperINS8_3SumESH_iEEEE10hipError_tPvRmT1_T2_T3_mT4_P12ihipStream_tbEUlT_E0_NS1_11comp_targetILNS1_3genE3ELNS1_11target_archE908ELNS1_3gpuE7ELNS1_3repE0EEENS1_30default_config_static_selectorELNS0_4arch9wavefront6targetE0EEEvSQ_,"axG",@progbits,_ZN7rocprim17ROCPRIM_400000_NS6detail17trampoline_kernelINS0_14default_configENS1_22reduce_config_selectorIbEEZNS1_11reduce_implILb1ES3_N6hipcub16HIPCUB_304000_NS22TransformInputIteratorIbN2at6native12_GLOBAL__N_19NonZeroOpIsEEPKslEEPiiNS8_6detail34convert_binary_result_type_wrapperINS8_3SumESH_iEEEE10hipError_tPvRmT1_T2_T3_mT4_P12ihipStream_tbEUlT_E0_NS1_11comp_targetILNS1_3genE3ELNS1_11target_archE908ELNS1_3gpuE7ELNS1_3repE0EEENS1_30default_config_static_selectorELNS0_4arch9wavefront6targetE0EEEvSQ_,comdat
.Lfunc_end307:
	.size	_ZN7rocprim17ROCPRIM_400000_NS6detail17trampoline_kernelINS0_14default_configENS1_22reduce_config_selectorIbEEZNS1_11reduce_implILb1ES3_N6hipcub16HIPCUB_304000_NS22TransformInputIteratorIbN2at6native12_GLOBAL__N_19NonZeroOpIsEEPKslEEPiiNS8_6detail34convert_binary_result_type_wrapperINS8_3SumESH_iEEEE10hipError_tPvRmT1_T2_T3_mT4_P12ihipStream_tbEUlT_E0_NS1_11comp_targetILNS1_3genE3ELNS1_11target_archE908ELNS1_3gpuE7ELNS1_3repE0EEENS1_30default_config_static_selectorELNS0_4arch9wavefront6targetE0EEEvSQ_, .Lfunc_end307-_ZN7rocprim17ROCPRIM_400000_NS6detail17trampoline_kernelINS0_14default_configENS1_22reduce_config_selectorIbEEZNS1_11reduce_implILb1ES3_N6hipcub16HIPCUB_304000_NS22TransformInputIteratorIbN2at6native12_GLOBAL__N_19NonZeroOpIsEEPKslEEPiiNS8_6detail34convert_binary_result_type_wrapperINS8_3SumESH_iEEEE10hipError_tPvRmT1_T2_T3_mT4_P12ihipStream_tbEUlT_E0_NS1_11comp_targetILNS1_3genE3ELNS1_11target_archE908ELNS1_3gpuE7ELNS1_3repE0EEENS1_30default_config_static_selectorELNS0_4arch9wavefront6targetE0EEEvSQ_
                                        ; -- End function
	.set _ZN7rocprim17ROCPRIM_400000_NS6detail17trampoline_kernelINS0_14default_configENS1_22reduce_config_selectorIbEEZNS1_11reduce_implILb1ES3_N6hipcub16HIPCUB_304000_NS22TransformInputIteratorIbN2at6native12_GLOBAL__N_19NonZeroOpIsEEPKslEEPiiNS8_6detail34convert_binary_result_type_wrapperINS8_3SumESH_iEEEE10hipError_tPvRmT1_T2_T3_mT4_P12ihipStream_tbEUlT_E0_NS1_11comp_targetILNS1_3genE3ELNS1_11target_archE908ELNS1_3gpuE7ELNS1_3repE0EEENS1_30default_config_static_selectorELNS0_4arch9wavefront6targetE0EEEvSQ_.num_vgpr, 0
	.set _ZN7rocprim17ROCPRIM_400000_NS6detail17trampoline_kernelINS0_14default_configENS1_22reduce_config_selectorIbEEZNS1_11reduce_implILb1ES3_N6hipcub16HIPCUB_304000_NS22TransformInputIteratorIbN2at6native12_GLOBAL__N_19NonZeroOpIsEEPKslEEPiiNS8_6detail34convert_binary_result_type_wrapperINS8_3SumESH_iEEEE10hipError_tPvRmT1_T2_T3_mT4_P12ihipStream_tbEUlT_E0_NS1_11comp_targetILNS1_3genE3ELNS1_11target_archE908ELNS1_3gpuE7ELNS1_3repE0EEENS1_30default_config_static_selectorELNS0_4arch9wavefront6targetE0EEEvSQ_.num_agpr, 0
	.set _ZN7rocprim17ROCPRIM_400000_NS6detail17trampoline_kernelINS0_14default_configENS1_22reduce_config_selectorIbEEZNS1_11reduce_implILb1ES3_N6hipcub16HIPCUB_304000_NS22TransformInputIteratorIbN2at6native12_GLOBAL__N_19NonZeroOpIsEEPKslEEPiiNS8_6detail34convert_binary_result_type_wrapperINS8_3SumESH_iEEEE10hipError_tPvRmT1_T2_T3_mT4_P12ihipStream_tbEUlT_E0_NS1_11comp_targetILNS1_3genE3ELNS1_11target_archE908ELNS1_3gpuE7ELNS1_3repE0EEENS1_30default_config_static_selectorELNS0_4arch9wavefront6targetE0EEEvSQ_.numbered_sgpr, 0
	.set _ZN7rocprim17ROCPRIM_400000_NS6detail17trampoline_kernelINS0_14default_configENS1_22reduce_config_selectorIbEEZNS1_11reduce_implILb1ES3_N6hipcub16HIPCUB_304000_NS22TransformInputIteratorIbN2at6native12_GLOBAL__N_19NonZeroOpIsEEPKslEEPiiNS8_6detail34convert_binary_result_type_wrapperINS8_3SumESH_iEEEE10hipError_tPvRmT1_T2_T3_mT4_P12ihipStream_tbEUlT_E0_NS1_11comp_targetILNS1_3genE3ELNS1_11target_archE908ELNS1_3gpuE7ELNS1_3repE0EEENS1_30default_config_static_selectorELNS0_4arch9wavefront6targetE0EEEvSQ_.num_named_barrier, 0
	.set _ZN7rocprim17ROCPRIM_400000_NS6detail17trampoline_kernelINS0_14default_configENS1_22reduce_config_selectorIbEEZNS1_11reduce_implILb1ES3_N6hipcub16HIPCUB_304000_NS22TransformInputIteratorIbN2at6native12_GLOBAL__N_19NonZeroOpIsEEPKslEEPiiNS8_6detail34convert_binary_result_type_wrapperINS8_3SumESH_iEEEE10hipError_tPvRmT1_T2_T3_mT4_P12ihipStream_tbEUlT_E0_NS1_11comp_targetILNS1_3genE3ELNS1_11target_archE908ELNS1_3gpuE7ELNS1_3repE0EEENS1_30default_config_static_selectorELNS0_4arch9wavefront6targetE0EEEvSQ_.private_seg_size, 0
	.set _ZN7rocprim17ROCPRIM_400000_NS6detail17trampoline_kernelINS0_14default_configENS1_22reduce_config_selectorIbEEZNS1_11reduce_implILb1ES3_N6hipcub16HIPCUB_304000_NS22TransformInputIteratorIbN2at6native12_GLOBAL__N_19NonZeroOpIsEEPKslEEPiiNS8_6detail34convert_binary_result_type_wrapperINS8_3SumESH_iEEEE10hipError_tPvRmT1_T2_T3_mT4_P12ihipStream_tbEUlT_E0_NS1_11comp_targetILNS1_3genE3ELNS1_11target_archE908ELNS1_3gpuE7ELNS1_3repE0EEENS1_30default_config_static_selectorELNS0_4arch9wavefront6targetE0EEEvSQ_.uses_vcc, 0
	.set _ZN7rocprim17ROCPRIM_400000_NS6detail17trampoline_kernelINS0_14default_configENS1_22reduce_config_selectorIbEEZNS1_11reduce_implILb1ES3_N6hipcub16HIPCUB_304000_NS22TransformInputIteratorIbN2at6native12_GLOBAL__N_19NonZeroOpIsEEPKslEEPiiNS8_6detail34convert_binary_result_type_wrapperINS8_3SumESH_iEEEE10hipError_tPvRmT1_T2_T3_mT4_P12ihipStream_tbEUlT_E0_NS1_11comp_targetILNS1_3genE3ELNS1_11target_archE908ELNS1_3gpuE7ELNS1_3repE0EEENS1_30default_config_static_selectorELNS0_4arch9wavefront6targetE0EEEvSQ_.uses_flat_scratch, 0
	.set _ZN7rocprim17ROCPRIM_400000_NS6detail17trampoline_kernelINS0_14default_configENS1_22reduce_config_selectorIbEEZNS1_11reduce_implILb1ES3_N6hipcub16HIPCUB_304000_NS22TransformInputIteratorIbN2at6native12_GLOBAL__N_19NonZeroOpIsEEPKslEEPiiNS8_6detail34convert_binary_result_type_wrapperINS8_3SumESH_iEEEE10hipError_tPvRmT1_T2_T3_mT4_P12ihipStream_tbEUlT_E0_NS1_11comp_targetILNS1_3genE3ELNS1_11target_archE908ELNS1_3gpuE7ELNS1_3repE0EEENS1_30default_config_static_selectorELNS0_4arch9wavefront6targetE0EEEvSQ_.has_dyn_sized_stack, 0
	.set _ZN7rocprim17ROCPRIM_400000_NS6detail17trampoline_kernelINS0_14default_configENS1_22reduce_config_selectorIbEEZNS1_11reduce_implILb1ES3_N6hipcub16HIPCUB_304000_NS22TransformInputIteratorIbN2at6native12_GLOBAL__N_19NonZeroOpIsEEPKslEEPiiNS8_6detail34convert_binary_result_type_wrapperINS8_3SumESH_iEEEE10hipError_tPvRmT1_T2_T3_mT4_P12ihipStream_tbEUlT_E0_NS1_11comp_targetILNS1_3genE3ELNS1_11target_archE908ELNS1_3gpuE7ELNS1_3repE0EEENS1_30default_config_static_selectorELNS0_4arch9wavefront6targetE0EEEvSQ_.has_recursion, 0
	.set _ZN7rocprim17ROCPRIM_400000_NS6detail17trampoline_kernelINS0_14default_configENS1_22reduce_config_selectorIbEEZNS1_11reduce_implILb1ES3_N6hipcub16HIPCUB_304000_NS22TransformInputIteratorIbN2at6native12_GLOBAL__N_19NonZeroOpIsEEPKslEEPiiNS8_6detail34convert_binary_result_type_wrapperINS8_3SumESH_iEEEE10hipError_tPvRmT1_T2_T3_mT4_P12ihipStream_tbEUlT_E0_NS1_11comp_targetILNS1_3genE3ELNS1_11target_archE908ELNS1_3gpuE7ELNS1_3repE0EEENS1_30default_config_static_selectorELNS0_4arch9wavefront6targetE0EEEvSQ_.has_indirect_call, 0
	.section	.AMDGPU.csdata,"",@progbits
; Kernel info:
; codeLenInByte = 0
; TotalNumSgprs: 0
; NumVgprs: 0
; ScratchSize: 0
; MemoryBound: 0
; FloatMode: 240
; IeeeMode: 1
; LDSByteSize: 0 bytes/workgroup (compile time only)
; SGPRBlocks: 0
; VGPRBlocks: 0
; NumSGPRsForWavesPerEU: 1
; NumVGPRsForWavesPerEU: 1
; Occupancy: 16
; WaveLimiterHint : 0
; COMPUTE_PGM_RSRC2:SCRATCH_EN: 0
; COMPUTE_PGM_RSRC2:USER_SGPR: 2
; COMPUTE_PGM_RSRC2:TRAP_HANDLER: 0
; COMPUTE_PGM_RSRC2:TGID_X_EN: 1
; COMPUTE_PGM_RSRC2:TGID_Y_EN: 0
; COMPUTE_PGM_RSRC2:TGID_Z_EN: 0
; COMPUTE_PGM_RSRC2:TIDIG_COMP_CNT: 0
	.section	.text._ZN7rocprim17ROCPRIM_400000_NS6detail17trampoline_kernelINS0_14default_configENS1_22reduce_config_selectorIbEEZNS1_11reduce_implILb1ES3_N6hipcub16HIPCUB_304000_NS22TransformInputIteratorIbN2at6native12_GLOBAL__N_19NonZeroOpIsEEPKslEEPiiNS8_6detail34convert_binary_result_type_wrapperINS8_3SumESH_iEEEE10hipError_tPvRmT1_T2_T3_mT4_P12ihipStream_tbEUlT_E0_NS1_11comp_targetILNS1_3genE2ELNS1_11target_archE906ELNS1_3gpuE6ELNS1_3repE0EEENS1_30default_config_static_selectorELNS0_4arch9wavefront6targetE0EEEvSQ_,"axG",@progbits,_ZN7rocprim17ROCPRIM_400000_NS6detail17trampoline_kernelINS0_14default_configENS1_22reduce_config_selectorIbEEZNS1_11reduce_implILb1ES3_N6hipcub16HIPCUB_304000_NS22TransformInputIteratorIbN2at6native12_GLOBAL__N_19NonZeroOpIsEEPKslEEPiiNS8_6detail34convert_binary_result_type_wrapperINS8_3SumESH_iEEEE10hipError_tPvRmT1_T2_T3_mT4_P12ihipStream_tbEUlT_E0_NS1_11comp_targetILNS1_3genE2ELNS1_11target_archE906ELNS1_3gpuE6ELNS1_3repE0EEENS1_30default_config_static_selectorELNS0_4arch9wavefront6targetE0EEEvSQ_,comdat
	.globl	_ZN7rocprim17ROCPRIM_400000_NS6detail17trampoline_kernelINS0_14default_configENS1_22reduce_config_selectorIbEEZNS1_11reduce_implILb1ES3_N6hipcub16HIPCUB_304000_NS22TransformInputIteratorIbN2at6native12_GLOBAL__N_19NonZeroOpIsEEPKslEEPiiNS8_6detail34convert_binary_result_type_wrapperINS8_3SumESH_iEEEE10hipError_tPvRmT1_T2_T3_mT4_P12ihipStream_tbEUlT_E0_NS1_11comp_targetILNS1_3genE2ELNS1_11target_archE906ELNS1_3gpuE6ELNS1_3repE0EEENS1_30default_config_static_selectorELNS0_4arch9wavefront6targetE0EEEvSQ_ ; -- Begin function _ZN7rocprim17ROCPRIM_400000_NS6detail17trampoline_kernelINS0_14default_configENS1_22reduce_config_selectorIbEEZNS1_11reduce_implILb1ES3_N6hipcub16HIPCUB_304000_NS22TransformInputIteratorIbN2at6native12_GLOBAL__N_19NonZeroOpIsEEPKslEEPiiNS8_6detail34convert_binary_result_type_wrapperINS8_3SumESH_iEEEE10hipError_tPvRmT1_T2_T3_mT4_P12ihipStream_tbEUlT_E0_NS1_11comp_targetILNS1_3genE2ELNS1_11target_archE906ELNS1_3gpuE6ELNS1_3repE0EEENS1_30default_config_static_selectorELNS0_4arch9wavefront6targetE0EEEvSQ_
	.p2align	8
	.type	_ZN7rocprim17ROCPRIM_400000_NS6detail17trampoline_kernelINS0_14default_configENS1_22reduce_config_selectorIbEEZNS1_11reduce_implILb1ES3_N6hipcub16HIPCUB_304000_NS22TransformInputIteratorIbN2at6native12_GLOBAL__N_19NonZeroOpIsEEPKslEEPiiNS8_6detail34convert_binary_result_type_wrapperINS8_3SumESH_iEEEE10hipError_tPvRmT1_T2_T3_mT4_P12ihipStream_tbEUlT_E0_NS1_11comp_targetILNS1_3genE2ELNS1_11target_archE906ELNS1_3gpuE6ELNS1_3repE0EEENS1_30default_config_static_selectorELNS0_4arch9wavefront6targetE0EEEvSQ_,@function
_ZN7rocprim17ROCPRIM_400000_NS6detail17trampoline_kernelINS0_14default_configENS1_22reduce_config_selectorIbEEZNS1_11reduce_implILb1ES3_N6hipcub16HIPCUB_304000_NS22TransformInputIteratorIbN2at6native12_GLOBAL__N_19NonZeroOpIsEEPKslEEPiiNS8_6detail34convert_binary_result_type_wrapperINS8_3SumESH_iEEEE10hipError_tPvRmT1_T2_T3_mT4_P12ihipStream_tbEUlT_E0_NS1_11comp_targetILNS1_3genE2ELNS1_11target_archE906ELNS1_3gpuE6ELNS1_3repE0EEENS1_30default_config_static_selectorELNS0_4arch9wavefront6targetE0EEEvSQ_: ; @_ZN7rocprim17ROCPRIM_400000_NS6detail17trampoline_kernelINS0_14default_configENS1_22reduce_config_selectorIbEEZNS1_11reduce_implILb1ES3_N6hipcub16HIPCUB_304000_NS22TransformInputIteratorIbN2at6native12_GLOBAL__N_19NonZeroOpIsEEPKslEEPiiNS8_6detail34convert_binary_result_type_wrapperINS8_3SumESH_iEEEE10hipError_tPvRmT1_T2_T3_mT4_P12ihipStream_tbEUlT_E0_NS1_11comp_targetILNS1_3genE2ELNS1_11target_archE906ELNS1_3gpuE6ELNS1_3repE0EEENS1_30default_config_static_selectorELNS0_4arch9wavefront6targetE0EEEvSQ_
; %bb.0:
	.section	.rodata,"a",@progbits
	.p2align	6, 0x0
	.amdhsa_kernel _ZN7rocprim17ROCPRIM_400000_NS6detail17trampoline_kernelINS0_14default_configENS1_22reduce_config_selectorIbEEZNS1_11reduce_implILb1ES3_N6hipcub16HIPCUB_304000_NS22TransformInputIteratorIbN2at6native12_GLOBAL__N_19NonZeroOpIsEEPKslEEPiiNS8_6detail34convert_binary_result_type_wrapperINS8_3SumESH_iEEEE10hipError_tPvRmT1_T2_T3_mT4_P12ihipStream_tbEUlT_E0_NS1_11comp_targetILNS1_3genE2ELNS1_11target_archE906ELNS1_3gpuE6ELNS1_3repE0EEENS1_30default_config_static_selectorELNS0_4arch9wavefront6targetE0EEEvSQ_
		.amdhsa_group_segment_fixed_size 0
		.amdhsa_private_segment_fixed_size 0
		.amdhsa_kernarg_size 64
		.amdhsa_user_sgpr_count 2
		.amdhsa_user_sgpr_dispatch_ptr 0
		.amdhsa_user_sgpr_queue_ptr 0
		.amdhsa_user_sgpr_kernarg_segment_ptr 1
		.amdhsa_user_sgpr_dispatch_id 0
		.amdhsa_user_sgpr_private_segment_size 0
		.amdhsa_wavefront_size32 1
		.amdhsa_uses_dynamic_stack 0
		.amdhsa_enable_private_segment 0
		.amdhsa_system_sgpr_workgroup_id_x 1
		.amdhsa_system_sgpr_workgroup_id_y 0
		.amdhsa_system_sgpr_workgroup_id_z 0
		.amdhsa_system_sgpr_workgroup_info 0
		.amdhsa_system_vgpr_workitem_id 0
		.amdhsa_next_free_vgpr 1
		.amdhsa_next_free_sgpr 1
		.amdhsa_reserve_vcc 0
		.amdhsa_float_round_mode_32 0
		.amdhsa_float_round_mode_16_64 0
		.amdhsa_float_denorm_mode_32 3
		.amdhsa_float_denorm_mode_16_64 3
		.amdhsa_fp16_overflow 0
		.amdhsa_workgroup_processor_mode 1
		.amdhsa_memory_ordered 1
		.amdhsa_forward_progress 1
		.amdhsa_inst_pref_size 0
		.amdhsa_round_robin_scheduling 0
		.amdhsa_exception_fp_ieee_invalid_op 0
		.amdhsa_exception_fp_denorm_src 0
		.amdhsa_exception_fp_ieee_div_zero 0
		.amdhsa_exception_fp_ieee_overflow 0
		.amdhsa_exception_fp_ieee_underflow 0
		.amdhsa_exception_fp_ieee_inexact 0
		.amdhsa_exception_int_div_zero 0
	.end_amdhsa_kernel
	.section	.text._ZN7rocprim17ROCPRIM_400000_NS6detail17trampoline_kernelINS0_14default_configENS1_22reduce_config_selectorIbEEZNS1_11reduce_implILb1ES3_N6hipcub16HIPCUB_304000_NS22TransformInputIteratorIbN2at6native12_GLOBAL__N_19NonZeroOpIsEEPKslEEPiiNS8_6detail34convert_binary_result_type_wrapperINS8_3SumESH_iEEEE10hipError_tPvRmT1_T2_T3_mT4_P12ihipStream_tbEUlT_E0_NS1_11comp_targetILNS1_3genE2ELNS1_11target_archE906ELNS1_3gpuE6ELNS1_3repE0EEENS1_30default_config_static_selectorELNS0_4arch9wavefront6targetE0EEEvSQ_,"axG",@progbits,_ZN7rocprim17ROCPRIM_400000_NS6detail17trampoline_kernelINS0_14default_configENS1_22reduce_config_selectorIbEEZNS1_11reduce_implILb1ES3_N6hipcub16HIPCUB_304000_NS22TransformInputIteratorIbN2at6native12_GLOBAL__N_19NonZeroOpIsEEPKslEEPiiNS8_6detail34convert_binary_result_type_wrapperINS8_3SumESH_iEEEE10hipError_tPvRmT1_T2_T3_mT4_P12ihipStream_tbEUlT_E0_NS1_11comp_targetILNS1_3genE2ELNS1_11target_archE906ELNS1_3gpuE6ELNS1_3repE0EEENS1_30default_config_static_selectorELNS0_4arch9wavefront6targetE0EEEvSQ_,comdat
.Lfunc_end308:
	.size	_ZN7rocprim17ROCPRIM_400000_NS6detail17trampoline_kernelINS0_14default_configENS1_22reduce_config_selectorIbEEZNS1_11reduce_implILb1ES3_N6hipcub16HIPCUB_304000_NS22TransformInputIteratorIbN2at6native12_GLOBAL__N_19NonZeroOpIsEEPKslEEPiiNS8_6detail34convert_binary_result_type_wrapperINS8_3SumESH_iEEEE10hipError_tPvRmT1_T2_T3_mT4_P12ihipStream_tbEUlT_E0_NS1_11comp_targetILNS1_3genE2ELNS1_11target_archE906ELNS1_3gpuE6ELNS1_3repE0EEENS1_30default_config_static_selectorELNS0_4arch9wavefront6targetE0EEEvSQ_, .Lfunc_end308-_ZN7rocprim17ROCPRIM_400000_NS6detail17trampoline_kernelINS0_14default_configENS1_22reduce_config_selectorIbEEZNS1_11reduce_implILb1ES3_N6hipcub16HIPCUB_304000_NS22TransformInputIteratorIbN2at6native12_GLOBAL__N_19NonZeroOpIsEEPKslEEPiiNS8_6detail34convert_binary_result_type_wrapperINS8_3SumESH_iEEEE10hipError_tPvRmT1_T2_T3_mT4_P12ihipStream_tbEUlT_E0_NS1_11comp_targetILNS1_3genE2ELNS1_11target_archE906ELNS1_3gpuE6ELNS1_3repE0EEENS1_30default_config_static_selectorELNS0_4arch9wavefront6targetE0EEEvSQ_
                                        ; -- End function
	.set _ZN7rocprim17ROCPRIM_400000_NS6detail17trampoline_kernelINS0_14default_configENS1_22reduce_config_selectorIbEEZNS1_11reduce_implILb1ES3_N6hipcub16HIPCUB_304000_NS22TransformInputIteratorIbN2at6native12_GLOBAL__N_19NonZeroOpIsEEPKslEEPiiNS8_6detail34convert_binary_result_type_wrapperINS8_3SumESH_iEEEE10hipError_tPvRmT1_T2_T3_mT4_P12ihipStream_tbEUlT_E0_NS1_11comp_targetILNS1_3genE2ELNS1_11target_archE906ELNS1_3gpuE6ELNS1_3repE0EEENS1_30default_config_static_selectorELNS0_4arch9wavefront6targetE0EEEvSQ_.num_vgpr, 0
	.set _ZN7rocprim17ROCPRIM_400000_NS6detail17trampoline_kernelINS0_14default_configENS1_22reduce_config_selectorIbEEZNS1_11reduce_implILb1ES3_N6hipcub16HIPCUB_304000_NS22TransformInputIteratorIbN2at6native12_GLOBAL__N_19NonZeroOpIsEEPKslEEPiiNS8_6detail34convert_binary_result_type_wrapperINS8_3SumESH_iEEEE10hipError_tPvRmT1_T2_T3_mT4_P12ihipStream_tbEUlT_E0_NS1_11comp_targetILNS1_3genE2ELNS1_11target_archE906ELNS1_3gpuE6ELNS1_3repE0EEENS1_30default_config_static_selectorELNS0_4arch9wavefront6targetE0EEEvSQ_.num_agpr, 0
	.set _ZN7rocprim17ROCPRIM_400000_NS6detail17trampoline_kernelINS0_14default_configENS1_22reduce_config_selectorIbEEZNS1_11reduce_implILb1ES3_N6hipcub16HIPCUB_304000_NS22TransformInputIteratorIbN2at6native12_GLOBAL__N_19NonZeroOpIsEEPKslEEPiiNS8_6detail34convert_binary_result_type_wrapperINS8_3SumESH_iEEEE10hipError_tPvRmT1_T2_T3_mT4_P12ihipStream_tbEUlT_E0_NS1_11comp_targetILNS1_3genE2ELNS1_11target_archE906ELNS1_3gpuE6ELNS1_3repE0EEENS1_30default_config_static_selectorELNS0_4arch9wavefront6targetE0EEEvSQ_.numbered_sgpr, 0
	.set _ZN7rocprim17ROCPRIM_400000_NS6detail17trampoline_kernelINS0_14default_configENS1_22reduce_config_selectorIbEEZNS1_11reduce_implILb1ES3_N6hipcub16HIPCUB_304000_NS22TransformInputIteratorIbN2at6native12_GLOBAL__N_19NonZeroOpIsEEPKslEEPiiNS8_6detail34convert_binary_result_type_wrapperINS8_3SumESH_iEEEE10hipError_tPvRmT1_T2_T3_mT4_P12ihipStream_tbEUlT_E0_NS1_11comp_targetILNS1_3genE2ELNS1_11target_archE906ELNS1_3gpuE6ELNS1_3repE0EEENS1_30default_config_static_selectorELNS0_4arch9wavefront6targetE0EEEvSQ_.num_named_barrier, 0
	.set _ZN7rocprim17ROCPRIM_400000_NS6detail17trampoline_kernelINS0_14default_configENS1_22reduce_config_selectorIbEEZNS1_11reduce_implILb1ES3_N6hipcub16HIPCUB_304000_NS22TransformInputIteratorIbN2at6native12_GLOBAL__N_19NonZeroOpIsEEPKslEEPiiNS8_6detail34convert_binary_result_type_wrapperINS8_3SumESH_iEEEE10hipError_tPvRmT1_T2_T3_mT4_P12ihipStream_tbEUlT_E0_NS1_11comp_targetILNS1_3genE2ELNS1_11target_archE906ELNS1_3gpuE6ELNS1_3repE0EEENS1_30default_config_static_selectorELNS0_4arch9wavefront6targetE0EEEvSQ_.private_seg_size, 0
	.set _ZN7rocprim17ROCPRIM_400000_NS6detail17trampoline_kernelINS0_14default_configENS1_22reduce_config_selectorIbEEZNS1_11reduce_implILb1ES3_N6hipcub16HIPCUB_304000_NS22TransformInputIteratorIbN2at6native12_GLOBAL__N_19NonZeroOpIsEEPKslEEPiiNS8_6detail34convert_binary_result_type_wrapperINS8_3SumESH_iEEEE10hipError_tPvRmT1_T2_T3_mT4_P12ihipStream_tbEUlT_E0_NS1_11comp_targetILNS1_3genE2ELNS1_11target_archE906ELNS1_3gpuE6ELNS1_3repE0EEENS1_30default_config_static_selectorELNS0_4arch9wavefront6targetE0EEEvSQ_.uses_vcc, 0
	.set _ZN7rocprim17ROCPRIM_400000_NS6detail17trampoline_kernelINS0_14default_configENS1_22reduce_config_selectorIbEEZNS1_11reduce_implILb1ES3_N6hipcub16HIPCUB_304000_NS22TransformInputIteratorIbN2at6native12_GLOBAL__N_19NonZeroOpIsEEPKslEEPiiNS8_6detail34convert_binary_result_type_wrapperINS8_3SumESH_iEEEE10hipError_tPvRmT1_T2_T3_mT4_P12ihipStream_tbEUlT_E0_NS1_11comp_targetILNS1_3genE2ELNS1_11target_archE906ELNS1_3gpuE6ELNS1_3repE0EEENS1_30default_config_static_selectorELNS0_4arch9wavefront6targetE0EEEvSQ_.uses_flat_scratch, 0
	.set _ZN7rocprim17ROCPRIM_400000_NS6detail17trampoline_kernelINS0_14default_configENS1_22reduce_config_selectorIbEEZNS1_11reduce_implILb1ES3_N6hipcub16HIPCUB_304000_NS22TransformInputIteratorIbN2at6native12_GLOBAL__N_19NonZeroOpIsEEPKslEEPiiNS8_6detail34convert_binary_result_type_wrapperINS8_3SumESH_iEEEE10hipError_tPvRmT1_T2_T3_mT4_P12ihipStream_tbEUlT_E0_NS1_11comp_targetILNS1_3genE2ELNS1_11target_archE906ELNS1_3gpuE6ELNS1_3repE0EEENS1_30default_config_static_selectorELNS0_4arch9wavefront6targetE0EEEvSQ_.has_dyn_sized_stack, 0
	.set _ZN7rocprim17ROCPRIM_400000_NS6detail17trampoline_kernelINS0_14default_configENS1_22reduce_config_selectorIbEEZNS1_11reduce_implILb1ES3_N6hipcub16HIPCUB_304000_NS22TransformInputIteratorIbN2at6native12_GLOBAL__N_19NonZeroOpIsEEPKslEEPiiNS8_6detail34convert_binary_result_type_wrapperINS8_3SumESH_iEEEE10hipError_tPvRmT1_T2_T3_mT4_P12ihipStream_tbEUlT_E0_NS1_11comp_targetILNS1_3genE2ELNS1_11target_archE906ELNS1_3gpuE6ELNS1_3repE0EEENS1_30default_config_static_selectorELNS0_4arch9wavefront6targetE0EEEvSQ_.has_recursion, 0
	.set _ZN7rocprim17ROCPRIM_400000_NS6detail17trampoline_kernelINS0_14default_configENS1_22reduce_config_selectorIbEEZNS1_11reduce_implILb1ES3_N6hipcub16HIPCUB_304000_NS22TransformInputIteratorIbN2at6native12_GLOBAL__N_19NonZeroOpIsEEPKslEEPiiNS8_6detail34convert_binary_result_type_wrapperINS8_3SumESH_iEEEE10hipError_tPvRmT1_T2_T3_mT4_P12ihipStream_tbEUlT_E0_NS1_11comp_targetILNS1_3genE2ELNS1_11target_archE906ELNS1_3gpuE6ELNS1_3repE0EEENS1_30default_config_static_selectorELNS0_4arch9wavefront6targetE0EEEvSQ_.has_indirect_call, 0
	.section	.AMDGPU.csdata,"",@progbits
; Kernel info:
; codeLenInByte = 0
; TotalNumSgprs: 0
; NumVgprs: 0
; ScratchSize: 0
; MemoryBound: 0
; FloatMode: 240
; IeeeMode: 1
; LDSByteSize: 0 bytes/workgroup (compile time only)
; SGPRBlocks: 0
; VGPRBlocks: 0
; NumSGPRsForWavesPerEU: 1
; NumVGPRsForWavesPerEU: 1
; Occupancy: 16
; WaveLimiterHint : 0
; COMPUTE_PGM_RSRC2:SCRATCH_EN: 0
; COMPUTE_PGM_RSRC2:USER_SGPR: 2
; COMPUTE_PGM_RSRC2:TRAP_HANDLER: 0
; COMPUTE_PGM_RSRC2:TGID_X_EN: 1
; COMPUTE_PGM_RSRC2:TGID_Y_EN: 0
; COMPUTE_PGM_RSRC2:TGID_Z_EN: 0
; COMPUTE_PGM_RSRC2:TIDIG_COMP_CNT: 0
	.section	.text._ZN7rocprim17ROCPRIM_400000_NS6detail17trampoline_kernelINS0_14default_configENS1_22reduce_config_selectorIbEEZNS1_11reduce_implILb1ES3_N6hipcub16HIPCUB_304000_NS22TransformInputIteratorIbN2at6native12_GLOBAL__N_19NonZeroOpIsEEPKslEEPiiNS8_6detail34convert_binary_result_type_wrapperINS8_3SumESH_iEEEE10hipError_tPvRmT1_T2_T3_mT4_P12ihipStream_tbEUlT_E0_NS1_11comp_targetILNS1_3genE10ELNS1_11target_archE1201ELNS1_3gpuE5ELNS1_3repE0EEENS1_30default_config_static_selectorELNS0_4arch9wavefront6targetE0EEEvSQ_,"axG",@progbits,_ZN7rocprim17ROCPRIM_400000_NS6detail17trampoline_kernelINS0_14default_configENS1_22reduce_config_selectorIbEEZNS1_11reduce_implILb1ES3_N6hipcub16HIPCUB_304000_NS22TransformInputIteratorIbN2at6native12_GLOBAL__N_19NonZeroOpIsEEPKslEEPiiNS8_6detail34convert_binary_result_type_wrapperINS8_3SumESH_iEEEE10hipError_tPvRmT1_T2_T3_mT4_P12ihipStream_tbEUlT_E0_NS1_11comp_targetILNS1_3genE10ELNS1_11target_archE1201ELNS1_3gpuE5ELNS1_3repE0EEENS1_30default_config_static_selectorELNS0_4arch9wavefront6targetE0EEEvSQ_,comdat
	.globl	_ZN7rocprim17ROCPRIM_400000_NS6detail17trampoline_kernelINS0_14default_configENS1_22reduce_config_selectorIbEEZNS1_11reduce_implILb1ES3_N6hipcub16HIPCUB_304000_NS22TransformInputIteratorIbN2at6native12_GLOBAL__N_19NonZeroOpIsEEPKslEEPiiNS8_6detail34convert_binary_result_type_wrapperINS8_3SumESH_iEEEE10hipError_tPvRmT1_T2_T3_mT4_P12ihipStream_tbEUlT_E0_NS1_11comp_targetILNS1_3genE10ELNS1_11target_archE1201ELNS1_3gpuE5ELNS1_3repE0EEENS1_30default_config_static_selectorELNS0_4arch9wavefront6targetE0EEEvSQ_ ; -- Begin function _ZN7rocprim17ROCPRIM_400000_NS6detail17trampoline_kernelINS0_14default_configENS1_22reduce_config_selectorIbEEZNS1_11reduce_implILb1ES3_N6hipcub16HIPCUB_304000_NS22TransformInputIteratorIbN2at6native12_GLOBAL__N_19NonZeroOpIsEEPKslEEPiiNS8_6detail34convert_binary_result_type_wrapperINS8_3SumESH_iEEEE10hipError_tPvRmT1_T2_T3_mT4_P12ihipStream_tbEUlT_E0_NS1_11comp_targetILNS1_3genE10ELNS1_11target_archE1201ELNS1_3gpuE5ELNS1_3repE0EEENS1_30default_config_static_selectorELNS0_4arch9wavefront6targetE0EEEvSQ_
	.p2align	8
	.type	_ZN7rocprim17ROCPRIM_400000_NS6detail17trampoline_kernelINS0_14default_configENS1_22reduce_config_selectorIbEEZNS1_11reduce_implILb1ES3_N6hipcub16HIPCUB_304000_NS22TransformInputIteratorIbN2at6native12_GLOBAL__N_19NonZeroOpIsEEPKslEEPiiNS8_6detail34convert_binary_result_type_wrapperINS8_3SumESH_iEEEE10hipError_tPvRmT1_T2_T3_mT4_P12ihipStream_tbEUlT_E0_NS1_11comp_targetILNS1_3genE10ELNS1_11target_archE1201ELNS1_3gpuE5ELNS1_3repE0EEENS1_30default_config_static_selectorELNS0_4arch9wavefront6targetE0EEEvSQ_,@function
_ZN7rocprim17ROCPRIM_400000_NS6detail17trampoline_kernelINS0_14default_configENS1_22reduce_config_selectorIbEEZNS1_11reduce_implILb1ES3_N6hipcub16HIPCUB_304000_NS22TransformInputIteratorIbN2at6native12_GLOBAL__N_19NonZeroOpIsEEPKslEEPiiNS8_6detail34convert_binary_result_type_wrapperINS8_3SumESH_iEEEE10hipError_tPvRmT1_T2_T3_mT4_P12ihipStream_tbEUlT_E0_NS1_11comp_targetILNS1_3genE10ELNS1_11target_archE1201ELNS1_3gpuE5ELNS1_3repE0EEENS1_30default_config_static_selectorELNS0_4arch9wavefront6targetE0EEEvSQ_: ; @_ZN7rocprim17ROCPRIM_400000_NS6detail17trampoline_kernelINS0_14default_configENS1_22reduce_config_selectorIbEEZNS1_11reduce_implILb1ES3_N6hipcub16HIPCUB_304000_NS22TransformInputIteratorIbN2at6native12_GLOBAL__N_19NonZeroOpIsEEPKslEEPiiNS8_6detail34convert_binary_result_type_wrapperINS8_3SumESH_iEEEE10hipError_tPvRmT1_T2_T3_mT4_P12ihipStream_tbEUlT_E0_NS1_11comp_targetILNS1_3genE10ELNS1_11target_archE1201ELNS1_3gpuE5ELNS1_3repE0EEENS1_30default_config_static_selectorELNS0_4arch9wavefront6targetE0EEEvSQ_
; %bb.0:
	s_clause 0x2
	s_load_b256 s[16:23], s[0:1], 0x10
	s_load_b64 s[4:5], s[0:1], 0x0
	s_load_b64 s[26:27], s[0:1], 0x30
	s_lshl_b32 s2, ttmp9, 12
	s_mov_b32 s3, 0
	v_mbcnt_lo_u32_b32 v18, -1, 0
	v_lshlrev_b32_e32 v19, 1, v0
	s_mov_b32 s24, ttmp9
	s_mov_b32 s25, s3
	s_wait_kmcnt 0x0
	s_lshl_b64 s[6:7], s[16:17], 1
	s_lshr_b64 s[8:9], s[18:19], 12
	s_add_nc_u64 s[4:5], s[4:5], s[6:7]
	s_lshl_b64 s[6:7], s[2:3], 1
	s_cmp_lg_u64 s[8:9], s[24:25]
	s_add_nc_u64 s[16:17], s[4:5], s[6:7]
	s_cbranch_scc0 .LBB309_6
; %bb.1:
	s_clause 0xf
	global_load_u16 v1, v19, s[16:17]
	global_load_u16 v2, v19, s[16:17] offset:1024
	global_load_u16 v3, v19, s[16:17] offset:512
	;; [unrolled: 1-line block ×15, first 2 shown]
	s_mov_b32 s3, exec_lo
	s_wait_loadcnt 0xf
	v_cmp_ne_u16_e32 vcc_lo, 0, v1
	v_cndmask_b32_e64 v1, 0, 1, vcc_lo
	s_wait_loadcnt 0xe
	v_cmp_ne_u16_e32 vcc_lo, 0, v2
	s_wait_alu 0xfffd
	v_cndmask_b32_e64 v2, 0, 1, vcc_lo
	s_wait_loadcnt 0xd
	v_cmp_ne_u16_e32 vcc_lo, 0, v3
	s_wait_alu 0xfffd
	v_add_co_ci_u32_e64 v1, null, 0, v1, vcc_lo
	s_wait_loadcnt 0xc
	v_cmp_ne_u16_e32 vcc_lo, 0, v4
	s_wait_alu 0xfffd
	v_cndmask_b32_e64 v3, 0, 1, vcc_lo
	s_wait_loadcnt 0xb
	v_cmp_ne_u16_e32 vcc_lo, 0, v5
	s_wait_alu 0xfffd
	v_add_co_ci_u32_e64 v1, null, v1, v2, vcc_lo
	;; [unrolled: 8-line block ×7, first 2 shown]
	s_wait_loadcnt 0x0
	v_cmp_ne_u16_e32 vcc_lo, 0, v16
	s_wait_alu 0xfffd
	s_delay_alu instid0(VALU_DEP_2) | instskip(NEXT) | instid1(VALU_DEP_1)
	v_add_co_ci_u32_e64 v1, null, v1, v2, vcc_lo
	v_mov_b32_dpp v2, v1 quad_perm:[1,0,3,2] row_mask:0xf bank_mask:0xf
	s_delay_alu instid0(VALU_DEP_1) | instskip(NEXT) | instid1(VALU_DEP_1)
	v_add_nc_u32_e32 v1, v1, v2
	v_mov_b32_dpp v2, v1 quad_perm:[2,3,0,1] row_mask:0xf bank_mask:0xf
	s_delay_alu instid0(VALU_DEP_1) | instskip(NEXT) | instid1(VALU_DEP_1)
	v_add_nc_u32_e32 v1, v1, v2
	v_mov_b32_dpp v2, v1 row_ror:4 row_mask:0xf bank_mask:0xf
	s_delay_alu instid0(VALU_DEP_1) | instskip(NEXT) | instid1(VALU_DEP_1)
	v_add_nc_u32_e32 v1, v1, v2
	v_mov_b32_dpp v2, v1 row_ror:8 row_mask:0xf bank_mask:0xf
	s_delay_alu instid0(VALU_DEP_1)
	v_add_nc_u32_e32 v1, v1, v2
	ds_swizzle_b32 v2, v1 offset:swizzle(BROADCAST,32,15)
	s_wait_dscnt 0x0
	v_dual_mov_b32 v2, 0 :: v_dual_add_nc_u32 v1, v1, v2
	ds_bpermute_b32 v1, v2, v1 offset:124
	v_cmpx_eq_u32_e32 0, v18
	s_cbranch_execz .LBB309_3
; %bb.2:
	v_lshrrev_b32_e32 v2, 3, v0
	s_delay_alu instid0(VALU_DEP_1)
	v_and_b32_e32 v2, 28, v2
	s_wait_dscnt 0x0
	ds_store_b32 v2, v1
.LBB309_3:
	s_or_b32 exec_lo, exec_lo, s3
	s_delay_alu instid0(SALU_CYCLE_1)
	s_mov_b32 s3, exec_lo
	s_wait_dscnt 0x0
	s_barrier_signal -1
	s_barrier_wait -1
	global_inv scope:SCOPE_SE
	v_cmpx_gt_u32_e32 32, v0
	s_cbranch_execz .LBB309_5
; %bb.4:
	v_and_b32_e32 v1, 7, v18
	s_delay_alu instid0(VALU_DEP_1)
	v_lshlrev_b32_e32 v2, 2, v1
	v_cmp_ne_u32_e32 vcc_lo, 7, v1
	ds_load_b32 v2, v2
	s_wait_alu 0xfffd
	v_add_co_ci_u32_e64 v3, null, 0, v18, vcc_lo
	v_cmp_gt_u32_e32 vcc_lo, 6, v1
	s_delay_alu instid0(VALU_DEP_2) | instskip(SKIP_2) | instid1(VALU_DEP_1)
	v_lshlrev_b32_e32 v3, 2, v3
	s_wait_alu 0xfffd
	v_cndmask_b32_e64 v1, 0, 2, vcc_lo
	v_add_lshl_u32 v1, v1, v18, 2
	s_wait_dscnt 0x0
	ds_bpermute_b32 v3, v3, v2
	s_wait_dscnt 0x0
	v_add_nc_u32_e32 v2, v3, v2
	v_lshlrev_b32_e32 v3, 2, v18
	ds_bpermute_b32 v1, v1, v2
	s_wait_dscnt 0x0
	v_add_nc_u32_e32 v1, v1, v2
	v_or_b32_e32 v2, 16, v3
	ds_bpermute_b32 v2, v2, v1
	s_wait_dscnt 0x0
	v_add_nc_u32_e32 v1, v2, v1
.LBB309_5:
	s_or_b32 exec_lo, exec_lo, s3
	s_branch .LBB309_44
.LBB309_6:
                                        ; implicit-def: $vgpr1
	s_cbranch_execz .LBB309_44
; %bb.7:
	v_mov_b32_e32 v1, 0
	s_sub_co_i32 s28, s18, s2
	s_mov_b32 s2, exec_lo
	s_delay_alu instid0(VALU_DEP_1)
	v_dual_mov_b32 v2, v1 :: v_dual_mov_b32 v3, v1
	v_dual_mov_b32 v4, v1 :: v_dual_mov_b32 v5, v1
	;; [unrolled: 1-line block ×7, first 2 shown]
	v_mov_b32_e32 v16, v1
	v_cmpx_gt_u32_e64 s28, v0
	s_cbranch_execz .LBB309_9
; %bb.8:
	global_load_u16 v2, v19, s[16:17]
	v_dual_mov_b32 v3, v1 :: v_dual_mov_b32 v4, v1
	v_dual_mov_b32 v5, v1 :: v_dual_mov_b32 v6, v1
	;; [unrolled: 1-line block ×7, first 2 shown]
	v_mov_b32_e32 v17, v1
	s_wait_loadcnt 0x0
	v_cmp_ne_u16_e32 vcc_lo, 0, v2
	v_cndmask_b32_e64 v2, 0, 1, vcc_lo
	s_delay_alu instid0(VALU_DEP_1) | instskip(NEXT) | instid1(VALU_DEP_1)
	v_and_b32_e32 v2, 0xffff, v2
	v_mov_b32_e32 v1, v2
	v_mov_b32_e32 v2, v3
	;; [unrolled: 1-line block ×16, first 2 shown]
.LBB309_9:
	s_or_b32 exec_lo, exec_lo, s2
	v_or_b32_e32 v17, 0x100, v0
	s_delay_alu instid0(VALU_DEP_1)
	v_cmp_gt_u32_e32 vcc_lo, s28, v17
	s_and_saveexec_b32 s3, vcc_lo
	s_cbranch_execz .LBB309_11
; %bb.10:
	global_load_u16 v2, v19, s[16:17] offset:512
	s_wait_loadcnt 0x0
	v_cmp_ne_u16_e64 s2, 0, v2
	s_delay_alu instid0(VALU_DEP_1)
	v_cndmask_b32_e64 v2, 0, 1, s2
.LBB309_11:
	s_or_b32 exec_lo, exec_lo, s3
	v_or_b32_e32 v17, 0x200, v0
	s_delay_alu instid0(VALU_DEP_1)
	v_cmp_gt_u32_e64 s2, s28, v17
	s_and_saveexec_b32 s4, s2
	s_cbranch_execz .LBB309_13
; %bb.12:
	global_load_u16 v3, v19, s[16:17] offset:1024
	s_wait_loadcnt 0x0
	v_cmp_ne_u16_e64 s3, 0, v3
	s_wait_alu 0xf1ff
	s_delay_alu instid0(VALU_DEP_1)
	v_cndmask_b32_e64 v3, 0, 1, s3
.LBB309_13:
	s_or_b32 exec_lo, exec_lo, s4
	v_or_b32_e32 v17, 0x300, v0
	s_delay_alu instid0(VALU_DEP_1)
	v_cmp_gt_u32_e64 s3, s28, v17
	s_and_saveexec_b32 s5, s3
	s_cbranch_execz .LBB309_15
; %bb.14:
	global_load_u16 v4, v19, s[16:17] offset:1536
	s_wait_loadcnt 0x0
	v_cmp_ne_u16_e64 s4, 0, v4
	s_delay_alu instid0(VALU_DEP_1)
	v_cndmask_b32_e64 v4, 0, 1, s4
.LBB309_15:
	s_or_b32 exec_lo, exec_lo, s5
	v_or_b32_e32 v17, 0x400, v0
	s_delay_alu instid0(VALU_DEP_1)
	v_cmp_gt_u32_e64 s4, s28, v17
	s_and_saveexec_b32 s6, s4
	s_cbranch_execz .LBB309_17
; %bb.16:
	global_load_u16 v5, v19, s[16:17] offset:2048
	s_wait_loadcnt 0x0
	v_cmp_ne_u16_e64 s5, 0, v5
	s_wait_alu 0xf1ff
	s_delay_alu instid0(VALU_DEP_1)
	v_cndmask_b32_e64 v5, 0, 1, s5
.LBB309_17:
	s_or_b32 exec_lo, exec_lo, s6
	v_or_b32_e32 v17, 0x500, v0
	s_delay_alu instid0(VALU_DEP_1)
	v_cmp_gt_u32_e64 s5, s28, v17
	s_and_saveexec_b32 s7, s5
	;; [unrolled: 27-line block ×6, first 2 shown]
	s_cbranch_execz .LBB309_35
; %bb.34:
	global_load_u16 v14, v19, s[16:17] offset:6656
	s_wait_loadcnt 0x0
	v_cmp_ne_u16_e64 s14, 0, v14
	s_delay_alu instid0(VALU_DEP_1)
	v_cndmask_b32_e64 v14, 0, 1, s14
.LBB309_35:
	s_or_b32 exec_lo, exec_lo, s15
	v_or_b32_e32 v17, 0xe00, v0
	s_delay_alu instid0(VALU_DEP_1)
	v_cmp_gt_u32_e64 s14, s28, v17
	s_and_saveexec_b32 s29, s14
	s_cbranch_execz .LBB309_37
; %bb.36:
	global_load_u16 v15, v19, s[16:17] offset:7168
	s_wait_loadcnt 0x0
	v_cmp_ne_u16_e64 s15, 0, v15
	s_wait_alu 0xf1ff
	s_delay_alu instid0(VALU_DEP_1)
	v_cndmask_b32_e64 v15, 0, 1, s15
.LBB309_37:
	s_wait_alu 0xfffe
	s_or_b32 exec_lo, exec_lo, s29
	v_or_b32_e32 v17, 0xf00, v0
	s_delay_alu instid0(VALU_DEP_1)
	v_cmp_gt_u32_e64 s15, s28, v17
	s_and_saveexec_b32 s29, s15
	s_cbranch_execz .LBB309_39
; %bb.38:
	global_load_u16 v16, v19, s[16:17] offset:7680
	s_wait_loadcnt 0x0
	v_cmp_ne_u16_e64 s16, 0, v16
	s_delay_alu instid0(VALU_DEP_1)
	v_cndmask_b32_e64 v16, 0, 1, s16
.LBB309_39:
	s_wait_alu 0xfffe
	s_or_b32 exec_lo, exec_lo, s29
	v_cndmask_b32_e32 v2, 0, v2, vcc_lo
	v_cndmask_b32_e64 v3, 0, v3, s2
	v_cndmask_b32_e64 v4, 0, v4, s3
	v_cmp_ne_u32_e32 vcc_lo, 31, v18
	s_min_u32 s2, s28, 0x100
	v_add_nc_u32_e32 v1, v2, v1
	v_cndmask_b32_e64 v2, 0, v5, s4
	v_cndmask_b32_e64 v5, 0, v6, s5
	;; [unrolled: 1-line block ×3, first 2 shown]
	s_mov_b32 s3, exec_lo
	v_add3_u32 v1, v1, v3, v4
	v_cndmask_b32_e64 v3, 0, v7, s6
	v_cndmask_b32_e64 v4, 0, v8, s7
	s_delay_alu instid0(VALU_DEP_3) | instskip(SKIP_2) | instid1(VALU_DEP_3)
	v_add3_u32 v1, v1, v2, v5
	v_cndmask_b32_e64 v2, 0, v9, s8
	v_cndmask_b32_e64 v5, 0, v10, s9
	v_add3_u32 v1, v1, v3, v4
	v_cndmask_b32_e64 v3, 0, v11, s10
	v_cndmask_b32_e64 v4, 0, v12, s11
	s_delay_alu instid0(VALU_DEP_3) | instskip(SKIP_2) | instid1(VALU_DEP_3)
	v_add3_u32 v1, v1, v2, v5
	v_cndmask_b32_e64 v2, 0, v13, s12
	v_cndmask_b32_e64 v5, 0, v14, s13
	v_add3_u32 v1, v1, v3, v4
	v_cndmask_b32_e64 v3, 0, v16, s15
	s_wait_alu 0xfffd
	v_add_co_ci_u32_e64 v4, null, 0, v18, vcc_lo
	v_cmp_gt_u32_e32 vcc_lo, 30, v18
	v_add3_u32 v1, v1, v2, v5
	s_delay_alu instid0(VALU_DEP_3)
	v_lshlrev_b32_e32 v2, 2, v4
	v_add_nc_u32_e32 v4, 1, v18
	s_wait_alu 0xfffd
	v_cndmask_b32_e64 v5, 0, 2, vcc_lo
	v_add3_u32 v1, v1, v6, v3
	v_and_b32_e32 v3, 0xe0, v0
	ds_bpermute_b32 v2, v2, v1
	s_wait_alu 0xfffe
	v_sub_nc_u32_e64 v3, s2, v3 clamp
	s_delay_alu instid0(VALU_DEP_1)
	v_cmp_lt_u32_e32 vcc_lo, v4, v3
	v_add_lshl_u32 v4, v5, v18, 2
	s_wait_dscnt 0x0
	s_wait_alu 0xfffd
	v_cndmask_b32_e32 v2, 0, v2, vcc_lo
	v_cmp_gt_u32_e32 vcc_lo, 28, v18
	s_delay_alu instid0(VALU_DEP_2) | instskip(SKIP_4) | instid1(VALU_DEP_1)
	v_add_nc_u32_e32 v1, v1, v2
	s_wait_alu 0xfffd
	v_cndmask_b32_e64 v5, 0, 4, vcc_lo
	ds_bpermute_b32 v2, v4, v1
	v_add_nc_u32_e32 v4, 2, v18
	v_cmp_lt_u32_e32 vcc_lo, v4, v3
	v_add_lshl_u32 v4, v5, v18, 2
	s_wait_dscnt 0x0
	s_wait_alu 0xfffd
	v_cndmask_b32_e32 v2, 0, v2, vcc_lo
	v_cmp_gt_u32_e32 vcc_lo, 24, v18
	s_delay_alu instid0(VALU_DEP_2) | instskip(SKIP_4) | instid1(VALU_DEP_1)
	v_add_nc_u32_e32 v1, v1, v2
	s_wait_alu 0xfffd
	v_cndmask_b32_e64 v5, 0, 8, vcc_lo
	ds_bpermute_b32 v2, v4, v1
	v_add_nc_u32_e32 v4, 4, v18
	v_cmp_lt_u32_e32 vcc_lo, v4, v3
	v_add_lshl_u32 v4, v5, v18, 2
	v_add_nc_u32_e32 v5, 8, v18
	s_wait_dscnt 0x0
	s_wait_alu 0xfffd
	v_cndmask_b32_e32 v2, 0, v2, vcc_lo
	s_delay_alu instid0(VALU_DEP_2) | instskip(NEXT) | instid1(VALU_DEP_2)
	v_cmp_lt_u32_e32 vcc_lo, v5, v3
	v_add_nc_u32_e32 v1, v1, v2
	v_lshlrev_b32_e32 v2, 2, v18
	ds_bpermute_b32 v4, v4, v1
	v_or_b32_e32 v5, 64, v2
	s_wait_dscnt 0x0
	s_wait_alu 0xfffd
	v_cndmask_b32_e32 v4, 0, v4, vcc_lo
	s_delay_alu instid0(VALU_DEP_1) | instskip(SKIP_2) | instid1(VALU_DEP_1)
	v_add_nc_u32_e32 v1, v1, v4
	ds_bpermute_b32 v4, v5, v1
	v_add_nc_u32_e32 v5, 16, v18
	v_cmp_lt_u32_e32 vcc_lo, v5, v3
	s_wait_dscnt 0x0
	s_wait_alu 0xfffd
	v_cndmask_b32_e32 v3, 0, v4, vcc_lo
	s_delay_alu instid0(VALU_DEP_1)
	v_add_nc_u32_e32 v1, v1, v3
	v_cmpx_eq_u32_e32 0, v18
; %bb.40:
	v_lshrrev_b32_e32 v3, 3, v0
	s_delay_alu instid0(VALU_DEP_1)
	v_and_b32_e32 v3, 28, v3
	ds_store_b32 v3, v1 offset:32
; %bb.41:
	s_or_b32 exec_lo, exec_lo, s3
	s_delay_alu instid0(SALU_CYCLE_1)
	s_mov_b32 s3, exec_lo
	s_wait_loadcnt_dscnt 0x0
	s_barrier_signal -1
	s_barrier_wait -1
	global_inv scope:SCOPE_SE
	v_cmpx_gt_u32_e32 8, v0
	s_cbranch_execz .LBB309_43
; %bb.42:
	ds_load_b32 v1, v2 offset:32
	v_and_b32_e32 v3, 7, v18
	s_add_co_i32 s2, s2, 31
	v_or_b32_e32 v2, 16, v2
	s_wait_alu 0xfffe
	s_lshr_b32 s2, s2, 5
	v_cmp_ne_u32_e32 vcc_lo, 7, v3
	v_add_nc_u32_e32 v5, 1, v3
	s_wait_alu 0xfffd
	v_add_co_ci_u32_e64 v4, null, 0, v18, vcc_lo
	v_cmp_gt_u32_e32 vcc_lo, 6, v3
	s_delay_alu instid0(VALU_DEP_2)
	v_lshlrev_b32_e32 v4, 2, v4
	s_wait_alu 0xfffd
	v_cndmask_b32_e64 v6, 0, 2, vcc_lo
	s_wait_alu 0xfffe
	v_cmp_gt_u32_e32 vcc_lo, s2, v5
	s_wait_dscnt 0x0
	ds_bpermute_b32 v4, v4, v1
	v_add_lshl_u32 v5, v6, v18, 2
	s_wait_dscnt 0x0
	s_wait_alu 0xfffd
	v_cndmask_b32_e32 v4, 0, v4, vcc_lo
	s_delay_alu instid0(VALU_DEP_1) | instskip(SKIP_3) | instid1(VALU_DEP_2)
	v_add_nc_u32_e32 v1, v4, v1
	ds_bpermute_b32 v4, v5, v1
	v_add_nc_u32_e32 v5, 2, v3
	v_add_nc_u32_e32 v3, 4, v3
	v_cmp_gt_u32_e32 vcc_lo, s2, v5
	s_wait_dscnt 0x0
	s_wait_alu 0xfffd
	v_cndmask_b32_e32 v4, 0, v4, vcc_lo
	v_cmp_gt_u32_e32 vcc_lo, s2, v3
	s_delay_alu instid0(VALU_DEP_2) | instskip(SKIP_4) | instid1(VALU_DEP_1)
	v_add_nc_u32_e32 v1, v1, v4
	ds_bpermute_b32 v2, v2, v1
	s_wait_dscnt 0x0
	s_wait_alu 0xfffd
	v_cndmask_b32_e32 v2, 0, v2, vcc_lo
	v_add_nc_u32_e32 v1, v1, v2
.LBB309_43:
	s_wait_alu 0xfffe
	s_or_b32 exec_lo, exec_lo, s3
.LBB309_44:
	s_load_b32 s0, s[0:1], 0x38
	s_mov_b32 s1, exec_lo
	v_cmpx_eq_u32_e32 0, v0
	s_cbranch_execz .LBB309_46
; %bb.45:
	s_mul_u64 s[2:3], s[26:27], s[22:23]
	s_wait_alu 0xfffe
	s_lshl_b64 s[2:3], s[2:3], 2
	s_cmp_eq_u64 s[18:19], 0
	s_wait_alu 0xfffe
	s_add_nc_u64 s[2:3], s[20:21], s[2:3]
	s_cselect_b32 s1, -1, 0
	s_wait_kmcnt 0x0
	v_cndmask_b32_e64 v0, v1, s0, s1
	v_mov_b32_e32 v1, 0
	s_lshl_b64 s[0:1], s[24:25], 2
	s_wait_alu 0xfffe
	s_add_nc_u64 s[0:1], s[2:3], s[0:1]
	global_store_b32 v1, v0, s[0:1]
.LBB309_46:
	s_endpgm
	.section	.rodata,"a",@progbits
	.p2align	6, 0x0
	.amdhsa_kernel _ZN7rocprim17ROCPRIM_400000_NS6detail17trampoline_kernelINS0_14default_configENS1_22reduce_config_selectorIbEEZNS1_11reduce_implILb1ES3_N6hipcub16HIPCUB_304000_NS22TransformInputIteratorIbN2at6native12_GLOBAL__N_19NonZeroOpIsEEPKslEEPiiNS8_6detail34convert_binary_result_type_wrapperINS8_3SumESH_iEEEE10hipError_tPvRmT1_T2_T3_mT4_P12ihipStream_tbEUlT_E0_NS1_11comp_targetILNS1_3genE10ELNS1_11target_archE1201ELNS1_3gpuE5ELNS1_3repE0EEENS1_30default_config_static_selectorELNS0_4arch9wavefront6targetE0EEEvSQ_
		.amdhsa_group_segment_fixed_size 64
		.amdhsa_private_segment_fixed_size 0
		.amdhsa_kernarg_size 64
		.amdhsa_user_sgpr_count 2
		.amdhsa_user_sgpr_dispatch_ptr 0
		.amdhsa_user_sgpr_queue_ptr 0
		.amdhsa_user_sgpr_kernarg_segment_ptr 1
		.amdhsa_user_sgpr_dispatch_id 0
		.amdhsa_user_sgpr_private_segment_size 0
		.amdhsa_wavefront_size32 1
		.amdhsa_uses_dynamic_stack 0
		.amdhsa_enable_private_segment 0
		.amdhsa_system_sgpr_workgroup_id_x 1
		.amdhsa_system_sgpr_workgroup_id_y 0
		.amdhsa_system_sgpr_workgroup_id_z 0
		.amdhsa_system_sgpr_workgroup_info 0
		.amdhsa_system_vgpr_workitem_id 0
		.amdhsa_next_free_vgpr 20
		.amdhsa_next_free_sgpr 30
		.amdhsa_reserve_vcc 1
		.amdhsa_float_round_mode_32 0
		.amdhsa_float_round_mode_16_64 0
		.amdhsa_float_denorm_mode_32 3
		.amdhsa_float_denorm_mode_16_64 3
		.amdhsa_fp16_overflow 0
		.amdhsa_workgroup_processor_mode 1
		.amdhsa_memory_ordered 1
		.amdhsa_forward_progress 1
		.amdhsa_inst_pref_size 25
		.amdhsa_round_robin_scheduling 0
		.amdhsa_exception_fp_ieee_invalid_op 0
		.amdhsa_exception_fp_denorm_src 0
		.amdhsa_exception_fp_ieee_div_zero 0
		.amdhsa_exception_fp_ieee_overflow 0
		.amdhsa_exception_fp_ieee_underflow 0
		.amdhsa_exception_fp_ieee_inexact 0
		.amdhsa_exception_int_div_zero 0
	.end_amdhsa_kernel
	.section	.text._ZN7rocprim17ROCPRIM_400000_NS6detail17trampoline_kernelINS0_14default_configENS1_22reduce_config_selectorIbEEZNS1_11reduce_implILb1ES3_N6hipcub16HIPCUB_304000_NS22TransformInputIteratorIbN2at6native12_GLOBAL__N_19NonZeroOpIsEEPKslEEPiiNS8_6detail34convert_binary_result_type_wrapperINS8_3SumESH_iEEEE10hipError_tPvRmT1_T2_T3_mT4_P12ihipStream_tbEUlT_E0_NS1_11comp_targetILNS1_3genE10ELNS1_11target_archE1201ELNS1_3gpuE5ELNS1_3repE0EEENS1_30default_config_static_selectorELNS0_4arch9wavefront6targetE0EEEvSQ_,"axG",@progbits,_ZN7rocprim17ROCPRIM_400000_NS6detail17trampoline_kernelINS0_14default_configENS1_22reduce_config_selectorIbEEZNS1_11reduce_implILb1ES3_N6hipcub16HIPCUB_304000_NS22TransformInputIteratorIbN2at6native12_GLOBAL__N_19NonZeroOpIsEEPKslEEPiiNS8_6detail34convert_binary_result_type_wrapperINS8_3SumESH_iEEEE10hipError_tPvRmT1_T2_T3_mT4_P12ihipStream_tbEUlT_E0_NS1_11comp_targetILNS1_3genE10ELNS1_11target_archE1201ELNS1_3gpuE5ELNS1_3repE0EEENS1_30default_config_static_selectorELNS0_4arch9wavefront6targetE0EEEvSQ_,comdat
.Lfunc_end309:
	.size	_ZN7rocprim17ROCPRIM_400000_NS6detail17trampoline_kernelINS0_14default_configENS1_22reduce_config_selectorIbEEZNS1_11reduce_implILb1ES3_N6hipcub16HIPCUB_304000_NS22TransformInputIteratorIbN2at6native12_GLOBAL__N_19NonZeroOpIsEEPKslEEPiiNS8_6detail34convert_binary_result_type_wrapperINS8_3SumESH_iEEEE10hipError_tPvRmT1_T2_T3_mT4_P12ihipStream_tbEUlT_E0_NS1_11comp_targetILNS1_3genE10ELNS1_11target_archE1201ELNS1_3gpuE5ELNS1_3repE0EEENS1_30default_config_static_selectorELNS0_4arch9wavefront6targetE0EEEvSQ_, .Lfunc_end309-_ZN7rocprim17ROCPRIM_400000_NS6detail17trampoline_kernelINS0_14default_configENS1_22reduce_config_selectorIbEEZNS1_11reduce_implILb1ES3_N6hipcub16HIPCUB_304000_NS22TransformInputIteratorIbN2at6native12_GLOBAL__N_19NonZeroOpIsEEPKslEEPiiNS8_6detail34convert_binary_result_type_wrapperINS8_3SumESH_iEEEE10hipError_tPvRmT1_T2_T3_mT4_P12ihipStream_tbEUlT_E0_NS1_11comp_targetILNS1_3genE10ELNS1_11target_archE1201ELNS1_3gpuE5ELNS1_3repE0EEENS1_30default_config_static_selectorELNS0_4arch9wavefront6targetE0EEEvSQ_
                                        ; -- End function
	.set _ZN7rocprim17ROCPRIM_400000_NS6detail17trampoline_kernelINS0_14default_configENS1_22reduce_config_selectorIbEEZNS1_11reduce_implILb1ES3_N6hipcub16HIPCUB_304000_NS22TransformInputIteratorIbN2at6native12_GLOBAL__N_19NonZeroOpIsEEPKslEEPiiNS8_6detail34convert_binary_result_type_wrapperINS8_3SumESH_iEEEE10hipError_tPvRmT1_T2_T3_mT4_P12ihipStream_tbEUlT_E0_NS1_11comp_targetILNS1_3genE10ELNS1_11target_archE1201ELNS1_3gpuE5ELNS1_3repE0EEENS1_30default_config_static_selectorELNS0_4arch9wavefront6targetE0EEEvSQ_.num_vgpr, 20
	.set _ZN7rocprim17ROCPRIM_400000_NS6detail17trampoline_kernelINS0_14default_configENS1_22reduce_config_selectorIbEEZNS1_11reduce_implILb1ES3_N6hipcub16HIPCUB_304000_NS22TransformInputIteratorIbN2at6native12_GLOBAL__N_19NonZeroOpIsEEPKslEEPiiNS8_6detail34convert_binary_result_type_wrapperINS8_3SumESH_iEEEE10hipError_tPvRmT1_T2_T3_mT4_P12ihipStream_tbEUlT_E0_NS1_11comp_targetILNS1_3genE10ELNS1_11target_archE1201ELNS1_3gpuE5ELNS1_3repE0EEENS1_30default_config_static_selectorELNS0_4arch9wavefront6targetE0EEEvSQ_.num_agpr, 0
	.set _ZN7rocprim17ROCPRIM_400000_NS6detail17trampoline_kernelINS0_14default_configENS1_22reduce_config_selectorIbEEZNS1_11reduce_implILb1ES3_N6hipcub16HIPCUB_304000_NS22TransformInputIteratorIbN2at6native12_GLOBAL__N_19NonZeroOpIsEEPKslEEPiiNS8_6detail34convert_binary_result_type_wrapperINS8_3SumESH_iEEEE10hipError_tPvRmT1_T2_T3_mT4_P12ihipStream_tbEUlT_E0_NS1_11comp_targetILNS1_3genE10ELNS1_11target_archE1201ELNS1_3gpuE5ELNS1_3repE0EEENS1_30default_config_static_selectorELNS0_4arch9wavefront6targetE0EEEvSQ_.numbered_sgpr, 30
	.set _ZN7rocprim17ROCPRIM_400000_NS6detail17trampoline_kernelINS0_14default_configENS1_22reduce_config_selectorIbEEZNS1_11reduce_implILb1ES3_N6hipcub16HIPCUB_304000_NS22TransformInputIteratorIbN2at6native12_GLOBAL__N_19NonZeroOpIsEEPKslEEPiiNS8_6detail34convert_binary_result_type_wrapperINS8_3SumESH_iEEEE10hipError_tPvRmT1_T2_T3_mT4_P12ihipStream_tbEUlT_E0_NS1_11comp_targetILNS1_3genE10ELNS1_11target_archE1201ELNS1_3gpuE5ELNS1_3repE0EEENS1_30default_config_static_selectorELNS0_4arch9wavefront6targetE0EEEvSQ_.num_named_barrier, 0
	.set _ZN7rocprim17ROCPRIM_400000_NS6detail17trampoline_kernelINS0_14default_configENS1_22reduce_config_selectorIbEEZNS1_11reduce_implILb1ES3_N6hipcub16HIPCUB_304000_NS22TransformInputIteratorIbN2at6native12_GLOBAL__N_19NonZeroOpIsEEPKslEEPiiNS8_6detail34convert_binary_result_type_wrapperINS8_3SumESH_iEEEE10hipError_tPvRmT1_T2_T3_mT4_P12ihipStream_tbEUlT_E0_NS1_11comp_targetILNS1_3genE10ELNS1_11target_archE1201ELNS1_3gpuE5ELNS1_3repE0EEENS1_30default_config_static_selectorELNS0_4arch9wavefront6targetE0EEEvSQ_.private_seg_size, 0
	.set _ZN7rocprim17ROCPRIM_400000_NS6detail17trampoline_kernelINS0_14default_configENS1_22reduce_config_selectorIbEEZNS1_11reduce_implILb1ES3_N6hipcub16HIPCUB_304000_NS22TransformInputIteratorIbN2at6native12_GLOBAL__N_19NonZeroOpIsEEPKslEEPiiNS8_6detail34convert_binary_result_type_wrapperINS8_3SumESH_iEEEE10hipError_tPvRmT1_T2_T3_mT4_P12ihipStream_tbEUlT_E0_NS1_11comp_targetILNS1_3genE10ELNS1_11target_archE1201ELNS1_3gpuE5ELNS1_3repE0EEENS1_30default_config_static_selectorELNS0_4arch9wavefront6targetE0EEEvSQ_.uses_vcc, 1
	.set _ZN7rocprim17ROCPRIM_400000_NS6detail17trampoline_kernelINS0_14default_configENS1_22reduce_config_selectorIbEEZNS1_11reduce_implILb1ES3_N6hipcub16HIPCUB_304000_NS22TransformInputIteratorIbN2at6native12_GLOBAL__N_19NonZeroOpIsEEPKslEEPiiNS8_6detail34convert_binary_result_type_wrapperINS8_3SumESH_iEEEE10hipError_tPvRmT1_T2_T3_mT4_P12ihipStream_tbEUlT_E0_NS1_11comp_targetILNS1_3genE10ELNS1_11target_archE1201ELNS1_3gpuE5ELNS1_3repE0EEENS1_30default_config_static_selectorELNS0_4arch9wavefront6targetE0EEEvSQ_.uses_flat_scratch, 0
	.set _ZN7rocprim17ROCPRIM_400000_NS6detail17trampoline_kernelINS0_14default_configENS1_22reduce_config_selectorIbEEZNS1_11reduce_implILb1ES3_N6hipcub16HIPCUB_304000_NS22TransformInputIteratorIbN2at6native12_GLOBAL__N_19NonZeroOpIsEEPKslEEPiiNS8_6detail34convert_binary_result_type_wrapperINS8_3SumESH_iEEEE10hipError_tPvRmT1_T2_T3_mT4_P12ihipStream_tbEUlT_E0_NS1_11comp_targetILNS1_3genE10ELNS1_11target_archE1201ELNS1_3gpuE5ELNS1_3repE0EEENS1_30default_config_static_selectorELNS0_4arch9wavefront6targetE0EEEvSQ_.has_dyn_sized_stack, 0
	.set _ZN7rocprim17ROCPRIM_400000_NS6detail17trampoline_kernelINS0_14default_configENS1_22reduce_config_selectorIbEEZNS1_11reduce_implILb1ES3_N6hipcub16HIPCUB_304000_NS22TransformInputIteratorIbN2at6native12_GLOBAL__N_19NonZeroOpIsEEPKslEEPiiNS8_6detail34convert_binary_result_type_wrapperINS8_3SumESH_iEEEE10hipError_tPvRmT1_T2_T3_mT4_P12ihipStream_tbEUlT_E0_NS1_11comp_targetILNS1_3genE10ELNS1_11target_archE1201ELNS1_3gpuE5ELNS1_3repE0EEENS1_30default_config_static_selectorELNS0_4arch9wavefront6targetE0EEEvSQ_.has_recursion, 0
	.set _ZN7rocprim17ROCPRIM_400000_NS6detail17trampoline_kernelINS0_14default_configENS1_22reduce_config_selectorIbEEZNS1_11reduce_implILb1ES3_N6hipcub16HIPCUB_304000_NS22TransformInputIteratorIbN2at6native12_GLOBAL__N_19NonZeroOpIsEEPKslEEPiiNS8_6detail34convert_binary_result_type_wrapperINS8_3SumESH_iEEEE10hipError_tPvRmT1_T2_T3_mT4_P12ihipStream_tbEUlT_E0_NS1_11comp_targetILNS1_3genE10ELNS1_11target_archE1201ELNS1_3gpuE5ELNS1_3repE0EEENS1_30default_config_static_selectorELNS0_4arch9wavefront6targetE0EEEvSQ_.has_indirect_call, 0
	.section	.AMDGPU.csdata,"",@progbits
; Kernel info:
; codeLenInByte = 3084
; TotalNumSgprs: 32
; NumVgprs: 20
; ScratchSize: 0
; MemoryBound: 0
; FloatMode: 240
; IeeeMode: 1
; LDSByteSize: 64 bytes/workgroup (compile time only)
; SGPRBlocks: 0
; VGPRBlocks: 2
; NumSGPRsForWavesPerEU: 32
; NumVGPRsForWavesPerEU: 20
; Occupancy: 16
; WaveLimiterHint : 1
; COMPUTE_PGM_RSRC2:SCRATCH_EN: 0
; COMPUTE_PGM_RSRC2:USER_SGPR: 2
; COMPUTE_PGM_RSRC2:TRAP_HANDLER: 0
; COMPUTE_PGM_RSRC2:TGID_X_EN: 1
; COMPUTE_PGM_RSRC2:TGID_Y_EN: 0
; COMPUTE_PGM_RSRC2:TGID_Z_EN: 0
; COMPUTE_PGM_RSRC2:TIDIG_COMP_CNT: 0
	.section	.text._ZN7rocprim17ROCPRIM_400000_NS6detail17trampoline_kernelINS0_14default_configENS1_22reduce_config_selectorIbEEZNS1_11reduce_implILb1ES3_N6hipcub16HIPCUB_304000_NS22TransformInputIteratorIbN2at6native12_GLOBAL__N_19NonZeroOpIsEEPKslEEPiiNS8_6detail34convert_binary_result_type_wrapperINS8_3SumESH_iEEEE10hipError_tPvRmT1_T2_T3_mT4_P12ihipStream_tbEUlT_E0_NS1_11comp_targetILNS1_3genE10ELNS1_11target_archE1200ELNS1_3gpuE4ELNS1_3repE0EEENS1_30default_config_static_selectorELNS0_4arch9wavefront6targetE0EEEvSQ_,"axG",@progbits,_ZN7rocprim17ROCPRIM_400000_NS6detail17trampoline_kernelINS0_14default_configENS1_22reduce_config_selectorIbEEZNS1_11reduce_implILb1ES3_N6hipcub16HIPCUB_304000_NS22TransformInputIteratorIbN2at6native12_GLOBAL__N_19NonZeroOpIsEEPKslEEPiiNS8_6detail34convert_binary_result_type_wrapperINS8_3SumESH_iEEEE10hipError_tPvRmT1_T2_T3_mT4_P12ihipStream_tbEUlT_E0_NS1_11comp_targetILNS1_3genE10ELNS1_11target_archE1200ELNS1_3gpuE4ELNS1_3repE0EEENS1_30default_config_static_selectorELNS0_4arch9wavefront6targetE0EEEvSQ_,comdat
	.globl	_ZN7rocprim17ROCPRIM_400000_NS6detail17trampoline_kernelINS0_14default_configENS1_22reduce_config_selectorIbEEZNS1_11reduce_implILb1ES3_N6hipcub16HIPCUB_304000_NS22TransformInputIteratorIbN2at6native12_GLOBAL__N_19NonZeroOpIsEEPKslEEPiiNS8_6detail34convert_binary_result_type_wrapperINS8_3SumESH_iEEEE10hipError_tPvRmT1_T2_T3_mT4_P12ihipStream_tbEUlT_E0_NS1_11comp_targetILNS1_3genE10ELNS1_11target_archE1200ELNS1_3gpuE4ELNS1_3repE0EEENS1_30default_config_static_selectorELNS0_4arch9wavefront6targetE0EEEvSQ_ ; -- Begin function _ZN7rocprim17ROCPRIM_400000_NS6detail17trampoline_kernelINS0_14default_configENS1_22reduce_config_selectorIbEEZNS1_11reduce_implILb1ES3_N6hipcub16HIPCUB_304000_NS22TransformInputIteratorIbN2at6native12_GLOBAL__N_19NonZeroOpIsEEPKslEEPiiNS8_6detail34convert_binary_result_type_wrapperINS8_3SumESH_iEEEE10hipError_tPvRmT1_T2_T3_mT4_P12ihipStream_tbEUlT_E0_NS1_11comp_targetILNS1_3genE10ELNS1_11target_archE1200ELNS1_3gpuE4ELNS1_3repE0EEENS1_30default_config_static_selectorELNS0_4arch9wavefront6targetE0EEEvSQ_
	.p2align	8
	.type	_ZN7rocprim17ROCPRIM_400000_NS6detail17trampoline_kernelINS0_14default_configENS1_22reduce_config_selectorIbEEZNS1_11reduce_implILb1ES3_N6hipcub16HIPCUB_304000_NS22TransformInputIteratorIbN2at6native12_GLOBAL__N_19NonZeroOpIsEEPKslEEPiiNS8_6detail34convert_binary_result_type_wrapperINS8_3SumESH_iEEEE10hipError_tPvRmT1_T2_T3_mT4_P12ihipStream_tbEUlT_E0_NS1_11comp_targetILNS1_3genE10ELNS1_11target_archE1200ELNS1_3gpuE4ELNS1_3repE0EEENS1_30default_config_static_selectorELNS0_4arch9wavefront6targetE0EEEvSQ_,@function
_ZN7rocprim17ROCPRIM_400000_NS6detail17trampoline_kernelINS0_14default_configENS1_22reduce_config_selectorIbEEZNS1_11reduce_implILb1ES3_N6hipcub16HIPCUB_304000_NS22TransformInputIteratorIbN2at6native12_GLOBAL__N_19NonZeroOpIsEEPKslEEPiiNS8_6detail34convert_binary_result_type_wrapperINS8_3SumESH_iEEEE10hipError_tPvRmT1_T2_T3_mT4_P12ihipStream_tbEUlT_E0_NS1_11comp_targetILNS1_3genE10ELNS1_11target_archE1200ELNS1_3gpuE4ELNS1_3repE0EEENS1_30default_config_static_selectorELNS0_4arch9wavefront6targetE0EEEvSQ_: ; @_ZN7rocprim17ROCPRIM_400000_NS6detail17trampoline_kernelINS0_14default_configENS1_22reduce_config_selectorIbEEZNS1_11reduce_implILb1ES3_N6hipcub16HIPCUB_304000_NS22TransformInputIteratorIbN2at6native12_GLOBAL__N_19NonZeroOpIsEEPKslEEPiiNS8_6detail34convert_binary_result_type_wrapperINS8_3SumESH_iEEEE10hipError_tPvRmT1_T2_T3_mT4_P12ihipStream_tbEUlT_E0_NS1_11comp_targetILNS1_3genE10ELNS1_11target_archE1200ELNS1_3gpuE4ELNS1_3repE0EEENS1_30default_config_static_selectorELNS0_4arch9wavefront6targetE0EEEvSQ_
; %bb.0:
	.section	.rodata,"a",@progbits
	.p2align	6, 0x0
	.amdhsa_kernel _ZN7rocprim17ROCPRIM_400000_NS6detail17trampoline_kernelINS0_14default_configENS1_22reduce_config_selectorIbEEZNS1_11reduce_implILb1ES3_N6hipcub16HIPCUB_304000_NS22TransformInputIteratorIbN2at6native12_GLOBAL__N_19NonZeroOpIsEEPKslEEPiiNS8_6detail34convert_binary_result_type_wrapperINS8_3SumESH_iEEEE10hipError_tPvRmT1_T2_T3_mT4_P12ihipStream_tbEUlT_E0_NS1_11comp_targetILNS1_3genE10ELNS1_11target_archE1200ELNS1_3gpuE4ELNS1_3repE0EEENS1_30default_config_static_selectorELNS0_4arch9wavefront6targetE0EEEvSQ_
		.amdhsa_group_segment_fixed_size 0
		.amdhsa_private_segment_fixed_size 0
		.amdhsa_kernarg_size 64
		.amdhsa_user_sgpr_count 2
		.amdhsa_user_sgpr_dispatch_ptr 0
		.amdhsa_user_sgpr_queue_ptr 0
		.amdhsa_user_sgpr_kernarg_segment_ptr 1
		.amdhsa_user_sgpr_dispatch_id 0
		.amdhsa_user_sgpr_private_segment_size 0
		.amdhsa_wavefront_size32 1
		.amdhsa_uses_dynamic_stack 0
		.amdhsa_enable_private_segment 0
		.amdhsa_system_sgpr_workgroup_id_x 1
		.amdhsa_system_sgpr_workgroup_id_y 0
		.amdhsa_system_sgpr_workgroup_id_z 0
		.amdhsa_system_sgpr_workgroup_info 0
		.amdhsa_system_vgpr_workitem_id 0
		.amdhsa_next_free_vgpr 1
		.amdhsa_next_free_sgpr 1
		.amdhsa_reserve_vcc 0
		.amdhsa_float_round_mode_32 0
		.amdhsa_float_round_mode_16_64 0
		.amdhsa_float_denorm_mode_32 3
		.amdhsa_float_denorm_mode_16_64 3
		.amdhsa_fp16_overflow 0
		.amdhsa_workgroup_processor_mode 1
		.amdhsa_memory_ordered 1
		.amdhsa_forward_progress 1
		.amdhsa_inst_pref_size 0
		.amdhsa_round_robin_scheduling 0
		.amdhsa_exception_fp_ieee_invalid_op 0
		.amdhsa_exception_fp_denorm_src 0
		.amdhsa_exception_fp_ieee_div_zero 0
		.amdhsa_exception_fp_ieee_overflow 0
		.amdhsa_exception_fp_ieee_underflow 0
		.amdhsa_exception_fp_ieee_inexact 0
		.amdhsa_exception_int_div_zero 0
	.end_amdhsa_kernel
	.section	.text._ZN7rocprim17ROCPRIM_400000_NS6detail17trampoline_kernelINS0_14default_configENS1_22reduce_config_selectorIbEEZNS1_11reduce_implILb1ES3_N6hipcub16HIPCUB_304000_NS22TransformInputIteratorIbN2at6native12_GLOBAL__N_19NonZeroOpIsEEPKslEEPiiNS8_6detail34convert_binary_result_type_wrapperINS8_3SumESH_iEEEE10hipError_tPvRmT1_T2_T3_mT4_P12ihipStream_tbEUlT_E0_NS1_11comp_targetILNS1_3genE10ELNS1_11target_archE1200ELNS1_3gpuE4ELNS1_3repE0EEENS1_30default_config_static_selectorELNS0_4arch9wavefront6targetE0EEEvSQ_,"axG",@progbits,_ZN7rocprim17ROCPRIM_400000_NS6detail17trampoline_kernelINS0_14default_configENS1_22reduce_config_selectorIbEEZNS1_11reduce_implILb1ES3_N6hipcub16HIPCUB_304000_NS22TransformInputIteratorIbN2at6native12_GLOBAL__N_19NonZeroOpIsEEPKslEEPiiNS8_6detail34convert_binary_result_type_wrapperINS8_3SumESH_iEEEE10hipError_tPvRmT1_T2_T3_mT4_P12ihipStream_tbEUlT_E0_NS1_11comp_targetILNS1_3genE10ELNS1_11target_archE1200ELNS1_3gpuE4ELNS1_3repE0EEENS1_30default_config_static_selectorELNS0_4arch9wavefront6targetE0EEEvSQ_,comdat
.Lfunc_end310:
	.size	_ZN7rocprim17ROCPRIM_400000_NS6detail17trampoline_kernelINS0_14default_configENS1_22reduce_config_selectorIbEEZNS1_11reduce_implILb1ES3_N6hipcub16HIPCUB_304000_NS22TransformInputIteratorIbN2at6native12_GLOBAL__N_19NonZeroOpIsEEPKslEEPiiNS8_6detail34convert_binary_result_type_wrapperINS8_3SumESH_iEEEE10hipError_tPvRmT1_T2_T3_mT4_P12ihipStream_tbEUlT_E0_NS1_11comp_targetILNS1_3genE10ELNS1_11target_archE1200ELNS1_3gpuE4ELNS1_3repE0EEENS1_30default_config_static_selectorELNS0_4arch9wavefront6targetE0EEEvSQ_, .Lfunc_end310-_ZN7rocprim17ROCPRIM_400000_NS6detail17trampoline_kernelINS0_14default_configENS1_22reduce_config_selectorIbEEZNS1_11reduce_implILb1ES3_N6hipcub16HIPCUB_304000_NS22TransformInputIteratorIbN2at6native12_GLOBAL__N_19NonZeroOpIsEEPKslEEPiiNS8_6detail34convert_binary_result_type_wrapperINS8_3SumESH_iEEEE10hipError_tPvRmT1_T2_T3_mT4_P12ihipStream_tbEUlT_E0_NS1_11comp_targetILNS1_3genE10ELNS1_11target_archE1200ELNS1_3gpuE4ELNS1_3repE0EEENS1_30default_config_static_selectorELNS0_4arch9wavefront6targetE0EEEvSQ_
                                        ; -- End function
	.set _ZN7rocprim17ROCPRIM_400000_NS6detail17trampoline_kernelINS0_14default_configENS1_22reduce_config_selectorIbEEZNS1_11reduce_implILb1ES3_N6hipcub16HIPCUB_304000_NS22TransformInputIteratorIbN2at6native12_GLOBAL__N_19NonZeroOpIsEEPKslEEPiiNS8_6detail34convert_binary_result_type_wrapperINS8_3SumESH_iEEEE10hipError_tPvRmT1_T2_T3_mT4_P12ihipStream_tbEUlT_E0_NS1_11comp_targetILNS1_3genE10ELNS1_11target_archE1200ELNS1_3gpuE4ELNS1_3repE0EEENS1_30default_config_static_selectorELNS0_4arch9wavefront6targetE0EEEvSQ_.num_vgpr, 0
	.set _ZN7rocprim17ROCPRIM_400000_NS6detail17trampoline_kernelINS0_14default_configENS1_22reduce_config_selectorIbEEZNS1_11reduce_implILb1ES3_N6hipcub16HIPCUB_304000_NS22TransformInputIteratorIbN2at6native12_GLOBAL__N_19NonZeroOpIsEEPKslEEPiiNS8_6detail34convert_binary_result_type_wrapperINS8_3SumESH_iEEEE10hipError_tPvRmT1_T2_T3_mT4_P12ihipStream_tbEUlT_E0_NS1_11comp_targetILNS1_3genE10ELNS1_11target_archE1200ELNS1_3gpuE4ELNS1_3repE0EEENS1_30default_config_static_selectorELNS0_4arch9wavefront6targetE0EEEvSQ_.num_agpr, 0
	.set _ZN7rocprim17ROCPRIM_400000_NS6detail17trampoline_kernelINS0_14default_configENS1_22reduce_config_selectorIbEEZNS1_11reduce_implILb1ES3_N6hipcub16HIPCUB_304000_NS22TransformInputIteratorIbN2at6native12_GLOBAL__N_19NonZeroOpIsEEPKslEEPiiNS8_6detail34convert_binary_result_type_wrapperINS8_3SumESH_iEEEE10hipError_tPvRmT1_T2_T3_mT4_P12ihipStream_tbEUlT_E0_NS1_11comp_targetILNS1_3genE10ELNS1_11target_archE1200ELNS1_3gpuE4ELNS1_3repE0EEENS1_30default_config_static_selectorELNS0_4arch9wavefront6targetE0EEEvSQ_.numbered_sgpr, 0
	.set _ZN7rocprim17ROCPRIM_400000_NS6detail17trampoline_kernelINS0_14default_configENS1_22reduce_config_selectorIbEEZNS1_11reduce_implILb1ES3_N6hipcub16HIPCUB_304000_NS22TransformInputIteratorIbN2at6native12_GLOBAL__N_19NonZeroOpIsEEPKslEEPiiNS8_6detail34convert_binary_result_type_wrapperINS8_3SumESH_iEEEE10hipError_tPvRmT1_T2_T3_mT4_P12ihipStream_tbEUlT_E0_NS1_11comp_targetILNS1_3genE10ELNS1_11target_archE1200ELNS1_3gpuE4ELNS1_3repE0EEENS1_30default_config_static_selectorELNS0_4arch9wavefront6targetE0EEEvSQ_.num_named_barrier, 0
	.set _ZN7rocprim17ROCPRIM_400000_NS6detail17trampoline_kernelINS0_14default_configENS1_22reduce_config_selectorIbEEZNS1_11reduce_implILb1ES3_N6hipcub16HIPCUB_304000_NS22TransformInputIteratorIbN2at6native12_GLOBAL__N_19NonZeroOpIsEEPKslEEPiiNS8_6detail34convert_binary_result_type_wrapperINS8_3SumESH_iEEEE10hipError_tPvRmT1_T2_T3_mT4_P12ihipStream_tbEUlT_E0_NS1_11comp_targetILNS1_3genE10ELNS1_11target_archE1200ELNS1_3gpuE4ELNS1_3repE0EEENS1_30default_config_static_selectorELNS0_4arch9wavefront6targetE0EEEvSQ_.private_seg_size, 0
	.set _ZN7rocprim17ROCPRIM_400000_NS6detail17trampoline_kernelINS0_14default_configENS1_22reduce_config_selectorIbEEZNS1_11reduce_implILb1ES3_N6hipcub16HIPCUB_304000_NS22TransformInputIteratorIbN2at6native12_GLOBAL__N_19NonZeroOpIsEEPKslEEPiiNS8_6detail34convert_binary_result_type_wrapperINS8_3SumESH_iEEEE10hipError_tPvRmT1_T2_T3_mT4_P12ihipStream_tbEUlT_E0_NS1_11comp_targetILNS1_3genE10ELNS1_11target_archE1200ELNS1_3gpuE4ELNS1_3repE0EEENS1_30default_config_static_selectorELNS0_4arch9wavefront6targetE0EEEvSQ_.uses_vcc, 0
	.set _ZN7rocprim17ROCPRIM_400000_NS6detail17trampoline_kernelINS0_14default_configENS1_22reduce_config_selectorIbEEZNS1_11reduce_implILb1ES3_N6hipcub16HIPCUB_304000_NS22TransformInputIteratorIbN2at6native12_GLOBAL__N_19NonZeroOpIsEEPKslEEPiiNS8_6detail34convert_binary_result_type_wrapperINS8_3SumESH_iEEEE10hipError_tPvRmT1_T2_T3_mT4_P12ihipStream_tbEUlT_E0_NS1_11comp_targetILNS1_3genE10ELNS1_11target_archE1200ELNS1_3gpuE4ELNS1_3repE0EEENS1_30default_config_static_selectorELNS0_4arch9wavefront6targetE0EEEvSQ_.uses_flat_scratch, 0
	.set _ZN7rocprim17ROCPRIM_400000_NS6detail17trampoline_kernelINS0_14default_configENS1_22reduce_config_selectorIbEEZNS1_11reduce_implILb1ES3_N6hipcub16HIPCUB_304000_NS22TransformInputIteratorIbN2at6native12_GLOBAL__N_19NonZeroOpIsEEPKslEEPiiNS8_6detail34convert_binary_result_type_wrapperINS8_3SumESH_iEEEE10hipError_tPvRmT1_T2_T3_mT4_P12ihipStream_tbEUlT_E0_NS1_11comp_targetILNS1_3genE10ELNS1_11target_archE1200ELNS1_3gpuE4ELNS1_3repE0EEENS1_30default_config_static_selectorELNS0_4arch9wavefront6targetE0EEEvSQ_.has_dyn_sized_stack, 0
	.set _ZN7rocprim17ROCPRIM_400000_NS6detail17trampoline_kernelINS0_14default_configENS1_22reduce_config_selectorIbEEZNS1_11reduce_implILb1ES3_N6hipcub16HIPCUB_304000_NS22TransformInputIteratorIbN2at6native12_GLOBAL__N_19NonZeroOpIsEEPKslEEPiiNS8_6detail34convert_binary_result_type_wrapperINS8_3SumESH_iEEEE10hipError_tPvRmT1_T2_T3_mT4_P12ihipStream_tbEUlT_E0_NS1_11comp_targetILNS1_3genE10ELNS1_11target_archE1200ELNS1_3gpuE4ELNS1_3repE0EEENS1_30default_config_static_selectorELNS0_4arch9wavefront6targetE0EEEvSQ_.has_recursion, 0
	.set _ZN7rocprim17ROCPRIM_400000_NS6detail17trampoline_kernelINS0_14default_configENS1_22reduce_config_selectorIbEEZNS1_11reduce_implILb1ES3_N6hipcub16HIPCUB_304000_NS22TransformInputIteratorIbN2at6native12_GLOBAL__N_19NonZeroOpIsEEPKslEEPiiNS8_6detail34convert_binary_result_type_wrapperINS8_3SumESH_iEEEE10hipError_tPvRmT1_T2_T3_mT4_P12ihipStream_tbEUlT_E0_NS1_11comp_targetILNS1_3genE10ELNS1_11target_archE1200ELNS1_3gpuE4ELNS1_3repE0EEENS1_30default_config_static_selectorELNS0_4arch9wavefront6targetE0EEEvSQ_.has_indirect_call, 0
	.section	.AMDGPU.csdata,"",@progbits
; Kernel info:
; codeLenInByte = 0
; TotalNumSgprs: 0
; NumVgprs: 0
; ScratchSize: 0
; MemoryBound: 0
; FloatMode: 240
; IeeeMode: 1
; LDSByteSize: 0 bytes/workgroup (compile time only)
; SGPRBlocks: 0
; VGPRBlocks: 0
; NumSGPRsForWavesPerEU: 1
; NumVGPRsForWavesPerEU: 1
; Occupancy: 16
; WaveLimiterHint : 0
; COMPUTE_PGM_RSRC2:SCRATCH_EN: 0
; COMPUTE_PGM_RSRC2:USER_SGPR: 2
; COMPUTE_PGM_RSRC2:TRAP_HANDLER: 0
; COMPUTE_PGM_RSRC2:TGID_X_EN: 1
; COMPUTE_PGM_RSRC2:TGID_Y_EN: 0
; COMPUTE_PGM_RSRC2:TGID_Z_EN: 0
; COMPUTE_PGM_RSRC2:TIDIG_COMP_CNT: 0
	.section	.text._ZN7rocprim17ROCPRIM_400000_NS6detail17trampoline_kernelINS0_14default_configENS1_22reduce_config_selectorIbEEZNS1_11reduce_implILb1ES3_N6hipcub16HIPCUB_304000_NS22TransformInputIteratorIbN2at6native12_GLOBAL__N_19NonZeroOpIsEEPKslEEPiiNS8_6detail34convert_binary_result_type_wrapperINS8_3SumESH_iEEEE10hipError_tPvRmT1_T2_T3_mT4_P12ihipStream_tbEUlT_E0_NS1_11comp_targetILNS1_3genE9ELNS1_11target_archE1100ELNS1_3gpuE3ELNS1_3repE0EEENS1_30default_config_static_selectorELNS0_4arch9wavefront6targetE0EEEvSQ_,"axG",@progbits,_ZN7rocprim17ROCPRIM_400000_NS6detail17trampoline_kernelINS0_14default_configENS1_22reduce_config_selectorIbEEZNS1_11reduce_implILb1ES3_N6hipcub16HIPCUB_304000_NS22TransformInputIteratorIbN2at6native12_GLOBAL__N_19NonZeroOpIsEEPKslEEPiiNS8_6detail34convert_binary_result_type_wrapperINS8_3SumESH_iEEEE10hipError_tPvRmT1_T2_T3_mT4_P12ihipStream_tbEUlT_E0_NS1_11comp_targetILNS1_3genE9ELNS1_11target_archE1100ELNS1_3gpuE3ELNS1_3repE0EEENS1_30default_config_static_selectorELNS0_4arch9wavefront6targetE0EEEvSQ_,comdat
	.globl	_ZN7rocprim17ROCPRIM_400000_NS6detail17trampoline_kernelINS0_14default_configENS1_22reduce_config_selectorIbEEZNS1_11reduce_implILb1ES3_N6hipcub16HIPCUB_304000_NS22TransformInputIteratorIbN2at6native12_GLOBAL__N_19NonZeroOpIsEEPKslEEPiiNS8_6detail34convert_binary_result_type_wrapperINS8_3SumESH_iEEEE10hipError_tPvRmT1_T2_T3_mT4_P12ihipStream_tbEUlT_E0_NS1_11comp_targetILNS1_3genE9ELNS1_11target_archE1100ELNS1_3gpuE3ELNS1_3repE0EEENS1_30default_config_static_selectorELNS0_4arch9wavefront6targetE0EEEvSQ_ ; -- Begin function _ZN7rocprim17ROCPRIM_400000_NS6detail17trampoline_kernelINS0_14default_configENS1_22reduce_config_selectorIbEEZNS1_11reduce_implILb1ES3_N6hipcub16HIPCUB_304000_NS22TransformInputIteratorIbN2at6native12_GLOBAL__N_19NonZeroOpIsEEPKslEEPiiNS8_6detail34convert_binary_result_type_wrapperINS8_3SumESH_iEEEE10hipError_tPvRmT1_T2_T3_mT4_P12ihipStream_tbEUlT_E0_NS1_11comp_targetILNS1_3genE9ELNS1_11target_archE1100ELNS1_3gpuE3ELNS1_3repE0EEENS1_30default_config_static_selectorELNS0_4arch9wavefront6targetE0EEEvSQ_
	.p2align	8
	.type	_ZN7rocprim17ROCPRIM_400000_NS6detail17trampoline_kernelINS0_14default_configENS1_22reduce_config_selectorIbEEZNS1_11reduce_implILb1ES3_N6hipcub16HIPCUB_304000_NS22TransformInputIteratorIbN2at6native12_GLOBAL__N_19NonZeroOpIsEEPKslEEPiiNS8_6detail34convert_binary_result_type_wrapperINS8_3SumESH_iEEEE10hipError_tPvRmT1_T2_T3_mT4_P12ihipStream_tbEUlT_E0_NS1_11comp_targetILNS1_3genE9ELNS1_11target_archE1100ELNS1_3gpuE3ELNS1_3repE0EEENS1_30default_config_static_selectorELNS0_4arch9wavefront6targetE0EEEvSQ_,@function
_ZN7rocprim17ROCPRIM_400000_NS6detail17trampoline_kernelINS0_14default_configENS1_22reduce_config_selectorIbEEZNS1_11reduce_implILb1ES3_N6hipcub16HIPCUB_304000_NS22TransformInputIteratorIbN2at6native12_GLOBAL__N_19NonZeroOpIsEEPKslEEPiiNS8_6detail34convert_binary_result_type_wrapperINS8_3SumESH_iEEEE10hipError_tPvRmT1_T2_T3_mT4_P12ihipStream_tbEUlT_E0_NS1_11comp_targetILNS1_3genE9ELNS1_11target_archE1100ELNS1_3gpuE3ELNS1_3repE0EEENS1_30default_config_static_selectorELNS0_4arch9wavefront6targetE0EEEvSQ_: ; @_ZN7rocprim17ROCPRIM_400000_NS6detail17trampoline_kernelINS0_14default_configENS1_22reduce_config_selectorIbEEZNS1_11reduce_implILb1ES3_N6hipcub16HIPCUB_304000_NS22TransformInputIteratorIbN2at6native12_GLOBAL__N_19NonZeroOpIsEEPKslEEPiiNS8_6detail34convert_binary_result_type_wrapperINS8_3SumESH_iEEEE10hipError_tPvRmT1_T2_T3_mT4_P12ihipStream_tbEUlT_E0_NS1_11comp_targetILNS1_3genE9ELNS1_11target_archE1100ELNS1_3gpuE3ELNS1_3repE0EEENS1_30default_config_static_selectorELNS0_4arch9wavefront6targetE0EEEvSQ_
; %bb.0:
	.section	.rodata,"a",@progbits
	.p2align	6, 0x0
	.amdhsa_kernel _ZN7rocprim17ROCPRIM_400000_NS6detail17trampoline_kernelINS0_14default_configENS1_22reduce_config_selectorIbEEZNS1_11reduce_implILb1ES3_N6hipcub16HIPCUB_304000_NS22TransformInputIteratorIbN2at6native12_GLOBAL__N_19NonZeroOpIsEEPKslEEPiiNS8_6detail34convert_binary_result_type_wrapperINS8_3SumESH_iEEEE10hipError_tPvRmT1_T2_T3_mT4_P12ihipStream_tbEUlT_E0_NS1_11comp_targetILNS1_3genE9ELNS1_11target_archE1100ELNS1_3gpuE3ELNS1_3repE0EEENS1_30default_config_static_selectorELNS0_4arch9wavefront6targetE0EEEvSQ_
		.amdhsa_group_segment_fixed_size 0
		.amdhsa_private_segment_fixed_size 0
		.amdhsa_kernarg_size 64
		.amdhsa_user_sgpr_count 2
		.amdhsa_user_sgpr_dispatch_ptr 0
		.amdhsa_user_sgpr_queue_ptr 0
		.amdhsa_user_sgpr_kernarg_segment_ptr 1
		.amdhsa_user_sgpr_dispatch_id 0
		.amdhsa_user_sgpr_private_segment_size 0
		.amdhsa_wavefront_size32 1
		.amdhsa_uses_dynamic_stack 0
		.amdhsa_enable_private_segment 0
		.amdhsa_system_sgpr_workgroup_id_x 1
		.amdhsa_system_sgpr_workgroup_id_y 0
		.amdhsa_system_sgpr_workgroup_id_z 0
		.amdhsa_system_sgpr_workgroup_info 0
		.amdhsa_system_vgpr_workitem_id 0
		.amdhsa_next_free_vgpr 1
		.amdhsa_next_free_sgpr 1
		.amdhsa_reserve_vcc 0
		.amdhsa_float_round_mode_32 0
		.amdhsa_float_round_mode_16_64 0
		.amdhsa_float_denorm_mode_32 3
		.amdhsa_float_denorm_mode_16_64 3
		.amdhsa_fp16_overflow 0
		.amdhsa_workgroup_processor_mode 1
		.amdhsa_memory_ordered 1
		.amdhsa_forward_progress 1
		.amdhsa_inst_pref_size 0
		.amdhsa_round_robin_scheduling 0
		.amdhsa_exception_fp_ieee_invalid_op 0
		.amdhsa_exception_fp_denorm_src 0
		.amdhsa_exception_fp_ieee_div_zero 0
		.amdhsa_exception_fp_ieee_overflow 0
		.amdhsa_exception_fp_ieee_underflow 0
		.amdhsa_exception_fp_ieee_inexact 0
		.amdhsa_exception_int_div_zero 0
	.end_amdhsa_kernel
	.section	.text._ZN7rocprim17ROCPRIM_400000_NS6detail17trampoline_kernelINS0_14default_configENS1_22reduce_config_selectorIbEEZNS1_11reduce_implILb1ES3_N6hipcub16HIPCUB_304000_NS22TransformInputIteratorIbN2at6native12_GLOBAL__N_19NonZeroOpIsEEPKslEEPiiNS8_6detail34convert_binary_result_type_wrapperINS8_3SumESH_iEEEE10hipError_tPvRmT1_T2_T3_mT4_P12ihipStream_tbEUlT_E0_NS1_11comp_targetILNS1_3genE9ELNS1_11target_archE1100ELNS1_3gpuE3ELNS1_3repE0EEENS1_30default_config_static_selectorELNS0_4arch9wavefront6targetE0EEEvSQ_,"axG",@progbits,_ZN7rocprim17ROCPRIM_400000_NS6detail17trampoline_kernelINS0_14default_configENS1_22reduce_config_selectorIbEEZNS1_11reduce_implILb1ES3_N6hipcub16HIPCUB_304000_NS22TransformInputIteratorIbN2at6native12_GLOBAL__N_19NonZeroOpIsEEPKslEEPiiNS8_6detail34convert_binary_result_type_wrapperINS8_3SumESH_iEEEE10hipError_tPvRmT1_T2_T3_mT4_P12ihipStream_tbEUlT_E0_NS1_11comp_targetILNS1_3genE9ELNS1_11target_archE1100ELNS1_3gpuE3ELNS1_3repE0EEENS1_30default_config_static_selectorELNS0_4arch9wavefront6targetE0EEEvSQ_,comdat
.Lfunc_end311:
	.size	_ZN7rocprim17ROCPRIM_400000_NS6detail17trampoline_kernelINS0_14default_configENS1_22reduce_config_selectorIbEEZNS1_11reduce_implILb1ES3_N6hipcub16HIPCUB_304000_NS22TransformInputIteratorIbN2at6native12_GLOBAL__N_19NonZeroOpIsEEPKslEEPiiNS8_6detail34convert_binary_result_type_wrapperINS8_3SumESH_iEEEE10hipError_tPvRmT1_T2_T3_mT4_P12ihipStream_tbEUlT_E0_NS1_11comp_targetILNS1_3genE9ELNS1_11target_archE1100ELNS1_3gpuE3ELNS1_3repE0EEENS1_30default_config_static_selectorELNS0_4arch9wavefront6targetE0EEEvSQ_, .Lfunc_end311-_ZN7rocprim17ROCPRIM_400000_NS6detail17trampoline_kernelINS0_14default_configENS1_22reduce_config_selectorIbEEZNS1_11reduce_implILb1ES3_N6hipcub16HIPCUB_304000_NS22TransformInputIteratorIbN2at6native12_GLOBAL__N_19NonZeroOpIsEEPKslEEPiiNS8_6detail34convert_binary_result_type_wrapperINS8_3SumESH_iEEEE10hipError_tPvRmT1_T2_T3_mT4_P12ihipStream_tbEUlT_E0_NS1_11comp_targetILNS1_3genE9ELNS1_11target_archE1100ELNS1_3gpuE3ELNS1_3repE0EEENS1_30default_config_static_selectorELNS0_4arch9wavefront6targetE0EEEvSQ_
                                        ; -- End function
	.set _ZN7rocprim17ROCPRIM_400000_NS6detail17trampoline_kernelINS0_14default_configENS1_22reduce_config_selectorIbEEZNS1_11reduce_implILb1ES3_N6hipcub16HIPCUB_304000_NS22TransformInputIteratorIbN2at6native12_GLOBAL__N_19NonZeroOpIsEEPKslEEPiiNS8_6detail34convert_binary_result_type_wrapperINS8_3SumESH_iEEEE10hipError_tPvRmT1_T2_T3_mT4_P12ihipStream_tbEUlT_E0_NS1_11comp_targetILNS1_3genE9ELNS1_11target_archE1100ELNS1_3gpuE3ELNS1_3repE0EEENS1_30default_config_static_selectorELNS0_4arch9wavefront6targetE0EEEvSQ_.num_vgpr, 0
	.set _ZN7rocprim17ROCPRIM_400000_NS6detail17trampoline_kernelINS0_14default_configENS1_22reduce_config_selectorIbEEZNS1_11reduce_implILb1ES3_N6hipcub16HIPCUB_304000_NS22TransformInputIteratorIbN2at6native12_GLOBAL__N_19NonZeroOpIsEEPKslEEPiiNS8_6detail34convert_binary_result_type_wrapperINS8_3SumESH_iEEEE10hipError_tPvRmT1_T2_T3_mT4_P12ihipStream_tbEUlT_E0_NS1_11comp_targetILNS1_3genE9ELNS1_11target_archE1100ELNS1_3gpuE3ELNS1_3repE0EEENS1_30default_config_static_selectorELNS0_4arch9wavefront6targetE0EEEvSQ_.num_agpr, 0
	.set _ZN7rocprim17ROCPRIM_400000_NS6detail17trampoline_kernelINS0_14default_configENS1_22reduce_config_selectorIbEEZNS1_11reduce_implILb1ES3_N6hipcub16HIPCUB_304000_NS22TransformInputIteratorIbN2at6native12_GLOBAL__N_19NonZeroOpIsEEPKslEEPiiNS8_6detail34convert_binary_result_type_wrapperINS8_3SumESH_iEEEE10hipError_tPvRmT1_T2_T3_mT4_P12ihipStream_tbEUlT_E0_NS1_11comp_targetILNS1_3genE9ELNS1_11target_archE1100ELNS1_3gpuE3ELNS1_3repE0EEENS1_30default_config_static_selectorELNS0_4arch9wavefront6targetE0EEEvSQ_.numbered_sgpr, 0
	.set _ZN7rocprim17ROCPRIM_400000_NS6detail17trampoline_kernelINS0_14default_configENS1_22reduce_config_selectorIbEEZNS1_11reduce_implILb1ES3_N6hipcub16HIPCUB_304000_NS22TransformInputIteratorIbN2at6native12_GLOBAL__N_19NonZeroOpIsEEPKslEEPiiNS8_6detail34convert_binary_result_type_wrapperINS8_3SumESH_iEEEE10hipError_tPvRmT1_T2_T3_mT4_P12ihipStream_tbEUlT_E0_NS1_11comp_targetILNS1_3genE9ELNS1_11target_archE1100ELNS1_3gpuE3ELNS1_3repE0EEENS1_30default_config_static_selectorELNS0_4arch9wavefront6targetE0EEEvSQ_.num_named_barrier, 0
	.set _ZN7rocprim17ROCPRIM_400000_NS6detail17trampoline_kernelINS0_14default_configENS1_22reduce_config_selectorIbEEZNS1_11reduce_implILb1ES3_N6hipcub16HIPCUB_304000_NS22TransformInputIteratorIbN2at6native12_GLOBAL__N_19NonZeroOpIsEEPKslEEPiiNS8_6detail34convert_binary_result_type_wrapperINS8_3SumESH_iEEEE10hipError_tPvRmT1_T2_T3_mT4_P12ihipStream_tbEUlT_E0_NS1_11comp_targetILNS1_3genE9ELNS1_11target_archE1100ELNS1_3gpuE3ELNS1_3repE0EEENS1_30default_config_static_selectorELNS0_4arch9wavefront6targetE0EEEvSQ_.private_seg_size, 0
	.set _ZN7rocprim17ROCPRIM_400000_NS6detail17trampoline_kernelINS0_14default_configENS1_22reduce_config_selectorIbEEZNS1_11reduce_implILb1ES3_N6hipcub16HIPCUB_304000_NS22TransformInputIteratorIbN2at6native12_GLOBAL__N_19NonZeroOpIsEEPKslEEPiiNS8_6detail34convert_binary_result_type_wrapperINS8_3SumESH_iEEEE10hipError_tPvRmT1_T2_T3_mT4_P12ihipStream_tbEUlT_E0_NS1_11comp_targetILNS1_3genE9ELNS1_11target_archE1100ELNS1_3gpuE3ELNS1_3repE0EEENS1_30default_config_static_selectorELNS0_4arch9wavefront6targetE0EEEvSQ_.uses_vcc, 0
	.set _ZN7rocprim17ROCPRIM_400000_NS6detail17trampoline_kernelINS0_14default_configENS1_22reduce_config_selectorIbEEZNS1_11reduce_implILb1ES3_N6hipcub16HIPCUB_304000_NS22TransformInputIteratorIbN2at6native12_GLOBAL__N_19NonZeroOpIsEEPKslEEPiiNS8_6detail34convert_binary_result_type_wrapperINS8_3SumESH_iEEEE10hipError_tPvRmT1_T2_T3_mT4_P12ihipStream_tbEUlT_E0_NS1_11comp_targetILNS1_3genE9ELNS1_11target_archE1100ELNS1_3gpuE3ELNS1_3repE0EEENS1_30default_config_static_selectorELNS0_4arch9wavefront6targetE0EEEvSQ_.uses_flat_scratch, 0
	.set _ZN7rocprim17ROCPRIM_400000_NS6detail17trampoline_kernelINS0_14default_configENS1_22reduce_config_selectorIbEEZNS1_11reduce_implILb1ES3_N6hipcub16HIPCUB_304000_NS22TransformInputIteratorIbN2at6native12_GLOBAL__N_19NonZeroOpIsEEPKslEEPiiNS8_6detail34convert_binary_result_type_wrapperINS8_3SumESH_iEEEE10hipError_tPvRmT1_T2_T3_mT4_P12ihipStream_tbEUlT_E0_NS1_11comp_targetILNS1_3genE9ELNS1_11target_archE1100ELNS1_3gpuE3ELNS1_3repE0EEENS1_30default_config_static_selectorELNS0_4arch9wavefront6targetE0EEEvSQ_.has_dyn_sized_stack, 0
	.set _ZN7rocprim17ROCPRIM_400000_NS6detail17trampoline_kernelINS0_14default_configENS1_22reduce_config_selectorIbEEZNS1_11reduce_implILb1ES3_N6hipcub16HIPCUB_304000_NS22TransformInputIteratorIbN2at6native12_GLOBAL__N_19NonZeroOpIsEEPKslEEPiiNS8_6detail34convert_binary_result_type_wrapperINS8_3SumESH_iEEEE10hipError_tPvRmT1_T2_T3_mT4_P12ihipStream_tbEUlT_E0_NS1_11comp_targetILNS1_3genE9ELNS1_11target_archE1100ELNS1_3gpuE3ELNS1_3repE0EEENS1_30default_config_static_selectorELNS0_4arch9wavefront6targetE0EEEvSQ_.has_recursion, 0
	.set _ZN7rocprim17ROCPRIM_400000_NS6detail17trampoline_kernelINS0_14default_configENS1_22reduce_config_selectorIbEEZNS1_11reduce_implILb1ES3_N6hipcub16HIPCUB_304000_NS22TransformInputIteratorIbN2at6native12_GLOBAL__N_19NonZeroOpIsEEPKslEEPiiNS8_6detail34convert_binary_result_type_wrapperINS8_3SumESH_iEEEE10hipError_tPvRmT1_T2_T3_mT4_P12ihipStream_tbEUlT_E0_NS1_11comp_targetILNS1_3genE9ELNS1_11target_archE1100ELNS1_3gpuE3ELNS1_3repE0EEENS1_30default_config_static_selectorELNS0_4arch9wavefront6targetE0EEEvSQ_.has_indirect_call, 0
	.section	.AMDGPU.csdata,"",@progbits
; Kernel info:
; codeLenInByte = 0
; TotalNumSgprs: 0
; NumVgprs: 0
; ScratchSize: 0
; MemoryBound: 0
; FloatMode: 240
; IeeeMode: 1
; LDSByteSize: 0 bytes/workgroup (compile time only)
; SGPRBlocks: 0
; VGPRBlocks: 0
; NumSGPRsForWavesPerEU: 1
; NumVGPRsForWavesPerEU: 1
; Occupancy: 16
; WaveLimiterHint : 0
; COMPUTE_PGM_RSRC2:SCRATCH_EN: 0
; COMPUTE_PGM_RSRC2:USER_SGPR: 2
; COMPUTE_PGM_RSRC2:TRAP_HANDLER: 0
; COMPUTE_PGM_RSRC2:TGID_X_EN: 1
; COMPUTE_PGM_RSRC2:TGID_Y_EN: 0
; COMPUTE_PGM_RSRC2:TGID_Z_EN: 0
; COMPUTE_PGM_RSRC2:TIDIG_COMP_CNT: 0
	.section	.text._ZN7rocprim17ROCPRIM_400000_NS6detail17trampoline_kernelINS0_14default_configENS1_22reduce_config_selectorIbEEZNS1_11reduce_implILb1ES3_N6hipcub16HIPCUB_304000_NS22TransformInputIteratorIbN2at6native12_GLOBAL__N_19NonZeroOpIsEEPKslEEPiiNS8_6detail34convert_binary_result_type_wrapperINS8_3SumESH_iEEEE10hipError_tPvRmT1_T2_T3_mT4_P12ihipStream_tbEUlT_E0_NS1_11comp_targetILNS1_3genE8ELNS1_11target_archE1030ELNS1_3gpuE2ELNS1_3repE0EEENS1_30default_config_static_selectorELNS0_4arch9wavefront6targetE0EEEvSQ_,"axG",@progbits,_ZN7rocprim17ROCPRIM_400000_NS6detail17trampoline_kernelINS0_14default_configENS1_22reduce_config_selectorIbEEZNS1_11reduce_implILb1ES3_N6hipcub16HIPCUB_304000_NS22TransformInputIteratorIbN2at6native12_GLOBAL__N_19NonZeroOpIsEEPKslEEPiiNS8_6detail34convert_binary_result_type_wrapperINS8_3SumESH_iEEEE10hipError_tPvRmT1_T2_T3_mT4_P12ihipStream_tbEUlT_E0_NS1_11comp_targetILNS1_3genE8ELNS1_11target_archE1030ELNS1_3gpuE2ELNS1_3repE0EEENS1_30default_config_static_selectorELNS0_4arch9wavefront6targetE0EEEvSQ_,comdat
	.globl	_ZN7rocprim17ROCPRIM_400000_NS6detail17trampoline_kernelINS0_14default_configENS1_22reduce_config_selectorIbEEZNS1_11reduce_implILb1ES3_N6hipcub16HIPCUB_304000_NS22TransformInputIteratorIbN2at6native12_GLOBAL__N_19NonZeroOpIsEEPKslEEPiiNS8_6detail34convert_binary_result_type_wrapperINS8_3SumESH_iEEEE10hipError_tPvRmT1_T2_T3_mT4_P12ihipStream_tbEUlT_E0_NS1_11comp_targetILNS1_3genE8ELNS1_11target_archE1030ELNS1_3gpuE2ELNS1_3repE0EEENS1_30default_config_static_selectorELNS0_4arch9wavefront6targetE0EEEvSQ_ ; -- Begin function _ZN7rocprim17ROCPRIM_400000_NS6detail17trampoline_kernelINS0_14default_configENS1_22reduce_config_selectorIbEEZNS1_11reduce_implILb1ES3_N6hipcub16HIPCUB_304000_NS22TransformInputIteratorIbN2at6native12_GLOBAL__N_19NonZeroOpIsEEPKslEEPiiNS8_6detail34convert_binary_result_type_wrapperINS8_3SumESH_iEEEE10hipError_tPvRmT1_T2_T3_mT4_P12ihipStream_tbEUlT_E0_NS1_11comp_targetILNS1_3genE8ELNS1_11target_archE1030ELNS1_3gpuE2ELNS1_3repE0EEENS1_30default_config_static_selectorELNS0_4arch9wavefront6targetE0EEEvSQ_
	.p2align	8
	.type	_ZN7rocprim17ROCPRIM_400000_NS6detail17trampoline_kernelINS0_14default_configENS1_22reduce_config_selectorIbEEZNS1_11reduce_implILb1ES3_N6hipcub16HIPCUB_304000_NS22TransformInputIteratorIbN2at6native12_GLOBAL__N_19NonZeroOpIsEEPKslEEPiiNS8_6detail34convert_binary_result_type_wrapperINS8_3SumESH_iEEEE10hipError_tPvRmT1_T2_T3_mT4_P12ihipStream_tbEUlT_E0_NS1_11comp_targetILNS1_3genE8ELNS1_11target_archE1030ELNS1_3gpuE2ELNS1_3repE0EEENS1_30default_config_static_selectorELNS0_4arch9wavefront6targetE0EEEvSQ_,@function
_ZN7rocprim17ROCPRIM_400000_NS6detail17trampoline_kernelINS0_14default_configENS1_22reduce_config_selectorIbEEZNS1_11reduce_implILb1ES3_N6hipcub16HIPCUB_304000_NS22TransformInputIteratorIbN2at6native12_GLOBAL__N_19NonZeroOpIsEEPKslEEPiiNS8_6detail34convert_binary_result_type_wrapperINS8_3SumESH_iEEEE10hipError_tPvRmT1_T2_T3_mT4_P12ihipStream_tbEUlT_E0_NS1_11comp_targetILNS1_3genE8ELNS1_11target_archE1030ELNS1_3gpuE2ELNS1_3repE0EEENS1_30default_config_static_selectorELNS0_4arch9wavefront6targetE0EEEvSQ_: ; @_ZN7rocprim17ROCPRIM_400000_NS6detail17trampoline_kernelINS0_14default_configENS1_22reduce_config_selectorIbEEZNS1_11reduce_implILb1ES3_N6hipcub16HIPCUB_304000_NS22TransformInputIteratorIbN2at6native12_GLOBAL__N_19NonZeroOpIsEEPKslEEPiiNS8_6detail34convert_binary_result_type_wrapperINS8_3SumESH_iEEEE10hipError_tPvRmT1_T2_T3_mT4_P12ihipStream_tbEUlT_E0_NS1_11comp_targetILNS1_3genE8ELNS1_11target_archE1030ELNS1_3gpuE2ELNS1_3repE0EEENS1_30default_config_static_selectorELNS0_4arch9wavefront6targetE0EEEvSQ_
; %bb.0:
	.section	.rodata,"a",@progbits
	.p2align	6, 0x0
	.amdhsa_kernel _ZN7rocprim17ROCPRIM_400000_NS6detail17trampoline_kernelINS0_14default_configENS1_22reduce_config_selectorIbEEZNS1_11reduce_implILb1ES3_N6hipcub16HIPCUB_304000_NS22TransformInputIteratorIbN2at6native12_GLOBAL__N_19NonZeroOpIsEEPKslEEPiiNS8_6detail34convert_binary_result_type_wrapperINS8_3SumESH_iEEEE10hipError_tPvRmT1_T2_T3_mT4_P12ihipStream_tbEUlT_E0_NS1_11comp_targetILNS1_3genE8ELNS1_11target_archE1030ELNS1_3gpuE2ELNS1_3repE0EEENS1_30default_config_static_selectorELNS0_4arch9wavefront6targetE0EEEvSQ_
		.amdhsa_group_segment_fixed_size 0
		.amdhsa_private_segment_fixed_size 0
		.amdhsa_kernarg_size 64
		.amdhsa_user_sgpr_count 2
		.amdhsa_user_sgpr_dispatch_ptr 0
		.amdhsa_user_sgpr_queue_ptr 0
		.amdhsa_user_sgpr_kernarg_segment_ptr 1
		.amdhsa_user_sgpr_dispatch_id 0
		.amdhsa_user_sgpr_private_segment_size 0
		.amdhsa_wavefront_size32 1
		.amdhsa_uses_dynamic_stack 0
		.amdhsa_enable_private_segment 0
		.amdhsa_system_sgpr_workgroup_id_x 1
		.amdhsa_system_sgpr_workgroup_id_y 0
		.amdhsa_system_sgpr_workgroup_id_z 0
		.amdhsa_system_sgpr_workgroup_info 0
		.amdhsa_system_vgpr_workitem_id 0
		.amdhsa_next_free_vgpr 1
		.amdhsa_next_free_sgpr 1
		.amdhsa_reserve_vcc 0
		.amdhsa_float_round_mode_32 0
		.amdhsa_float_round_mode_16_64 0
		.amdhsa_float_denorm_mode_32 3
		.amdhsa_float_denorm_mode_16_64 3
		.amdhsa_fp16_overflow 0
		.amdhsa_workgroup_processor_mode 1
		.amdhsa_memory_ordered 1
		.amdhsa_forward_progress 1
		.amdhsa_inst_pref_size 0
		.amdhsa_round_robin_scheduling 0
		.amdhsa_exception_fp_ieee_invalid_op 0
		.amdhsa_exception_fp_denorm_src 0
		.amdhsa_exception_fp_ieee_div_zero 0
		.amdhsa_exception_fp_ieee_overflow 0
		.amdhsa_exception_fp_ieee_underflow 0
		.amdhsa_exception_fp_ieee_inexact 0
		.amdhsa_exception_int_div_zero 0
	.end_amdhsa_kernel
	.section	.text._ZN7rocprim17ROCPRIM_400000_NS6detail17trampoline_kernelINS0_14default_configENS1_22reduce_config_selectorIbEEZNS1_11reduce_implILb1ES3_N6hipcub16HIPCUB_304000_NS22TransformInputIteratorIbN2at6native12_GLOBAL__N_19NonZeroOpIsEEPKslEEPiiNS8_6detail34convert_binary_result_type_wrapperINS8_3SumESH_iEEEE10hipError_tPvRmT1_T2_T3_mT4_P12ihipStream_tbEUlT_E0_NS1_11comp_targetILNS1_3genE8ELNS1_11target_archE1030ELNS1_3gpuE2ELNS1_3repE0EEENS1_30default_config_static_selectorELNS0_4arch9wavefront6targetE0EEEvSQ_,"axG",@progbits,_ZN7rocprim17ROCPRIM_400000_NS6detail17trampoline_kernelINS0_14default_configENS1_22reduce_config_selectorIbEEZNS1_11reduce_implILb1ES3_N6hipcub16HIPCUB_304000_NS22TransformInputIteratorIbN2at6native12_GLOBAL__N_19NonZeroOpIsEEPKslEEPiiNS8_6detail34convert_binary_result_type_wrapperINS8_3SumESH_iEEEE10hipError_tPvRmT1_T2_T3_mT4_P12ihipStream_tbEUlT_E0_NS1_11comp_targetILNS1_3genE8ELNS1_11target_archE1030ELNS1_3gpuE2ELNS1_3repE0EEENS1_30default_config_static_selectorELNS0_4arch9wavefront6targetE0EEEvSQ_,comdat
.Lfunc_end312:
	.size	_ZN7rocprim17ROCPRIM_400000_NS6detail17trampoline_kernelINS0_14default_configENS1_22reduce_config_selectorIbEEZNS1_11reduce_implILb1ES3_N6hipcub16HIPCUB_304000_NS22TransformInputIteratorIbN2at6native12_GLOBAL__N_19NonZeroOpIsEEPKslEEPiiNS8_6detail34convert_binary_result_type_wrapperINS8_3SumESH_iEEEE10hipError_tPvRmT1_T2_T3_mT4_P12ihipStream_tbEUlT_E0_NS1_11comp_targetILNS1_3genE8ELNS1_11target_archE1030ELNS1_3gpuE2ELNS1_3repE0EEENS1_30default_config_static_selectorELNS0_4arch9wavefront6targetE0EEEvSQ_, .Lfunc_end312-_ZN7rocprim17ROCPRIM_400000_NS6detail17trampoline_kernelINS0_14default_configENS1_22reduce_config_selectorIbEEZNS1_11reduce_implILb1ES3_N6hipcub16HIPCUB_304000_NS22TransformInputIteratorIbN2at6native12_GLOBAL__N_19NonZeroOpIsEEPKslEEPiiNS8_6detail34convert_binary_result_type_wrapperINS8_3SumESH_iEEEE10hipError_tPvRmT1_T2_T3_mT4_P12ihipStream_tbEUlT_E0_NS1_11comp_targetILNS1_3genE8ELNS1_11target_archE1030ELNS1_3gpuE2ELNS1_3repE0EEENS1_30default_config_static_selectorELNS0_4arch9wavefront6targetE0EEEvSQ_
                                        ; -- End function
	.set _ZN7rocprim17ROCPRIM_400000_NS6detail17trampoline_kernelINS0_14default_configENS1_22reduce_config_selectorIbEEZNS1_11reduce_implILb1ES3_N6hipcub16HIPCUB_304000_NS22TransformInputIteratorIbN2at6native12_GLOBAL__N_19NonZeroOpIsEEPKslEEPiiNS8_6detail34convert_binary_result_type_wrapperINS8_3SumESH_iEEEE10hipError_tPvRmT1_T2_T3_mT4_P12ihipStream_tbEUlT_E0_NS1_11comp_targetILNS1_3genE8ELNS1_11target_archE1030ELNS1_3gpuE2ELNS1_3repE0EEENS1_30default_config_static_selectorELNS0_4arch9wavefront6targetE0EEEvSQ_.num_vgpr, 0
	.set _ZN7rocprim17ROCPRIM_400000_NS6detail17trampoline_kernelINS0_14default_configENS1_22reduce_config_selectorIbEEZNS1_11reduce_implILb1ES3_N6hipcub16HIPCUB_304000_NS22TransformInputIteratorIbN2at6native12_GLOBAL__N_19NonZeroOpIsEEPKslEEPiiNS8_6detail34convert_binary_result_type_wrapperINS8_3SumESH_iEEEE10hipError_tPvRmT1_T2_T3_mT4_P12ihipStream_tbEUlT_E0_NS1_11comp_targetILNS1_3genE8ELNS1_11target_archE1030ELNS1_3gpuE2ELNS1_3repE0EEENS1_30default_config_static_selectorELNS0_4arch9wavefront6targetE0EEEvSQ_.num_agpr, 0
	.set _ZN7rocprim17ROCPRIM_400000_NS6detail17trampoline_kernelINS0_14default_configENS1_22reduce_config_selectorIbEEZNS1_11reduce_implILb1ES3_N6hipcub16HIPCUB_304000_NS22TransformInputIteratorIbN2at6native12_GLOBAL__N_19NonZeroOpIsEEPKslEEPiiNS8_6detail34convert_binary_result_type_wrapperINS8_3SumESH_iEEEE10hipError_tPvRmT1_T2_T3_mT4_P12ihipStream_tbEUlT_E0_NS1_11comp_targetILNS1_3genE8ELNS1_11target_archE1030ELNS1_3gpuE2ELNS1_3repE0EEENS1_30default_config_static_selectorELNS0_4arch9wavefront6targetE0EEEvSQ_.numbered_sgpr, 0
	.set _ZN7rocprim17ROCPRIM_400000_NS6detail17trampoline_kernelINS0_14default_configENS1_22reduce_config_selectorIbEEZNS1_11reduce_implILb1ES3_N6hipcub16HIPCUB_304000_NS22TransformInputIteratorIbN2at6native12_GLOBAL__N_19NonZeroOpIsEEPKslEEPiiNS8_6detail34convert_binary_result_type_wrapperINS8_3SumESH_iEEEE10hipError_tPvRmT1_T2_T3_mT4_P12ihipStream_tbEUlT_E0_NS1_11comp_targetILNS1_3genE8ELNS1_11target_archE1030ELNS1_3gpuE2ELNS1_3repE0EEENS1_30default_config_static_selectorELNS0_4arch9wavefront6targetE0EEEvSQ_.num_named_barrier, 0
	.set _ZN7rocprim17ROCPRIM_400000_NS6detail17trampoline_kernelINS0_14default_configENS1_22reduce_config_selectorIbEEZNS1_11reduce_implILb1ES3_N6hipcub16HIPCUB_304000_NS22TransformInputIteratorIbN2at6native12_GLOBAL__N_19NonZeroOpIsEEPKslEEPiiNS8_6detail34convert_binary_result_type_wrapperINS8_3SumESH_iEEEE10hipError_tPvRmT1_T2_T3_mT4_P12ihipStream_tbEUlT_E0_NS1_11comp_targetILNS1_3genE8ELNS1_11target_archE1030ELNS1_3gpuE2ELNS1_3repE0EEENS1_30default_config_static_selectorELNS0_4arch9wavefront6targetE0EEEvSQ_.private_seg_size, 0
	.set _ZN7rocprim17ROCPRIM_400000_NS6detail17trampoline_kernelINS0_14default_configENS1_22reduce_config_selectorIbEEZNS1_11reduce_implILb1ES3_N6hipcub16HIPCUB_304000_NS22TransformInputIteratorIbN2at6native12_GLOBAL__N_19NonZeroOpIsEEPKslEEPiiNS8_6detail34convert_binary_result_type_wrapperINS8_3SumESH_iEEEE10hipError_tPvRmT1_T2_T3_mT4_P12ihipStream_tbEUlT_E0_NS1_11comp_targetILNS1_3genE8ELNS1_11target_archE1030ELNS1_3gpuE2ELNS1_3repE0EEENS1_30default_config_static_selectorELNS0_4arch9wavefront6targetE0EEEvSQ_.uses_vcc, 0
	.set _ZN7rocprim17ROCPRIM_400000_NS6detail17trampoline_kernelINS0_14default_configENS1_22reduce_config_selectorIbEEZNS1_11reduce_implILb1ES3_N6hipcub16HIPCUB_304000_NS22TransformInputIteratorIbN2at6native12_GLOBAL__N_19NonZeroOpIsEEPKslEEPiiNS8_6detail34convert_binary_result_type_wrapperINS8_3SumESH_iEEEE10hipError_tPvRmT1_T2_T3_mT4_P12ihipStream_tbEUlT_E0_NS1_11comp_targetILNS1_3genE8ELNS1_11target_archE1030ELNS1_3gpuE2ELNS1_3repE0EEENS1_30default_config_static_selectorELNS0_4arch9wavefront6targetE0EEEvSQ_.uses_flat_scratch, 0
	.set _ZN7rocprim17ROCPRIM_400000_NS6detail17trampoline_kernelINS0_14default_configENS1_22reduce_config_selectorIbEEZNS1_11reduce_implILb1ES3_N6hipcub16HIPCUB_304000_NS22TransformInputIteratorIbN2at6native12_GLOBAL__N_19NonZeroOpIsEEPKslEEPiiNS8_6detail34convert_binary_result_type_wrapperINS8_3SumESH_iEEEE10hipError_tPvRmT1_T2_T3_mT4_P12ihipStream_tbEUlT_E0_NS1_11comp_targetILNS1_3genE8ELNS1_11target_archE1030ELNS1_3gpuE2ELNS1_3repE0EEENS1_30default_config_static_selectorELNS0_4arch9wavefront6targetE0EEEvSQ_.has_dyn_sized_stack, 0
	.set _ZN7rocprim17ROCPRIM_400000_NS6detail17trampoline_kernelINS0_14default_configENS1_22reduce_config_selectorIbEEZNS1_11reduce_implILb1ES3_N6hipcub16HIPCUB_304000_NS22TransformInputIteratorIbN2at6native12_GLOBAL__N_19NonZeroOpIsEEPKslEEPiiNS8_6detail34convert_binary_result_type_wrapperINS8_3SumESH_iEEEE10hipError_tPvRmT1_T2_T3_mT4_P12ihipStream_tbEUlT_E0_NS1_11comp_targetILNS1_3genE8ELNS1_11target_archE1030ELNS1_3gpuE2ELNS1_3repE0EEENS1_30default_config_static_selectorELNS0_4arch9wavefront6targetE0EEEvSQ_.has_recursion, 0
	.set _ZN7rocprim17ROCPRIM_400000_NS6detail17trampoline_kernelINS0_14default_configENS1_22reduce_config_selectorIbEEZNS1_11reduce_implILb1ES3_N6hipcub16HIPCUB_304000_NS22TransformInputIteratorIbN2at6native12_GLOBAL__N_19NonZeroOpIsEEPKslEEPiiNS8_6detail34convert_binary_result_type_wrapperINS8_3SumESH_iEEEE10hipError_tPvRmT1_T2_T3_mT4_P12ihipStream_tbEUlT_E0_NS1_11comp_targetILNS1_3genE8ELNS1_11target_archE1030ELNS1_3gpuE2ELNS1_3repE0EEENS1_30default_config_static_selectorELNS0_4arch9wavefront6targetE0EEEvSQ_.has_indirect_call, 0
	.section	.AMDGPU.csdata,"",@progbits
; Kernel info:
; codeLenInByte = 0
; TotalNumSgprs: 0
; NumVgprs: 0
; ScratchSize: 0
; MemoryBound: 0
; FloatMode: 240
; IeeeMode: 1
; LDSByteSize: 0 bytes/workgroup (compile time only)
; SGPRBlocks: 0
; VGPRBlocks: 0
; NumSGPRsForWavesPerEU: 1
; NumVGPRsForWavesPerEU: 1
; Occupancy: 16
; WaveLimiterHint : 0
; COMPUTE_PGM_RSRC2:SCRATCH_EN: 0
; COMPUTE_PGM_RSRC2:USER_SGPR: 2
; COMPUTE_PGM_RSRC2:TRAP_HANDLER: 0
; COMPUTE_PGM_RSRC2:TGID_X_EN: 1
; COMPUTE_PGM_RSRC2:TGID_Y_EN: 0
; COMPUTE_PGM_RSRC2:TGID_Z_EN: 0
; COMPUTE_PGM_RSRC2:TIDIG_COMP_CNT: 0
	.section	.text._ZN7rocprim17ROCPRIM_400000_NS6detail17trampoline_kernelINS0_14default_configENS1_22reduce_config_selectorIbEEZNS1_11reduce_implILb1ES3_N6hipcub16HIPCUB_304000_NS22TransformInputIteratorIbN2at6native12_GLOBAL__N_19NonZeroOpIsEEPKslEEPiiNS8_6detail34convert_binary_result_type_wrapperINS8_3SumESH_iEEEE10hipError_tPvRmT1_T2_T3_mT4_P12ihipStream_tbEUlT_E1_NS1_11comp_targetILNS1_3genE0ELNS1_11target_archE4294967295ELNS1_3gpuE0ELNS1_3repE0EEENS1_30default_config_static_selectorELNS0_4arch9wavefront6targetE0EEEvSQ_,"axG",@progbits,_ZN7rocprim17ROCPRIM_400000_NS6detail17trampoline_kernelINS0_14default_configENS1_22reduce_config_selectorIbEEZNS1_11reduce_implILb1ES3_N6hipcub16HIPCUB_304000_NS22TransformInputIteratorIbN2at6native12_GLOBAL__N_19NonZeroOpIsEEPKslEEPiiNS8_6detail34convert_binary_result_type_wrapperINS8_3SumESH_iEEEE10hipError_tPvRmT1_T2_T3_mT4_P12ihipStream_tbEUlT_E1_NS1_11comp_targetILNS1_3genE0ELNS1_11target_archE4294967295ELNS1_3gpuE0ELNS1_3repE0EEENS1_30default_config_static_selectorELNS0_4arch9wavefront6targetE0EEEvSQ_,comdat
	.globl	_ZN7rocprim17ROCPRIM_400000_NS6detail17trampoline_kernelINS0_14default_configENS1_22reduce_config_selectorIbEEZNS1_11reduce_implILb1ES3_N6hipcub16HIPCUB_304000_NS22TransformInputIteratorIbN2at6native12_GLOBAL__N_19NonZeroOpIsEEPKslEEPiiNS8_6detail34convert_binary_result_type_wrapperINS8_3SumESH_iEEEE10hipError_tPvRmT1_T2_T3_mT4_P12ihipStream_tbEUlT_E1_NS1_11comp_targetILNS1_3genE0ELNS1_11target_archE4294967295ELNS1_3gpuE0ELNS1_3repE0EEENS1_30default_config_static_selectorELNS0_4arch9wavefront6targetE0EEEvSQ_ ; -- Begin function _ZN7rocprim17ROCPRIM_400000_NS6detail17trampoline_kernelINS0_14default_configENS1_22reduce_config_selectorIbEEZNS1_11reduce_implILb1ES3_N6hipcub16HIPCUB_304000_NS22TransformInputIteratorIbN2at6native12_GLOBAL__N_19NonZeroOpIsEEPKslEEPiiNS8_6detail34convert_binary_result_type_wrapperINS8_3SumESH_iEEEE10hipError_tPvRmT1_T2_T3_mT4_P12ihipStream_tbEUlT_E1_NS1_11comp_targetILNS1_3genE0ELNS1_11target_archE4294967295ELNS1_3gpuE0ELNS1_3repE0EEENS1_30default_config_static_selectorELNS0_4arch9wavefront6targetE0EEEvSQ_
	.p2align	8
	.type	_ZN7rocprim17ROCPRIM_400000_NS6detail17trampoline_kernelINS0_14default_configENS1_22reduce_config_selectorIbEEZNS1_11reduce_implILb1ES3_N6hipcub16HIPCUB_304000_NS22TransformInputIteratorIbN2at6native12_GLOBAL__N_19NonZeroOpIsEEPKslEEPiiNS8_6detail34convert_binary_result_type_wrapperINS8_3SumESH_iEEEE10hipError_tPvRmT1_T2_T3_mT4_P12ihipStream_tbEUlT_E1_NS1_11comp_targetILNS1_3genE0ELNS1_11target_archE4294967295ELNS1_3gpuE0ELNS1_3repE0EEENS1_30default_config_static_selectorELNS0_4arch9wavefront6targetE0EEEvSQ_,@function
_ZN7rocprim17ROCPRIM_400000_NS6detail17trampoline_kernelINS0_14default_configENS1_22reduce_config_selectorIbEEZNS1_11reduce_implILb1ES3_N6hipcub16HIPCUB_304000_NS22TransformInputIteratorIbN2at6native12_GLOBAL__N_19NonZeroOpIsEEPKslEEPiiNS8_6detail34convert_binary_result_type_wrapperINS8_3SumESH_iEEEE10hipError_tPvRmT1_T2_T3_mT4_P12ihipStream_tbEUlT_E1_NS1_11comp_targetILNS1_3genE0ELNS1_11target_archE4294967295ELNS1_3gpuE0ELNS1_3repE0EEENS1_30default_config_static_selectorELNS0_4arch9wavefront6targetE0EEEvSQ_: ; @_ZN7rocprim17ROCPRIM_400000_NS6detail17trampoline_kernelINS0_14default_configENS1_22reduce_config_selectorIbEEZNS1_11reduce_implILb1ES3_N6hipcub16HIPCUB_304000_NS22TransformInputIteratorIbN2at6native12_GLOBAL__N_19NonZeroOpIsEEPKslEEPiiNS8_6detail34convert_binary_result_type_wrapperINS8_3SumESH_iEEEE10hipError_tPvRmT1_T2_T3_mT4_P12ihipStream_tbEUlT_E1_NS1_11comp_targetILNS1_3genE0ELNS1_11target_archE4294967295ELNS1_3gpuE0ELNS1_3repE0EEENS1_30default_config_static_selectorELNS0_4arch9wavefront6targetE0EEEvSQ_
; %bb.0:
	.section	.rodata,"a",@progbits
	.p2align	6, 0x0
	.amdhsa_kernel _ZN7rocprim17ROCPRIM_400000_NS6detail17trampoline_kernelINS0_14default_configENS1_22reduce_config_selectorIbEEZNS1_11reduce_implILb1ES3_N6hipcub16HIPCUB_304000_NS22TransformInputIteratorIbN2at6native12_GLOBAL__N_19NonZeroOpIsEEPKslEEPiiNS8_6detail34convert_binary_result_type_wrapperINS8_3SumESH_iEEEE10hipError_tPvRmT1_T2_T3_mT4_P12ihipStream_tbEUlT_E1_NS1_11comp_targetILNS1_3genE0ELNS1_11target_archE4294967295ELNS1_3gpuE0ELNS1_3repE0EEENS1_30default_config_static_selectorELNS0_4arch9wavefront6targetE0EEEvSQ_
		.amdhsa_group_segment_fixed_size 0
		.amdhsa_private_segment_fixed_size 0
		.amdhsa_kernarg_size 48
		.amdhsa_user_sgpr_count 2
		.amdhsa_user_sgpr_dispatch_ptr 0
		.amdhsa_user_sgpr_queue_ptr 0
		.amdhsa_user_sgpr_kernarg_segment_ptr 1
		.amdhsa_user_sgpr_dispatch_id 0
		.amdhsa_user_sgpr_private_segment_size 0
		.amdhsa_wavefront_size32 1
		.amdhsa_uses_dynamic_stack 0
		.amdhsa_enable_private_segment 0
		.amdhsa_system_sgpr_workgroup_id_x 1
		.amdhsa_system_sgpr_workgroup_id_y 0
		.amdhsa_system_sgpr_workgroup_id_z 0
		.amdhsa_system_sgpr_workgroup_info 0
		.amdhsa_system_vgpr_workitem_id 0
		.amdhsa_next_free_vgpr 1
		.amdhsa_next_free_sgpr 1
		.amdhsa_reserve_vcc 0
		.amdhsa_float_round_mode_32 0
		.amdhsa_float_round_mode_16_64 0
		.amdhsa_float_denorm_mode_32 3
		.amdhsa_float_denorm_mode_16_64 3
		.amdhsa_fp16_overflow 0
		.amdhsa_workgroup_processor_mode 1
		.amdhsa_memory_ordered 1
		.amdhsa_forward_progress 1
		.amdhsa_inst_pref_size 0
		.amdhsa_round_robin_scheduling 0
		.amdhsa_exception_fp_ieee_invalid_op 0
		.amdhsa_exception_fp_denorm_src 0
		.amdhsa_exception_fp_ieee_div_zero 0
		.amdhsa_exception_fp_ieee_overflow 0
		.amdhsa_exception_fp_ieee_underflow 0
		.amdhsa_exception_fp_ieee_inexact 0
		.amdhsa_exception_int_div_zero 0
	.end_amdhsa_kernel
	.section	.text._ZN7rocprim17ROCPRIM_400000_NS6detail17trampoline_kernelINS0_14default_configENS1_22reduce_config_selectorIbEEZNS1_11reduce_implILb1ES3_N6hipcub16HIPCUB_304000_NS22TransformInputIteratorIbN2at6native12_GLOBAL__N_19NonZeroOpIsEEPKslEEPiiNS8_6detail34convert_binary_result_type_wrapperINS8_3SumESH_iEEEE10hipError_tPvRmT1_T2_T3_mT4_P12ihipStream_tbEUlT_E1_NS1_11comp_targetILNS1_3genE0ELNS1_11target_archE4294967295ELNS1_3gpuE0ELNS1_3repE0EEENS1_30default_config_static_selectorELNS0_4arch9wavefront6targetE0EEEvSQ_,"axG",@progbits,_ZN7rocprim17ROCPRIM_400000_NS6detail17trampoline_kernelINS0_14default_configENS1_22reduce_config_selectorIbEEZNS1_11reduce_implILb1ES3_N6hipcub16HIPCUB_304000_NS22TransformInputIteratorIbN2at6native12_GLOBAL__N_19NonZeroOpIsEEPKslEEPiiNS8_6detail34convert_binary_result_type_wrapperINS8_3SumESH_iEEEE10hipError_tPvRmT1_T2_T3_mT4_P12ihipStream_tbEUlT_E1_NS1_11comp_targetILNS1_3genE0ELNS1_11target_archE4294967295ELNS1_3gpuE0ELNS1_3repE0EEENS1_30default_config_static_selectorELNS0_4arch9wavefront6targetE0EEEvSQ_,comdat
.Lfunc_end313:
	.size	_ZN7rocprim17ROCPRIM_400000_NS6detail17trampoline_kernelINS0_14default_configENS1_22reduce_config_selectorIbEEZNS1_11reduce_implILb1ES3_N6hipcub16HIPCUB_304000_NS22TransformInputIteratorIbN2at6native12_GLOBAL__N_19NonZeroOpIsEEPKslEEPiiNS8_6detail34convert_binary_result_type_wrapperINS8_3SumESH_iEEEE10hipError_tPvRmT1_T2_T3_mT4_P12ihipStream_tbEUlT_E1_NS1_11comp_targetILNS1_3genE0ELNS1_11target_archE4294967295ELNS1_3gpuE0ELNS1_3repE0EEENS1_30default_config_static_selectorELNS0_4arch9wavefront6targetE0EEEvSQ_, .Lfunc_end313-_ZN7rocprim17ROCPRIM_400000_NS6detail17trampoline_kernelINS0_14default_configENS1_22reduce_config_selectorIbEEZNS1_11reduce_implILb1ES3_N6hipcub16HIPCUB_304000_NS22TransformInputIteratorIbN2at6native12_GLOBAL__N_19NonZeroOpIsEEPKslEEPiiNS8_6detail34convert_binary_result_type_wrapperINS8_3SumESH_iEEEE10hipError_tPvRmT1_T2_T3_mT4_P12ihipStream_tbEUlT_E1_NS1_11comp_targetILNS1_3genE0ELNS1_11target_archE4294967295ELNS1_3gpuE0ELNS1_3repE0EEENS1_30default_config_static_selectorELNS0_4arch9wavefront6targetE0EEEvSQ_
                                        ; -- End function
	.set _ZN7rocprim17ROCPRIM_400000_NS6detail17trampoline_kernelINS0_14default_configENS1_22reduce_config_selectorIbEEZNS1_11reduce_implILb1ES3_N6hipcub16HIPCUB_304000_NS22TransformInputIteratorIbN2at6native12_GLOBAL__N_19NonZeroOpIsEEPKslEEPiiNS8_6detail34convert_binary_result_type_wrapperINS8_3SumESH_iEEEE10hipError_tPvRmT1_T2_T3_mT4_P12ihipStream_tbEUlT_E1_NS1_11comp_targetILNS1_3genE0ELNS1_11target_archE4294967295ELNS1_3gpuE0ELNS1_3repE0EEENS1_30default_config_static_selectorELNS0_4arch9wavefront6targetE0EEEvSQ_.num_vgpr, 0
	.set _ZN7rocprim17ROCPRIM_400000_NS6detail17trampoline_kernelINS0_14default_configENS1_22reduce_config_selectorIbEEZNS1_11reduce_implILb1ES3_N6hipcub16HIPCUB_304000_NS22TransformInputIteratorIbN2at6native12_GLOBAL__N_19NonZeroOpIsEEPKslEEPiiNS8_6detail34convert_binary_result_type_wrapperINS8_3SumESH_iEEEE10hipError_tPvRmT1_T2_T3_mT4_P12ihipStream_tbEUlT_E1_NS1_11comp_targetILNS1_3genE0ELNS1_11target_archE4294967295ELNS1_3gpuE0ELNS1_3repE0EEENS1_30default_config_static_selectorELNS0_4arch9wavefront6targetE0EEEvSQ_.num_agpr, 0
	.set _ZN7rocprim17ROCPRIM_400000_NS6detail17trampoline_kernelINS0_14default_configENS1_22reduce_config_selectorIbEEZNS1_11reduce_implILb1ES3_N6hipcub16HIPCUB_304000_NS22TransformInputIteratorIbN2at6native12_GLOBAL__N_19NonZeroOpIsEEPKslEEPiiNS8_6detail34convert_binary_result_type_wrapperINS8_3SumESH_iEEEE10hipError_tPvRmT1_T2_T3_mT4_P12ihipStream_tbEUlT_E1_NS1_11comp_targetILNS1_3genE0ELNS1_11target_archE4294967295ELNS1_3gpuE0ELNS1_3repE0EEENS1_30default_config_static_selectorELNS0_4arch9wavefront6targetE0EEEvSQ_.numbered_sgpr, 0
	.set _ZN7rocprim17ROCPRIM_400000_NS6detail17trampoline_kernelINS0_14default_configENS1_22reduce_config_selectorIbEEZNS1_11reduce_implILb1ES3_N6hipcub16HIPCUB_304000_NS22TransformInputIteratorIbN2at6native12_GLOBAL__N_19NonZeroOpIsEEPKslEEPiiNS8_6detail34convert_binary_result_type_wrapperINS8_3SumESH_iEEEE10hipError_tPvRmT1_T2_T3_mT4_P12ihipStream_tbEUlT_E1_NS1_11comp_targetILNS1_3genE0ELNS1_11target_archE4294967295ELNS1_3gpuE0ELNS1_3repE0EEENS1_30default_config_static_selectorELNS0_4arch9wavefront6targetE0EEEvSQ_.num_named_barrier, 0
	.set _ZN7rocprim17ROCPRIM_400000_NS6detail17trampoline_kernelINS0_14default_configENS1_22reduce_config_selectorIbEEZNS1_11reduce_implILb1ES3_N6hipcub16HIPCUB_304000_NS22TransformInputIteratorIbN2at6native12_GLOBAL__N_19NonZeroOpIsEEPKslEEPiiNS8_6detail34convert_binary_result_type_wrapperINS8_3SumESH_iEEEE10hipError_tPvRmT1_T2_T3_mT4_P12ihipStream_tbEUlT_E1_NS1_11comp_targetILNS1_3genE0ELNS1_11target_archE4294967295ELNS1_3gpuE0ELNS1_3repE0EEENS1_30default_config_static_selectorELNS0_4arch9wavefront6targetE0EEEvSQ_.private_seg_size, 0
	.set _ZN7rocprim17ROCPRIM_400000_NS6detail17trampoline_kernelINS0_14default_configENS1_22reduce_config_selectorIbEEZNS1_11reduce_implILb1ES3_N6hipcub16HIPCUB_304000_NS22TransformInputIteratorIbN2at6native12_GLOBAL__N_19NonZeroOpIsEEPKslEEPiiNS8_6detail34convert_binary_result_type_wrapperINS8_3SumESH_iEEEE10hipError_tPvRmT1_T2_T3_mT4_P12ihipStream_tbEUlT_E1_NS1_11comp_targetILNS1_3genE0ELNS1_11target_archE4294967295ELNS1_3gpuE0ELNS1_3repE0EEENS1_30default_config_static_selectorELNS0_4arch9wavefront6targetE0EEEvSQ_.uses_vcc, 0
	.set _ZN7rocprim17ROCPRIM_400000_NS6detail17trampoline_kernelINS0_14default_configENS1_22reduce_config_selectorIbEEZNS1_11reduce_implILb1ES3_N6hipcub16HIPCUB_304000_NS22TransformInputIteratorIbN2at6native12_GLOBAL__N_19NonZeroOpIsEEPKslEEPiiNS8_6detail34convert_binary_result_type_wrapperINS8_3SumESH_iEEEE10hipError_tPvRmT1_T2_T3_mT4_P12ihipStream_tbEUlT_E1_NS1_11comp_targetILNS1_3genE0ELNS1_11target_archE4294967295ELNS1_3gpuE0ELNS1_3repE0EEENS1_30default_config_static_selectorELNS0_4arch9wavefront6targetE0EEEvSQ_.uses_flat_scratch, 0
	.set _ZN7rocprim17ROCPRIM_400000_NS6detail17trampoline_kernelINS0_14default_configENS1_22reduce_config_selectorIbEEZNS1_11reduce_implILb1ES3_N6hipcub16HIPCUB_304000_NS22TransformInputIteratorIbN2at6native12_GLOBAL__N_19NonZeroOpIsEEPKslEEPiiNS8_6detail34convert_binary_result_type_wrapperINS8_3SumESH_iEEEE10hipError_tPvRmT1_T2_T3_mT4_P12ihipStream_tbEUlT_E1_NS1_11comp_targetILNS1_3genE0ELNS1_11target_archE4294967295ELNS1_3gpuE0ELNS1_3repE0EEENS1_30default_config_static_selectorELNS0_4arch9wavefront6targetE0EEEvSQ_.has_dyn_sized_stack, 0
	.set _ZN7rocprim17ROCPRIM_400000_NS6detail17trampoline_kernelINS0_14default_configENS1_22reduce_config_selectorIbEEZNS1_11reduce_implILb1ES3_N6hipcub16HIPCUB_304000_NS22TransformInputIteratorIbN2at6native12_GLOBAL__N_19NonZeroOpIsEEPKslEEPiiNS8_6detail34convert_binary_result_type_wrapperINS8_3SumESH_iEEEE10hipError_tPvRmT1_T2_T3_mT4_P12ihipStream_tbEUlT_E1_NS1_11comp_targetILNS1_3genE0ELNS1_11target_archE4294967295ELNS1_3gpuE0ELNS1_3repE0EEENS1_30default_config_static_selectorELNS0_4arch9wavefront6targetE0EEEvSQ_.has_recursion, 0
	.set _ZN7rocprim17ROCPRIM_400000_NS6detail17trampoline_kernelINS0_14default_configENS1_22reduce_config_selectorIbEEZNS1_11reduce_implILb1ES3_N6hipcub16HIPCUB_304000_NS22TransformInputIteratorIbN2at6native12_GLOBAL__N_19NonZeroOpIsEEPKslEEPiiNS8_6detail34convert_binary_result_type_wrapperINS8_3SumESH_iEEEE10hipError_tPvRmT1_T2_T3_mT4_P12ihipStream_tbEUlT_E1_NS1_11comp_targetILNS1_3genE0ELNS1_11target_archE4294967295ELNS1_3gpuE0ELNS1_3repE0EEENS1_30default_config_static_selectorELNS0_4arch9wavefront6targetE0EEEvSQ_.has_indirect_call, 0
	.section	.AMDGPU.csdata,"",@progbits
; Kernel info:
; codeLenInByte = 0
; TotalNumSgprs: 0
; NumVgprs: 0
; ScratchSize: 0
; MemoryBound: 0
; FloatMode: 240
; IeeeMode: 1
; LDSByteSize: 0 bytes/workgroup (compile time only)
; SGPRBlocks: 0
; VGPRBlocks: 0
; NumSGPRsForWavesPerEU: 1
; NumVGPRsForWavesPerEU: 1
; Occupancy: 16
; WaveLimiterHint : 0
; COMPUTE_PGM_RSRC2:SCRATCH_EN: 0
; COMPUTE_PGM_RSRC2:USER_SGPR: 2
; COMPUTE_PGM_RSRC2:TRAP_HANDLER: 0
; COMPUTE_PGM_RSRC2:TGID_X_EN: 1
; COMPUTE_PGM_RSRC2:TGID_Y_EN: 0
; COMPUTE_PGM_RSRC2:TGID_Z_EN: 0
; COMPUTE_PGM_RSRC2:TIDIG_COMP_CNT: 0
	.section	.text._ZN7rocprim17ROCPRIM_400000_NS6detail17trampoline_kernelINS0_14default_configENS1_22reduce_config_selectorIbEEZNS1_11reduce_implILb1ES3_N6hipcub16HIPCUB_304000_NS22TransformInputIteratorIbN2at6native12_GLOBAL__N_19NonZeroOpIsEEPKslEEPiiNS8_6detail34convert_binary_result_type_wrapperINS8_3SumESH_iEEEE10hipError_tPvRmT1_T2_T3_mT4_P12ihipStream_tbEUlT_E1_NS1_11comp_targetILNS1_3genE5ELNS1_11target_archE942ELNS1_3gpuE9ELNS1_3repE0EEENS1_30default_config_static_selectorELNS0_4arch9wavefront6targetE0EEEvSQ_,"axG",@progbits,_ZN7rocprim17ROCPRIM_400000_NS6detail17trampoline_kernelINS0_14default_configENS1_22reduce_config_selectorIbEEZNS1_11reduce_implILb1ES3_N6hipcub16HIPCUB_304000_NS22TransformInputIteratorIbN2at6native12_GLOBAL__N_19NonZeroOpIsEEPKslEEPiiNS8_6detail34convert_binary_result_type_wrapperINS8_3SumESH_iEEEE10hipError_tPvRmT1_T2_T3_mT4_P12ihipStream_tbEUlT_E1_NS1_11comp_targetILNS1_3genE5ELNS1_11target_archE942ELNS1_3gpuE9ELNS1_3repE0EEENS1_30default_config_static_selectorELNS0_4arch9wavefront6targetE0EEEvSQ_,comdat
	.globl	_ZN7rocprim17ROCPRIM_400000_NS6detail17trampoline_kernelINS0_14default_configENS1_22reduce_config_selectorIbEEZNS1_11reduce_implILb1ES3_N6hipcub16HIPCUB_304000_NS22TransformInputIteratorIbN2at6native12_GLOBAL__N_19NonZeroOpIsEEPKslEEPiiNS8_6detail34convert_binary_result_type_wrapperINS8_3SumESH_iEEEE10hipError_tPvRmT1_T2_T3_mT4_P12ihipStream_tbEUlT_E1_NS1_11comp_targetILNS1_3genE5ELNS1_11target_archE942ELNS1_3gpuE9ELNS1_3repE0EEENS1_30default_config_static_selectorELNS0_4arch9wavefront6targetE0EEEvSQ_ ; -- Begin function _ZN7rocprim17ROCPRIM_400000_NS6detail17trampoline_kernelINS0_14default_configENS1_22reduce_config_selectorIbEEZNS1_11reduce_implILb1ES3_N6hipcub16HIPCUB_304000_NS22TransformInputIteratorIbN2at6native12_GLOBAL__N_19NonZeroOpIsEEPKslEEPiiNS8_6detail34convert_binary_result_type_wrapperINS8_3SumESH_iEEEE10hipError_tPvRmT1_T2_T3_mT4_P12ihipStream_tbEUlT_E1_NS1_11comp_targetILNS1_3genE5ELNS1_11target_archE942ELNS1_3gpuE9ELNS1_3repE0EEENS1_30default_config_static_selectorELNS0_4arch9wavefront6targetE0EEEvSQ_
	.p2align	8
	.type	_ZN7rocprim17ROCPRIM_400000_NS6detail17trampoline_kernelINS0_14default_configENS1_22reduce_config_selectorIbEEZNS1_11reduce_implILb1ES3_N6hipcub16HIPCUB_304000_NS22TransformInputIteratorIbN2at6native12_GLOBAL__N_19NonZeroOpIsEEPKslEEPiiNS8_6detail34convert_binary_result_type_wrapperINS8_3SumESH_iEEEE10hipError_tPvRmT1_T2_T3_mT4_P12ihipStream_tbEUlT_E1_NS1_11comp_targetILNS1_3genE5ELNS1_11target_archE942ELNS1_3gpuE9ELNS1_3repE0EEENS1_30default_config_static_selectorELNS0_4arch9wavefront6targetE0EEEvSQ_,@function
_ZN7rocprim17ROCPRIM_400000_NS6detail17trampoline_kernelINS0_14default_configENS1_22reduce_config_selectorIbEEZNS1_11reduce_implILb1ES3_N6hipcub16HIPCUB_304000_NS22TransformInputIteratorIbN2at6native12_GLOBAL__N_19NonZeroOpIsEEPKslEEPiiNS8_6detail34convert_binary_result_type_wrapperINS8_3SumESH_iEEEE10hipError_tPvRmT1_T2_T3_mT4_P12ihipStream_tbEUlT_E1_NS1_11comp_targetILNS1_3genE5ELNS1_11target_archE942ELNS1_3gpuE9ELNS1_3repE0EEENS1_30default_config_static_selectorELNS0_4arch9wavefront6targetE0EEEvSQ_: ; @_ZN7rocprim17ROCPRIM_400000_NS6detail17trampoline_kernelINS0_14default_configENS1_22reduce_config_selectorIbEEZNS1_11reduce_implILb1ES3_N6hipcub16HIPCUB_304000_NS22TransformInputIteratorIbN2at6native12_GLOBAL__N_19NonZeroOpIsEEPKslEEPiiNS8_6detail34convert_binary_result_type_wrapperINS8_3SumESH_iEEEE10hipError_tPvRmT1_T2_T3_mT4_P12ihipStream_tbEUlT_E1_NS1_11comp_targetILNS1_3genE5ELNS1_11target_archE942ELNS1_3gpuE9ELNS1_3repE0EEENS1_30default_config_static_selectorELNS0_4arch9wavefront6targetE0EEEvSQ_
; %bb.0:
	.section	.rodata,"a",@progbits
	.p2align	6, 0x0
	.amdhsa_kernel _ZN7rocprim17ROCPRIM_400000_NS6detail17trampoline_kernelINS0_14default_configENS1_22reduce_config_selectorIbEEZNS1_11reduce_implILb1ES3_N6hipcub16HIPCUB_304000_NS22TransformInputIteratorIbN2at6native12_GLOBAL__N_19NonZeroOpIsEEPKslEEPiiNS8_6detail34convert_binary_result_type_wrapperINS8_3SumESH_iEEEE10hipError_tPvRmT1_T2_T3_mT4_P12ihipStream_tbEUlT_E1_NS1_11comp_targetILNS1_3genE5ELNS1_11target_archE942ELNS1_3gpuE9ELNS1_3repE0EEENS1_30default_config_static_selectorELNS0_4arch9wavefront6targetE0EEEvSQ_
		.amdhsa_group_segment_fixed_size 0
		.amdhsa_private_segment_fixed_size 0
		.amdhsa_kernarg_size 48
		.amdhsa_user_sgpr_count 2
		.amdhsa_user_sgpr_dispatch_ptr 0
		.amdhsa_user_sgpr_queue_ptr 0
		.amdhsa_user_sgpr_kernarg_segment_ptr 1
		.amdhsa_user_sgpr_dispatch_id 0
		.amdhsa_user_sgpr_private_segment_size 0
		.amdhsa_wavefront_size32 1
		.amdhsa_uses_dynamic_stack 0
		.amdhsa_enable_private_segment 0
		.amdhsa_system_sgpr_workgroup_id_x 1
		.amdhsa_system_sgpr_workgroup_id_y 0
		.amdhsa_system_sgpr_workgroup_id_z 0
		.amdhsa_system_sgpr_workgroup_info 0
		.amdhsa_system_vgpr_workitem_id 0
		.amdhsa_next_free_vgpr 1
		.amdhsa_next_free_sgpr 1
		.amdhsa_reserve_vcc 0
		.amdhsa_float_round_mode_32 0
		.amdhsa_float_round_mode_16_64 0
		.amdhsa_float_denorm_mode_32 3
		.amdhsa_float_denorm_mode_16_64 3
		.amdhsa_fp16_overflow 0
		.amdhsa_workgroup_processor_mode 1
		.amdhsa_memory_ordered 1
		.amdhsa_forward_progress 1
		.amdhsa_inst_pref_size 0
		.amdhsa_round_robin_scheduling 0
		.amdhsa_exception_fp_ieee_invalid_op 0
		.amdhsa_exception_fp_denorm_src 0
		.amdhsa_exception_fp_ieee_div_zero 0
		.amdhsa_exception_fp_ieee_overflow 0
		.amdhsa_exception_fp_ieee_underflow 0
		.amdhsa_exception_fp_ieee_inexact 0
		.amdhsa_exception_int_div_zero 0
	.end_amdhsa_kernel
	.section	.text._ZN7rocprim17ROCPRIM_400000_NS6detail17trampoline_kernelINS0_14default_configENS1_22reduce_config_selectorIbEEZNS1_11reduce_implILb1ES3_N6hipcub16HIPCUB_304000_NS22TransformInputIteratorIbN2at6native12_GLOBAL__N_19NonZeroOpIsEEPKslEEPiiNS8_6detail34convert_binary_result_type_wrapperINS8_3SumESH_iEEEE10hipError_tPvRmT1_T2_T3_mT4_P12ihipStream_tbEUlT_E1_NS1_11comp_targetILNS1_3genE5ELNS1_11target_archE942ELNS1_3gpuE9ELNS1_3repE0EEENS1_30default_config_static_selectorELNS0_4arch9wavefront6targetE0EEEvSQ_,"axG",@progbits,_ZN7rocprim17ROCPRIM_400000_NS6detail17trampoline_kernelINS0_14default_configENS1_22reduce_config_selectorIbEEZNS1_11reduce_implILb1ES3_N6hipcub16HIPCUB_304000_NS22TransformInputIteratorIbN2at6native12_GLOBAL__N_19NonZeroOpIsEEPKslEEPiiNS8_6detail34convert_binary_result_type_wrapperINS8_3SumESH_iEEEE10hipError_tPvRmT1_T2_T3_mT4_P12ihipStream_tbEUlT_E1_NS1_11comp_targetILNS1_3genE5ELNS1_11target_archE942ELNS1_3gpuE9ELNS1_3repE0EEENS1_30default_config_static_selectorELNS0_4arch9wavefront6targetE0EEEvSQ_,comdat
.Lfunc_end314:
	.size	_ZN7rocprim17ROCPRIM_400000_NS6detail17trampoline_kernelINS0_14default_configENS1_22reduce_config_selectorIbEEZNS1_11reduce_implILb1ES3_N6hipcub16HIPCUB_304000_NS22TransformInputIteratorIbN2at6native12_GLOBAL__N_19NonZeroOpIsEEPKslEEPiiNS8_6detail34convert_binary_result_type_wrapperINS8_3SumESH_iEEEE10hipError_tPvRmT1_T2_T3_mT4_P12ihipStream_tbEUlT_E1_NS1_11comp_targetILNS1_3genE5ELNS1_11target_archE942ELNS1_3gpuE9ELNS1_3repE0EEENS1_30default_config_static_selectorELNS0_4arch9wavefront6targetE0EEEvSQ_, .Lfunc_end314-_ZN7rocprim17ROCPRIM_400000_NS6detail17trampoline_kernelINS0_14default_configENS1_22reduce_config_selectorIbEEZNS1_11reduce_implILb1ES3_N6hipcub16HIPCUB_304000_NS22TransformInputIteratorIbN2at6native12_GLOBAL__N_19NonZeroOpIsEEPKslEEPiiNS8_6detail34convert_binary_result_type_wrapperINS8_3SumESH_iEEEE10hipError_tPvRmT1_T2_T3_mT4_P12ihipStream_tbEUlT_E1_NS1_11comp_targetILNS1_3genE5ELNS1_11target_archE942ELNS1_3gpuE9ELNS1_3repE0EEENS1_30default_config_static_selectorELNS0_4arch9wavefront6targetE0EEEvSQ_
                                        ; -- End function
	.set _ZN7rocprim17ROCPRIM_400000_NS6detail17trampoline_kernelINS0_14default_configENS1_22reduce_config_selectorIbEEZNS1_11reduce_implILb1ES3_N6hipcub16HIPCUB_304000_NS22TransformInputIteratorIbN2at6native12_GLOBAL__N_19NonZeroOpIsEEPKslEEPiiNS8_6detail34convert_binary_result_type_wrapperINS8_3SumESH_iEEEE10hipError_tPvRmT1_T2_T3_mT4_P12ihipStream_tbEUlT_E1_NS1_11comp_targetILNS1_3genE5ELNS1_11target_archE942ELNS1_3gpuE9ELNS1_3repE0EEENS1_30default_config_static_selectorELNS0_4arch9wavefront6targetE0EEEvSQ_.num_vgpr, 0
	.set _ZN7rocprim17ROCPRIM_400000_NS6detail17trampoline_kernelINS0_14default_configENS1_22reduce_config_selectorIbEEZNS1_11reduce_implILb1ES3_N6hipcub16HIPCUB_304000_NS22TransformInputIteratorIbN2at6native12_GLOBAL__N_19NonZeroOpIsEEPKslEEPiiNS8_6detail34convert_binary_result_type_wrapperINS8_3SumESH_iEEEE10hipError_tPvRmT1_T2_T3_mT4_P12ihipStream_tbEUlT_E1_NS1_11comp_targetILNS1_3genE5ELNS1_11target_archE942ELNS1_3gpuE9ELNS1_3repE0EEENS1_30default_config_static_selectorELNS0_4arch9wavefront6targetE0EEEvSQ_.num_agpr, 0
	.set _ZN7rocprim17ROCPRIM_400000_NS6detail17trampoline_kernelINS0_14default_configENS1_22reduce_config_selectorIbEEZNS1_11reduce_implILb1ES3_N6hipcub16HIPCUB_304000_NS22TransformInputIteratorIbN2at6native12_GLOBAL__N_19NonZeroOpIsEEPKslEEPiiNS8_6detail34convert_binary_result_type_wrapperINS8_3SumESH_iEEEE10hipError_tPvRmT1_T2_T3_mT4_P12ihipStream_tbEUlT_E1_NS1_11comp_targetILNS1_3genE5ELNS1_11target_archE942ELNS1_3gpuE9ELNS1_3repE0EEENS1_30default_config_static_selectorELNS0_4arch9wavefront6targetE0EEEvSQ_.numbered_sgpr, 0
	.set _ZN7rocprim17ROCPRIM_400000_NS6detail17trampoline_kernelINS0_14default_configENS1_22reduce_config_selectorIbEEZNS1_11reduce_implILb1ES3_N6hipcub16HIPCUB_304000_NS22TransformInputIteratorIbN2at6native12_GLOBAL__N_19NonZeroOpIsEEPKslEEPiiNS8_6detail34convert_binary_result_type_wrapperINS8_3SumESH_iEEEE10hipError_tPvRmT1_T2_T3_mT4_P12ihipStream_tbEUlT_E1_NS1_11comp_targetILNS1_3genE5ELNS1_11target_archE942ELNS1_3gpuE9ELNS1_3repE0EEENS1_30default_config_static_selectorELNS0_4arch9wavefront6targetE0EEEvSQ_.num_named_barrier, 0
	.set _ZN7rocprim17ROCPRIM_400000_NS6detail17trampoline_kernelINS0_14default_configENS1_22reduce_config_selectorIbEEZNS1_11reduce_implILb1ES3_N6hipcub16HIPCUB_304000_NS22TransformInputIteratorIbN2at6native12_GLOBAL__N_19NonZeroOpIsEEPKslEEPiiNS8_6detail34convert_binary_result_type_wrapperINS8_3SumESH_iEEEE10hipError_tPvRmT1_T2_T3_mT4_P12ihipStream_tbEUlT_E1_NS1_11comp_targetILNS1_3genE5ELNS1_11target_archE942ELNS1_3gpuE9ELNS1_3repE0EEENS1_30default_config_static_selectorELNS0_4arch9wavefront6targetE0EEEvSQ_.private_seg_size, 0
	.set _ZN7rocprim17ROCPRIM_400000_NS6detail17trampoline_kernelINS0_14default_configENS1_22reduce_config_selectorIbEEZNS1_11reduce_implILb1ES3_N6hipcub16HIPCUB_304000_NS22TransformInputIteratorIbN2at6native12_GLOBAL__N_19NonZeroOpIsEEPKslEEPiiNS8_6detail34convert_binary_result_type_wrapperINS8_3SumESH_iEEEE10hipError_tPvRmT1_T2_T3_mT4_P12ihipStream_tbEUlT_E1_NS1_11comp_targetILNS1_3genE5ELNS1_11target_archE942ELNS1_3gpuE9ELNS1_3repE0EEENS1_30default_config_static_selectorELNS0_4arch9wavefront6targetE0EEEvSQ_.uses_vcc, 0
	.set _ZN7rocprim17ROCPRIM_400000_NS6detail17trampoline_kernelINS0_14default_configENS1_22reduce_config_selectorIbEEZNS1_11reduce_implILb1ES3_N6hipcub16HIPCUB_304000_NS22TransformInputIteratorIbN2at6native12_GLOBAL__N_19NonZeroOpIsEEPKslEEPiiNS8_6detail34convert_binary_result_type_wrapperINS8_3SumESH_iEEEE10hipError_tPvRmT1_T2_T3_mT4_P12ihipStream_tbEUlT_E1_NS1_11comp_targetILNS1_3genE5ELNS1_11target_archE942ELNS1_3gpuE9ELNS1_3repE0EEENS1_30default_config_static_selectorELNS0_4arch9wavefront6targetE0EEEvSQ_.uses_flat_scratch, 0
	.set _ZN7rocprim17ROCPRIM_400000_NS6detail17trampoline_kernelINS0_14default_configENS1_22reduce_config_selectorIbEEZNS1_11reduce_implILb1ES3_N6hipcub16HIPCUB_304000_NS22TransformInputIteratorIbN2at6native12_GLOBAL__N_19NonZeroOpIsEEPKslEEPiiNS8_6detail34convert_binary_result_type_wrapperINS8_3SumESH_iEEEE10hipError_tPvRmT1_T2_T3_mT4_P12ihipStream_tbEUlT_E1_NS1_11comp_targetILNS1_3genE5ELNS1_11target_archE942ELNS1_3gpuE9ELNS1_3repE0EEENS1_30default_config_static_selectorELNS0_4arch9wavefront6targetE0EEEvSQ_.has_dyn_sized_stack, 0
	.set _ZN7rocprim17ROCPRIM_400000_NS6detail17trampoline_kernelINS0_14default_configENS1_22reduce_config_selectorIbEEZNS1_11reduce_implILb1ES3_N6hipcub16HIPCUB_304000_NS22TransformInputIteratorIbN2at6native12_GLOBAL__N_19NonZeroOpIsEEPKslEEPiiNS8_6detail34convert_binary_result_type_wrapperINS8_3SumESH_iEEEE10hipError_tPvRmT1_T2_T3_mT4_P12ihipStream_tbEUlT_E1_NS1_11comp_targetILNS1_3genE5ELNS1_11target_archE942ELNS1_3gpuE9ELNS1_3repE0EEENS1_30default_config_static_selectorELNS0_4arch9wavefront6targetE0EEEvSQ_.has_recursion, 0
	.set _ZN7rocprim17ROCPRIM_400000_NS6detail17trampoline_kernelINS0_14default_configENS1_22reduce_config_selectorIbEEZNS1_11reduce_implILb1ES3_N6hipcub16HIPCUB_304000_NS22TransformInputIteratorIbN2at6native12_GLOBAL__N_19NonZeroOpIsEEPKslEEPiiNS8_6detail34convert_binary_result_type_wrapperINS8_3SumESH_iEEEE10hipError_tPvRmT1_T2_T3_mT4_P12ihipStream_tbEUlT_E1_NS1_11comp_targetILNS1_3genE5ELNS1_11target_archE942ELNS1_3gpuE9ELNS1_3repE0EEENS1_30default_config_static_selectorELNS0_4arch9wavefront6targetE0EEEvSQ_.has_indirect_call, 0
	.section	.AMDGPU.csdata,"",@progbits
; Kernel info:
; codeLenInByte = 0
; TotalNumSgprs: 0
; NumVgprs: 0
; ScratchSize: 0
; MemoryBound: 0
; FloatMode: 240
; IeeeMode: 1
; LDSByteSize: 0 bytes/workgroup (compile time only)
; SGPRBlocks: 0
; VGPRBlocks: 0
; NumSGPRsForWavesPerEU: 1
; NumVGPRsForWavesPerEU: 1
; Occupancy: 16
; WaveLimiterHint : 0
; COMPUTE_PGM_RSRC2:SCRATCH_EN: 0
; COMPUTE_PGM_RSRC2:USER_SGPR: 2
; COMPUTE_PGM_RSRC2:TRAP_HANDLER: 0
; COMPUTE_PGM_RSRC2:TGID_X_EN: 1
; COMPUTE_PGM_RSRC2:TGID_Y_EN: 0
; COMPUTE_PGM_RSRC2:TGID_Z_EN: 0
; COMPUTE_PGM_RSRC2:TIDIG_COMP_CNT: 0
	.section	.text._ZN7rocprim17ROCPRIM_400000_NS6detail17trampoline_kernelINS0_14default_configENS1_22reduce_config_selectorIbEEZNS1_11reduce_implILb1ES3_N6hipcub16HIPCUB_304000_NS22TransformInputIteratorIbN2at6native12_GLOBAL__N_19NonZeroOpIsEEPKslEEPiiNS8_6detail34convert_binary_result_type_wrapperINS8_3SumESH_iEEEE10hipError_tPvRmT1_T2_T3_mT4_P12ihipStream_tbEUlT_E1_NS1_11comp_targetILNS1_3genE4ELNS1_11target_archE910ELNS1_3gpuE8ELNS1_3repE0EEENS1_30default_config_static_selectorELNS0_4arch9wavefront6targetE0EEEvSQ_,"axG",@progbits,_ZN7rocprim17ROCPRIM_400000_NS6detail17trampoline_kernelINS0_14default_configENS1_22reduce_config_selectorIbEEZNS1_11reduce_implILb1ES3_N6hipcub16HIPCUB_304000_NS22TransformInputIteratorIbN2at6native12_GLOBAL__N_19NonZeroOpIsEEPKslEEPiiNS8_6detail34convert_binary_result_type_wrapperINS8_3SumESH_iEEEE10hipError_tPvRmT1_T2_T3_mT4_P12ihipStream_tbEUlT_E1_NS1_11comp_targetILNS1_3genE4ELNS1_11target_archE910ELNS1_3gpuE8ELNS1_3repE0EEENS1_30default_config_static_selectorELNS0_4arch9wavefront6targetE0EEEvSQ_,comdat
	.globl	_ZN7rocprim17ROCPRIM_400000_NS6detail17trampoline_kernelINS0_14default_configENS1_22reduce_config_selectorIbEEZNS1_11reduce_implILb1ES3_N6hipcub16HIPCUB_304000_NS22TransformInputIteratorIbN2at6native12_GLOBAL__N_19NonZeroOpIsEEPKslEEPiiNS8_6detail34convert_binary_result_type_wrapperINS8_3SumESH_iEEEE10hipError_tPvRmT1_T2_T3_mT4_P12ihipStream_tbEUlT_E1_NS1_11comp_targetILNS1_3genE4ELNS1_11target_archE910ELNS1_3gpuE8ELNS1_3repE0EEENS1_30default_config_static_selectorELNS0_4arch9wavefront6targetE0EEEvSQ_ ; -- Begin function _ZN7rocprim17ROCPRIM_400000_NS6detail17trampoline_kernelINS0_14default_configENS1_22reduce_config_selectorIbEEZNS1_11reduce_implILb1ES3_N6hipcub16HIPCUB_304000_NS22TransformInputIteratorIbN2at6native12_GLOBAL__N_19NonZeroOpIsEEPKslEEPiiNS8_6detail34convert_binary_result_type_wrapperINS8_3SumESH_iEEEE10hipError_tPvRmT1_T2_T3_mT4_P12ihipStream_tbEUlT_E1_NS1_11comp_targetILNS1_3genE4ELNS1_11target_archE910ELNS1_3gpuE8ELNS1_3repE0EEENS1_30default_config_static_selectorELNS0_4arch9wavefront6targetE0EEEvSQ_
	.p2align	8
	.type	_ZN7rocprim17ROCPRIM_400000_NS6detail17trampoline_kernelINS0_14default_configENS1_22reduce_config_selectorIbEEZNS1_11reduce_implILb1ES3_N6hipcub16HIPCUB_304000_NS22TransformInputIteratorIbN2at6native12_GLOBAL__N_19NonZeroOpIsEEPKslEEPiiNS8_6detail34convert_binary_result_type_wrapperINS8_3SumESH_iEEEE10hipError_tPvRmT1_T2_T3_mT4_P12ihipStream_tbEUlT_E1_NS1_11comp_targetILNS1_3genE4ELNS1_11target_archE910ELNS1_3gpuE8ELNS1_3repE0EEENS1_30default_config_static_selectorELNS0_4arch9wavefront6targetE0EEEvSQ_,@function
_ZN7rocprim17ROCPRIM_400000_NS6detail17trampoline_kernelINS0_14default_configENS1_22reduce_config_selectorIbEEZNS1_11reduce_implILb1ES3_N6hipcub16HIPCUB_304000_NS22TransformInputIteratorIbN2at6native12_GLOBAL__N_19NonZeroOpIsEEPKslEEPiiNS8_6detail34convert_binary_result_type_wrapperINS8_3SumESH_iEEEE10hipError_tPvRmT1_T2_T3_mT4_P12ihipStream_tbEUlT_E1_NS1_11comp_targetILNS1_3genE4ELNS1_11target_archE910ELNS1_3gpuE8ELNS1_3repE0EEENS1_30default_config_static_selectorELNS0_4arch9wavefront6targetE0EEEvSQ_: ; @_ZN7rocprim17ROCPRIM_400000_NS6detail17trampoline_kernelINS0_14default_configENS1_22reduce_config_selectorIbEEZNS1_11reduce_implILb1ES3_N6hipcub16HIPCUB_304000_NS22TransformInputIteratorIbN2at6native12_GLOBAL__N_19NonZeroOpIsEEPKslEEPiiNS8_6detail34convert_binary_result_type_wrapperINS8_3SumESH_iEEEE10hipError_tPvRmT1_T2_T3_mT4_P12ihipStream_tbEUlT_E1_NS1_11comp_targetILNS1_3genE4ELNS1_11target_archE910ELNS1_3gpuE8ELNS1_3repE0EEENS1_30default_config_static_selectorELNS0_4arch9wavefront6targetE0EEEvSQ_
; %bb.0:
	.section	.rodata,"a",@progbits
	.p2align	6, 0x0
	.amdhsa_kernel _ZN7rocprim17ROCPRIM_400000_NS6detail17trampoline_kernelINS0_14default_configENS1_22reduce_config_selectorIbEEZNS1_11reduce_implILb1ES3_N6hipcub16HIPCUB_304000_NS22TransformInputIteratorIbN2at6native12_GLOBAL__N_19NonZeroOpIsEEPKslEEPiiNS8_6detail34convert_binary_result_type_wrapperINS8_3SumESH_iEEEE10hipError_tPvRmT1_T2_T3_mT4_P12ihipStream_tbEUlT_E1_NS1_11comp_targetILNS1_3genE4ELNS1_11target_archE910ELNS1_3gpuE8ELNS1_3repE0EEENS1_30default_config_static_selectorELNS0_4arch9wavefront6targetE0EEEvSQ_
		.amdhsa_group_segment_fixed_size 0
		.amdhsa_private_segment_fixed_size 0
		.amdhsa_kernarg_size 48
		.amdhsa_user_sgpr_count 2
		.amdhsa_user_sgpr_dispatch_ptr 0
		.amdhsa_user_sgpr_queue_ptr 0
		.amdhsa_user_sgpr_kernarg_segment_ptr 1
		.amdhsa_user_sgpr_dispatch_id 0
		.amdhsa_user_sgpr_private_segment_size 0
		.amdhsa_wavefront_size32 1
		.amdhsa_uses_dynamic_stack 0
		.amdhsa_enable_private_segment 0
		.amdhsa_system_sgpr_workgroup_id_x 1
		.amdhsa_system_sgpr_workgroup_id_y 0
		.amdhsa_system_sgpr_workgroup_id_z 0
		.amdhsa_system_sgpr_workgroup_info 0
		.amdhsa_system_vgpr_workitem_id 0
		.amdhsa_next_free_vgpr 1
		.amdhsa_next_free_sgpr 1
		.amdhsa_reserve_vcc 0
		.amdhsa_float_round_mode_32 0
		.amdhsa_float_round_mode_16_64 0
		.amdhsa_float_denorm_mode_32 3
		.amdhsa_float_denorm_mode_16_64 3
		.amdhsa_fp16_overflow 0
		.amdhsa_workgroup_processor_mode 1
		.amdhsa_memory_ordered 1
		.amdhsa_forward_progress 1
		.amdhsa_inst_pref_size 0
		.amdhsa_round_robin_scheduling 0
		.amdhsa_exception_fp_ieee_invalid_op 0
		.amdhsa_exception_fp_denorm_src 0
		.amdhsa_exception_fp_ieee_div_zero 0
		.amdhsa_exception_fp_ieee_overflow 0
		.amdhsa_exception_fp_ieee_underflow 0
		.amdhsa_exception_fp_ieee_inexact 0
		.amdhsa_exception_int_div_zero 0
	.end_amdhsa_kernel
	.section	.text._ZN7rocprim17ROCPRIM_400000_NS6detail17trampoline_kernelINS0_14default_configENS1_22reduce_config_selectorIbEEZNS1_11reduce_implILb1ES3_N6hipcub16HIPCUB_304000_NS22TransformInputIteratorIbN2at6native12_GLOBAL__N_19NonZeroOpIsEEPKslEEPiiNS8_6detail34convert_binary_result_type_wrapperINS8_3SumESH_iEEEE10hipError_tPvRmT1_T2_T3_mT4_P12ihipStream_tbEUlT_E1_NS1_11comp_targetILNS1_3genE4ELNS1_11target_archE910ELNS1_3gpuE8ELNS1_3repE0EEENS1_30default_config_static_selectorELNS0_4arch9wavefront6targetE0EEEvSQ_,"axG",@progbits,_ZN7rocprim17ROCPRIM_400000_NS6detail17trampoline_kernelINS0_14default_configENS1_22reduce_config_selectorIbEEZNS1_11reduce_implILb1ES3_N6hipcub16HIPCUB_304000_NS22TransformInputIteratorIbN2at6native12_GLOBAL__N_19NonZeroOpIsEEPKslEEPiiNS8_6detail34convert_binary_result_type_wrapperINS8_3SumESH_iEEEE10hipError_tPvRmT1_T2_T3_mT4_P12ihipStream_tbEUlT_E1_NS1_11comp_targetILNS1_3genE4ELNS1_11target_archE910ELNS1_3gpuE8ELNS1_3repE0EEENS1_30default_config_static_selectorELNS0_4arch9wavefront6targetE0EEEvSQ_,comdat
.Lfunc_end315:
	.size	_ZN7rocprim17ROCPRIM_400000_NS6detail17trampoline_kernelINS0_14default_configENS1_22reduce_config_selectorIbEEZNS1_11reduce_implILb1ES3_N6hipcub16HIPCUB_304000_NS22TransformInputIteratorIbN2at6native12_GLOBAL__N_19NonZeroOpIsEEPKslEEPiiNS8_6detail34convert_binary_result_type_wrapperINS8_3SumESH_iEEEE10hipError_tPvRmT1_T2_T3_mT4_P12ihipStream_tbEUlT_E1_NS1_11comp_targetILNS1_3genE4ELNS1_11target_archE910ELNS1_3gpuE8ELNS1_3repE0EEENS1_30default_config_static_selectorELNS0_4arch9wavefront6targetE0EEEvSQ_, .Lfunc_end315-_ZN7rocprim17ROCPRIM_400000_NS6detail17trampoline_kernelINS0_14default_configENS1_22reduce_config_selectorIbEEZNS1_11reduce_implILb1ES3_N6hipcub16HIPCUB_304000_NS22TransformInputIteratorIbN2at6native12_GLOBAL__N_19NonZeroOpIsEEPKslEEPiiNS8_6detail34convert_binary_result_type_wrapperINS8_3SumESH_iEEEE10hipError_tPvRmT1_T2_T3_mT4_P12ihipStream_tbEUlT_E1_NS1_11comp_targetILNS1_3genE4ELNS1_11target_archE910ELNS1_3gpuE8ELNS1_3repE0EEENS1_30default_config_static_selectorELNS0_4arch9wavefront6targetE0EEEvSQ_
                                        ; -- End function
	.set _ZN7rocprim17ROCPRIM_400000_NS6detail17trampoline_kernelINS0_14default_configENS1_22reduce_config_selectorIbEEZNS1_11reduce_implILb1ES3_N6hipcub16HIPCUB_304000_NS22TransformInputIteratorIbN2at6native12_GLOBAL__N_19NonZeroOpIsEEPKslEEPiiNS8_6detail34convert_binary_result_type_wrapperINS8_3SumESH_iEEEE10hipError_tPvRmT1_T2_T3_mT4_P12ihipStream_tbEUlT_E1_NS1_11comp_targetILNS1_3genE4ELNS1_11target_archE910ELNS1_3gpuE8ELNS1_3repE0EEENS1_30default_config_static_selectorELNS0_4arch9wavefront6targetE0EEEvSQ_.num_vgpr, 0
	.set _ZN7rocprim17ROCPRIM_400000_NS6detail17trampoline_kernelINS0_14default_configENS1_22reduce_config_selectorIbEEZNS1_11reduce_implILb1ES3_N6hipcub16HIPCUB_304000_NS22TransformInputIteratorIbN2at6native12_GLOBAL__N_19NonZeroOpIsEEPKslEEPiiNS8_6detail34convert_binary_result_type_wrapperINS8_3SumESH_iEEEE10hipError_tPvRmT1_T2_T3_mT4_P12ihipStream_tbEUlT_E1_NS1_11comp_targetILNS1_3genE4ELNS1_11target_archE910ELNS1_3gpuE8ELNS1_3repE0EEENS1_30default_config_static_selectorELNS0_4arch9wavefront6targetE0EEEvSQ_.num_agpr, 0
	.set _ZN7rocprim17ROCPRIM_400000_NS6detail17trampoline_kernelINS0_14default_configENS1_22reduce_config_selectorIbEEZNS1_11reduce_implILb1ES3_N6hipcub16HIPCUB_304000_NS22TransformInputIteratorIbN2at6native12_GLOBAL__N_19NonZeroOpIsEEPKslEEPiiNS8_6detail34convert_binary_result_type_wrapperINS8_3SumESH_iEEEE10hipError_tPvRmT1_T2_T3_mT4_P12ihipStream_tbEUlT_E1_NS1_11comp_targetILNS1_3genE4ELNS1_11target_archE910ELNS1_3gpuE8ELNS1_3repE0EEENS1_30default_config_static_selectorELNS0_4arch9wavefront6targetE0EEEvSQ_.numbered_sgpr, 0
	.set _ZN7rocprim17ROCPRIM_400000_NS6detail17trampoline_kernelINS0_14default_configENS1_22reduce_config_selectorIbEEZNS1_11reduce_implILb1ES3_N6hipcub16HIPCUB_304000_NS22TransformInputIteratorIbN2at6native12_GLOBAL__N_19NonZeroOpIsEEPKslEEPiiNS8_6detail34convert_binary_result_type_wrapperINS8_3SumESH_iEEEE10hipError_tPvRmT1_T2_T3_mT4_P12ihipStream_tbEUlT_E1_NS1_11comp_targetILNS1_3genE4ELNS1_11target_archE910ELNS1_3gpuE8ELNS1_3repE0EEENS1_30default_config_static_selectorELNS0_4arch9wavefront6targetE0EEEvSQ_.num_named_barrier, 0
	.set _ZN7rocprim17ROCPRIM_400000_NS6detail17trampoline_kernelINS0_14default_configENS1_22reduce_config_selectorIbEEZNS1_11reduce_implILb1ES3_N6hipcub16HIPCUB_304000_NS22TransformInputIteratorIbN2at6native12_GLOBAL__N_19NonZeroOpIsEEPKslEEPiiNS8_6detail34convert_binary_result_type_wrapperINS8_3SumESH_iEEEE10hipError_tPvRmT1_T2_T3_mT4_P12ihipStream_tbEUlT_E1_NS1_11comp_targetILNS1_3genE4ELNS1_11target_archE910ELNS1_3gpuE8ELNS1_3repE0EEENS1_30default_config_static_selectorELNS0_4arch9wavefront6targetE0EEEvSQ_.private_seg_size, 0
	.set _ZN7rocprim17ROCPRIM_400000_NS6detail17trampoline_kernelINS0_14default_configENS1_22reduce_config_selectorIbEEZNS1_11reduce_implILb1ES3_N6hipcub16HIPCUB_304000_NS22TransformInputIteratorIbN2at6native12_GLOBAL__N_19NonZeroOpIsEEPKslEEPiiNS8_6detail34convert_binary_result_type_wrapperINS8_3SumESH_iEEEE10hipError_tPvRmT1_T2_T3_mT4_P12ihipStream_tbEUlT_E1_NS1_11comp_targetILNS1_3genE4ELNS1_11target_archE910ELNS1_3gpuE8ELNS1_3repE0EEENS1_30default_config_static_selectorELNS0_4arch9wavefront6targetE0EEEvSQ_.uses_vcc, 0
	.set _ZN7rocprim17ROCPRIM_400000_NS6detail17trampoline_kernelINS0_14default_configENS1_22reduce_config_selectorIbEEZNS1_11reduce_implILb1ES3_N6hipcub16HIPCUB_304000_NS22TransformInputIteratorIbN2at6native12_GLOBAL__N_19NonZeroOpIsEEPKslEEPiiNS8_6detail34convert_binary_result_type_wrapperINS8_3SumESH_iEEEE10hipError_tPvRmT1_T2_T3_mT4_P12ihipStream_tbEUlT_E1_NS1_11comp_targetILNS1_3genE4ELNS1_11target_archE910ELNS1_3gpuE8ELNS1_3repE0EEENS1_30default_config_static_selectorELNS0_4arch9wavefront6targetE0EEEvSQ_.uses_flat_scratch, 0
	.set _ZN7rocprim17ROCPRIM_400000_NS6detail17trampoline_kernelINS0_14default_configENS1_22reduce_config_selectorIbEEZNS1_11reduce_implILb1ES3_N6hipcub16HIPCUB_304000_NS22TransformInputIteratorIbN2at6native12_GLOBAL__N_19NonZeroOpIsEEPKslEEPiiNS8_6detail34convert_binary_result_type_wrapperINS8_3SumESH_iEEEE10hipError_tPvRmT1_T2_T3_mT4_P12ihipStream_tbEUlT_E1_NS1_11comp_targetILNS1_3genE4ELNS1_11target_archE910ELNS1_3gpuE8ELNS1_3repE0EEENS1_30default_config_static_selectorELNS0_4arch9wavefront6targetE0EEEvSQ_.has_dyn_sized_stack, 0
	.set _ZN7rocprim17ROCPRIM_400000_NS6detail17trampoline_kernelINS0_14default_configENS1_22reduce_config_selectorIbEEZNS1_11reduce_implILb1ES3_N6hipcub16HIPCUB_304000_NS22TransformInputIteratorIbN2at6native12_GLOBAL__N_19NonZeroOpIsEEPKslEEPiiNS8_6detail34convert_binary_result_type_wrapperINS8_3SumESH_iEEEE10hipError_tPvRmT1_T2_T3_mT4_P12ihipStream_tbEUlT_E1_NS1_11comp_targetILNS1_3genE4ELNS1_11target_archE910ELNS1_3gpuE8ELNS1_3repE0EEENS1_30default_config_static_selectorELNS0_4arch9wavefront6targetE0EEEvSQ_.has_recursion, 0
	.set _ZN7rocprim17ROCPRIM_400000_NS6detail17trampoline_kernelINS0_14default_configENS1_22reduce_config_selectorIbEEZNS1_11reduce_implILb1ES3_N6hipcub16HIPCUB_304000_NS22TransformInputIteratorIbN2at6native12_GLOBAL__N_19NonZeroOpIsEEPKslEEPiiNS8_6detail34convert_binary_result_type_wrapperINS8_3SumESH_iEEEE10hipError_tPvRmT1_T2_T3_mT4_P12ihipStream_tbEUlT_E1_NS1_11comp_targetILNS1_3genE4ELNS1_11target_archE910ELNS1_3gpuE8ELNS1_3repE0EEENS1_30default_config_static_selectorELNS0_4arch9wavefront6targetE0EEEvSQ_.has_indirect_call, 0
	.section	.AMDGPU.csdata,"",@progbits
; Kernel info:
; codeLenInByte = 0
; TotalNumSgprs: 0
; NumVgprs: 0
; ScratchSize: 0
; MemoryBound: 0
; FloatMode: 240
; IeeeMode: 1
; LDSByteSize: 0 bytes/workgroup (compile time only)
; SGPRBlocks: 0
; VGPRBlocks: 0
; NumSGPRsForWavesPerEU: 1
; NumVGPRsForWavesPerEU: 1
; Occupancy: 16
; WaveLimiterHint : 0
; COMPUTE_PGM_RSRC2:SCRATCH_EN: 0
; COMPUTE_PGM_RSRC2:USER_SGPR: 2
; COMPUTE_PGM_RSRC2:TRAP_HANDLER: 0
; COMPUTE_PGM_RSRC2:TGID_X_EN: 1
; COMPUTE_PGM_RSRC2:TGID_Y_EN: 0
; COMPUTE_PGM_RSRC2:TGID_Z_EN: 0
; COMPUTE_PGM_RSRC2:TIDIG_COMP_CNT: 0
	.section	.text._ZN7rocprim17ROCPRIM_400000_NS6detail17trampoline_kernelINS0_14default_configENS1_22reduce_config_selectorIbEEZNS1_11reduce_implILb1ES3_N6hipcub16HIPCUB_304000_NS22TransformInputIteratorIbN2at6native12_GLOBAL__N_19NonZeroOpIsEEPKslEEPiiNS8_6detail34convert_binary_result_type_wrapperINS8_3SumESH_iEEEE10hipError_tPvRmT1_T2_T3_mT4_P12ihipStream_tbEUlT_E1_NS1_11comp_targetILNS1_3genE3ELNS1_11target_archE908ELNS1_3gpuE7ELNS1_3repE0EEENS1_30default_config_static_selectorELNS0_4arch9wavefront6targetE0EEEvSQ_,"axG",@progbits,_ZN7rocprim17ROCPRIM_400000_NS6detail17trampoline_kernelINS0_14default_configENS1_22reduce_config_selectorIbEEZNS1_11reduce_implILb1ES3_N6hipcub16HIPCUB_304000_NS22TransformInputIteratorIbN2at6native12_GLOBAL__N_19NonZeroOpIsEEPKslEEPiiNS8_6detail34convert_binary_result_type_wrapperINS8_3SumESH_iEEEE10hipError_tPvRmT1_T2_T3_mT4_P12ihipStream_tbEUlT_E1_NS1_11comp_targetILNS1_3genE3ELNS1_11target_archE908ELNS1_3gpuE7ELNS1_3repE0EEENS1_30default_config_static_selectorELNS0_4arch9wavefront6targetE0EEEvSQ_,comdat
	.globl	_ZN7rocprim17ROCPRIM_400000_NS6detail17trampoline_kernelINS0_14default_configENS1_22reduce_config_selectorIbEEZNS1_11reduce_implILb1ES3_N6hipcub16HIPCUB_304000_NS22TransformInputIteratorIbN2at6native12_GLOBAL__N_19NonZeroOpIsEEPKslEEPiiNS8_6detail34convert_binary_result_type_wrapperINS8_3SumESH_iEEEE10hipError_tPvRmT1_T2_T3_mT4_P12ihipStream_tbEUlT_E1_NS1_11comp_targetILNS1_3genE3ELNS1_11target_archE908ELNS1_3gpuE7ELNS1_3repE0EEENS1_30default_config_static_selectorELNS0_4arch9wavefront6targetE0EEEvSQ_ ; -- Begin function _ZN7rocprim17ROCPRIM_400000_NS6detail17trampoline_kernelINS0_14default_configENS1_22reduce_config_selectorIbEEZNS1_11reduce_implILb1ES3_N6hipcub16HIPCUB_304000_NS22TransformInputIteratorIbN2at6native12_GLOBAL__N_19NonZeroOpIsEEPKslEEPiiNS8_6detail34convert_binary_result_type_wrapperINS8_3SumESH_iEEEE10hipError_tPvRmT1_T2_T3_mT4_P12ihipStream_tbEUlT_E1_NS1_11comp_targetILNS1_3genE3ELNS1_11target_archE908ELNS1_3gpuE7ELNS1_3repE0EEENS1_30default_config_static_selectorELNS0_4arch9wavefront6targetE0EEEvSQ_
	.p2align	8
	.type	_ZN7rocprim17ROCPRIM_400000_NS6detail17trampoline_kernelINS0_14default_configENS1_22reduce_config_selectorIbEEZNS1_11reduce_implILb1ES3_N6hipcub16HIPCUB_304000_NS22TransformInputIteratorIbN2at6native12_GLOBAL__N_19NonZeroOpIsEEPKslEEPiiNS8_6detail34convert_binary_result_type_wrapperINS8_3SumESH_iEEEE10hipError_tPvRmT1_T2_T3_mT4_P12ihipStream_tbEUlT_E1_NS1_11comp_targetILNS1_3genE3ELNS1_11target_archE908ELNS1_3gpuE7ELNS1_3repE0EEENS1_30default_config_static_selectorELNS0_4arch9wavefront6targetE0EEEvSQ_,@function
_ZN7rocprim17ROCPRIM_400000_NS6detail17trampoline_kernelINS0_14default_configENS1_22reduce_config_selectorIbEEZNS1_11reduce_implILb1ES3_N6hipcub16HIPCUB_304000_NS22TransformInputIteratorIbN2at6native12_GLOBAL__N_19NonZeroOpIsEEPKslEEPiiNS8_6detail34convert_binary_result_type_wrapperINS8_3SumESH_iEEEE10hipError_tPvRmT1_T2_T3_mT4_P12ihipStream_tbEUlT_E1_NS1_11comp_targetILNS1_3genE3ELNS1_11target_archE908ELNS1_3gpuE7ELNS1_3repE0EEENS1_30default_config_static_selectorELNS0_4arch9wavefront6targetE0EEEvSQ_: ; @_ZN7rocprim17ROCPRIM_400000_NS6detail17trampoline_kernelINS0_14default_configENS1_22reduce_config_selectorIbEEZNS1_11reduce_implILb1ES3_N6hipcub16HIPCUB_304000_NS22TransformInputIteratorIbN2at6native12_GLOBAL__N_19NonZeroOpIsEEPKslEEPiiNS8_6detail34convert_binary_result_type_wrapperINS8_3SumESH_iEEEE10hipError_tPvRmT1_T2_T3_mT4_P12ihipStream_tbEUlT_E1_NS1_11comp_targetILNS1_3genE3ELNS1_11target_archE908ELNS1_3gpuE7ELNS1_3repE0EEENS1_30default_config_static_selectorELNS0_4arch9wavefront6targetE0EEEvSQ_
; %bb.0:
	.section	.rodata,"a",@progbits
	.p2align	6, 0x0
	.amdhsa_kernel _ZN7rocprim17ROCPRIM_400000_NS6detail17trampoline_kernelINS0_14default_configENS1_22reduce_config_selectorIbEEZNS1_11reduce_implILb1ES3_N6hipcub16HIPCUB_304000_NS22TransformInputIteratorIbN2at6native12_GLOBAL__N_19NonZeroOpIsEEPKslEEPiiNS8_6detail34convert_binary_result_type_wrapperINS8_3SumESH_iEEEE10hipError_tPvRmT1_T2_T3_mT4_P12ihipStream_tbEUlT_E1_NS1_11comp_targetILNS1_3genE3ELNS1_11target_archE908ELNS1_3gpuE7ELNS1_3repE0EEENS1_30default_config_static_selectorELNS0_4arch9wavefront6targetE0EEEvSQ_
		.amdhsa_group_segment_fixed_size 0
		.amdhsa_private_segment_fixed_size 0
		.amdhsa_kernarg_size 48
		.amdhsa_user_sgpr_count 2
		.amdhsa_user_sgpr_dispatch_ptr 0
		.amdhsa_user_sgpr_queue_ptr 0
		.amdhsa_user_sgpr_kernarg_segment_ptr 1
		.amdhsa_user_sgpr_dispatch_id 0
		.amdhsa_user_sgpr_private_segment_size 0
		.amdhsa_wavefront_size32 1
		.amdhsa_uses_dynamic_stack 0
		.amdhsa_enable_private_segment 0
		.amdhsa_system_sgpr_workgroup_id_x 1
		.amdhsa_system_sgpr_workgroup_id_y 0
		.amdhsa_system_sgpr_workgroup_id_z 0
		.amdhsa_system_sgpr_workgroup_info 0
		.amdhsa_system_vgpr_workitem_id 0
		.amdhsa_next_free_vgpr 1
		.amdhsa_next_free_sgpr 1
		.amdhsa_reserve_vcc 0
		.amdhsa_float_round_mode_32 0
		.amdhsa_float_round_mode_16_64 0
		.amdhsa_float_denorm_mode_32 3
		.amdhsa_float_denorm_mode_16_64 3
		.amdhsa_fp16_overflow 0
		.amdhsa_workgroup_processor_mode 1
		.amdhsa_memory_ordered 1
		.amdhsa_forward_progress 1
		.amdhsa_inst_pref_size 0
		.amdhsa_round_robin_scheduling 0
		.amdhsa_exception_fp_ieee_invalid_op 0
		.amdhsa_exception_fp_denorm_src 0
		.amdhsa_exception_fp_ieee_div_zero 0
		.amdhsa_exception_fp_ieee_overflow 0
		.amdhsa_exception_fp_ieee_underflow 0
		.amdhsa_exception_fp_ieee_inexact 0
		.amdhsa_exception_int_div_zero 0
	.end_amdhsa_kernel
	.section	.text._ZN7rocprim17ROCPRIM_400000_NS6detail17trampoline_kernelINS0_14default_configENS1_22reduce_config_selectorIbEEZNS1_11reduce_implILb1ES3_N6hipcub16HIPCUB_304000_NS22TransformInputIteratorIbN2at6native12_GLOBAL__N_19NonZeroOpIsEEPKslEEPiiNS8_6detail34convert_binary_result_type_wrapperINS8_3SumESH_iEEEE10hipError_tPvRmT1_T2_T3_mT4_P12ihipStream_tbEUlT_E1_NS1_11comp_targetILNS1_3genE3ELNS1_11target_archE908ELNS1_3gpuE7ELNS1_3repE0EEENS1_30default_config_static_selectorELNS0_4arch9wavefront6targetE0EEEvSQ_,"axG",@progbits,_ZN7rocprim17ROCPRIM_400000_NS6detail17trampoline_kernelINS0_14default_configENS1_22reduce_config_selectorIbEEZNS1_11reduce_implILb1ES3_N6hipcub16HIPCUB_304000_NS22TransformInputIteratorIbN2at6native12_GLOBAL__N_19NonZeroOpIsEEPKslEEPiiNS8_6detail34convert_binary_result_type_wrapperINS8_3SumESH_iEEEE10hipError_tPvRmT1_T2_T3_mT4_P12ihipStream_tbEUlT_E1_NS1_11comp_targetILNS1_3genE3ELNS1_11target_archE908ELNS1_3gpuE7ELNS1_3repE0EEENS1_30default_config_static_selectorELNS0_4arch9wavefront6targetE0EEEvSQ_,comdat
.Lfunc_end316:
	.size	_ZN7rocprim17ROCPRIM_400000_NS6detail17trampoline_kernelINS0_14default_configENS1_22reduce_config_selectorIbEEZNS1_11reduce_implILb1ES3_N6hipcub16HIPCUB_304000_NS22TransformInputIteratorIbN2at6native12_GLOBAL__N_19NonZeroOpIsEEPKslEEPiiNS8_6detail34convert_binary_result_type_wrapperINS8_3SumESH_iEEEE10hipError_tPvRmT1_T2_T3_mT4_P12ihipStream_tbEUlT_E1_NS1_11comp_targetILNS1_3genE3ELNS1_11target_archE908ELNS1_3gpuE7ELNS1_3repE0EEENS1_30default_config_static_selectorELNS0_4arch9wavefront6targetE0EEEvSQ_, .Lfunc_end316-_ZN7rocprim17ROCPRIM_400000_NS6detail17trampoline_kernelINS0_14default_configENS1_22reduce_config_selectorIbEEZNS1_11reduce_implILb1ES3_N6hipcub16HIPCUB_304000_NS22TransformInputIteratorIbN2at6native12_GLOBAL__N_19NonZeroOpIsEEPKslEEPiiNS8_6detail34convert_binary_result_type_wrapperINS8_3SumESH_iEEEE10hipError_tPvRmT1_T2_T3_mT4_P12ihipStream_tbEUlT_E1_NS1_11comp_targetILNS1_3genE3ELNS1_11target_archE908ELNS1_3gpuE7ELNS1_3repE0EEENS1_30default_config_static_selectorELNS0_4arch9wavefront6targetE0EEEvSQ_
                                        ; -- End function
	.set _ZN7rocprim17ROCPRIM_400000_NS6detail17trampoline_kernelINS0_14default_configENS1_22reduce_config_selectorIbEEZNS1_11reduce_implILb1ES3_N6hipcub16HIPCUB_304000_NS22TransformInputIteratorIbN2at6native12_GLOBAL__N_19NonZeroOpIsEEPKslEEPiiNS8_6detail34convert_binary_result_type_wrapperINS8_3SumESH_iEEEE10hipError_tPvRmT1_T2_T3_mT4_P12ihipStream_tbEUlT_E1_NS1_11comp_targetILNS1_3genE3ELNS1_11target_archE908ELNS1_3gpuE7ELNS1_3repE0EEENS1_30default_config_static_selectorELNS0_4arch9wavefront6targetE0EEEvSQ_.num_vgpr, 0
	.set _ZN7rocprim17ROCPRIM_400000_NS6detail17trampoline_kernelINS0_14default_configENS1_22reduce_config_selectorIbEEZNS1_11reduce_implILb1ES3_N6hipcub16HIPCUB_304000_NS22TransformInputIteratorIbN2at6native12_GLOBAL__N_19NonZeroOpIsEEPKslEEPiiNS8_6detail34convert_binary_result_type_wrapperINS8_3SumESH_iEEEE10hipError_tPvRmT1_T2_T3_mT4_P12ihipStream_tbEUlT_E1_NS1_11comp_targetILNS1_3genE3ELNS1_11target_archE908ELNS1_3gpuE7ELNS1_3repE0EEENS1_30default_config_static_selectorELNS0_4arch9wavefront6targetE0EEEvSQ_.num_agpr, 0
	.set _ZN7rocprim17ROCPRIM_400000_NS6detail17trampoline_kernelINS0_14default_configENS1_22reduce_config_selectorIbEEZNS1_11reduce_implILb1ES3_N6hipcub16HIPCUB_304000_NS22TransformInputIteratorIbN2at6native12_GLOBAL__N_19NonZeroOpIsEEPKslEEPiiNS8_6detail34convert_binary_result_type_wrapperINS8_3SumESH_iEEEE10hipError_tPvRmT1_T2_T3_mT4_P12ihipStream_tbEUlT_E1_NS1_11comp_targetILNS1_3genE3ELNS1_11target_archE908ELNS1_3gpuE7ELNS1_3repE0EEENS1_30default_config_static_selectorELNS0_4arch9wavefront6targetE0EEEvSQ_.numbered_sgpr, 0
	.set _ZN7rocprim17ROCPRIM_400000_NS6detail17trampoline_kernelINS0_14default_configENS1_22reduce_config_selectorIbEEZNS1_11reduce_implILb1ES3_N6hipcub16HIPCUB_304000_NS22TransformInputIteratorIbN2at6native12_GLOBAL__N_19NonZeroOpIsEEPKslEEPiiNS8_6detail34convert_binary_result_type_wrapperINS8_3SumESH_iEEEE10hipError_tPvRmT1_T2_T3_mT4_P12ihipStream_tbEUlT_E1_NS1_11comp_targetILNS1_3genE3ELNS1_11target_archE908ELNS1_3gpuE7ELNS1_3repE0EEENS1_30default_config_static_selectorELNS0_4arch9wavefront6targetE0EEEvSQ_.num_named_barrier, 0
	.set _ZN7rocprim17ROCPRIM_400000_NS6detail17trampoline_kernelINS0_14default_configENS1_22reduce_config_selectorIbEEZNS1_11reduce_implILb1ES3_N6hipcub16HIPCUB_304000_NS22TransformInputIteratorIbN2at6native12_GLOBAL__N_19NonZeroOpIsEEPKslEEPiiNS8_6detail34convert_binary_result_type_wrapperINS8_3SumESH_iEEEE10hipError_tPvRmT1_T2_T3_mT4_P12ihipStream_tbEUlT_E1_NS1_11comp_targetILNS1_3genE3ELNS1_11target_archE908ELNS1_3gpuE7ELNS1_3repE0EEENS1_30default_config_static_selectorELNS0_4arch9wavefront6targetE0EEEvSQ_.private_seg_size, 0
	.set _ZN7rocprim17ROCPRIM_400000_NS6detail17trampoline_kernelINS0_14default_configENS1_22reduce_config_selectorIbEEZNS1_11reduce_implILb1ES3_N6hipcub16HIPCUB_304000_NS22TransformInputIteratorIbN2at6native12_GLOBAL__N_19NonZeroOpIsEEPKslEEPiiNS8_6detail34convert_binary_result_type_wrapperINS8_3SumESH_iEEEE10hipError_tPvRmT1_T2_T3_mT4_P12ihipStream_tbEUlT_E1_NS1_11comp_targetILNS1_3genE3ELNS1_11target_archE908ELNS1_3gpuE7ELNS1_3repE0EEENS1_30default_config_static_selectorELNS0_4arch9wavefront6targetE0EEEvSQ_.uses_vcc, 0
	.set _ZN7rocprim17ROCPRIM_400000_NS6detail17trampoline_kernelINS0_14default_configENS1_22reduce_config_selectorIbEEZNS1_11reduce_implILb1ES3_N6hipcub16HIPCUB_304000_NS22TransformInputIteratorIbN2at6native12_GLOBAL__N_19NonZeroOpIsEEPKslEEPiiNS8_6detail34convert_binary_result_type_wrapperINS8_3SumESH_iEEEE10hipError_tPvRmT1_T2_T3_mT4_P12ihipStream_tbEUlT_E1_NS1_11comp_targetILNS1_3genE3ELNS1_11target_archE908ELNS1_3gpuE7ELNS1_3repE0EEENS1_30default_config_static_selectorELNS0_4arch9wavefront6targetE0EEEvSQ_.uses_flat_scratch, 0
	.set _ZN7rocprim17ROCPRIM_400000_NS6detail17trampoline_kernelINS0_14default_configENS1_22reduce_config_selectorIbEEZNS1_11reduce_implILb1ES3_N6hipcub16HIPCUB_304000_NS22TransformInputIteratorIbN2at6native12_GLOBAL__N_19NonZeroOpIsEEPKslEEPiiNS8_6detail34convert_binary_result_type_wrapperINS8_3SumESH_iEEEE10hipError_tPvRmT1_T2_T3_mT4_P12ihipStream_tbEUlT_E1_NS1_11comp_targetILNS1_3genE3ELNS1_11target_archE908ELNS1_3gpuE7ELNS1_3repE0EEENS1_30default_config_static_selectorELNS0_4arch9wavefront6targetE0EEEvSQ_.has_dyn_sized_stack, 0
	.set _ZN7rocprim17ROCPRIM_400000_NS6detail17trampoline_kernelINS0_14default_configENS1_22reduce_config_selectorIbEEZNS1_11reduce_implILb1ES3_N6hipcub16HIPCUB_304000_NS22TransformInputIteratorIbN2at6native12_GLOBAL__N_19NonZeroOpIsEEPKslEEPiiNS8_6detail34convert_binary_result_type_wrapperINS8_3SumESH_iEEEE10hipError_tPvRmT1_T2_T3_mT4_P12ihipStream_tbEUlT_E1_NS1_11comp_targetILNS1_3genE3ELNS1_11target_archE908ELNS1_3gpuE7ELNS1_3repE0EEENS1_30default_config_static_selectorELNS0_4arch9wavefront6targetE0EEEvSQ_.has_recursion, 0
	.set _ZN7rocprim17ROCPRIM_400000_NS6detail17trampoline_kernelINS0_14default_configENS1_22reduce_config_selectorIbEEZNS1_11reduce_implILb1ES3_N6hipcub16HIPCUB_304000_NS22TransformInputIteratorIbN2at6native12_GLOBAL__N_19NonZeroOpIsEEPKslEEPiiNS8_6detail34convert_binary_result_type_wrapperINS8_3SumESH_iEEEE10hipError_tPvRmT1_T2_T3_mT4_P12ihipStream_tbEUlT_E1_NS1_11comp_targetILNS1_3genE3ELNS1_11target_archE908ELNS1_3gpuE7ELNS1_3repE0EEENS1_30default_config_static_selectorELNS0_4arch9wavefront6targetE0EEEvSQ_.has_indirect_call, 0
	.section	.AMDGPU.csdata,"",@progbits
; Kernel info:
; codeLenInByte = 0
; TotalNumSgprs: 0
; NumVgprs: 0
; ScratchSize: 0
; MemoryBound: 0
; FloatMode: 240
; IeeeMode: 1
; LDSByteSize: 0 bytes/workgroup (compile time only)
; SGPRBlocks: 0
; VGPRBlocks: 0
; NumSGPRsForWavesPerEU: 1
; NumVGPRsForWavesPerEU: 1
; Occupancy: 16
; WaveLimiterHint : 0
; COMPUTE_PGM_RSRC2:SCRATCH_EN: 0
; COMPUTE_PGM_RSRC2:USER_SGPR: 2
; COMPUTE_PGM_RSRC2:TRAP_HANDLER: 0
; COMPUTE_PGM_RSRC2:TGID_X_EN: 1
; COMPUTE_PGM_RSRC2:TGID_Y_EN: 0
; COMPUTE_PGM_RSRC2:TGID_Z_EN: 0
; COMPUTE_PGM_RSRC2:TIDIG_COMP_CNT: 0
	.section	.text._ZN7rocprim17ROCPRIM_400000_NS6detail17trampoline_kernelINS0_14default_configENS1_22reduce_config_selectorIbEEZNS1_11reduce_implILb1ES3_N6hipcub16HIPCUB_304000_NS22TransformInputIteratorIbN2at6native12_GLOBAL__N_19NonZeroOpIsEEPKslEEPiiNS8_6detail34convert_binary_result_type_wrapperINS8_3SumESH_iEEEE10hipError_tPvRmT1_T2_T3_mT4_P12ihipStream_tbEUlT_E1_NS1_11comp_targetILNS1_3genE2ELNS1_11target_archE906ELNS1_3gpuE6ELNS1_3repE0EEENS1_30default_config_static_selectorELNS0_4arch9wavefront6targetE0EEEvSQ_,"axG",@progbits,_ZN7rocprim17ROCPRIM_400000_NS6detail17trampoline_kernelINS0_14default_configENS1_22reduce_config_selectorIbEEZNS1_11reduce_implILb1ES3_N6hipcub16HIPCUB_304000_NS22TransformInputIteratorIbN2at6native12_GLOBAL__N_19NonZeroOpIsEEPKslEEPiiNS8_6detail34convert_binary_result_type_wrapperINS8_3SumESH_iEEEE10hipError_tPvRmT1_T2_T3_mT4_P12ihipStream_tbEUlT_E1_NS1_11comp_targetILNS1_3genE2ELNS1_11target_archE906ELNS1_3gpuE6ELNS1_3repE0EEENS1_30default_config_static_selectorELNS0_4arch9wavefront6targetE0EEEvSQ_,comdat
	.globl	_ZN7rocprim17ROCPRIM_400000_NS6detail17trampoline_kernelINS0_14default_configENS1_22reduce_config_selectorIbEEZNS1_11reduce_implILb1ES3_N6hipcub16HIPCUB_304000_NS22TransformInputIteratorIbN2at6native12_GLOBAL__N_19NonZeroOpIsEEPKslEEPiiNS8_6detail34convert_binary_result_type_wrapperINS8_3SumESH_iEEEE10hipError_tPvRmT1_T2_T3_mT4_P12ihipStream_tbEUlT_E1_NS1_11comp_targetILNS1_3genE2ELNS1_11target_archE906ELNS1_3gpuE6ELNS1_3repE0EEENS1_30default_config_static_selectorELNS0_4arch9wavefront6targetE0EEEvSQ_ ; -- Begin function _ZN7rocprim17ROCPRIM_400000_NS6detail17trampoline_kernelINS0_14default_configENS1_22reduce_config_selectorIbEEZNS1_11reduce_implILb1ES3_N6hipcub16HIPCUB_304000_NS22TransformInputIteratorIbN2at6native12_GLOBAL__N_19NonZeroOpIsEEPKslEEPiiNS8_6detail34convert_binary_result_type_wrapperINS8_3SumESH_iEEEE10hipError_tPvRmT1_T2_T3_mT4_P12ihipStream_tbEUlT_E1_NS1_11comp_targetILNS1_3genE2ELNS1_11target_archE906ELNS1_3gpuE6ELNS1_3repE0EEENS1_30default_config_static_selectorELNS0_4arch9wavefront6targetE0EEEvSQ_
	.p2align	8
	.type	_ZN7rocprim17ROCPRIM_400000_NS6detail17trampoline_kernelINS0_14default_configENS1_22reduce_config_selectorIbEEZNS1_11reduce_implILb1ES3_N6hipcub16HIPCUB_304000_NS22TransformInputIteratorIbN2at6native12_GLOBAL__N_19NonZeroOpIsEEPKslEEPiiNS8_6detail34convert_binary_result_type_wrapperINS8_3SumESH_iEEEE10hipError_tPvRmT1_T2_T3_mT4_P12ihipStream_tbEUlT_E1_NS1_11comp_targetILNS1_3genE2ELNS1_11target_archE906ELNS1_3gpuE6ELNS1_3repE0EEENS1_30default_config_static_selectorELNS0_4arch9wavefront6targetE0EEEvSQ_,@function
_ZN7rocprim17ROCPRIM_400000_NS6detail17trampoline_kernelINS0_14default_configENS1_22reduce_config_selectorIbEEZNS1_11reduce_implILb1ES3_N6hipcub16HIPCUB_304000_NS22TransformInputIteratorIbN2at6native12_GLOBAL__N_19NonZeroOpIsEEPKslEEPiiNS8_6detail34convert_binary_result_type_wrapperINS8_3SumESH_iEEEE10hipError_tPvRmT1_T2_T3_mT4_P12ihipStream_tbEUlT_E1_NS1_11comp_targetILNS1_3genE2ELNS1_11target_archE906ELNS1_3gpuE6ELNS1_3repE0EEENS1_30default_config_static_selectorELNS0_4arch9wavefront6targetE0EEEvSQ_: ; @_ZN7rocprim17ROCPRIM_400000_NS6detail17trampoline_kernelINS0_14default_configENS1_22reduce_config_selectorIbEEZNS1_11reduce_implILb1ES3_N6hipcub16HIPCUB_304000_NS22TransformInputIteratorIbN2at6native12_GLOBAL__N_19NonZeroOpIsEEPKslEEPiiNS8_6detail34convert_binary_result_type_wrapperINS8_3SumESH_iEEEE10hipError_tPvRmT1_T2_T3_mT4_P12ihipStream_tbEUlT_E1_NS1_11comp_targetILNS1_3genE2ELNS1_11target_archE906ELNS1_3gpuE6ELNS1_3repE0EEENS1_30default_config_static_selectorELNS0_4arch9wavefront6targetE0EEEvSQ_
; %bb.0:
	.section	.rodata,"a",@progbits
	.p2align	6, 0x0
	.amdhsa_kernel _ZN7rocprim17ROCPRIM_400000_NS6detail17trampoline_kernelINS0_14default_configENS1_22reduce_config_selectorIbEEZNS1_11reduce_implILb1ES3_N6hipcub16HIPCUB_304000_NS22TransformInputIteratorIbN2at6native12_GLOBAL__N_19NonZeroOpIsEEPKslEEPiiNS8_6detail34convert_binary_result_type_wrapperINS8_3SumESH_iEEEE10hipError_tPvRmT1_T2_T3_mT4_P12ihipStream_tbEUlT_E1_NS1_11comp_targetILNS1_3genE2ELNS1_11target_archE906ELNS1_3gpuE6ELNS1_3repE0EEENS1_30default_config_static_selectorELNS0_4arch9wavefront6targetE0EEEvSQ_
		.amdhsa_group_segment_fixed_size 0
		.amdhsa_private_segment_fixed_size 0
		.amdhsa_kernarg_size 48
		.amdhsa_user_sgpr_count 2
		.amdhsa_user_sgpr_dispatch_ptr 0
		.amdhsa_user_sgpr_queue_ptr 0
		.amdhsa_user_sgpr_kernarg_segment_ptr 1
		.amdhsa_user_sgpr_dispatch_id 0
		.amdhsa_user_sgpr_private_segment_size 0
		.amdhsa_wavefront_size32 1
		.amdhsa_uses_dynamic_stack 0
		.amdhsa_enable_private_segment 0
		.amdhsa_system_sgpr_workgroup_id_x 1
		.amdhsa_system_sgpr_workgroup_id_y 0
		.amdhsa_system_sgpr_workgroup_id_z 0
		.amdhsa_system_sgpr_workgroup_info 0
		.amdhsa_system_vgpr_workitem_id 0
		.amdhsa_next_free_vgpr 1
		.amdhsa_next_free_sgpr 1
		.amdhsa_reserve_vcc 0
		.amdhsa_float_round_mode_32 0
		.amdhsa_float_round_mode_16_64 0
		.amdhsa_float_denorm_mode_32 3
		.amdhsa_float_denorm_mode_16_64 3
		.amdhsa_fp16_overflow 0
		.amdhsa_workgroup_processor_mode 1
		.amdhsa_memory_ordered 1
		.amdhsa_forward_progress 1
		.amdhsa_inst_pref_size 0
		.amdhsa_round_robin_scheduling 0
		.amdhsa_exception_fp_ieee_invalid_op 0
		.amdhsa_exception_fp_denorm_src 0
		.amdhsa_exception_fp_ieee_div_zero 0
		.amdhsa_exception_fp_ieee_overflow 0
		.amdhsa_exception_fp_ieee_underflow 0
		.amdhsa_exception_fp_ieee_inexact 0
		.amdhsa_exception_int_div_zero 0
	.end_amdhsa_kernel
	.section	.text._ZN7rocprim17ROCPRIM_400000_NS6detail17trampoline_kernelINS0_14default_configENS1_22reduce_config_selectorIbEEZNS1_11reduce_implILb1ES3_N6hipcub16HIPCUB_304000_NS22TransformInputIteratorIbN2at6native12_GLOBAL__N_19NonZeroOpIsEEPKslEEPiiNS8_6detail34convert_binary_result_type_wrapperINS8_3SumESH_iEEEE10hipError_tPvRmT1_T2_T3_mT4_P12ihipStream_tbEUlT_E1_NS1_11comp_targetILNS1_3genE2ELNS1_11target_archE906ELNS1_3gpuE6ELNS1_3repE0EEENS1_30default_config_static_selectorELNS0_4arch9wavefront6targetE0EEEvSQ_,"axG",@progbits,_ZN7rocprim17ROCPRIM_400000_NS6detail17trampoline_kernelINS0_14default_configENS1_22reduce_config_selectorIbEEZNS1_11reduce_implILb1ES3_N6hipcub16HIPCUB_304000_NS22TransformInputIteratorIbN2at6native12_GLOBAL__N_19NonZeroOpIsEEPKslEEPiiNS8_6detail34convert_binary_result_type_wrapperINS8_3SumESH_iEEEE10hipError_tPvRmT1_T2_T3_mT4_P12ihipStream_tbEUlT_E1_NS1_11comp_targetILNS1_3genE2ELNS1_11target_archE906ELNS1_3gpuE6ELNS1_3repE0EEENS1_30default_config_static_selectorELNS0_4arch9wavefront6targetE0EEEvSQ_,comdat
.Lfunc_end317:
	.size	_ZN7rocprim17ROCPRIM_400000_NS6detail17trampoline_kernelINS0_14default_configENS1_22reduce_config_selectorIbEEZNS1_11reduce_implILb1ES3_N6hipcub16HIPCUB_304000_NS22TransformInputIteratorIbN2at6native12_GLOBAL__N_19NonZeroOpIsEEPKslEEPiiNS8_6detail34convert_binary_result_type_wrapperINS8_3SumESH_iEEEE10hipError_tPvRmT1_T2_T3_mT4_P12ihipStream_tbEUlT_E1_NS1_11comp_targetILNS1_3genE2ELNS1_11target_archE906ELNS1_3gpuE6ELNS1_3repE0EEENS1_30default_config_static_selectorELNS0_4arch9wavefront6targetE0EEEvSQ_, .Lfunc_end317-_ZN7rocprim17ROCPRIM_400000_NS6detail17trampoline_kernelINS0_14default_configENS1_22reduce_config_selectorIbEEZNS1_11reduce_implILb1ES3_N6hipcub16HIPCUB_304000_NS22TransformInputIteratorIbN2at6native12_GLOBAL__N_19NonZeroOpIsEEPKslEEPiiNS8_6detail34convert_binary_result_type_wrapperINS8_3SumESH_iEEEE10hipError_tPvRmT1_T2_T3_mT4_P12ihipStream_tbEUlT_E1_NS1_11comp_targetILNS1_3genE2ELNS1_11target_archE906ELNS1_3gpuE6ELNS1_3repE0EEENS1_30default_config_static_selectorELNS0_4arch9wavefront6targetE0EEEvSQ_
                                        ; -- End function
	.set _ZN7rocprim17ROCPRIM_400000_NS6detail17trampoline_kernelINS0_14default_configENS1_22reduce_config_selectorIbEEZNS1_11reduce_implILb1ES3_N6hipcub16HIPCUB_304000_NS22TransformInputIteratorIbN2at6native12_GLOBAL__N_19NonZeroOpIsEEPKslEEPiiNS8_6detail34convert_binary_result_type_wrapperINS8_3SumESH_iEEEE10hipError_tPvRmT1_T2_T3_mT4_P12ihipStream_tbEUlT_E1_NS1_11comp_targetILNS1_3genE2ELNS1_11target_archE906ELNS1_3gpuE6ELNS1_3repE0EEENS1_30default_config_static_selectorELNS0_4arch9wavefront6targetE0EEEvSQ_.num_vgpr, 0
	.set _ZN7rocprim17ROCPRIM_400000_NS6detail17trampoline_kernelINS0_14default_configENS1_22reduce_config_selectorIbEEZNS1_11reduce_implILb1ES3_N6hipcub16HIPCUB_304000_NS22TransformInputIteratorIbN2at6native12_GLOBAL__N_19NonZeroOpIsEEPKslEEPiiNS8_6detail34convert_binary_result_type_wrapperINS8_3SumESH_iEEEE10hipError_tPvRmT1_T2_T3_mT4_P12ihipStream_tbEUlT_E1_NS1_11comp_targetILNS1_3genE2ELNS1_11target_archE906ELNS1_3gpuE6ELNS1_3repE0EEENS1_30default_config_static_selectorELNS0_4arch9wavefront6targetE0EEEvSQ_.num_agpr, 0
	.set _ZN7rocprim17ROCPRIM_400000_NS6detail17trampoline_kernelINS0_14default_configENS1_22reduce_config_selectorIbEEZNS1_11reduce_implILb1ES3_N6hipcub16HIPCUB_304000_NS22TransformInputIteratorIbN2at6native12_GLOBAL__N_19NonZeroOpIsEEPKslEEPiiNS8_6detail34convert_binary_result_type_wrapperINS8_3SumESH_iEEEE10hipError_tPvRmT1_T2_T3_mT4_P12ihipStream_tbEUlT_E1_NS1_11comp_targetILNS1_3genE2ELNS1_11target_archE906ELNS1_3gpuE6ELNS1_3repE0EEENS1_30default_config_static_selectorELNS0_4arch9wavefront6targetE0EEEvSQ_.numbered_sgpr, 0
	.set _ZN7rocprim17ROCPRIM_400000_NS6detail17trampoline_kernelINS0_14default_configENS1_22reduce_config_selectorIbEEZNS1_11reduce_implILb1ES3_N6hipcub16HIPCUB_304000_NS22TransformInputIteratorIbN2at6native12_GLOBAL__N_19NonZeroOpIsEEPKslEEPiiNS8_6detail34convert_binary_result_type_wrapperINS8_3SumESH_iEEEE10hipError_tPvRmT1_T2_T3_mT4_P12ihipStream_tbEUlT_E1_NS1_11comp_targetILNS1_3genE2ELNS1_11target_archE906ELNS1_3gpuE6ELNS1_3repE0EEENS1_30default_config_static_selectorELNS0_4arch9wavefront6targetE0EEEvSQ_.num_named_barrier, 0
	.set _ZN7rocprim17ROCPRIM_400000_NS6detail17trampoline_kernelINS0_14default_configENS1_22reduce_config_selectorIbEEZNS1_11reduce_implILb1ES3_N6hipcub16HIPCUB_304000_NS22TransformInputIteratorIbN2at6native12_GLOBAL__N_19NonZeroOpIsEEPKslEEPiiNS8_6detail34convert_binary_result_type_wrapperINS8_3SumESH_iEEEE10hipError_tPvRmT1_T2_T3_mT4_P12ihipStream_tbEUlT_E1_NS1_11comp_targetILNS1_3genE2ELNS1_11target_archE906ELNS1_3gpuE6ELNS1_3repE0EEENS1_30default_config_static_selectorELNS0_4arch9wavefront6targetE0EEEvSQ_.private_seg_size, 0
	.set _ZN7rocprim17ROCPRIM_400000_NS6detail17trampoline_kernelINS0_14default_configENS1_22reduce_config_selectorIbEEZNS1_11reduce_implILb1ES3_N6hipcub16HIPCUB_304000_NS22TransformInputIteratorIbN2at6native12_GLOBAL__N_19NonZeroOpIsEEPKslEEPiiNS8_6detail34convert_binary_result_type_wrapperINS8_3SumESH_iEEEE10hipError_tPvRmT1_T2_T3_mT4_P12ihipStream_tbEUlT_E1_NS1_11comp_targetILNS1_3genE2ELNS1_11target_archE906ELNS1_3gpuE6ELNS1_3repE0EEENS1_30default_config_static_selectorELNS0_4arch9wavefront6targetE0EEEvSQ_.uses_vcc, 0
	.set _ZN7rocprim17ROCPRIM_400000_NS6detail17trampoline_kernelINS0_14default_configENS1_22reduce_config_selectorIbEEZNS1_11reduce_implILb1ES3_N6hipcub16HIPCUB_304000_NS22TransformInputIteratorIbN2at6native12_GLOBAL__N_19NonZeroOpIsEEPKslEEPiiNS8_6detail34convert_binary_result_type_wrapperINS8_3SumESH_iEEEE10hipError_tPvRmT1_T2_T3_mT4_P12ihipStream_tbEUlT_E1_NS1_11comp_targetILNS1_3genE2ELNS1_11target_archE906ELNS1_3gpuE6ELNS1_3repE0EEENS1_30default_config_static_selectorELNS0_4arch9wavefront6targetE0EEEvSQ_.uses_flat_scratch, 0
	.set _ZN7rocprim17ROCPRIM_400000_NS6detail17trampoline_kernelINS0_14default_configENS1_22reduce_config_selectorIbEEZNS1_11reduce_implILb1ES3_N6hipcub16HIPCUB_304000_NS22TransformInputIteratorIbN2at6native12_GLOBAL__N_19NonZeroOpIsEEPKslEEPiiNS8_6detail34convert_binary_result_type_wrapperINS8_3SumESH_iEEEE10hipError_tPvRmT1_T2_T3_mT4_P12ihipStream_tbEUlT_E1_NS1_11comp_targetILNS1_3genE2ELNS1_11target_archE906ELNS1_3gpuE6ELNS1_3repE0EEENS1_30default_config_static_selectorELNS0_4arch9wavefront6targetE0EEEvSQ_.has_dyn_sized_stack, 0
	.set _ZN7rocprim17ROCPRIM_400000_NS6detail17trampoline_kernelINS0_14default_configENS1_22reduce_config_selectorIbEEZNS1_11reduce_implILb1ES3_N6hipcub16HIPCUB_304000_NS22TransformInputIteratorIbN2at6native12_GLOBAL__N_19NonZeroOpIsEEPKslEEPiiNS8_6detail34convert_binary_result_type_wrapperINS8_3SumESH_iEEEE10hipError_tPvRmT1_T2_T3_mT4_P12ihipStream_tbEUlT_E1_NS1_11comp_targetILNS1_3genE2ELNS1_11target_archE906ELNS1_3gpuE6ELNS1_3repE0EEENS1_30default_config_static_selectorELNS0_4arch9wavefront6targetE0EEEvSQ_.has_recursion, 0
	.set _ZN7rocprim17ROCPRIM_400000_NS6detail17trampoline_kernelINS0_14default_configENS1_22reduce_config_selectorIbEEZNS1_11reduce_implILb1ES3_N6hipcub16HIPCUB_304000_NS22TransformInputIteratorIbN2at6native12_GLOBAL__N_19NonZeroOpIsEEPKslEEPiiNS8_6detail34convert_binary_result_type_wrapperINS8_3SumESH_iEEEE10hipError_tPvRmT1_T2_T3_mT4_P12ihipStream_tbEUlT_E1_NS1_11comp_targetILNS1_3genE2ELNS1_11target_archE906ELNS1_3gpuE6ELNS1_3repE0EEENS1_30default_config_static_selectorELNS0_4arch9wavefront6targetE0EEEvSQ_.has_indirect_call, 0
	.section	.AMDGPU.csdata,"",@progbits
; Kernel info:
; codeLenInByte = 0
; TotalNumSgprs: 0
; NumVgprs: 0
; ScratchSize: 0
; MemoryBound: 0
; FloatMode: 240
; IeeeMode: 1
; LDSByteSize: 0 bytes/workgroup (compile time only)
; SGPRBlocks: 0
; VGPRBlocks: 0
; NumSGPRsForWavesPerEU: 1
; NumVGPRsForWavesPerEU: 1
; Occupancy: 16
; WaveLimiterHint : 0
; COMPUTE_PGM_RSRC2:SCRATCH_EN: 0
; COMPUTE_PGM_RSRC2:USER_SGPR: 2
; COMPUTE_PGM_RSRC2:TRAP_HANDLER: 0
; COMPUTE_PGM_RSRC2:TGID_X_EN: 1
; COMPUTE_PGM_RSRC2:TGID_Y_EN: 0
; COMPUTE_PGM_RSRC2:TGID_Z_EN: 0
; COMPUTE_PGM_RSRC2:TIDIG_COMP_CNT: 0
	.section	.text._ZN7rocprim17ROCPRIM_400000_NS6detail17trampoline_kernelINS0_14default_configENS1_22reduce_config_selectorIbEEZNS1_11reduce_implILb1ES3_N6hipcub16HIPCUB_304000_NS22TransformInputIteratorIbN2at6native12_GLOBAL__N_19NonZeroOpIsEEPKslEEPiiNS8_6detail34convert_binary_result_type_wrapperINS8_3SumESH_iEEEE10hipError_tPvRmT1_T2_T3_mT4_P12ihipStream_tbEUlT_E1_NS1_11comp_targetILNS1_3genE10ELNS1_11target_archE1201ELNS1_3gpuE5ELNS1_3repE0EEENS1_30default_config_static_selectorELNS0_4arch9wavefront6targetE0EEEvSQ_,"axG",@progbits,_ZN7rocprim17ROCPRIM_400000_NS6detail17trampoline_kernelINS0_14default_configENS1_22reduce_config_selectorIbEEZNS1_11reduce_implILb1ES3_N6hipcub16HIPCUB_304000_NS22TransformInputIteratorIbN2at6native12_GLOBAL__N_19NonZeroOpIsEEPKslEEPiiNS8_6detail34convert_binary_result_type_wrapperINS8_3SumESH_iEEEE10hipError_tPvRmT1_T2_T3_mT4_P12ihipStream_tbEUlT_E1_NS1_11comp_targetILNS1_3genE10ELNS1_11target_archE1201ELNS1_3gpuE5ELNS1_3repE0EEENS1_30default_config_static_selectorELNS0_4arch9wavefront6targetE0EEEvSQ_,comdat
	.globl	_ZN7rocprim17ROCPRIM_400000_NS6detail17trampoline_kernelINS0_14default_configENS1_22reduce_config_selectorIbEEZNS1_11reduce_implILb1ES3_N6hipcub16HIPCUB_304000_NS22TransformInputIteratorIbN2at6native12_GLOBAL__N_19NonZeroOpIsEEPKslEEPiiNS8_6detail34convert_binary_result_type_wrapperINS8_3SumESH_iEEEE10hipError_tPvRmT1_T2_T3_mT4_P12ihipStream_tbEUlT_E1_NS1_11comp_targetILNS1_3genE10ELNS1_11target_archE1201ELNS1_3gpuE5ELNS1_3repE0EEENS1_30default_config_static_selectorELNS0_4arch9wavefront6targetE0EEEvSQ_ ; -- Begin function _ZN7rocprim17ROCPRIM_400000_NS6detail17trampoline_kernelINS0_14default_configENS1_22reduce_config_selectorIbEEZNS1_11reduce_implILb1ES3_N6hipcub16HIPCUB_304000_NS22TransformInputIteratorIbN2at6native12_GLOBAL__N_19NonZeroOpIsEEPKslEEPiiNS8_6detail34convert_binary_result_type_wrapperINS8_3SumESH_iEEEE10hipError_tPvRmT1_T2_T3_mT4_P12ihipStream_tbEUlT_E1_NS1_11comp_targetILNS1_3genE10ELNS1_11target_archE1201ELNS1_3gpuE5ELNS1_3repE0EEENS1_30default_config_static_selectorELNS0_4arch9wavefront6targetE0EEEvSQ_
	.p2align	8
	.type	_ZN7rocprim17ROCPRIM_400000_NS6detail17trampoline_kernelINS0_14default_configENS1_22reduce_config_selectorIbEEZNS1_11reduce_implILb1ES3_N6hipcub16HIPCUB_304000_NS22TransformInputIteratorIbN2at6native12_GLOBAL__N_19NonZeroOpIsEEPKslEEPiiNS8_6detail34convert_binary_result_type_wrapperINS8_3SumESH_iEEEE10hipError_tPvRmT1_T2_T3_mT4_P12ihipStream_tbEUlT_E1_NS1_11comp_targetILNS1_3genE10ELNS1_11target_archE1201ELNS1_3gpuE5ELNS1_3repE0EEENS1_30default_config_static_selectorELNS0_4arch9wavefront6targetE0EEEvSQ_,@function
_ZN7rocprim17ROCPRIM_400000_NS6detail17trampoline_kernelINS0_14default_configENS1_22reduce_config_selectorIbEEZNS1_11reduce_implILb1ES3_N6hipcub16HIPCUB_304000_NS22TransformInputIteratorIbN2at6native12_GLOBAL__N_19NonZeroOpIsEEPKslEEPiiNS8_6detail34convert_binary_result_type_wrapperINS8_3SumESH_iEEEE10hipError_tPvRmT1_T2_T3_mT4_P12ihipStream_tbEUlT_E1_NS1_11comp_targetILNS1_3genE10ELNS1_11target_archE1201ELNS1_3gpuE5ELNS1_3repE0EEENS1_30default_config_static_selectorELNS0_4arch9wavefront6targetE0EEEvSQ_: ; @_ZN7rocprim17ROCPRIM_400000_NS6detail17trampoline_kernelINS0_14default_configENS1_22reduce_config_selectorIbEEZNS1_11reduce_implILb1ES3_N6hipcub16HIPCUB_304000_NS22TransformInputIteratorIbN2at6native12_GLOBAL__N_19NonZeroOpIsEEPKslEEPiiNS8_6detail34convert_binary_result_type_wrapperINS8_3SumESH_iEEEE10hipError_tPvRmT1_T2_T3_mT4_P12ihipStream_tbEUlT_E1_NS1_11comp_targetILNS1_3genE10ELNS1_11target_archE1201ELNS1_3gpuE5ELNS1_3repE0EEENS1_30default_config_static_selectorELNS0_4arch9wavefront6targetE0EEEvSQ_
; %bb.0:
	s_clause 0x2
	s_load_b32 s44, s[0:1], 0x4
	s_load_b64 s[40:41], s[0:1], 0x8
	s_load_b128 s[36:39], s[0:1], 0x18
	s_mov_b32 s34, ttmp9
	s_wait_kmcnt 0x0
	s_cmp_lt_i32 s44, 16
	s_cbranch_scc1 .LBB318_12
; %bb.1:
	s_cmp_gt_i32 s44, 63
	s_cbranch_scc0 .LBB318_13
; %bb.2:
	s_cmp_gt_i32 s44, 0x7f
	s_cbranch_scc0 .LBB318_22
; %bb.3:
	s_cmp_eq_u32 s44, 0x80
	s_mov_b32 s6, 0
	s_cbranch_scc0 .LBB318_23
; %bb.4:
	s_mov_b32 s35, 0
	s_lshl_b32 s4, s34, 15
	s_mov_b32 s5, s35
	s_lshr_b64 s[2:3], s[36:37], 15
	s_lshl_b64 s[8:9], s[4:5], 1
	s_cmp_lg_u64 s[2:3], s[34:35]
	s_add_nc_u64 s[2:3], s[40:41], s[8:9]
	s_cbranch_scc0 .LBB318_34
; %bb.5:
	v_lshlrev_b32_e32 v1, 1, v0
	s_mov_b32 s5, exec_lo
	s_clause 0x1f
	global_load_u16 v2, v1, s[2:3]
	global_load_u16 v3, v1, s[2:3] offset:1024
	global_load_u16 v4, v1, s[2:3] offset:512
	global_load_u16 v5, v1, s[2:3] offset:2048
	global_load_u16 v6, v1, s[2:3] offset:1536
	global_load_u16 v7, v1, s[2:3] offset:3072
	global_load_u16 v8, v1, s[2:3] offset:2560
	global_load_u16 v9, v1, s[2:3] offset:4096
	global_load_u16 v10, v1, s[2:3] offset:3584
	global_load_u16 v11, v1, s[2:3] offset:5120
	global_load_u16 v12, v1, s[2:3] offset:4608
	global_load_u16 v13, v1, s[2:3] offset:6144
	global_load_u16 v14, v1, s[2:3] offset:5632
	global_load_u16 v15, v1, s[2:3] offset:7168
	global_load_u16 v16, v1, s[2:3] offset:6656
	global_load_u16 v17, v1, s[2:3] offset:8192
	global_load_u16 v18, v1, s[2:3] offset:7680
	global_load_u16 v19, v1, s[2:3] offset:9216
	global_load_u16 v20, v1, s[2:3] offset:8704
	global_load_u16 v21, v1, s[2:3] offset:10240
	global_load_u16 v22, v1, s[2:3] offset:9728
	global_load_u16 v23, v1, s[2:3] offset:11264
	global_load_u16 v24, v1, s[2:3] offset:10752
	global_load_u16 v25, v1, s[2:3] offset:12288
	global_load_u16 v26, v1, s[2:3] offset:11776
	global_load_u16 v27, v1, s[2:3] offset:13312
	global_load_u16 v28, v1, s[2:3] offset:12800
	global_load_u16 v29, v1, s[2:3] offset:14336
	global_load_u16 v30, v1, s[2:3] offset:13824
	global_load_u16 v31, v1, s[2:3] offset:15360
	global_load_u16 v32, v1, s[2:3] offset:14848
	global_load_u16 v33, v1, s[2:3] offset:16384
	s_clause 0x1f
	global_load_u16 v34, v1, s[2:3] offset:15872
	global_load_u16 v35, v1, s[2:3] offset:17408
	global_load_u16 v36, v1, s[2:3] offset:16896
	global_load_u16 v37, v1, s[2:3] offset:18432
	global_load_u16 v38, v1, s[2:3] offset:17920
	global_load_u16 v39, v1, s[2:3] offset:19456
	global_load_u16 v40, v1, s[2:3] offset:18944
	global_load_u16 v41, v1, s[2:3] offset:20480
	global_load_u16 v42, v1, s[2:3] offset:19968
	global_load_u16 v43, v1, s[2:3] offset:21504
	global_load_u16 v44, v1, s[2:3] offset:20992
	global_load_u16 v45, v1, s[2:3] offset:22528
	global_load_u16 v46, v1, s[2:3] offset:22016
	global_load_u16 v47, v1, s[2:3] offset:23552
	global_load_u16 v48, v1, s[2:3] offset:23040
	global_load_u16 v49, v1, s[2:3] offset:24576
	global_load_u16 v50, v1, s[2:3] offset:24064
	global_load_u16 v51, v1, s[2:3] offset:25600
	global_load_u16 v52, v1, s[2:3] offset:25088
	global_load_u16 v53, v1, s[2:3] offset:26624
	global_load_u16 v54, v1, s[2:3] offset:26112
	global_load_u16 v55, v1, s[2:3] offset:27648
	global_load_u16 v56, v1, s[2:3] offset:27136
	global_load_u16 v57, v1, s[2:3] offset:28672
	global_load_u16 v58, v1, s[2:3] offset:28160
	global_load_u16 v59, v1, s[2:3] offset:29696
	global_load_u16 v60, v1, s[2:3] offset:29184
	global_load_u16 v61, v1, s[2:3] offset:30720
	global_load_u16 v62, v1, s[2:3] offset:30208
	global_load_u16 v63, v1, s[2:3] offset:31744
	global_load_u16 v64, v1, s[2:3] offset:31232
	global_load_u16 v65, v1, s[2:3] offset:32768
	s_clause 0x1f
	global_load_u16 v66, v1, s[2:3] offset:32256
	;; [unrolled: 33-line block ×3, first 2 shown]
	global_load_u16 v99, v1, s[2:3] offset:50176
	global_load_u16 v100, v1, s[2:3] offset:49664
	;; [unrolled: 1-line block ×31, first 2 shown]
	s_wait_loadcnt 0x3e
	v_cmp_ne_u16_e32 vcc_lo, 0, v2
	v_cndmask_b32_e64 v2, 0, 1, vcc_lo
	v_cmp_ne_u16_e32 vcc_lo, 0, v3
	s_wait_alu 0xfffd
	v_cndmask_b32_e64 v3, 0, 1, vcc_lo
	v_cmp_ne_u16_e32 vcc_lo, 0, v4
	s_wait_alu 0xfffd
	v_add_co_ci_u32_e64 v2, null, 0, v2, vcc_lo
	v_cmp_ne_u16_e32 vcc_lo, 0, v5
	s_wait_alu 0xfffd
	v_cndmask_b32_e64 v4, 0, 1, vcc_lo
	v_cmp_ne_u16_e32 vcc_lo, 0, v6
	s_wait_alu 0xfffd
	v_add_co_ci_u32_e64 v2, null, v2, v3, vcc_lo
	;; [unrolled: 6-line block ×32, first 2 shown]
	v_cmp_ne_u16_e32 vcc_lo, 0, v67
	s_wait_alu 0xfffd
	v_cndmask_b32_e64 v3, 0, 1, vcc_lo
	s_wait_loadcnt 0x3d
	v_cmp_ne_u16_e32 vcc_lo, 0, v68
	s_wait_alu 0xfffd
	v_add_co_ci_u32_e64 v2, null, v2, v4, vcc_lo
	s_wait_loadcnt 0x3c
	v_cmp_ne_u16_e32 vcc_lo, 0, v69
	s_wait_alu 0xfffd
	v_cndmask_b32_e64 v4, 0, 1, vcc_lo
	s_wait_loadcnt 0x3b
	v_cmp_ne_u16_e32 vcc_lo, 0, v70
	s_wait_alu 0xfffd
	v_add_co_ci_u32_e64 v2, null, v2, v3, vcc_lo
	s_wait_loadcnt 0x3a
	;; [unrolled: 8-line block ×30, first 2 shown]
	v_cmp_ne_u16_e32 vcc_lo, 0, v127
	s_wait_alu 0xfffd
	v_cndmask_b32_e64 v3, 0, 1, vcc_lo
	s_wait_loadcnt 0x1
	v_cmp_ne_u16_e64 vcc_lo, 0, v128
	s_wait_alu 0xfffd
	s_delay_alu instid0(VALU_DEP_1) | instskip(SKIP_3) | instid1(VALU_DEP_2)
	v_add_co_ci_u32_e64 v2, null, v2, v4, vcc_lo
	s_wait_loadcnt 0x0
	v_cmp_ne_u16_e32 vcc_lo, 0, v1
	s_wait_alu 0xfffd
	v_add_co_ci_u32_e64 v1, null, v2, v3, vcc_lo
	s_delay_alu instid0(VALU_DEP_1) | instskip(NEXT) | instid1(VALU_DEP_1)
	v_mov_b32_dpp v2, v1 quad_perm:[1,0,3,2] row_mask:0xf bank_mask:0xf
	v_add_nc_u32_e32 v1, v1, v2
	s_delay_alu instid0(VALU_DEP_1) | instskip(NEXT) | instid1(VALU_DEP_1)
	v_mov_b32_dpp v2, v1 quad_perm:[2,3,0,1] row_mask:0xf bank_mask:0xf
	v_add_nc_u32_e32 v1, v1, v2
	s_delay_alu instid0(VALU_DEP_1) | instskip(NEXT) | instid1(VALU_DEP_1)
	v_mov_b32_dpp v2, v1 row_ror:4 row_mask:0xf bank_mask:0xf
	v_add_nc_u32_e32 v1, v1, v2
	s_delay_alu instid0(VALU_DEP_1) | instskip(NEXT) | instid1(VALU_DEP_1)
	v_mov_b32_dpp v2, v1 row_ror:8 row_mask:0xf bank_mask:0xf
	v_add_nc_u32_e32 v1, v1, v2
	ds_swizzle_b32 v2, v1 offset:swizzle(BROADCAST,32,15)
	s_wait_dscnt 0x0
	v_dual_mov_b32 v2, 0 :: v_dual_add_nc_u32 v1, v1, v2
	ds_bpermute_b32 v1, v2, v1 offset:124
	v_mbcnt_lo_u32_b32 v2, -1, 0
	s_delay_alu instid0(VALU_DEP_1)
	v_cmpx_eq_u32_e32 0, v2
	s_cbranch_execz .LBB318_7
; %bb.6:
	v_lshrrev_b32_e32 v3, 3, v0
	s_delay_alu instid0(VALU_DEP_1)
	v_and_b32_e32 v3, 28, v3
	s_wait_dscnt 0x0
	ds_store_b32 v3, v1
.LBB318_7:
	s_or_b32 exec_lo, exec_lo, s5
	s_delay_alu instid0(SALU_CYCLE_1)
	s_mov_b32 s5, exec_lo
	s_wait_dscnt 0x0
	s_barrier_signal -1
	s_barrier_wait -1
	global_inv scope:SCOPE_SE
	v_cmpx_gt_u32_e32 32, v0
	s_cbranch_execz .LBB318_9
; %bb.8:
	v_and_b32_e32 v1, 7, v2
	s_delay_alu instid0(VALU_DEP_1)
	v_lshlrev_b32_e32 v3, 2, v1
	v_cmp_ne_u32_e32 vcc_lo, 7, v1
	ds_load_b32 v3, v3
	s_wait_alu 0xfffd
	v_add_co_ci_u32_e64 v4, null, 0, v2, vcc_lo
	v_cmp_gt_u32_e32 vcc_lo, 6, v1
	s_delay_alu instid0(VALU_DEP_2) | instskip(SKIP_2) | instid1(VALU_DEP_1)
	v_lshlrev_b32_e32 v4, 2, v4
	s_wait_alu 0xfffd
	v_cndmask_b32_e64 v1, 0, 2, vcc_lo
	v_add_lshl_u32 v1, v1, v2, 2
	v_lshlrev_b32_e32 v2, 2, v2
	s_delay_alu instid0(VALU_DEP_1)
	v_or_b32_e32 v2, 16, v2
	s_wait_dscnt 0x0
	ds_bpermute_b32 v4, v4, v3
	s_wait_dscnt 0x0
	v_add_nc_u32_e32 v3, v4, v3
	ds_bpermute_b32 v1, v1, v3
	s_wait_dscnt 0x0
	v_add_nc_u32_e32 v1, v1, v3
	;; [unrolled: 3-line block ×3, first 2 shown]
.LBB318_9:
	s_or_b32 exec_lo, exec_lo, s5
.LBB318_10:
	v_cmp_eq_u32_e64 s2, 0, v0
	s_and_b32 vcc_lo, exec_lo, s6
	s_wait_alu 0xfffe
	s_cbranch_vccnz .LBB318_24
.LBB318_11:
	s_branch .LBB318_512
.LBB318_12:
	s_mov_b32 s2, 0
                                        ; implicit-def: $vgpr1
	s_cbranch_execz .LBB318_623
	s_branch .LBB318_513
.LBB318_13:
	s_mov_b32 s2, 0
                                        ; implicit-def: $vgpr1
	s_cbranch_execz .LBB318_512
; %bb.14:
	s_cmp_gt_i32 s44, 31
	s_cbranch_scc0 .LBB318_31
; %bb.15:
	s_cmp_eq_u32 s44, 32
	s_cbranch_scc0 .LBB318_32
; %bb.16:
	s_mov_b32 s35, 0
	s_lshl_b32 s2, s34, 13
	s_mov_b32 s3, s35
	s_lshr_b64 s[4:5], s[36:37], 13
	s_lshl_b64 s[6:7], s[2:3], 1
	s_cmp_lg_u64 s[4:5], s[34:35]
	s_add_nc_u64 s[42:43], s[40:41], s[6:7]
	s_cbranch_scc0 .LBB318_296
; %bb.17:
	v_lshlrev_b32_e32 v1, 1, v0
	s_mov_b32 s3, exec_lo
	s_clause 0x1f
	global_load_u16 v2, v1, s[42:43]
	global_load_u16 v3, v1, s[42:43] offset:1024
	global_load_u16 v4, v1, s[42:43] offset:512
	;; [unrolled: 1-line block ×31, first 2 shown]
	s_wait_loadcnt 0x1f
	v_cmp_ne_u16_e32 vcc_lo, 0, v2
	v_cndmask_b32_e64 v2, 0, 1, vcc_lo
	s_wait_loadcnt 0x1e
	v_cmp_ne_u16_e32 vcc_lo, 0, v3
	s_wait_alu 0xfffd
	v_cndmask_b32_e64 v3, 0, 1, vcc_lo
	s_wait_loadcnt 0x1d
	v_cmp_ne_u16_e32 vcc_lo, 0, v4
	s_wait_alu 0xfffd
	v_add_co_ci_u32_e64 v2, null, 0, v2, vcc_lo
	s_wait_loadcnt 0x1c
	v_cmp_ne_u16_e32 vcc_lo, 0, v5
	s_wait_alu 0xfffd
	v_cndmask_b32_e64 v4, 0, 1, vcc_lo
	s_wait_loadcnt 0x1b
	v_cmp_ne_u16_e32 vcc_lo, 0, v6
	s_wait_alu 0xfffd
	v_add_co_ci_u32_e64 v2, null, v2, v3, vcc_lo
	;; [unrolled: 8-line block ×15, first 2 shown]
	s_wait_loadcnt 0x0
	v_cmp_ne_u16_e32 vcc_lo, 0, v1
	s_wait_alu 0xfffd
	s_delay_alu instid0(VALU_DEP_2) | instskip(NEXT) | instid1(VALU_DEP_1)
	v_add_co_ci_u32_e64 v1, null, v2, v3, vcc_lo
	v_mov_b32_dpp v2, v1 quad_perm:[1,0,3,2] row_mask:0xf bank_mask:0xf
	s_delay_alu instid0(VALU_DEP_1) | instskip(NEXT) | instid1(VALU_DEP_1)
	v_add_nc_u32_e32 v1, v1, v2
	v_mov_b32_dpp v2, v1 quad_perm:[2,3,0,1] row_mask:0xf bank_mask:0xf
	s_delay_alu instid0(VALU_DEP_1) | instskip(NEXT) | instid1(VALU_DEP_1)
	v_add_nc_u32_e32 v1, v1, v2
	v_mov_b32_dpp v2, v1 row_ror:4 row_mask:0xf bank_mask:0xf
	s_delay_alu instid0(VALU_DEP_1) | instskip(NEXT) | instid1(VALU_DEP_1)
	v_add_nc_u32_e32 v1, v1, v2
	v_mov_b32_dpp v2, v1 row_ror:8 row_mask:0xf bank_mask:0xf
	s_delay_alu instid0(VALU_DEP_1)
	v_add_nc_u32_e32 v1, v1, v2
	ds_swizzle_b32 v2, v1 offset:swizzle(BROADCAST,32,15)
	s_wait_dscnt 0x0
	v_dual_mov_b32 v2, 0 :: v_dual_add_nc_u32 v1, v1, v2
	ds_bpermute_b32 v1, v2, v1 offset:124
	v_mbcnt_lo_u32_b32 v2, -1, 0
	s_delay_alu instid0(VALU_DEP_1)
	v_cmpx_eq_u32_e32 0, v2
	s_cbranch_execz .LBB318_19
; %bb.18:
	v_lshrrev_b32_e32 v3, 3, v0
	s_delay_alu instid0(VALU_DEP_1)
	v_and_b32_e32 v3, 28, v3
	s_wait_dscnt 0x0
	ds_store_b32 v3, v1 offset:128
.LBB318_19:
	s_or_b32 exec_lo, exec_lo, s3
	s_delay_alu instid0(SALU_CYCLE_1)
	s_mov_b32 s3, exec_lo
	s_wait_dscnt 0x0
	s_barrier_signal -1
	s_barrier_wait -1
	global_inv scope:SCOPE_SE
	v_cmpx_gt_u32_e32 32, v0
	s_cbranch_execz .LBB318_21
; %bb.20:
	v_and_b32_e32 v1, 7, v2
	s_delay_alu instid0(VALU_DEP_1)
	v_lshlrev_b32_e32 v3, 2, v1
	v_cmp_ne_u32_e32 vcc_lo, 7, v1
	ds_load_b32 v3, v3 offset:128
	s_wait_alu 0xfffd
	v_add_co_ci_u32_e64 v4, null, 0, v2, vcc_lo
	v_cmp_gt_u32_e32 vcc_lo, 6, v1
	s_delay_alu instid0(VALU_DEP_2) | instskip(SKIP_2) | instid1(VALU_DEP_1)
	v_lshlrev_b32_e32 v4, 2, v4
	s_wait_alu 0xfffd
	v_cndmask_b32_e64 v1, 0, 2, vcc_lo
	v_add_lshl_u32 v1, v1, v2, 2
	v_lshlrev_b32_e32 v2, 2, v2
	s_delay_alu instid0(VALU_DEP_1)
	v_or_b32_e32 v2, 16, v2
	s_wait_dscnt 0x0
	ds_bpermute_b32 v4, v4, v3
	s_wait_dscnt 0x0
	v_add_nc_u32_e32 v3, v4, v3
	ds_bpermute_b32 v1, v1, v3
	s_wait_dscnt 0x0
	v_add_nc_u32_e32 v1, v1, v3
	;; [unrolled: 3-line block ×3, first 2 shown]
.LBB318_21:
	s_or_b32 exec_lo, exec_lo, s3
	s_mov_b32 s3, 0
	s_branch .LBB318_297
.LBB318_22:
	s_mov_b32 s6, -1
.LBB318_23:
	s_mov_b32 s2, 0
                                        ; implicit-def: $vgpr1
	s_and_b32 vcc_lo, exec_lo, s6
	s_cbranch_vccz .LBB318_11
.LBB318_24:
	s_cmp_eq_u32 s44, 64
	s_cbranch_scc0 .LBB318_33
; %bb.25:
	s_mov_b32 s35, 0
	s_lshl_b32 s4, s34, 14
	s_mov_b32 s5, s35
	s_lshr_b64 s[2:3], s[36:37], 14
	s_wait_alu 0xfffe
	s_lshl_b64 s[6:7], s[4:5], 1
	s_cmp_lg_u64 s[2:3], s[34:35]
	s_add_nc_u64 s[2:3], s[40:41], s[6:7]
	s_cbranch_scc0 .LBB318_376
; %bb.26:
	v_lshlrev_b32_e32 v1, 1, v0
	s_mov_b32 s5, exec_lo
	s_clause 0x1f
	global_load_u16 v2, v1, s[2:3]
	global_load_u16 v3, v1, s[2:3] offset:1024
	global_load_u16 v4, v1, s[2:3] offset:512
	;; [unrolled: 1-line block ×31, first 2 shown]
	s_clause 0x1f
	global_load_u16 v34, v1, s[2:3] offset:15872
	global_load_u16 v35, v1, s[2:3] offset:17408
	;; [unrolled: 1-line block ×32, first 2 shown]
	s_wait_loadcnt 0x3e
	v_cmp_ne_u16_e32 vcc_lo, 0, v2
	s_wait_alu 0xfffd
	v_cndmask_b32_e64 v2, 0, 1, vcc_lo
	v_cmp_ne_u16_e32 vcc_lo, 0, v3
	s_wait_alu 0xfffd
	v_cndmask_b32_e64 v3, 0, 1, vcc_lo
	s_wait_loadcnt 0x3d
	v_cmp_ne_u16_e32 vcc_lo, 0, v4
	s_wait_alu 0xfffd
	v_add_co_ci_u32_e64 v2, null, 0, v2, vcc_lo
	s_wait_loadcnt 0x3c
	v_cmp_ne_u16_e32 vcc_lo, 0, v5
	s_wait_alu 0xfffd
	v_cndmask_b32_e64 v4, 0, 1, vcc_lo
	s_wait_loadcnt 0x3b
	v_cmp_ne_u16_e32 vcc_lo, 0, v6
	s_wait_alu 0xfffd
	v_add_co_ci_u32_e64 v2, null, v2, v3, vcc_lo
	s_wait_loadcnt 0x3a
	v_cmp_ne_u16_e32 vcc_lo, 0, v7
	s_wait_alu 0xfffd
	v_cndmask_b32_e64 v3, 0, 1, vcc_lo
	s_wait_loadcnt 0x39
	v_cmp_ne_u16_e32 vcc_lo, 0, v8
	s_wait_alu 0xfffd
	v_add_co_ci_u32_e64 v2, null, v2, v4, vcc_lo
	s_wait_loadcnt 0x38
	v_cmp_ne_u16_e32 vcc_lo, 0, v9
	s_wait_alu 0xfffd
	v_cndmask_b32_e64 v4, 0, 1, vcc_lo
	s_wait_loadcnt 0x37
	v_cmp_ne_u16_e32 vcc_lo, 0, v10
	s_wait_alu 0xfffd
	v_add_co_ci_u32_e64 v2, null, v2, v3, vcc_lo
	s_wait_loadcnt 0x36
	v_cmp_ne_u16_e32 vcc_lo, 0, v11
	s_wait_alu 0xfffd
	v_cndmask_b32_e64 v3, 0, 1, vcc_lo
	s_wait_loadcnt 0x35
	v_cmp_ne_u16_e32 vcc_lo, 0, v12
	s_wait_alu 0xfffd
	v_add_co_ci_u32_e64 v2, null, v2, v4, vcc_lo
	s_wait_loadcnt 0x34
	v_cmp_ne_u16_e32 vcc_lo, 0, v13
	s_wait_alu 0xfffd
	v_cndmask_b32_e64 v4, 0, 1, vcc_lo
	s_wait_loadcnt 0x33
	v_cmp_ne_u16_e32 vcc_lo, 0, v14
	s_wait_alu 0xfffd
	v_add_co_ci_u32_e64 v2, null, v2, v3, vcc_lo
	s_wait_loadcnt 0x32
	v_cmp_ne_u16_e32 vcc_lo, 0, v15
	s_wait_alu 0xfffd
	v_cndmask_b32_e64 v3, 0, 1, vcc_lo
	s_wait_loadcnt 0x31
	v_cmp_ne_u16_e32 vcc_lo, 0, v16
	s_wait_alu 0xfffd
	v_add_co_ci_u32_e64 v2, null, v2, v4, vcc_lo
	s_wait_loadcnt 0x30
	v_cmp_ne_u16_e32 vcc_lo, 0, v17
	s_wait_alu 0xfffd
	v_cndmask_b32_e64 v4, 0, 1, vcc_lo
	s_wait_loadcnt 0x2f
	v_cmp_ne_u16_e32 vcc_lo, 0, v18
	s_wait_alu 0xfffd
	v_add_co_ci_u32_e64 v2, null, v2, v3, vcc_lo
	s_wait_loadcnt 0x2e
	v_cmp_ne_u16_e32 vcc_lo, 0, v19
	s_wait_alu 0xfffd
	v_cndmask_b32_e64 v3, 0, 1, vcc_lo
	s_wait_loadcnt 0x2d
	v_cmp_ne_u16_e32 vcc_lo, 0, v20
	s_wait_alu 0xfffd
	v_add_co_ci_u32_e64 v2, null, v2, v4, vcc_lo
	s_wait_loadcnt 0x2c
	v_cmp_ne_u16_e32 vcc_lo, 0, v21
	s_wait_alu 0xfffd
	v_cndmask_b32_e64 v4, 0, 1, vcc_lo
	s_wait_loadcnt 0x2b
	v_cmp_ne_u16_e32 vcc_lo, 0, v22
	s_wait_alu 0xfffd
	v_add_co_ci_u32_e64 v2, null, v2, v3, vcc_lo
	s_wait_loadcnt 0x2a
	v_cmp_ne_u16_e32 vcc_lo, 0, v23
	s_wait_alu 0xfffd
	v_cndmask_b32_e64 v3, 0, 1, vcc_lo
	s_wait_loadcnt 0x29
	v_cmp_ne_u16_e32 vcc_lo, 0, v24
	s_wait_alu 0xfffd
	v_add_co_ci_u32_e64 v2, null, v2, v4, vcc_lo
	s_wait_loadcnt 0x28
	v_cmp_ne_u16_e32 vcc_lo, 0, v25
	s_wait_alu 0xfffd
	v_cndmask_b32_e64 v4, 0, 1, vcc_lo
	s_wait_loadcnt 0x27
	v_cmp_ne_u16_e32 vcc_lo, 0, v26
	s_wait_alu 0xfffd
	v_add_co_ci_u32_e64 v2, null, v2, v3, vcc_lo
	s_wait_loadcnt 0x26
	v_cmp_ne_u16_e32 vcc_lo, 0, v27
	s_wait_alu 0xfffd
	v_cndmask_b32_e64 v3, 0, 1, vcc_lo
	s_wait_loadcnt 0x25
	v_cmp_ne_u16_e32 vcc_lo, 0, v28
	s_wait_alu 0xfffd
	v_add_co_ci_u32_e64 v2, null, v2, v4, vcc_lo
	s_wait_loadcnt 0x24
	v_cmp_ne_u16_e32 vcc_lo, 0, v29
	s_wait_alu 0xfffd
	v_cndmask_b32_e64 v4, 0, 1, vcc_lo
	s_wait_loadcnt 0x23
	v_cmp_ne_u16_e32 vcc_lo, 0, v30
	s_wait_alu 0xfffd
	v_add_co_ci_u32_e64 v2, null, v2, v3, vcc_lo
	s_wait_loadcnt 0x22
	v_cmp_ne_u16_e32 vcc_lo, 0, v31
	s_wait_alu 0xfffd
	v_cndmask_b32_e64 v3, 0, 1, vcc_lo
	s_wait_loadcnt 0x21
	v_cmp_ne_u16_e32 vcc_lo, 0, v32
	s_wait_alu 0xfffd
	v_add_co_ci_u32_e64 v2, null, v2, v4, vcc_lo
	s_wait_loadcnt 0x20
	v_cmp_ne_u16_e32 vcc_lo, 0, v33
	s_wait_alu 0xfffd
	v_cndmask_b32_e64 v4, 0, 1, vcc_lo
	s_wait_loadcnt 0x1f
	v_cmp_ne_u16_e32 vcc_lo, 0, v34
	s_wait_alu 0xfffd
	v_add_co_ci_u32_e64 v2, null, v2, v3, vcc_lo
	s_wait_loadcnt 0x1e
	v_cmp_ne_u16_e32 vcc_lo, 0, v35
	s_wait_alu 0xfffd
	v_cndmask_b32_e64 v3, 0, 1, vcc_lo
	s_wait_loadcnt 0x1d
	v_cmp_ne_u16_e32 vcc_lo, 0, v36
	s_wait_alu 0xfffd
	v_add_co_ci_u32_e64 v2, null, v2, v4, vcc_lo
	s_wait_loadcnt 0x1c
	v_cmp_ne_u16_e32 vcc_lo, 0, v37
	s_wait_alu 0xfffd
	v_cndmask_b32_e64 v4, 0, 1, vcc_lo
	s_wait_loadcnt 0x1b
	v_cmp_ne_u16_e32 vcc_lo, 0, v38
	s_wait_alu 0xfffd
	v_add_co_ci_u32_e64 v2, null, v2, v3, vcc_lo
	s_wait_loadcnt 0x1a
	v_cmp_ne_u16_e32 vcc_lo, 0, v39
	s_wait_alu 0xfffd
	v_cndmask_b32_e64 v3, 0, 1, vcc_lo
	s_wait_loadcnt 0x19
	v_cmp_ne_u16_e32 vcc_lo, 0, v40
	s_wait_alu 0xfffd
	v_add_co_ci_u32_e64 v2, null, v2, v4, vcc_lo
	s_wait_loadcnt 0x18
	v_cmp_ne_u16_e32 vcc_lo, 0, v41
	s_wait_alu 0xfffd
	v_cndmask_b32_e64 v4, 0, 1, vcc_lo
	s_wait_loadcnt 0x17
	v_cmp_ne_u16_e32 vcc_lo, 0, v42
	s_wait_alu 0xfffd
	v_add_co_ci_u32_e64 v2, null, v2, v3, vcc_lo
	s_wait_loadcnt 0x16
	v_cmp_ne_u16_e32 vcc_lo, 0, v43
	s_wait_alu 0xfffd
	v_cndmask_b32_e64 v3, 0, 1, vcc_lo
	s_wait_loadcnt 0x15
	v_cmp_ne_u16_e32 vcc_lo, 0, v44
	s_wait_alu 0xfffd
	v_add_co_ci_u32_e64 v2, null, v2, v4, vcc_lo
	s_wait_loadcnt 0x14
	v_cmp_ne_u16_e32 vcc_lo, 0, v45
	s_wait_alu 0xfffd
	v_cndmask_b32_e64 v4, 0, 1, vcc_lo
	s_wait_loadcnt 0x13
	v_cmp_ne_u16_e32 vcc_lo, 0, v46
	s_wait_alu 0xfffd
	v_add_co_ci_u32_e64 v2, null, v2, v3, vcc_lo
	s_wait_loadcnt 0x12
	v_cmp_ne_u16_e32 vcc_lo, 0, v47
	s_wait_alu 0xfffd
	v_cndmask_b32_e64 v3, 0, 1, vcc_lo
	s_wait_loadcnt 0x11
	v_cmp_ne_u16_e32 vcc_lo, 0, v48
	s_wait_alu 0xfffd
	v_add_co_ci_u32_e64 v2, null, v2, v4, vcc_lo
	s_wait_loadcnt 0x10
	v_cmp_ne_u16_e32 vcc_lo, 0, v49
	s_wait_alu 0xfffd
	v_cndmask_b32_e64 v4, 0, 1, vcc_lo
	s_wait_loadcnt 0xf
	v_cmp_ne_u16_e32 vcc_lo, 0, v50
	s_wait_alu 0xfffd
	v_add_co_ci_u32_e64 v2, null, v2, v3, vcc_lo
	s_wait_loadcnt 0xe
	v_cmp_ne_u16_e32 vcc_lo, 0, v51
	s_wait_alu 0xfffd
	v_cndmask_b32_e64 v3, 0, 1, vcc_lo
	s_wait_loadcnt 0xd
	v_cmp_ne_u16_e32 vcc_lo, 0, v52
	s_wait_alu 0xfffd
	v_add_co_ci_u32_e64 v2, null, v2, v4, vcc_lo
	s_wait_loadcnt 0xc
	v_cmp_ne_u16_e32 vcc_lo, 0, v53
	s_wait_alu 0xfffd
	v_cndmask_b32_e64 v4, 0, 1, vcc_lo
	s_wait_loadcnt 0xb
	v_cmp_ne_u16_e32 vcc_lo, 0, v54
	s_wait_alu 0xfffd
	v_add_co_ci_u32_e64 v2, null, v2, v3, vcc_lo
	s_wait_loadcnt 0xa
	v_cmp_ne_u16_e32 vcc_lo, 0, v55
	s_wait_alu 0xfffd
	v_cndmask_b32_e64 v3, 0, 1, vcc_lo
	s_wait_loadcnt 0x9
	v_cmp_ne_u16_e32 vcc_lo, 0, v56
	s_wait_alu 0xfffd
	v_add_co_ci_u32_e64 v2, null, v2, v4, vcc_lo
	s_wait_loadcnt 0x8
	v_cmp_ne_u16_e32 vcc_lo, 0, v57
	s_wait_alu 0xfffd
	v_cndmask_b32_e64 v4, 0, 1, vcc_lo
	s_wait_loadcnt 0x7
	v_cmp_ne_u16_e32 vcc_lo, 0, v58
	s_wait_alu 0xfffd
	v_add_co_ci_u32_e64 v2, null, v2, v3, vcc_lo
	s_wait_loadcnt 0x6
	v_cmp_ne_u16_e32 vcc_lo, 0, v59
	s_wait_alu 0xfffd
	v_cndmask_b32_e64 v3, 0, 1, vcc_lo
	s_wait_loadcnt 0x5
	v_cmp_ne_u16_e32 vcc_lo, 0, v60
	s_wait_alu 0xfffd
	v_add_co_ci_u32_e64 v2, null, v2, v4, vcc_lo
	s_wait_loadcnt 0x4
	v_cmp_ne_u16_e32 vcc_lo, 0, v61
	s_wait_alu 0xfffd
	v_cndmask_b32_e64 v4, 0, 1, vcc_lo
	s_wait_loadcnt 0x3
	v_cmp_ne_u16_e32 vcc_lo, 0, v62
	s_wait_alu 0xfffd
	v_add_co_ci_u32_e64 v2, null, v2, v3, vcc_lo
	s_wait_loadcnt 0x2
	v_cmp_ne_u16_e32 vcc_lo, 0, v63
	s_wait_alu 0xfffd
	v_cndmask_b32_e64 v3, 0, 1, vcc_lo
	s_wait_loadcnt 0x1
	v_cmp_ne_u16_e32 vcc_lo, 0, v64
	s_wait_alu 0xfffd
	v_add_co_ci_u32_e64 v2, null, v2, v4, vcc_lo
	s_wait_loadcnt 0x0
	v_cmp_ne_u16_e32 vcc_lo, 0, v1
	s_wait_alu 0xfffd
	s_delay_alu instid0(VALU_DEP_2) | instskip(NEXT) | instid1(VALU_DEP_1)
	v_add_co_ci_u32_e64 v1, null, v2, v3, vcc_lo
	v_mov_b32_dpp v2, v1 quad_perm:[1,0,3,2] row_mask:0xf bank_mask:0xf
	s_delay_alu instid0(VALU_DEP_1) | instskip(NEXT) | instid1(VALU_DEP_1)
	v_add_nc_u32_e32 v1, v1, v2
	v_mov_b32_dpp v2, v1 quad_perm:[2,3,0,1] row_mask:0xf bank_mask:0xf
	s_delay_alu instid0(VALU_DEP_1) | instskip(NEXT) | instid1(VALU_DEP_1)
	v_add_nc_u32_e32 v1, v1, v2
	v_mov_b32_dpp v2, v1 row_ror:4 row_mask:0xf bank_mask:0xf
	s_delay_alu instid0(VALU_DEP_1) | instskip(NEXT) | instid1(VALU_DEP_1)
	v_add_nc_u32_e32 v1, v1, v2
	v_mov_b32_dpp v2, v1 row_ror:8 row_mask:0xf bank_mask:0xf
	s_delay_alu instid0(VALU_DEP_1)
	v_add_nc_u32_e32 v1, v1, v2
	ds_swizzle_b32 v2, v1 offset:swizzle(BROADCAST,32,15)
	s_wait_dscnt 0x0
	v_dual_mov_b32 v2, 0 :: v_dual_add_nc_u32 v1, v1, v2
	ds_bpermute_b32 v1, v2, v1 offset:124
	v_mbcnt_lo_u32_b32 v2, -1, 0
	s_delay_alu instid0(VALU_DEP_1)
	v_cmpx_eq_u32_e32 0, v2
	s_cbranch_execz .LBB318_28
; %bb.27:
	v_lshrrev_b32_e32 v3, 3, v0
	s_delay_alu instid0(VALU_DEP_1)
	v_and_b32_e32 v3, 28, v3
	s_wait_dscnt 0x0
	ds_store_b32 v3, v1 offset:192
.LBB318_28:
	s_wait_alu 0xfffe
	s_or_b32 exec_lo, exec_lo, s5
	s_delay_alu instid0(SALU_CYCLE_1)
	s_mov_b32 s5, exec_lo
	s_wait_dscnt 0x0
	s_barrier_signal -1
	s_barrier_wait -1
	global_inv scope:SCOPE_SE
	v_cmpx_gt_u32_e32 32, v0
	s_cbranch_execz .LBB318_30
; %bb.29:
	v_and_b32_e32 v1, 7, v2
	s_delay_alu instid0(VALU_DEP_1)
	v_lshlrev_b32_e32 v3, 2, v1
	v_cmp_ne_u32_e32 vcc_lo, 7, v1
	ds_load_b32 v3, v3 offset:192
	s_wait_alu 0xfffd
	v_add_co_ci_u32_e64 v4, null, 0, v2, vcc_lo
	v_cmp_gt_u32_e32 vcc_lo, 6, v1
	s_delay_alu instid0(VALU_DEP_2) | instskip(SKIP_2) | instid1(VALU_DEP_1)
	v_lshlrev_b32_e32 v4, 2, v4
	s_wait_alu 0xfffd
	v_cndmask_b32_e64 v1, 0, 2, vcc_lo
	v_add_lshl_u32 v1, v1, v2, 2
	v_lshlrev_b32_e32 v2, 2, v2
	s_delay_alu instid0(VALU_DEP_1)
	v_or_b32_e32 v2, 16, v2
	s_wait_dscnt 0x0
	ds_bpermute_b32 v4, v4, v3
	s_wait_dscnt 0x0
	v_add_nc_u32_e32 v3, v4, v3
	ds_bpermute_b32 v1, v1, v3
	s_wait_dscnt 0x0
	v_add_nc_u32_e32 v1, v1, v3
	;; [unrolled: 3-line block ×3, first 2 shown]
.LBB318_30:
	s_wait_alu 0xfffe
	s_or_b32 exec_lo, exec_lo, s5
	s_mov_b32 s5, 0
	s_branch .LBB318_377
.LBB318_31:
                                        ; implicit-def: $vgpr1
	s_cbranch_execz .LBB318_512
	s_branch .LBB318_368
.LBB318_32:
                                        ; implicit-def: $vgpr1
	s_branch .LBB318_512
.LBB318_33:
                                        ; implicit-def: $vgpr1
	s_branch .LBB318_512
.LBB318_34:
                                        ; implicit-def: $vgpr1
	s_cbranch_execz .LBB318_10
; %bb.35:
	s_sub_co_i32 s4, s36, s4
	s_mov_b32 s5, exec_lo
                                        ; implicit-def: $vgpr1
	v_cmpx_gt_u32_e64 s4, v0
	s_cbranch_execz .LBB318_37
; %bb.36:
	v_lshlrev_b32_e32 v1, 1, v0
	global_load_u16 v1, v1, s[2:3]
	s_wait_loadcnt 0x0
	v_cmp_ne_u16_e32 vcc_lo, 0, v1
	v_cndmask_b32_e64 v1, 0, 1, vcc_lo
.LBB318_37:
	s_or_b32 exec_lo, exec_lo, s5
	v_or_b32_e32 v3, 0x100, v0
	v_mov_b32_e32 v2, 0
	s_delay_alu instid0(VALU_DEP_2)
	v_cmp_gt_u32_e32 vcc_lo, s4, v3
	v_mov_b32_e32 v3, 0
	s_and_saveexec_b32 s5, vcc_lo
	s_cbranch_execz .LBB318_39
; %bb.38:
	v_lshlrev_b32_e32 v3, 1, v0
	global_load_u16 v3, v3, s[2:3] offset:512
	s_wait_loadcnt 0x0
	v_cmp_ne_u16_e32 vcc_lo, 0, v3
	s_wait_alu 0xfffd
	v_cndmask_b32_e64 v3, 0, 1, vcc_lo
.LBB318_39:
	s_wait_alu 0xfffe
	s_or_b32 exec_lo, exec_lo, s5
	v_or_b32_e32 v4, 0x200, v0
	s_mov_b32 s5, exec_lo
	s_delay_alu instid0(VALU_DEP_1)
	v_cmpx_gt_u32_e64 s4, v4
	s_cbranch_execz .LBB318_41
; %bb.40:
	v_lshlrev_b32_e32 v2, 1, v0
	global_load_u16 v2, v2, s[2:3] offset:1024
	s_wait_loadcnt 0x0
	v_cmp_ne_u16_e32 vcc_lo, 0, v2
	s_wait_alu 0xfffd
	v_cndmask_b32_e64 v2, 0, 1, vcc_lo
.LBB318_41:
	s_wait_alu 0xfffe
	s_or_b32 exec_lo, exec_lo, s5
	v_or_b32_e32 v5, 0x300, v0
	v_mov_b32_e32 v4, 0
	s_delay_alu instid0(VALU_DEP_2)
	v_cmp_gt_u32_e32 vcc_lo, s4, v5
	v_mov_b32_e32 v5, 0
	s_and_saveexec_b32 s5, vcc_lo
	s_cbranch_execz .LBB318_43
; %bb.42:
	v_lshlrev_b32_e32 v5, 1, v0
	global_load_u16 v5, v5, s[2:3] offset:1536
	s_wait_loadcnt 0x0
	v_cmp_ne_u16_e32 vcc_lo, 0, v5
	s_wait_alu 0xfffd
	v_cndmask_b32_e64 v5, 0, 1, vcc_lo
.LBB318_43:
	s_wait_alu 0xfffe
	s_or_b32 exec_lo, exec_lo, s5
	v_or_b32_e32 v6, 0x400, v0
	s_mov_b32 s5, exec_lo
	s_delay_alu instid0(VALU_DEP_1)
	v_cmpx_gt_u32_e64 s4, v6
	s_cbranch_execz .LBB318_45
; %bb.44:
	v_lshlrev_b32_e32 v4, 1, v0
	global_load_u16 v4, v4, s[2:3] offset:2048
	s_wait_loadcnt 0x0
	v_cmp_ne_u16_e32 vcc_lo, 0, v4
	s_wait_alu 0xfffd
	v_cndmask_b32_e64 v4, 0, 1, vcc_lo
.LBB318_45:
	s_wait_alu 0xfffe
	;; [unrolled: 32-line block ×63, first 2 shown]
	s_or_b32 exec_lo, exec_lo, s5
	v_or_b32_e32 v128, 0x7f00, v0
	s_delay_alu instid0(VALU_DEP_1)
	v_cmp_gt_u32_e32 vcc_lo, s4, v128
	v_mov_b32_e32 v128, 0
	s_and_saveexec_b32 s5, vcc_lo
	s_cbranch_execz .LBB318_291
; %bb.290:
	v_lshlrev_b32_e32 v128, 1, v0
	global_load_u16 v128, v128, s[2:3] offset:65024
	s_wait_loadcnt 0x0
	v_cmp_ne_u16_e64 vcc_lo, 0, v128
	s_wait_alu 0xfffd
	s_delay_alu instid0(VALU_DEP_1)
	v_cndmask_b32_e64 v128, 0, 1, vcc_lo
.LBB318_291:
	s_wait_alu 0xfffe
	s_or_b32 exec_lo, exec_lo, s5
	v_add_nc_u32_e32 v1, v3, v1
	s_min_u32 s2, s4, 0x100
	s_mov_b32 s3, exec_lo
	s_delay_alu instid0(VALU_DEP_1) | instskip(SKIP_1) | instid1(VALU_DEP_2)
	v_add3_u32 v1, v1, v2, v5
	v_mbcnt_lo_u32_b32 v2, -1, 0
	v_add3_u32 v1, v1, v4, v7
	s_delay_alu instid0(VALU_DEP_2) | instskip(SKIP_1) | instid1(VALU_DEP_3)
	v_cmp_ne_u32_e32 vcc_lo, 31, v2
	v_add_nc_u32_e32 v5, 1, v2
	v_add3_u32 v1, v1, v6, v9
	s_wait_alu 0xfffd
	v_add_co_ci_u32_e64 v3, null, 0, v2, vcc_lo
	v_cmp_gt_u32_e32 vcc_lo, 30, v2
	s_delay_alu instid0(VALU_DEP_3) | instskip(NEXT) | instid1(VALU_DEP_3)
	v_add3_u32 v1, v1, v8, v11
	v_lshlrev_b32_e32 v3, 2, v3
	s_wait_alu 0xfffd
	v_cndmask_b32_e64 v6, 0, 2, vcc_lo
	s_delay_alu instid0(VALU_DEP_3) | instskip(NEXT) | instid1(VALU_DEP_1)
	v_add3_u32 v1, v1, v10, v13
	v_add3_u32 v1, v1, v12, v15
	s_delay_alu instid0(VALU_DEP_1) | instskip(NEXT) | instid1(VALU_DEP_1)
	v_add3_u32 v1, v1, v14, v17
	v_add3_u32 v1, v1, v16, v19
	s_delay_alu instid0(VALU_DEP_1) | instskip(NEXT) | instid1(VALU_DEP_1)
	v_add3_u32 v1, v1, v18, v21
	v_add3_u32 v1, v1, v20, v23
	s_delay_alu instid0(VALU_DEP_1) | instskip(NEXT) | instid1(VALU_DEP_1)
	v_add3_u32 v1, v1, v22, v25
	v_add3_u32 v1, v1, v24, v27
	s_delay_alu instid0(VALU_DEP_1) | instskip(NEXT) | instid1(VALU_DEP_1)
	v_add3_u32 v1, v1, v26, v29
	v_add3_u32 v1, v1, v28, v31
	s_delay_alu instid0(VALU_DEP_1) | instskip(NEXT) | instid1(VALU_DEP_1)
	v_add3_u32 v1, v1, v30, v33
	v_add3_u32 v1, v1, v32, v35
	s_delay_alu instid0(VALU_DEP_1) | instskip(NEXT) | instid1(VALU_DEP_1)
	v_add3_u32 v1, v1, v34, v37
	v_add3_u32 v1, v1, v36, v39
	s_delay_alu instid0(VALU_DEP_1) | instskip(NEXT) | instid1(VALU_DEP_1)
	v_add3_u32 v1, v1, v38, v41
	v_add3_u32 v1, v1, v40, v43
	s_delay_alu instid0(VALU_DEP_1) | instskip(NEXT) | instid1(VALU_DEP_1)
	v_add3_u32 v1, v1, v42, v45
	v_add3_u32 v1, v1, v44, v47
	s_delay_alu instid0(VALU_DEP_1) | instskip(NEXT) | instid1(VALU_DEP_1)
	v_add3_u32 v1, v1, v46, v49
	v_add3_u32 v1, v1, v48, v51
	s_delay_alu instid0(VALU_DEP_1) | instskip(NEXT) | instid1(VALU_DEP_1)
	v_add3_u32 v1, v1, v50, v53
	v_add3_u32 v1, v1, v52, v55
	s_delay_alu instid0(VALU_DEP_1) | instskip(NEXT) | instid1(VALU_DEP_1)
	v_add3_u32 v1, v1, v54, v57
	v_add3_u32 v1, v1, v56, v59
	s_delay_alu instid0(VALU_DEP_1) | instskip(NEXT) | instid1(VALU_DEP_1)
	v_add3_u32 v1, v1, v58, v61
	v_add3_u32 v1, v1, v60, v63
	s_delay_alu instid0(VALU_DEP_1) | instskip(NEXT) | instid1(VALU_DEP_1)
	v_add3_u32 v1, v1, v62, v65
	v_add3_u32 v1, v1, v64, v67
	s_delay_alu instid0(VALU_DEP_1) | instskip(NEXT) | instid1(VALU_DEP_1)
	v_add3_u32 v1, v1, v66, v69
	v_add3_u32 v1, v1, v68, v71
	s_delay_alu instid0(VALU_DEP_1) | instskip(NEXT) | instid1(VALU_DEP_1)
	v_add3_u32 v1, v1, v70, v73
	v_add3_u32 v1, v1, v72, v75
	s_delay_alu instid0(VALU_DEP_1) | instskip(NEXT) | instid1(VALU_DEP_1)
	v_add3_u32 v1, v1, v74, v77
	v_add3_u32 v1, v1, v76, v79
	s_delay_alu instid0(VALU_DEP_1) | instskip(NEXT) | instid1(VALU_DEP_1)
	v_add3_u32 v1, v1, v78, v81
	v_add3_u32 v1, v1, v80, v83
	s_delay_alu instid0(VALU_DEP_1) | instskip(NEXT) | instid1(VALU_DEP_1)
	v_add3_u32 v1, v1, v82, v85
	v_add3_u32 v1, v1, v84, v87
	s_delay_alu instid0(VALU_DEP_1) | instskip(NEXT) | instid1(VALU_DEP_1)
	v_add3_u32 v1, v1, v86, v89
	v_add3_u32 v1, v1, v88, v91
	s_delay_alu instid0(VALU_DEP_1) | instskip(NEXT) | instid1(VALU_DEP_1)
	v_add3_u32 v1, v1, v90, v93
	v_add3_u32 v1, v1, v92, v95
	s_delay_alu instid0(VALU_DEP_1) | instskip(NEXT) | instid1(VALU_DEP_1)
	v_add3_u32 v1, v1, v94, v97
	v_add3_u32 v1, v1, v96, v99
	s_delay_alu instid0(VALU_DEP_1) | instskip(NEXT) | instid1(VALU_DEP_1)
	v_add3_u32 v1, v1, v98, v101
	v_add3_u32 v1, v1, v100, v103
	s_delay_alu instid0(VALU_DEP_1) | instskip(NEXT) | instid1(VALU_DEP_1)
	v_add3_u32 v1, v1, v102, v105
	v_add3_u32 v1, v1, v104, v107
	s_delay_alu instid0(VALU_DEP_1) | instskip(NEXT) | instid1(VALU_DEP_1)
	v_add3_u32 v1, v1, v106, v109
	v_add3_u32 v1, v1, v108, v111
	s_delay_alu instid0(VALU_DEP_1) | instskip(NEXT) | instid1(VALU_DEP_1)
	v_add3_u32 v1, v1, v110, v113
	v_add3_u32 v1, v1, v112, v115
	s_delay_alu instid0(VALU_DEP_1) | instskip(NEXT) | instid1(VALU_DEP_1)
	v_add3_u32 v1, v1, v114, v117
	v_add3_u32 v1, v1, v116, v119
	s_delay_alu instid0(VALU_DEP_1) | instskip(NEXT) | instid1(VALU_DEP_1)
	v_add3_u32 v1, v1, v118, v121
	v_add3_u32 v1, v1, v120, v123
	s_delay_alu instid0(VALU_DEP_1) | instskip(NEXT) | instid1(VALU_DEP_1)
	v_add3_u32 v1, v1, v122, v125
	v_add3_u32 v1, v1, v124, v127
	s_delay_alu instid0(VALU_DEP_1) | instskip(SKIP_2) | instid1(VALU_DEP_1)
	v_add3_u32 v1, v1, v126, v128
	ds_bpermute_b32 v3, v3, v1
	v_and_b32_e32 v4, 0xe0, v0
	v_sub_nc_u32_e64 v4, s2, v4 clamp
	s_delay_alu instid0(VALU_DEP_1)
	v_cmp_lt_u32_e32 vcc_lo, v5, v4
	v_add_lshl_u32 v5, v6, v2, 2
	s_wait_dscnt 0x0
	s_wait_alu 0xfffd
	v_cndmask_b32_e32 v3, 0, v3, vcc_lo
	v_cmp_gt_u32_e32 vcc_lo, 28, v2
	s_delay_alu instid0(VALU_DEP_2) | instskip(SKIP_4) | instid1(VALU_DEP_1)
	v_add_nc_u32_e32 v1, v3, v1
	s_wait_alu 0xfffd
	v_cndmask_b32_e64 v6, 0, 4, vcc_lo
	ds_bpermute_b32 v3, v5, v1
	v_add_nc_u32_e32 v5, 2, v2
	v_cmp_lt_u32_e32 vcc_lo, v5, v4
	v_add_lshl_u32 v5, v6, v2, 2
	s_wait_dscnt 0x0
	s_wait_alu 0xfffd
	v_cndmask_b32_e32 v3, 0, v3, vcc_lo
	v_cmp_gt_u32_e32 vcc_lo, 24, v2
	s_delay_alu instid0(VALU_DEP_2) | instskip(SKIP_4) | instid1(VALU_DEP_1)
	v_add_nc_u32_e32 v1, v1, v3
	s_wait_alu 0xfffd
	v_cndmask_b32_e64 v6, 0, 8, vcc_lo
	ds_bpermute_b32 v3, v5, v1
	v_add_nc_u32_e32 v5, 4, v2
	v_cmp_lt_u32_e32 vcc_lo, v5, v4
	v_add_lshl_u32 v5, v6, v2, 2
	s_wait_dscnt 0x0
	s_wait_alu 0xfffd
	v_dual_cndmask_b32 v3, 0, v3 :: v_dual_add_nc_u32 v6, 8, v2
	s_delay_alu instid0(VALU_DEP_1) | instskip(NEXT) | instid1(VALU_DEP_2)
	v_cmp_lt_u32_e32 vcc_lo, v6, v4
	v_add_nc_u32_e32 v1, v1, v3
	v_lshlrev_b32_e32 v3, 2, v2
	ds_bpermute_b32 v5, v5, v1
	v_or_b32_e32 v6, 64, v3
	s_wait_dscnt 0x0
	s_wait_alu 0xfffd
	v_cndmask_b32_e32 v5, 0, v5, vcc_lo
	s_delay_alu instid0(VALU_DEP_1) | instskip(SKIP_2) | instid1(VALU_DEP_1)
	v_add_nc_u32_e32 v1, v1, v5
	ds_bpermute_b32 v5, v6, v1
	v_add_nc_u32_e32 v6, 16, v2
	v_cmp_lt_u32_e32 vcc_lo, v6, v4
	s_wait_dscnt 0x0
	s_wait_alu 0xfffd
	v_cndmask_b32_e32 v4, 0, v5, vcc_lo
	s_delay_alu instid0(VALU_DEP_1)
	v_add_nc_u32_e32 v1, v1, v4
	v_cmpx_eq_u32_e32 0, v2
; %bb.292:
	v_lshrrev_b32_e32 v4, 3, v0
	s_delay_alu instid0(VALU_DEP_1)
	v_and_b32_e32 v4, 28, v4
	ds_store_b32 v4, v1 offset:256
; %bb.293:
	s_or_b32 exec_lo, exec_lo, s3
	s_delay_alu instid0(SALU_CYCLE_1)
	s_mov_b32 s3, exec_lo
	s_wait_loadcnt_dscnt 0x0
	s_barrier_signal -1
	s_barrier_wait -1
	global_inv scope:SCOPE_SE
	v_cmpx_gt_u32_e32 8, v0
	s_cbranch_execz .LBB318_295
; %bb.294:
	ds_load_b32 v1, v3 offset:256
	v_and_b32_e32 v4, 7, v2
	s_add_co_i32 s2, s2, 31
	s_wait_alu 0xfffe
	s_lshr_b32 s2, s2, 5
	s_delay_alu instid0(VALU_DEP_1) | instskip(SKIP_4) | instid1(VALU_DEP_2)
	v_cmp_ne_u32_e32 vcc_lo, 7, v4
	v_add_nc_u32_e32 v6, 1, v4
	s_wait_alu 0xfffd
	v_add_co_ci_u32_e64 v5, null, 0, v2, vcc_lo
	v_cmp_gt_u32_e32 vcc_lo, 6, v4
	v_lshlrev_b32_e32 v5, 2, v5
	s_wait_alu 0xfffd
	v_cndmask_b32_e64 v7, 0, 2, vcc_lo
	s_wait_alu 0xfffe
	v_cmp_gt_u32_e32 vcc_lo, s2, v6
	s_wait_dscnt 0x0
	ds_bpermute_b32 v5, v5, v1
	v_add_lshl_u32 v2, v7, v2, 2
	s_wait_dscnt 0x0
	s_wait_alu 0xfffd
	v_cndmask_b32_e32 v5, 0, v5, vcc_lo
	s_delay_alu instid0(VALU_DEP_1)
	v_add_nc_u32_e32 v1, v5, v1
	v_add_nc_u32_e32 v5, 2, v4
	ds_bpermute_b32 v2, v2, v1
	v_cmp_gt_u32_e32 vcc_lo, s2, v5
	s_wait_dscnt 0x0
	s_wait_alu 0xfffd
	v_cndmask_b32_e32 v2, 0, v2, vcc_lo
	s_delay_alu instid0(VALU_DEP_1)
	v_add_nc_u32_e32 v1, v1, v2
	v_or_b32_e32 v2, 16, v3
	v_add_nc_u32_e32 v3, 4, v4
	ds_bpermute_b32 v2, v2, v1
	v_cmp_gt_u32_e32 vcc_lo, s2, v3
	s_wait_dscnt 0x0
	s_wait_alu 0xfffd
	v_cndmask_b32_e32 v2, 0, v2, vcc_lo
	s_delay_alu instid0(VALU_DEP_1)
	v_add_nc_u32_e32 v1, v1, v2
.LBB318_295:
	s_wait_alu 0xfffe
	s_or_b32 exec_lo, exec_lo, s3
	v_cmp_eq_u32_e64 s2, 0, v0
	s_and_b32 vcc_lo, exec_lo, s6
	s_wait_alu 0xfffe
	s_cbranch_vccnz .LBB318_24
	s_branch .LBB318_11
.LBB318_296:
	s_mov_b32 s3, -1
                                        ; implicit-def: $vgpr1
.LBB318_297:
	s_delay_alu instid0(SALU_CYCLE_1)
	s_and_b32 vcc_lo, exec_lo, s3
	s_wait_alu 0xfffe
	s_cbranch_vccz .LBB318_367
; %bb.298:
	v_mov_b32_e32 v1, 0
	s_sub_co_i32 s45, s36, s2
	s_delay_alu instid0(SALU_CYCLE_1) | instskip(NEXT) | instid1(VALU_DEP_2)
	v_cmp_gt_u32_e32 vcc_lo, s45, v0
	v_dual_mov_b32 v2, v1 :: v_dual_mov_b32 v3, v1
	v_dual_mov_b32 v4, v1 :: v_dual_mov_b32 v5, v1
	;; [unrolled: 1-line block ×15, first 2 shown]
	v_mov_b32_e32 v32, v1
	s_and_saveexec_b32 s2, vcc_lo
	s_cbranch_execz .LBB318_300
; %bb.299:
	v_dual_mov_b32 v3, v1 :: v_dual_lshlrev_b32 v2, 1, v0
	v_dual_mov_b32 v32, v1 :: v_dual_mov_b32 v33, v1
	v_dual_mov_b32 v4, v1 :: v_dual_mov_b32 v5, v1
	global_load_u16 v2, v2, s[42:43]
	v_dual_mov_b32 v6, v1 :: v_dual_mov_b32 v7, v1
	v_dual_mov_b32 v8, v1 :: v_dual_mov_b32 v9, v1
	;; [unrolled: 1-line block ×13, first 2 shown]
	s_wait_loadcnt 0x0
	v_cmp_ne_u16_e32 vcc_lo, 0, v2
	s_wait_alu 0xfffd
	v_cndmask_b32_e64 v2, 0, 1, vcc_lo
	s_delay_alu instid0(VALU_DEP_1)
	v_mov_b32_e32 v1, v2
	v_mov_b32_e32 v2, v3
	;; [unrolled: 1-line block ×32, first 2 shown]
.LBB318_300:
	s_or_b32 exec_lo, exec_lo, s2
	v_or_b32_e32 v33, 0x100, v0
	s_delay_alu instid0(VALU_DEP_1)
	v_cmp_gt_u32_e32 vcc_lo, s45, v33
	s_and_saveexec_b32 s3, vcc_lo
	s_cbranch_execz .LBB318_302
; %bb.301:
	v_lshlrev_b32_e32 v2, 1, v0
	global_load_u16 v2, v2, s[42:43] offset:512
	s_wait_loadcnt 0x0
	v_cmp_ne_u16_e64 s2, 0, v2
	s_delay_alu instid0(VALU_DEP_1)
	v_cndmask_b32_e64 v2, 0, 1, s2
.LBB318_302:
	s_or_b32 exec_lo, exec_lo, s3
	v_or_b32_e32 v33, 0x200, v0
	s_delay_alu instid0(VALU_DEP_1)
	v_cmp_gt_u32_e64 s2, s45, v33
	s_and_saveexec_b32 s4, s2
	s_cbranch_execz .LBB318_304
; %bb.303:
	v_lshlrev_b32_e32 v3, 1, v0
	global_load_u16 v3, v3, s[42:43] offset:1024
	s_wait_loadcnt 0x0
	v_cmp_ne_u16_e64 s3, 0, v3
	s_wait_alu 0xf1ff
	s_delay_alu instid0(VALU_DEP_1)
	v_cndmask_b32_e64 v3, 0, 1, s3
.LBB318_304:
	s_or_b32 exec_lo, exec_lo, s4
	v_or_b32_e32 v33, 0x300, v0
	s_delay_alu instid0(VALU_DEP_1)
	v_cmp_gt_u32_e64 s3, s45, v33
	s_and_saveexec_b32 s5, s3
	s_cbranch_execz .LBB318_306
; %bb.305:
	v_lshlrev_b32_e32 v4, 1, v0
	global_load_u16 v4, v4, s[42:43] offset:1536
	s_wait_loadcnt 0x0
	v_cmp_ne_u16_e64 s4, 0, v4
	s_delay_alu instid0(VALU_DEP_1)
	v_cndmask_b32_e64 v4, 0, 1, s4
.LBB318_306:
	s_or_b32 exec_lo, exec_lo, s5
	v_or_b32_e32 v33, 0x400, v0
	s_delay_alu instid0(VALU_DEP_1)
	v_cmp_gt_u32_e64 s4, s45, v33
	s_and_saveexec_b32 s6, s4
	s_cbranch_execz .LBB318_308
; %bb.307:
	v_lshlrev_b32_e32 v5, 1, v0
	global_load_u16 v5, v5, s[42:43] offset:2048
	s_wait_loadcnt 0x0
	v_cmp_ne_u16_e64 s5, 0, v5
	s_wait_alu 0xf1ff
	s_delay_alu instid0(VALU_DEP_1)
	v_cndmask_b32_e64 v5, 0, 1, s5
.LBB318_308:
	s_or_b32 exec_lo, exec_lo, s6
	v_or_b32_e32 v33, 0x500, v0
	s_delay_alu instid0(VALU_DEP_1)
	v_cmp_gt_u32_e64 s5, s45, v33
	s_and_saveexec_b32 s7, s5
	;; [unrolled: 29-line block ×15, first 2 shown]
	s_cbranch_execz .LBB318_362
; %bb.361:
	v_lshlrev_b32_e32 v32, 1, v0
	global_load_u16 v32, v32, s[42:43] offset:15872
	s_wait_loadcnt 0x0
	v_cmp_ne_u16_e64 s33, 0, v32
	s_delay_alu instid0(VALU_DEP_1)
	v_cndmask_b32_e64 v32, 0, 1, s33
.LBB318_362:
	s_or_b32 exec_lo, exec_lo, s46
	v_cndmask_b32_e32 v2, 0, v2, vcc_lo
	v_cndmask_b32_e64 v3, 0, v3, s2
	v_cndmask_b32_e64 v4, 0, v4, s3
	s_min_u32 s2, s45, 0x100
	s_mov_b32 s3, exec_lo
	v_add_nc_u32_e32 v1, v2, v1
	v_cndmask_b32_e64 v2, 0, v5, s4
	v_cndmask_b32_e64 v5, 0, v6, s5
	;; [unrolled: 1-line block ×3, first 2 shown]
	s_delay_alu instid0(VALU_DEP_4) | instskip(SKIP_3) | instid1(VALU_DEP_4)
	v_add3_u32 v1, v1, v3, v4
	v_cndmask_b32_e64 v3, 0, v7, s6
	v_cndmask_b32_e64 v4, 0, v8, s7
	;; [unrolled: 1-line block ×3, first 2 shown]
	v_add3_u32 v1, v1, v2, v5
	v_cndmask_b32_e64 v2, 0, v9, s8
	v_cndmask_b32_e64 v5, 0, v10, s9
	s_delay_alu instid0(VALU_DEP_3) | instskip(SKIP_2) | instid1(VALU_DEP_3)
	v_add3_u32 v1, v1, v3, v4
	v_cndmask_b32_e64 v3, 0, v11, s10
	v_cndmask_b32_e64 v4, 0, v12, s11
	v_add3_u32 v1, v1, v2, v5
	v_cndmask_b32_e64 v2, 0, v13, s12
	v_cndmask_b32_e64 v5, 0, v14, s13
	s_delay_alu instid0(VALU_DEP_3) | instskip(SKIP_2) | instid1(VALU_DEP_3)
	v_add3_u32 v1, v1, v3, v4
	v_cndmask_b32_e64 v3, 0, v15, s14
	v_cndmask_b32_e64 v4, 0, v16, s15
	;; [unrolled: 7-line block ×5, first 2 shown]
	v_add3_u32 v1, v1, v2, v5
	v_mbcnt_lo_u32_b32 v2, -1, 0
	v_cndmask_b32_e64 v5, 0, v29, s28
	s_delay_alu instid0(VALU_DEP_3) | instskip(NEXT) | instid1(VALU_DEP_3)
	v_add3_u32 v1, v1, v3, v4
	v_cmp_ne_u32_e32 vcc_lo, 31, v2
	v_cndmask_b32_e64 v3, 0, v32, s31
	s_delay_alu instid0(VALU_DEP_3)
	v_add3_u32 v1, v1, v5, v6
	s_wait_alu 0xfffd
	v_add_co_ci_u32_e64 v4, null, 0, v2, vcc_lo
	v_add_nc_u32_e32 v5, 1, v2
	v_cmp_gt_u32_e32 vcc_lo, 30, v2
	v_add3_u32 v1, v1, v7, v3
	s_delay_alu instid0(VALU_DEP_4)
	v_lshlrev_b32_e32 v4, 2, v4
	s_wait_alu 0xfffd
	v_cndmask_b32_e64 v6, 0, 2, vcc_lo
	ds_bpermute_b32 v3, v4, v1
	v_and_b32_e32 v4, 0xe0, v0
	s_wait_alu 0xfffe
	s_delay_alu instid0(VALU_DEP_1) | instskip(NEXT) | instid1(VALU_DEP_1)
	v_sub_nc_u32_e64 v4, s2, v4 clamp
	v_cmp_lt_u32_e32 vcc_lo, v5, v4
	v_add_lshl_u32 v5, v6, v2, 2
	s_wait_dscnt 0x0
	s_wait_alu 0xfffd
	v_cndmask_b32_e32 v3, 0, v3, vcc_lo
	v_cmp_gt_u32_e32 vcc_lo, 28, v2
	s_delay_alu instid0(VALU_DEP_2) | instskip(SKIP_4) | instid1(VALU_DEP_1)
	v_add_nc_u32_e32 v1, v1, v3
	s_wait_alu 0xfffd
	v_cndmask_b32_e64 v6, 0, 4, vcc_lo
	ds_bpermute_b32 v3, v5, v1
	v_add_nc_u32_e32 v5, 2, v2
	v_cmp_lt_u32_e32 vcc_lo, v5, v4
	v_add_lshl_u32 v5, v6, v2, 2
	s_wait_dscnt 0x0
	s_wait_alu 0xfffd
	v_cndmask_b32_e32 v3, 0, v3, vcc_lo
	v_cmp_gt_u32_e32 vcc_lo, 24, v2
	s_delay_alu instid0(VALU_DEP_2) | instskip(SKIP_4) | instid1(VALU_DEP_1)
	v_add_nc_u32_e32 v1, v1, v3
	s_wait_alu 0xfffd
	v_cndmask_b32_e64 v6, 0, 8, vcc_lo
	ds_bpermute_b32 v3, v5, v1
	v_add_nc_u32_e32 v5, 4, v2
	v_cmp_lt_u32_e32 vcc_lo, v5, v4
	v_add_lshl_u32 v5, v6, v2, 2
	s_wait_dscnt 0x0
	s_wait_alu 0xfffd
	v_cndmask_b32_e32 v3, 0, v3, vcc_lo
	s_delay_alu instid0(VALU_DEP_1) | instskip(SKIP_3) | instid1(VALU_DEP_1)
	v_add_nc_u32_e32 v1, v1, v3
	v_lshlrev_b32_e32 v3, 2, v2
	ds_bpermute_b32 v5, v5, v1
	v_add_nc_u32_e32 v6, 8, v2
	v_cmp_lt_u32_e32 vcc_lo, v6, v4
	v_or_b32_e32 v6, 64, v3
	s_wait_dscnt 0x0
	s_wait_alu 0xfffd
	v_cndmask_b32_e32 v5, 0, v5, vcc_lo
	s_delay_alu instid0(VALU_DEP_1) | instskip(SKIP_2) | instid1(VALU_DEP_1)
	v_add_nc_u32_e32 v1, v1, v5
	ds_bpermute_b32 v5, v6, v1
	v_add_nc_u32_e32 v6, 16, v2
	v_cmp_lt_u32_e32 vcc_lo, v6, v4
	s_wait_dscnt 0x0
	s_wait_alu 0xfffd
	v_cndmask_b32_e32 v4, 0, v5, vcc_lo
	s_delay_alu instid0(VALU_DEP_1)
	v_add_nc_u32_e32 v1, v1, v4
	v_cmpx_eq_u32_e32 0, v2
; %bb.363:
	v_lshrrev_b32_e32 v4, 3, v0
	s_delay_alu instid0(VALU_DEP_1)
	v_and_b32_e32 v4, 28, v4
	ds_store_b32 v4, v1 offset:256
; %bb.364:
	s_or_b32 exec_lo, exec_lo, s3
	s_delay_alu instid0(SALU_CYCLE_1)
	s_mov_b32 s3, exec_lo
	s_wait_loadcnt_dscnt 0x0
	s_barrier_signal -1
	s_barrier_wait -1
	global_inv scope:SCOPE_SE
	v_cmpx_gt_u32_e32 8, v0
	s_cbranch_execz .LBB318_366
; %bb.365:
	ds_load_b32 v1, v3 offset:256
	v_and_b32_e32 v4, 7, v2
	s_add_co_i32 s2, s2, 31
	s_wait_alu 0xfffe
	s_lshr_b32 s2, s2, 5
	s_delay_alu instid0(VALU_DEP_1) | instskip(SKIP_4) | instid1(VALU_DEP_2)
	v_cmp_ne_u32_e32 vcc_lo, 7, v4
	v_add_nc_u32_e32 v6, 1, v4
	s_wait_alu 0xfffd
	v_add_co_ci_u32_e64 v5, null, 0, v2, vcc_lo
	v_cmp_gt_u32_e32 vcc_lo, 6, v4
	v_lshlrev_b32_e32 v5, 2, v5
	s_wait_alu 0xfffd
	v_cndmask_b32_e64 v7, 0, 2, vcc_lo
	s_wait_alu 0xfffe
	v_cmp_gt_u32_e32 vcc_lo, s2, v6
	s_wait_dscnt 0x0
	ds_bpermute_b32 v5, v5, v1
	v_add_lshl_u32 v2, v7, v2, 2
	s_wait_dscnt 0x0
	s_wait_alu 0xfffd
	v_cndmask_b32_e32 v5, 0, v5, vcc_lo
	s_delay_alu instid0(VALU_DEP_1)
	v_add_nc_u32_e32 v1, v5, v1
	v_add_nc_u32_e32 v5, 2, v4
	ds_bpermute_b32 v2, v2, v1
	v_cmp_gt_u32_e32 vcc_lo, s2, v5
	s_wait_dscnt 0x0
	s_wait_alu 0xfffd
	v_cndmask_b32_e32 v2, 0, v2, vcc_lo
	s_delay_alu instid0(VALU_DEP_1)
	v_add_nc_u32_e32 v1, v1, v2
	v_or_b32_e32 v2, 16, v3
	v_add_nc_u32_e32 v3, 4, v4
	ds_bpermute_b32 v2, v2, v1
	v_cmp_gt_u32_e32 vcc_lo, s2, v3
	s_wait_dscnt 0x0
	s_wait_alu 0xfffd
	v_cndmask_b32_e32 v2, 0, v2, vcc_lo
	s_delay_alu instid0(VALU_DEP_1)
	v_add_nc_u32_e32 v1, v1, v2
.LBB318_366:
	s_wait_alu 0xfffe
	s_or_b32 exec_lo, exec_lo, s3
.LBB318_367:
	v_cmp_eq_u32_e64 s2, 0, v0
	s_branch .LBB318_512
.LBB318_368:
	s_cmp_eq_u32 s44, 16
	s_cbranch_scc0 .LBB318_375
; %bb.369:
	s_mov_b32 s35, 0
	s_lshl_b32 s2, s34, 12
	s_mov_b32 s3, s35
	s_lshr_b64 s[4:5], s[36:37], 12
	s_lshl_b64 s[6:7], s[2:3], 1
	s_cmp_lg_u64 s[4:5], s[34:35]
	s_add_nc_u64 s[16:17], s[40:41], s[6:7]
	s_cbranch_scc0 .LBB318_533
; %bb.370:
	v_lshlrev_b32_e32 v1, 1, v0
	s_mov_b32 s3, exec_lo
	s_clause 0xf
	global_load_u16 v2, v1, s[16:17]
	global_load_u16 v3, v1, s[16:17] offset:1024
	global_load_u16 v4, v1, s[16:17] offset:512
	;; [unrolled: 1-line block ×15, first 2 shown]
	s_wait_loadcnt 0xf
	v_cmp_ne_u16_e32 vcc_lo, 0, v2
	v_cndmask_b32_e64 v2, 0, 1, vcc_lo
	s_wait_loadcnt 0xe
	v_cmp_ne_u16_e32 vcc_lo, 0, v3
	s_wait_alu 0xfffd
	v_cndmask_b32_e64 v3, 0, 1, vcc_lo
	s_wait_loadcnt 0xd
	v_cmp_ne_u16_e32 vcc_lo, 0, v4
	s_wait_alu 0xfffd
	v_add_co_ci_u32_e64 v2, null, 0, v2, vcc_lo
	s_wait_loadcnt 0xc
	v_cmp_ne_u16_e32 vcc_lo, 0, v5
	s_wait_alu 0xfffd
	v_cndmask_b32_e64 v4, 0, 1, vcc_lo
	s_wait_loadcnt 0xb
	v_cmp_ne_u16_e32 vcc_lo, 0, v6
	s_wait_alu 0xfffd
	v_add_co_ci_u32_e64 v2, null, v2, v3, vcc_lo
	;; [unrolled: 8-line block ×7, first 2 shown]
	s_wait_loadcnt 0x0
	v_cmp_ne_u16_e32 vcc_lo, 0, v1
	s_wait_alu 0xfffd
	s_delay_alu instid0(VALU_DEP_2) | instskip(NEXT) | instid1(VALU_DEP_1)
	v_add_co_ci_u32_e64 v1, null, v2, v3, vcc_lo
	v_mov_b32_dpp v2, v1 quad_perm:[1,0,3,2] row_mask:0xf bank_mask:0xf
	s_delay_alu instid0(VALU_DEP_1) | instskip(NEXT) | instid1(VALU_DEP_1)
	v_add_nc_u32_e32 v1, v1, v2
	v_mov_b32_dpp v2, v1 quad_perm:[2,3,0,1] row_mask:0xf bank_mask:0xf
	s_delay_alu instid0(VALU_DEP_1) | instskip(NEXT) | instid1(VALU_DEP_1)
	v_add_nc_u32_e32 v1, v1, v2
	v_mov_b32_dpp v2, v1 row_ror:4 row_mask:0xf bank_mask:0xf
	s_delay_alu instid0(VALU_DEP_1) | instskip(NEXT) | instid1(VALU_DEP_1)
	v_add_nc_u32_e32 v1, v1, v2
	v_mov_b32_dpp v2, v1 row_ror:8 row_mask:0xf bank_mask:0xf
	s_delay_alu instid0(VALU_DEP_1)
	v_add_nc_u32_e32 v1, v1, v2
	ds_swizzle_b32 v2, v1 offset:swizzle(BROADCAST,32,15)
	s_wait_dscnt 0x0
	v_dual_mov_b32 v2, 0 :: v_dual_add_nc_u32 v1, v1, v2
	ds_bpermute_b32 v1, v2, v1 offset:124
	v_mbcnt_lo_u32_b32 v2, -1, 0
	s_delay_alu instid0(VALU_DEP_1)
	v_cmpx_eq_u32_e32 0, v2
	s_cbranch_execz .LBB318_372
; %bb.371:
	v_lshrrev_b32_e32 v3, 3, v0
	s_delay_alu instid0(VALU_DEP_1)
	v_and_b32_e32 v3, 28, v3
	s_wait_dscnt 0x0
	ds_store_b32 v3, v1 offset:32
.LBB318_372:
	s_or_b32 exec_lo, exec_lo, s3
	s_delay_alu instid0(SALU_CYCLE_1)
	s_mov_b32 s3, exec_lo
	s_wait_dscnt 0x0
	s_barrier_signal -1
	s_barrier_wait -1
	global_inv scope:SCOPE_SE
	v_cmpx_gt_u32_e32 32, v0
	s_cbranch_execz .LBB318_374
; %bb.373:
	v_and_b32_e32 v1, 7, v2
	s_delay_alu instid0(VALU_DEP_1)
	v_lshlrev_b32_e32 v3, 2, v1
	v_cmp_ne_u32_e32 vcc_lo, 7, v1
	ds_load_b32 v3, v3 offset:32
	s_wait_alu 0xfffd
	v_add_co_ci_u32_e64 v4, null, 0, v2, vcc_lo
	v_cmp_gt_u32_e32 vcc_lo, 6, v1
	s_delay_alu instid0(VALU_DEP_2) | instskip(SKIP_2) | instid1(VALU_DEP_1)
	v_lshlrev_b32_e32 v4, 2, v4
	s_wait_alu 0xfffd
	v_cndmask_b32_e64 v1, 0, 2, vcc_lo
	v_add_lshl_u32 v1, v1, v2, 2
	v_lshlrev_b32_e32 v2, 2, v2
	s_delay_alu instid0(VALU_DEP_1)
	v_or_b32_e32 v2, 16, v2
	s_wait_dscnt 0x0
	ds_bpermute_b32 v4, v4, v3
	s_wait_dscnt 0x0
	v_add_nc_u32_e32 v3, v4, v3
	ds_bpermute_b32 v1, v1, v3
	s_wait_dscnt 0x0
	v_add_nc_u32_e32 v1, v1, v3
	;; [unrolled: 3-line block ×3, first 2 shown]
.LBB318_374:
	s_or_b32 exec_lo, exec_lo, s3
	s_mov_b32 s3, 0
	s_branch .LBB318_534
.LBB318_375:
                                        ; implicit-def: $vgpr1
	s_branch .LBB318_623
.LBB318_376:
	s_mov_b32 s5, -1
                                        ; implicit-def: $vgpr1
.LBB318_377:
	s_wait_alu 0xfffe
	s_and_b32 vcc_lo, exec_lo, s5
	s_wait_alu 0xfffe
	s_cbranch_vccz .LBB318_511
; %bb.378:
	s_sub_co_i32 s4, s36, s4
	s_mov_b32 s5, exec_lo
                                        ; implicit-def: $vgpr1
	s_wait_alu 0xfffe
	v_cmpx_gt_u32_e64 s4, v0
	s_cbranch_execz .LBB318_380
; %bb.379:
	v_lshlrev_b32_e32 v1, 1, v0
	global_load_u16 v1, v1, s[2:3]
	s_wait_loadcnt 0x0
	v_cmp_ne_u16_e32 vcc_lo, 0, v1
	s_wait_alu 0xfffd
	v_cndmask_b32_e64 v1, 0, 1, vcc_lo
.LBB318_380:
	s_or_b32 exec_lo, exec_lo, s5
	v_or_b32_e32 v3, 0x100, v0
	v_mov_b32_e32 v2, 0
	s_delay_alu instid0(VALU_DEP_2)
	v_cmp_gt_u32_e32 vcc_lo, s4, v3
	v_mov_b32_e32 v3, 0
	s_and_saveexec_b32 s5, vcc_lo
	s_cbranch_execz .LBB318_382
; %bb.381:
	v_lshlrev_b32_e32 v3, 1, v0
	global_load_u16 v3, v3, s[2:3] offset:512
	s_wait_loadcnt 0x0
	v_cmp_ne_u16_e32 vcc_lo, 0, v3
	s_wait_alu 0xfffd
	v_cndmask_b32_e64 v3, 0, 1, vcc_lo
.LBB318_382:
	s_wait_alu 0xfffe
	s_or_b32 exec_lo, exec_lo, s5
	v_or_b32_e32 v4, 0x200, v0
	s_mov_b32 s5, exec_lo
	s_delay_alu instid0(VALU_DEP_1)
	v_cmpx_gt_u32_e64 s4, v4
	s_cbranch_execz .LBB318_384
; %bb.383:
	v_lshlrev_b32_e32 v2, 1, v0
	global_load_u16 v2, v2, s[2:3] offset:1024
	s_wait_loadcnt 0x0
	v_cmp_ne_u16_e32 vcc_lo, 0, v2
	s_wait_alu 0xfffd
	v_cndmask_b32_e64 v2, 0, 1, vcc_lo
.LBB318_384:
	s_wait_alu 0xfffe
	s_or_b32 exec_lo, exec_lo, s5
	v_or_b32_e32 v5, 0x300, v0
	v_mov_b32_e32 v4, 0
	s_delay_alu instid0(VALU_DEP_2)
	v_cmp_gt_u32_e32 vcc_lo, s4, v5
	v_mov_b32_e32 v5, 0
	s_and_saveexec_b32 s5, vcc_lo
	s_cbranch_execz .LBB318_386
; %bb.385:
	v_lshlrev_b32_e32 v5, 1, v0
	global_load_u16 v5, v5, s[2:3] offset:1536
	s_wait_loadcnt 0x0
	v_cmp_ne_u16_e32 vcc_lo, 0, v5
	s_wait_alu 0xfffd
	v_cndmask_b32_e64 v5, 0, 1, vcc_lo
.LBB318_386:
	s_wait_alu 0xfffe
	s_or_b32 exec_lo, exec_lo, s5
	v_or_b32_e32 v6, 0x400, v0
	s_mov_b32 s5, exec_lo
	s_delay_alu instid0(VALU_DEP_1)
	v_cmpx_gt_u32_e64 s4, v6
	s_cbranch_execz .LBB318_388
; %bb.387:
	v_lshlrev_b32_e32 v4, 1, v0
	global_load_u16 v4, v4, s[2:3] offset:2048
	s_wait_loadcnt 0x0
	v_cmp_ne_u16_e32 vcc_lo, 0, v4
	s_wait_alu 0xfffd
	v_cndmask_b32_e64 v4, 0, 1, vcc_lo
.LBB318_388:
	s_wait_alu 0xfffe
	;; [unrolled: 32-line block ×31, first 2 shown]
	s_or_b32 exec_lo, exec_lo, s5
	v_or_b32_e32 v64, 0x3f00, v0
	s_delay_alu instid0(VALU_DEP_1)
	v_cmp_gt_u32_e32 vcc_lo, s4, v64
	v_mov_b32_e32 v64, 0
	s_and_saveexec_b32 s5, vcc_lo
	s_cbranch_execz .LBB318_506
; %bb.505:
	v_lshlrev_b32_e32 v64, 1, v0
	global_load_u16 v64, v64, s[2:3] offset:32256
	s_wait_loadcnt 0x0
	v_cmp_ne_u16_e32 vcc_lo, 0, v64
	s_wait_alu 0xfffd
	v_cndmask_b32_e64 v64, 0, 1, vcc_lo
.LBB318_506:
	s_wait_alu 0xfffe
	s_or_b32 exec_lo, exec_lo, s5
	v_add_nc_u32_e32 v1, v3, v1
	s_min_u32 s2, s4, 0x100
	s_mov_b32 s3, exec_lo
	s_delay_alu instid0(VALU_DEP_1) | instskip(SKIP_1) | instid1(VALU_DEP_2)
	v_add3_u32 v1, v1, v2, v5
	v_mbcnt_lo_u32_b32 v2, -1, 0
	v_add3_u32 v1, v1, v4, v7
	s_delay_alu instid0(VALU_DEP_2) | instskip(SKIP_1) | instid1(VALU_DEP_3)
	v_cmp_ne_u32_e32 vcc_lo, 31, v2
	v_add_nc_u32_e32 v5, 1, v2
	v_add3_u32 v1, v1, v6, v9
	s_wait_alu 0xfffd
	v_add_co_ci_u32_e64 v3, null, 0, v2, vcc_lo
	v_cmp_gt_u32_e32 vcc_lo, 30, v2
	s_delay_alu instid0(VALU_DEP_3) | instskip(NEXT) | instid1(VALU_DEP_3)
	v_add3_u32 v1, v1, v8, v11
	v_lshlrev_b32_e32 v3, 2, v3
	s_wait_alu 0xfffd
	v_cndmask_b32_e64 v6, 0, 2, vcc_lo
	s_delay_alu instid0(VALU_DEP_3) | instskip(NEXT) | instid1(VALU_DEP_1)
	v_add3_u32 v1, v1, v10, v13
	v_add3_u32 v1, v1, v12, v15
	s_delay_alu instid0(VALU_DEP_1) | instskip(NEXT) | instid1(VALU_DEP_1)
	v_add3_u32 v1, v1, v14, v17
	v_add3_u32 v1, v1, v16, v19
	s_delay_alu instid0(VALU_DEP_1) | instskip(NEXT) | instid1(VALU_DEP_1)
	;; [unrolled: 3-line block ×12, first 2 shown]
	v_add3_u32 v1, v1, v58, v61
	v_add3_u32 v1, v1, v60, v63
	s_delay_alu instid0(VALU_DEP_1) | instskip(SKIP_3) | instid1(VALU_DEP_1)
	v_add3_u32 v1, v1, v62, v64
	ds_bpermute_b32 v3, v3, v1
	v_and_b32_e32 v4, 0xe0, v0
	s_wait_alu 0xfffe
	v_sub_nc_u32_e64 v4, s2, v4 clamp
	s_delay_alu instid0(VALU_DEP_1)
	v_cmp_lt_u32_e32 vcc_lo, v5, v4
	v_add_lshl_u32 v5, v6, v2, 2
	s_wait_dscnt 0x0
	s_wait_alu 0xfffd
	v_cndmask_b32_e32 v3, 0, v3, vcc_lo
	v_cmp_gt_u32_e32 vcc_lo, 28, v2
	s_delay_alu instid0(VALU_DEP_2) | instskip(SKIP_4) | instid1(VALU_DEP_1)
	v_add_nc_u32_e32 v1, v3, v1
	s_wait_alu 0xfffd
	v_cndmask_b32_e64 v6, 0, 4, vcc_lo
	ds_bpermute_b32 v3, v5, v1
	v_add_nc_u32_e32 v5, 2, v2
	v_cmp_lt_u32_e32 vcc_lo, v5, v4
	v_add_lshl_u32 v5, v6, v2, 2
	s_wait_dscnt 0x0
	s_wait_alu 0xfffd
	v_cndmask_b32_e32 v3, 0, v3, vcc_lo
	v_cmp_gt_u32_e32 vcc_lo, 24, v2
	s_delay_alu instid0(VALU_DEP_2) | instskip(SKIP_4) | instid1(VALU_DEP_1)
	v_add_nc_u32_e32 v1, v1, v3
	s_wait_alu 0xfffd
	v_cndmask_b32_e64 v6, 0, 8, vcc_lo
	ds_bpermute_b32 v3, v5, v1
	v_add_nc_u32_e32 v5, 4, v2
	v_cmp_lt_u32_e32 vcc_lo, v5, v4
	v_add_lshl_u32 v5, v6, v2, 2
	s_wait_dscnt 0x0
	s_wait_alu 0xfffd
	v_dual_cndmask_b32 v3, 0, v3 :: v_dual_add_nc_u32 v6, 8, v2
	s_delay_alu instid0(VALU_DEP_1) | instskip(NEXT) | instid1(VALU_DEP_2)
	v_cmp_lt_u32_e32 vcc_lo, v6, v4
	v_add_nc_u32_e32 v1, v1, v3
	v_lshlrev_b32_e32 v3, 2, v2
	ds_bpermute_b32 v5, v5, v1
	v_or_b32_e32 v6, 64, v3
	s_wait_dscnt 0x0
	s_wait_alu 0xfffd
	v_cndmask_b32_e32 v5, 0, v5, vcc_lo
	s_delay_alu instid0(VALU_DEP_1) | instskip(SKIP_2) | instid1(VALU_DEP_1)
	v_add_nc_u32_e32 v1, v1, v5
	ds_bpermute_b32 v5, v6, v1
	v_add_nc_u32_e32 v6, 16, v2
	v_cmp_lt_u32_e32 vcc_lo, v6, v4
	s_wait_dscnt 0x0
	s_wait_alu 0xfffd
	v_cndmask_b32_e32 v4, 0, v5, vcc_lo
	s_delay_alu instid0(VALU_DEP_1)
	v_add_nc_u32_e32 v1, v1, v4
	v_cmpx_eq_u32_e32 0, v2
; %bb.507:
	v_lshrrev_b32_e32 v4, 3, v0
	s_delay_alu instid0(VALU_DEP_1)
	v_and_b32_e32 v4, 28, v4
	ds_store_b32 v4, v1 offset:256
; %bb.508:
	s_or_b32 exec_lo, exec_lo, s3
	s_delay_alu instid0(SALU_CYCLE_1)
	s_mov_b32 s3, exec_lo
	s_wait_loadcnt_dscnt 0x0
	s_barrier_signal -1
	s_barrier_wait -1
	global_inv scope:SCOPE_SE
	v_cmpx_gt_u32_e32 8, v0
	s_cbranch_execz .LBB318_510
; %bb.509:
	ds_load_b32 v1, v3 offset:256
	v_and_b32_e32 v4, 7, v2
	s_add_co_i32 s2, s2, 31
	s_wait_alu 0xfffe
	s_lshr_b32 s2, s2, 5
	s_delay_alu instid0(VALU_DEP_1) | instskip(SKIP_4) | instid1(VALU_DEP_2)
	v_cmp_ne_u32_e32 vcc_lo, 7, v4
	v_add_nc_u32_e32 v6, 1, v4
	s_wait_alu 0xfffd
	v_add_co_ci_u32_e64 v5, null, 0, v2, vcc_lo
	v_cmp_gt_u32_e32 vcc_lo, 6, v4
	v_lshlrev_b32_e32 v5, 2, v5
	s_wait_alu 0xfffd
	v_cndmask_b32_e64 v7, 0, 2, vcc_lo
	s_wait_alu 0xfffe
	v_cmp_gt_u32_e32 vcc_lo, s2, v6
	s_wait_dscnt 0x0
	ds_bpermute_b32 v5, v5, v1
	v_add_lshl_u32 v2, v7, v2, 2
	s_wait_dscnt 0x0
	s_wait_alu 0xfffd
	v_cndmask_b32_e32 v5, 0, v5, vcc_lo
	s_delay_alu instid0(VALU_DEP_1)
	v_add_nc_u32_e32 v1, v5, v1
	v_add_nc_u32_e32 v5, 2, v4
	ds_bpermute_b32 v2, v2, v1
	v_cmp_gt_u32_e32 vcc_lo, s2, v5
	s_wait_dscnt 0x0
	s_wait_alu 0xfffd
	v_cndmask_b32_e32 v2, 0, v2, vcc_lo
	s_delay_alu instid0(VALU_DEP_1)
	v_add_nc_u32_e32 v1, v1, v2
	v_or_b32_e32 v2, 16, v3
	v_add_nc_u32_e32 v3, 4, v4
	ds_bpermute_b32 v2, v2, v1
	v_cmp_gt_u32_e32 vcc_lo, s2, v3
	s_wait_dscnt 0x0
	s_wait_alu 0xfffd
	v_cndmask_b32_e32 v2, 0, v2, vcc_lo
	s_delay_alu instid0(VALU_DEP_1)
	v_add_nc_u32_e32 v1, v1, v2
.LBB318_510:
	s_wait_alu 0xfffe
	s_or_b32 exec_lo, exec_lo, s3
.LBB318_511:
	v_cmp_eq_u32_e64 s2, 0, v0
.LBB318_512:
	s_branch .LBB318_623
.LBB318_513:
	s_cmp_gt_i32 s44, 3
	s_cbranch_scc0 .LBB318_522
; %bb.514:
	s_cmp_gt_i32 s44, 7
	s_cbranch_scc0 .LBB318_523
; %bb.515:
	s_cmp_eq_u32 s44, 8
	s_cbranch_scc0 .LBB318_531
; %bb.516:
	s_mov_b32 s35, 0
	s_lshl_b32 s2, s34, 11
	s_mov_b32 s3, s35
	s_lshr_b64 s[4:5], s[36:37], 11
	s_lshl_b64 s[6:7], s[2:3], 1
	s_cmp_lg_u64 s[4:5], s[34:35]
	s_add_nc_u64 s[8:9], s[40:41], s[6:7]
	s_cbranch_scc0 .LBB318_573
; %bb.517:
	v_lshlrev_b32_e32 v1, 1, v0
	s_mov_b32 s3, exec_lo
	s_clause 0x7
	global_load_u16 v2, v1, s[8:9]
	global_load_u16 v3, v1, s[8:9] offset:1024
	global_load_u16 v4, v1, s[8:9] offset:512
	;; [unrolled: 1-line block ×7, first 2 shown]
	s_wait_loadcnt 0x7
	v_cmp_ne_u16_e32 vcc_lo, 0, v2
	v_cndmask_b32_e64 v2, 0, 1, vcc_lo
	s_wait_loadcnt 0x6
	v_cmp_ne_u16_e32 vcc_lo, 0, v3
	s_wait_alu 0xfffd
	v_cndmask_b32_e64 v3, 0, 1, vcc_lo
	s_wait_loadcnt 0x5
	v_cmp_ne_u16_e32 vcc_lo, 0, v4
	s_wait_alu 0xfffd
	v_add_co_ci_u32_e64 v2, null, 0, v2, vcc_lo
	s_wait_loadcnt 0x4
	v_cmp_ne_u16_e32 vcc_lo, 0, v5
	s_wait_alu 0xfffd
	v_cndmask_b32_e64 v4, 0, 1, vcc_lo
	s_wait_loadcnt 0x3
	v_cmp_ne_u16_e32 vcc_lo, 0, v6
	s_wait_alu 0xfffd
	v_add_co_ci_u32_e64 v2, null, v2, v3, vcc_lo
	;; [unrolled: 8-line block ×3, first 2 shown]
	s_wait_loadcnt 0x0
	v_cmp_ne_u16_e32 vcc_lo, 0, v1
	s_wait_alu 0xfffd
	s_delay_alu instid0(VALU_DEP_2) | instskip(NEXT) | instid1(VALU_DEP_1)
	v_add_co_ci_u32_e64 v1, null, v2, v3, vcc_lo
	v_mov_b32_dpp v2, v1 quad_perm:[1,0,3,2] row_mask:0xf bank_mask:0xf
	s_delay_alu instid0(VALU_DEP_1) | instskip(NEXT) | instid1(VALU_DEP_1)
	v_add_nc_u32_e32 v1, v1, v2
	v_mov_b32_dpp v2, v1 quad_perm:[2,3,0,1] row_mask:0xf bank_mask:0xf
	s_delay_alu instid0(VALU_DEP_1) | instskip(NEXT) | instid1(VALU_DEP_1)
	v_add_nc_u32_e32 v1, v1, v2
	v_mov_b32_dpp v2, v1 row_ror:4 row_mask:0xf bank_mask:0xf
	s_delay_alu instid0(VALU_DEP_1) | instskip(NEXT) | instid1(VALU_DEP_1)
	v_add_nc_u32_e32 v1, v1, v2
	v_mov_b32_dpp v2, v1 row_ror:8 row_mask:0xf bank_mask:0xf
	s_delay_alu instid0(VALU_DEP_1)
	v_add_nc_u32_e32 v1, v1, v2
	ds_swizzle_b32 v2, v1 offset:swizzle(BROADCAST,32,15)
	s_wait_dscnt 0x0
	v_dual_mov_b32 v2, 0 :: v_dual_add_nc_u32 v1, v1, v2
	ds_bpermute_b32 v1, v2, v1 offset:124
	v_mbcnt_lo_u32_b32 v2, -1, 0
	s_delay_alu instid0(VALU_DEP_1)
	v_cmpx_eq_u32_e32 0, v2
	s_cbranch_execz .LBB318_519
; %bb.518:
	v_lshrrev_b32_e32 v3, 3, v0
	s_delay_alu instid0(VALU_DEP_1)
	v_and_b32_e32 v3, 28, v3
	s_wait_dscnt 0x0
	ds_store_b32 v3, v1 offset:224
.LBB318_519:
	s_or_b32 exec_lo, exec_lo, s3
	s_delay_alu instid0(SALU_CYCLE_1)
	s_mov_b32 s3, exec_lo
	s_wait_dscnt 0x0
	s_barrier_signal -1
	s_barrier_wait -1
	global_inv scope:SCOPE_SE
	v_cmpx_gt_u32_e32 32, v0
	s_cbranch_execz .LBB318_521
; %bb.520:
	v_lshl_or_b32 v1, v2, 2, 0xe0
	v_and_b32_e32 v3, 7, v2
	ds_load_b32 v1, v1
	v_cmp_ne_u32_e32 vcc_lo, 7, v3
	s_wait_alu 0xfffd
	v_add_co_ci_u32_e64 v4, null, 0, v2, vcc_lo
	v_cmp_gt_u32_e32 vcc_lo, 6, v3
	s_delay_alu instid0(VALU_DEP_2) | instskip(SKIP_2) | instid1(VALU_DEP_1)
	v_lshlrev_b32_e32 v4, 2, v4
	s_wait_alu 0xfffd
	v_cndmask_b32_e64 v3, 0, 2, vcc_lo
	v_add_lshl_u32 v3, v3, v2, 2
	v_lshlrev_b32_e32 v2, 2, v2
	s_wait_dscnt 0x0
	ds_bpermute_b32 v4, v4, v1
	v_or_b32_e32 v2, 16, v2
	s_wait_dscnt 0x0
	v_add_nc_u32_e32 v1, v4, v1
	ds_bpermute_b32 v3, v3, v1
	s_wait_dscnt 0x0
	v_add_nc_u32_e32 v1, v3, v1
	ds_bpermute_b32 v2, v2, v1
	s_wait_dscnt 0x0
	v_add_nc_u32_e32 v1, v2, v1
.LBB318_521:
	s_or_b32 exec_lo, exec_lo, s3
	s_mov_b32 s3, 0
	s_branch .LBB318_574
.LBB318_522:
                                        ; implicit-def: $vgpr1
	s_cbranch_execnz .LBB318_614
	s_branch .LBB318_623
.LBB318_523:
                                        ; implicit-def: $vgpr1
	s_cbranch_execz .LBB318_597
; %bb.524:
	s_cmp_eq_u32 s44, 4
	s_cbranch_scc0 .LBB318_532
; %bb.525:
	s_mov_b32 s35, 0
	s_lshl_b32 s2, s34, 10
	s_mov_b32 s3, s35
	s_lshr_b64 s[4:5], s[36:37], 10
	s_lshl_b64 s[6:7], s[2:3], 1
	s_cmp_lg_u64 s[4:5], s[34:35]
	s_add_nc_u64 s[4:5], s[40:41], s[6:7]
	s_cbranch_scc0 .LBB318_598
; %bb.526:
	v_lshlrev_b32_e32 v1, 1, v0
	s_mov_b32 s3, exec_lo
	s_clause 0x3
	global_load_u16 v2, v1, s[4:5]
	global_load_u16 v3, v1, s[4:5] offset:1024
	global_load_u16 v4, v1, s[4:5] offset:512
	;; [unrolled: 1-line block ×3, first 2 shown]
	s_wait_loadcnt 0x3
	v_cmp_ne_u16_e32 vcc_lo, 0, v2
	v_cndmask_b32_e64 v2, 0, 1, vcc_lo
	s_wait_loadcnt 0x2
	v_cmp_ne_u16_e32 vcc_lo, 0, v3
	s_wait_alu 0xfffd
	v_cndmask_b32_e64 v3, 0, 1, vcc_lo
	s_wait_loadcnt 0x1
	v_cmp_ne_u16_e32 vcc_lo, 0, v4
	s_wait_alu 0xfffd
	v_add_co_ci_u32_e64 v2, null, 0, v2, vcc_lo
	s_wait_loadcnt 0x0
	v_cmp_ne_u16_e32 vcc_lo, 0, v1
	s_wait_alu 0xfffd
	s_delay_alu instid0(VALU_DEP_2) | instskip(NEXT) | instid1(VALU_DEP_1)
	v_add_co_ci_u32_e64 v1, null, v2, v3, vcc_lo
	v_mov_b32_dpp v2, v1 quad_perm:[1,0,3,2] row_mask:0xf bank_mask:0xf
	s_delay_alu instid0(VALU_DEP_1) | instskip(NEXT) | instid1(VALU_DEP_1)
	v_add_nc_u32_e32 v1, v1, v2
	v_mov_b32_dpp v2, v1 quad_perm:[2,3,0,1] row_mask:0xf bank_mask:0xf
	s_delay_alu instid0(VALU_DEP_1) | instskip(NEXT) | instid1(VALU_DEP_1)
	v_add_nc_u32_e32 v1, v1, v2
	v_mov_b32_dpp v2, v1 row_ror:4 row_mask:0xf bank_mask:0xf
	s_delay_alu instid0(VALU_DEP_1) | instskip(NEXT) | instid1(VALU_DEP_1)
	v_add_nc_u32_e32 v1, v1, v2
	v_mov_b32_dpp v2, v1 row_ror:8 row_mask:0xf bank_mask:0xf
	s_delay_alu instid0(VALU_DEP_1)
	v_add_nc_u32_e32 v1, v1, v2
	ds_swizzle_b32 v2, v1 offset:swizzle(BROADCAST,32,15)
	s_wait_dscnt 0x0
	v_dual_mov_b32 v2, 0 :: v_dual_add_nc_u32 v1, v1, v2
	ds_bpermute_b32 v1, v2, v1 offset:124
	v_mbcnt_lo_u32_b32 v2, -1, 0
	s_delay_alu instid0(VALU_DEP_1)
	v_cmpx_eq_u32_e32 0, v2
	s_cbranch_execz .LBB318_528
; %bb.527:
	v_lshrrev_b32_e32 v3, 3, v0
	s_delay_alu instid0(VALU_DEP_1)
	v_and_b32_e32 v3, 28, v3
	s_wait_dscnt 0x0
	ds_store_b32 v3, v1 offset:160
.LBB318_528:
	s_or_b32 exec_lo, exec_lo, s3
	s_delay_alu instid0(SALU_CYCLE_1)
	s_mov_b32 s3, exec_lo
	s_wait_dscnt 0x0
	s_barrier_signal -1
	s_barrier_wait -1
	global_inv scope:SCOPE_SE
	v_cmpx_gt_u32_e32 32, v0
	s_cbranch_execz .LBB318_530
; %bb.529:
	v_and_b32_e32 v1, 7, v2
	s_delay_alu instid0(VALU_DEP_1)
	v_lshlrev_b32_e32 v3, 2, v1
	v_cmp_ne_u32_e32 vcc_lo, 7, v1
	ds_load_b32 v3, v3 offset:160
	s_wait_alu 0xfffd
	v_add_co_ci_u32_e64 v4, null, 0, v2, vcc_lo
	v_cmp_gt_u32_e32 vcc_lo, 6, v1
	s_delay_alu instid0(VALU_DEP_2) | instskip(SKIP_2) | instid1(VALU_DEP_1)
	v_lshlrev_b32_e32 v4, 2, v4
	s_wait_alu 0xfffd
	v_cndmask_b32_e64 v1, 0, 2, vcc_lo
	v_add_lshl_u32 v1, v1, v2, 2
	v_lshlrev_b32_e32 v2, 2, v2
	s_delay_alu instid0(VALU_DEP_1)
	v_or_b32_e32 v2, 16, v2
	s_wait_dscnt 0x0
	ds_bpermute_b32 v4, v4, v3
	s_wait_dscnt 0x0
	v_add_nc_u32_e32 v3, v4, v3
	ds_bpermute_b32 v1, v1, v3
	s_wait_dscnt 0x0
	v_add_nc_u32_e32 v1, v1, v3
	;; [unrolled: 3-line block ×3, first 2 shown]
.LBB318_530:
	s_or_b32 exec_lo, exec_lo, s3
	s_mov_b32 s3, 0
	s_branch .LBB318_599
.LBB318_531:
                                        ; implicit-def: $vgpr1
	s_branch .LBB318_597
.LBB318_532:
                                        ; implicit-def: $vgpr1
	s_branch .LBB318_623
.LBB318_533:
	s_mov_b32 s3, -1
                                        ; implicit-def: $vgpr1
.LBB318_534:
	s_delay_alu instid0(SALU_CYCLE_1)
	s_and_b32 vcc_lo, exec_lo, s3
	s_wait_alu 0xfffe
	s_cbranch_vccz .LBB318_572
; %bb.535:
	v_mov_b32_e32 v1, 0
	s_sub_co_i32 s18, s36, s2
	s_mov_b32 s2, exec_lo
	s_delay_alu instid0(VALU_DEP_1)
	v_dual_mov_b32 v2, v1 :: v_dual_mov_b32 v3, v1
	v_dual_mov_b32 v4, v1 :: v_dual_mov_b32 v5, v1
	;; [unrolled: 1-line block ×7, first 2 shown]
	v_mov_b32_e32 v16, v1
	v_cmpx_gt_u32_e64 s18, v0
	s_cbranch_execz .LBB318_537
; %bb.536:
	v_dual_mov_b32 v3, v1 :: v_dual_lshlrev_b32 v2, 1, v0
	v_dual_mov_b32 v16, v1 :: v_dual_mov_b32 v17, v1
	v_dual_mov_b32 v4, v1 :: v_dual_mov_b32 v5, v1
	global_load_u16 v2, v2, s[16:17]
	v_dual_mov_b32 v6, v1 :: v_dual_mov_b32 v7, v1
	v_dual_mov_b32 v8, v1 :: v_dual_mov_b32 v9, v1
	;; [unrolled: 1-line block ×5, first 2 shown]
	s_wait_loadcnt 0x0
	v_cmp_ne_u16_e32 vcc_lo, 0, v2
	s_wait_alu 0xfffd
	v_cndmask_b32_e64 v2, 0, 1, vcc_lo
	s_delay_alu instid0(VALU_DEP_1) | instskip(NEXT) | instid1(VALU_DEP_1)
	v_and_b32_e32 v2, 0xffff, v2
	v_mov_b32_e32 v1, v2
	v_mov_b32_e32 v2, v3
	;; [unrolled: 1-line block ×16, first 2 shown]
.LBB318_537:
	s_or_b32 exec_lo, exec_lo, s2
	v_or_b32_e32 v17, 0x100, v0
	s_delay_alu instid0(VALU_DEP_1)
	v_cmp_gt_u32_e32 vcc_lo, s18, v17
	s_and_saveexec_b32 s3, vcc_lo
	s_cbranch_execz .LBB318_539
; %bb.538:
	v_lshlrev_b32_e32 v2, 1, v0
	global_load_u16 v2, v2, s[16:17] offset:512
	s_wait_loadcnt 0x0
	v_cmp_ne_u16_e64 s2, 0, v2
	s_delay_alu instid0(VALU_DEP_1)
	v_cndmask_b32_e64 v2, 0, 1, s2
.LBB318_539:
	s_or_b32 exec_lo, exec_lo, s3
	v_or_b32_e32 v17, 0x200, v0
	s_delay_alu instid0(VALU_DEP_1)
	v_cmp_gt_u32_e64 s2, s18, v17
	s_and_saveexec_b32 s4, s2
	s_cbranch_execz .LBB318_541
; %bb.540:
	v_lshlrev_b32_e32 v3, 1, v0
	global_load_u16 v3, v3, s[16:17] offset:1024
	s_wait_loadcnt 0x0
	v_cmp_ne_u16_e64 s3, 0, v3
	s_wait_alu 0xf1ff
	s_delay_alu instid0(VALU_DEP_1)
	v_cndmask_b32_e64 v3, 0, 1, s3
.LBB318_541:
	s_or_b32 exec_lo, exec_lo, s4
	v_or_b32_e32 v17, 0x300, v0
	s_delay_alu instid0(VALU_DEP_1)
	v_cmp_gt_u32_e64 s3, s18, v17
	s_and_saveexec_b32 s5, s3
	s_cbranch_execz .LBB318_543
; %bb.542:
	v_lshlrev_b32_e32 v4, 1, v0
	global_load_u16 v4, v4, s[16:17] offset:1536
	s_wait_loadcnt 0x0
	v_cmp_ne_u16_e64 s4, 0, v4
	s_delay_alu instid0(VALU_DEP_1)
	v_cndmask_b32_e64 v4, 0, 1, s4
.LBB318_543:
	s_or_b32 exec_lo, exec_lo, s5
	v_or_b32_e32 v17, 0x400, v0
	s_delay_alu instid0(VALU_DEP_1)
	v_cmp_gt_u32_e64 s4, s18, v17
	s_and_saveexec_b32 s6, s4
	s_cbranch_execz .LBB318_545
; %bb.544:
	v_lshlrev_b32_e32 v5, 1, v0
	global_load_u16 v5, v5, s[16:17] offset:2048
	s_wait_loadcnt 0x0
	v_cmp_ne_u16_e64 s5, 0, v5
	s_wait_alu 0xf1ff
	s_delay_alu instid0(VALU_DEP_1)
	v_cndmask_b32_e64 v5, 0, 1, s5
.LBB318_545:
	s_or_b32 exec_lo, exec_lo, s6
	v_or_b32_e32 v17, 0x500, v0
	s_delay_alu instid0(VALU_DEP_1)
	v_cmp_gt_u32_e64 s5, s18, v17
	s_and_saveexec_b32 s7, s5
	;; [unrolled: 29-line block ×6, first 2 shown]
	s_cbranch_execz .LBB318_563
; %bb.562:
	v_lshlrev_b32_e32 v14, 1, v0
	global_load_u16 v14, v14, s[16:17] offset:6656
	s_wait_loadcnt 0x0
	v_cmp_ne_u16_e64 s14, 0, v14
	s_delay_alu instid0(VALU_DEP_1)
	v_cndmask_b32_e64 v14, 0, 1, s14
.LBB318_563:
	s_or_b32 exec_lo, exec_lo, s15
	v_or_b32_e32 v17, 0xe00, v0
	s_delay_alu instid0(VALU_DEP_1)
	v_cmp_gt_u32_e64 s14, s18, v17
	s_and_saveexec_b32 s19, s14
	s_cbranch_execz .LBB318_565
; %bb.564:
	v_lshlrev_b32_e32 v15, 1, v0
	global_load_u16 v15, v15, s[16:17] offset:7168
	s_wait_loadcnt 0x0
	v_cmp_ne_u16_e64 s15, 0, v15
	s_wait_alu 0xf1ff
	s_delay_alu instid0(VALU_DEP_1)
	v_cndmask_b32_e64 v15, 0, 1, s15
.LBB318_565:
	s_wait_alu 0xfffe
	s_or_b32 exec_lo, exec_lo, s19
	v_or_b32_e32 v17, 0xf00, v0
	s_delay_alu instid0(VALU_DEP_1)
	v_cmp_gt_u32_e64 s15, s18, v17
	s_and_saveexec_b32 s19, s15
	s_cbranch_execz .LBB318_567
; %bb.566:
	v_lshlrev_b32_e32 v16, 1, v0
	global_load_u16 v16, v16, s[16:17] offset:7680
	s_wait_loadcnt 0x0
	v_cmp_ne_u16_e64 s16, 0, v16
	s_delay_alu instid0(VALU_DEP_1)
	v_cndmask_b32_e64 v16, 0, 1, s16
.LBB318_567:
	s_wait_alu 0xfffe
	s_or_b32 exec_lo, exec_lo, s19
	v_cndmask_b32_e32 v2, 0, v2, vcc_lo
	v_cndmask_b32_e64 v3, 0, v3, s2
	v_cndmask_b32_e64 v4, 0, v4, s3
	s_min_u32 s2, s18, 0x100
	s_mov_b32 s3, exec_lo
	v_add_nc_u32_e32 v1, v2, v1
	v_cndmask_b32_e64 v2, 0, v5, s4
	v_cndmask_b32_e64 v5, 0, v6, s5
	;; [unrolled: 1-line block ×3, first 2 shown]
	s_delay_alu instid0(VALU_DEP_4) | instskip(SKIP_3) | instid1(VALU_DEP_4)
	v_add3_u32 v1, v1, v3, v4
	v_cndmask_b32_e64 v3, 0, v7, s6
	v_cndmask_b32_e64 v4, 0, v8, s7
	;; [unrolled: 1-line block ×3, first 2 shown]
	v_add3_u32 v1, v1, v2, v5
	v_cndmask_b32_e64 v2, 0, v9, s8
	v_cndmask_b32_e64 v5, 0, v10, s9
	s_delay_alu instid0(VALU_DEP_3) | instskip(SKIP_2) | instid1(VALU_DEP_3)
	v_add3_u32 v1, v1, v3, v4
	v_cndmask_b32_e64 v3, 0, v11, s10
	v_cndmask_b32_e64 v4, 0, v12, s11
	v_add3_u32 v1, v1, v2, v5
	v_mbcnt_lo_u32_b32 v2, -1, 0
	v_cndmask_b32_e64 v5, 0, v13, s12
	s_delay_alu instid0(VALU_DEP_3) | instskip(NEXT) | instid1(VALU_DEP_3)
	v_add3_u32 v1, v1, v3, v4
	v_cmp_ne_u32_e32 vcc_lo, 31, v2
	v_cndmask_b32_e64 v3, 0, v16, s15
	s_delay_alu instid0(VALU_DEP_3)
	v_add3_u32 v1, v1, v5, v6
	s_wait_alu 0xfffd
	v_add_co_ci_u32_e64 v4, null, 0, v2, vcc_lo
	v_add_nc_u32_e32 v5, 1, v2
	v_cmp_gt_u32_e32 vcc_lo, 30, v2
	v_add3_u32 v1, v1, v7, v3
	s_delay_alu instid0(VALU_DEP_4)
	v_lshlrev_b32_e32 v4, 2, v4
	s_wait_alu 0xfffd
	v_cndmask_b32_e64 v6, 0, 2, vcc_lo
	ds_bpermute_b32 v3, v4, v1
	v_and_b32_e32 v4, 0xe0, v0
	s_wait_alu 0xfffe
	s_delay_alu instid0(VALU_DEP_1) | instskip(NEXT) | instid1(VALU_DEP_1)
	v_sub_nc_u32_e64 v4, s2, v4 clamp
	v_cmp_lt_u32_e32 vcc_lo, v5, v4
	v_add_lshl_u32 v5, v6, v2, 2
	s_wait_dscnt 0x0
	s_wait_alu 0xfffd
	v_cndmask_b32_e32 v3, 0, v3, vcc_lo
	v_cmp_gt_u32_e32 vcc_lo, 28, v2
	s_delay_alu instid0(VALU_DEP_2) | instskip(SKIP_4) | instid1(VALU_DEP_1)
	v_add_nc_u32_e32 v1, v1, v3
	s_wait_alu 0xfffd
	v_cndmask_b32_e64 v6, 0, 4, vcc_lo
	ds_bpermute_b32 v3, v5, v1
	v_add_nc_u32_e32 v5, 2, v2
	v_cmp_lt_u32_e32 vcc_lo, v5, v4
	v_add_lshl_u32 v5, v6, v2, 2
	s_wait_dscnt 0x0
	s_wait_alu 0xfffd
	v_cndmask_b32_e32 v3, 0, v3, vcc_lo
	v_cmp_gt_u32_e32 vcc_lo, 24, v2
	s_delay_alu instid0(VALU_DEP_2) | instskip(SKIP_4) | instid1(VALU_DEP_1)
	v_add_nc_u32_e32 v1, v1, v3
	s_wait_alu 0xfffd
	v_cndmask_b32_e64 v6, 0, 8, vcc_lo
	ds_bpermute_b32 v3, v5, v1
	v_add_nc_u32_e32 v5, 4, v2
	v_cmp_lt_u32_e32 vcc_lo, v5, v4
	v_add_lshl_u32 v5, v6, v2, 2
	s_wait_dscnt 0x0
	s_wait_alu 0xfffd
	v_cndmask_b32_e32 v3, 0, v3, vcc_lo
	s_delay_alu instid0(VALU_DEP_1) | instskip(SKIP_3) | instid1(VALU_DEP_1)
	v_add_nc_u32_e32 v1, v1, v3
	v_lshlrev_b32_e32 v3, 2, v2
	ds_bpermute_b32 v5, v5, v1
	v_add_nc_u32_e32 v6, 8, v2
	v_cmp_lt_u32_e32 vcc_lo, v6, v4
	v_or_b32_e32 v6, 64, v3
	s_wait_dscnt 0x0
	s_wait_alu 0xfffd
	v_cndmask_b32_e32 v5, 0, v5, vcc_lo
	s_delay_alu instid0(VALU_DEP_1) | instskip(SKIP_2) | instid1(VALU_DEP_1)
	v_add_nc_u32_e32 v1, v1, v5
	ds_bpermute_b32 v5, v6, v1
	v_add_nc_u32_e32 v6, 16, v2
	v_cmp_lt_u32_e32 vcc_lo, v6, v4
	s_wait_dscnt 0x0
	s_wait_alu 0xfffd
	v_cndmask_b32_e32 v4, 0, v5, vcc_lo
	s_delay_alu instid0(VALU_DEP_1)
	v_add_nc_u32_e32 v1, v1, v4
	v_cmpx_eq_u32_e32 0, v2
; %bb.568:
	v_lshrrev_b32_e32 v4, 3, v0
	s_delay_alu instid0(VALU_DEP_1)
	v_and_b32_e32 v4, 28, v4
	ds_store_b32 v4, v1 offset:256
; %bb.569:
	s_or_b32 exec_lo, exec_lo, s3
	s_delay_alu instid0(SALU_CYCLE_1)
	s_mov_b32 s3, exec_lo
	s_wait_loadcnt_dscnt 0x0
	s_barrier_signal -1
	s_barrier_wait -1
	global_inv scope:SCOPE_SE
	v_cmpx_gt_u32_e32 8, v0
	s_cbranch_execz .LBB318_571
; %bb.570:
	ds_load_b32 v1, v3 offset:256
	v_and_b32_e32 v4, 7, v2
	s_add_co_i32 s2, s2, 31
	s_wait_alu 0xfffe
	s_lshr_b32 s2, s2, 5
	s_delay_alu instid0(VALU_DEP_1) | instskip(SKIP_4) | instid1(VALU_DEP_2)
	v_cmp_ne_u32_e32 vcc_lo, 7, v4
	v_add_nc_u32_e32 v6, 1, v4
	s_wait_alu 0xfffd
	v_add_co_ci_u32_e64 v5, null, 0, v2, vcc_lo
	v_cmp_gt_u32_e32 vcc_lo, 6, v4
	v_lshlrev_b32_e32 v5, 2, v5
	s_wait_alu 0xfffd
	v_cndmask_b32_e64 v7, 0, 2, vcc_lo
	s_wait_alu 0xfffe
	v_cmp_gt_u32_e32 vcc_lo, s2, v6
	s_wait_dscnt 0x0
	ds_bpermute_b32 v5, v5, v1
	v_add_lshl_u32 v2, v7, v2, 2
	s_wait_dscnt 0x0
	s_wait_alu 0xfffd
	v_cndmask_b32_e32 v5, 0, v5, vcc_lo
	s_delay_alu instid0(VALU_DEP_1)
	v_add_nc_u32_e32 v1, v5, v1
	v_add_nc_u32_e32 v5, 2, v4
	ds_bpermute_b32 v2, v2, v1
	v_cmp_gt_u32_e32 vcc_lo, s2, v5
	s_wait_dscnt 0x0
	s_wait_alu 0xfffd
	v_cndmask_b32_e32 v2, 0, v2, vcc_lo
	s_delay_alu instid0(VALU_DEP_1)
	v_add_nc_u32_e32 v1, v1, v2
	v_or_b32_e32 v2, 16, v3
	v_add_nc_u32_e32 v3, 4, v4
	ds_bpermute_b32 v2, v2, v1
	v_cmp_gt_u32_e32 vcc_lo, s2, v3
	s_wait_dscnt 0x0
	s_wait_alu 0xfffd
	v_cndmask_b32_e32 v2, 0, v2, vcc_lo
	s_delay_alu instid0(VALU_DEP_1)
	v_add_nc_u32_e32 v1, v1, v2
.LBB318_571:
	s_wait_alu 0xfffe
	s_or_b32 exec_lo, exec_lo, s3
.LBB318_572:
	v_cmp_eq_u32_e64 s2, 0, v0
	s_branch .LBB318_623
.LBB318_573:
	s_mov_b32 s3, -1
                                        ; implicit-def: $vgpr1
.LBB318_574:
	s_delay_alu instid0(SALU_CYCLE_1)
	s_and_b32 vcc_lo, exec_lo, s3
	s_wait_alu 0xfffe
	s_cbranch_vccz .LBB318_596
; %bb.575:
	v_mov_b32_e32 v1, 0
	s_sub_co_i32 s10, s36, s2
	s_mov_b32 s2, exec_lo
	s_delay_alu instid0(VALU_DEP_1)
	v_dual_mov_b32 v2, v1 :: v_dual_mov_b32 v3, v1
	v_dual_mov_b32 v4, v1 :: v_dual_mov_b32 v5, v1
	;; [unrolled: 1-line block ×3, first 2 shown]
	v_mov_b32_e32 v8, v1
	v_cmpx_gt_u32_e64 s10, v0
	s_cbranch_execz .LBB318_577
; %bb.576:
	v_dual_mov_b32 v3, v1 :: v_dual_lshlrev_b32 v2, 1, v0
	v_dual_mov_b32 v8, v1 :: v_dual_mov_b32 v9, v1
	v_dual_mov_b32 v4, v1 :: v_dual_mov_b32 v5, v1
	global_load_u16 v2, v2, s[8:9]
	v_dual_mov_b32 v6, v1 :: v_dual_mov_b32 v7, v1
	s_wait_loadcnt 0x0
	v_cmp_ne_u16_e32 vcc_lo, 0, v2
	s_wait_alu 0xfffd
	v_cndmask_b32_e64 v2, 0, 1, vcc_lo
	s_delay_alu instid0(VALU_DEP_1) | instskip(NEXT) | instid1(VALU_DEP_1)
	v_and_b32_e32 v2, 0xffff, v2
	v_mov_b32_e32 v1, v2
	v_mov_b32_e32 v2, v3
	;; [unrolled: 1-line block ×8, first 2 shown]
.LBB318_577:
	s_or_b32 exec_lo, exec_lo, s2
	v_or_b32_e32 v9, 0x100, v0
	s_delay_alu instid0(VALU_DEP_1)
	v_cmp_gt_u32_e32 vcc_lo, s10, v9
	s_and_saveexec_b32 s3, vcc_lo
	s_cbranch_execz .LBB318_579
; %bb.578:
	v_lshlrev_b32_e32 v2, 1, v0
	global_load_u16 v2, v2, s[8:9] offset:512
	s_wait_loadcnt 0x0
	v_cmp_ne_u16_e64 s2, 0, v2
	s_delay_alu instid0(VALU_DEP_1)
	v_cndmask_b32_e64 v2, 0, 1, s2
.LBB318_579:
	s_or_b32 exec_lo, exec_lo, s3
	v_or_b32_e32 v9, 0x200, v0
	s_delay_alu instid0(VALU_DEP_1)
	v_cmp_gt_u32_e64 s2, s10, v9
	s_and_saveexec_b32 s4, s2
	s_cbranch_execz .LBB318_581
; %bb.580:
	v_lshlrev_b32_e32 v3, 1, v0
	global_load_u16 v3, v3, s[8:9] offset:1024
	s_wait_loadcnt 0x0
	v_cmp_ne_u16_e64 s3, 0, v3
	s_wait_alu 0xf1ff
	s_delay_alu instid0(VALU_DEP_1)
	v_cndmask_b32_e64 v3, 0, 1, s3
.LBB318_581:
	s_or_b32 exec_lo, exec_lo, s4
	v_or_b32_e32 v9, 0x300, v0
	s_delay_alu instid0(VALU_DEP_1)
	v_cmp_gt_u32_e64 s3, s10, v9
	s_and_saveexec_b32 s5, s3
	s_cbranch_execz .LBB318_583
; %bb.582:
	v_lshlrev_b32_e32 v4, 1, v0
	global_load_u16 v4, v4, s[8:9] offset:1536
	s_wait_loadcnt 0x0
	v_cmp_ne_u16_e64 s4, 0, v4
	s_delay_alu instid0(VALU_DEP_1)
	v_cndmask_b32_e64 v4, 0, 1, s4
.LBB318_583:
	s_or_b32 exec_lo, exec_lo, s5
	v_or_b32_e32 v9, 0x400, v0
	s_delay_alu instid0(VALU_DEP_1)
	v_cmp_gt_u32_e64 s4, s10, v9
	s_and_saveexec_b32 s6, s4
	s_cbranch_execz .LBB318_585
; %bb.584:
	v_lshlrev_b32_e32 v5, 1, v0
	global_load_u16 v5, v5, s[8:9] offset:2048
	s_wait_loadcnt 0x0
	v_cmp_ne_u16_e64 s5, 0, v5
	s_wait_alu 0xf1ff
	s_delay_alu instid0(VALU_DEP_1)
	v_cndmask_b32_e64 v5, 0, 1, s5
.LBB318_585:
	s_or_b32 exec_lo, exec_lo, s6
	v_or_b32_e32 v9, 0x500, v0
	s_delay_alu instid0(VALU_DEP_1)
	v_cmp_gt_u32_e64 s5, s10, v9
	s_and_saveexec_b32 s7, s5
	s_cbranch_execz .LBB318_587
; %bb.586:
	v_lshlrev_b32_e32 v6, 1, v0
	global_load_u16 v6, v6, s[8:9] offset:2560
	s_wait_loadcnt 0x0
	v_cmp_ne_u16_e64 s6, 0, v6
	s_delay_alu instid0(VALU_DEP_1)
	v_cndmask_b32_e64 v6, 0, 1, s6
.LBB318_587:
	s_or_b32 exec_lo, exec_lo, s7
	v_or_b32_e32 v9, 0x600, v0
	s_delay_alu instid0(VALU_DEP_1)
	v_cmp_gt_u32_e64 s6, s10, v9
	s_and_saveexec_b32 s11, s6
	s_cbranch_execz .LBB318_589
; %bb.588:
	v_lshlrev_b32_e32 v7, 1, v0
	global_load_u16 v7, v7, s[8:9] offset:3072
	s_wait_loadcnt 0x0
	v_cmp_ne_u16_e64 s7, 0, v7
	s_wait_alu 0xf1ff
	s_delay_alu instid0(VALU_DEP_1)
	v_cndmask_b32_e64 v7, 0, 1, s7
.LBB318_589:
	s_wait_alu 0xfffe
	s_or_b32 exec_lo, exec_lo, s11
	v_or_b32_e32 v9, 0x700, v0
	s_delay_alu instid0(VALU_DEP_1)
	v_cmp_gt_u32_e64 s7, s10, v9
	s_and_saveexec_b32 s11, s7
	s_cbranch_execz .LBB318_591
; %bb.590:
	v_lshlrev_b32_e32 v8, 1, v0
	global_load_u16 v8, v8, s[8:9] offset:3584
	s_wait_loadcnt 0x0
	v_cmp_ne_u16_e64 s8, 0, v8
	s_delay_alu instid0(VALU_DEP_1)
	v_cndmask_b32_e64 v8, 0, 1, s8
.LBB318_591:
	s_wait_alu 0xfffe
	s_or_b32 exec_lo, exec_lo, s11
	v_cndmask_b32_e32 v2, 0, v2, vcc_lo
	v_cndmask_b32_e64 v3, 0, v3, s2
	v_cndmask_b32_e64 v4, 0, v4, s3
	;; [unrolled: 1-line block ×4, first 2 shown]
	v_add_nc_u32_e32 v1, v2, v1
	v_mbcnt_lo_u32_b32 v2, -1, 0
	v_cndmask_b32_e64 v7, 0, v7, s6
	s_min_u32 s2, s10, 0x100
	s_mov_b32 s3, exec_lo
	v_add3_u32 v1, v1, v3, v4
	v_cmp_ne_u32_e32 vcc_lo, 31, v2
	v_cndmask_b32_e64 v3, 0, v8, s7
	s_delay_alu instid0(VALU_DEP_3)
	v_add3_u32 v1, v1, v5, v6
	s_wait_alu 0xfffd
	v_add_co_ci_u32_e64 v4, null, 0, v2, vcc_lo
	v_add_nc_u32_e32 v5, 1, v2
	v_cmp_gt_u32_e32 vcc_lo, 30, v2
	v_add3_u32 v1, v1, v7, v3
	s_delay_alu instid0(VALU_DEP_4)
	v_lshlrev_b32_e32 v4, 2, v4
	s_wait_alu 0xfffd
	v_cndmask_b32_e64 v6, 0, 2, vcc_lo
	ds_bpermute_b32 v3, v4, v1
	v_and_b32_e32 v4, 0xe0, v0
	s_wait_alu 0xfffe
	s_delay_alu instid0(VALU_DEP_1) | instskip(NEXT) | instid1(VALU_DEP_1)
	v_sub_nc_u32_e64 v4, s2, v4 clamp
	v_cmp_lt_u32_e32 vcc_lo, v5, v4
	v_add_lshl_u32 v5, v6, v2, 2
	s_wait_dscnt 0x0
	s_wait_alu 0xfffd
	v_cndmask_b32_e32 v3, 0, v3, vcc_lo
	v_cmp_gt_u32_e32 vcc_lo, 28, v2
	s_delay_alu instid0(VALU_DEP_2) | instskip(SKIP_4) | instid1(VALU_DEP_1)
	v_add_nc_u32_e32 v1, v1, v3
	s_wait_alu 0xfffd
	v_cndmask_b32_e64 v6, 0, 4, vcc_lo
	ds_bpermute_b32 v3, v5, v1
	v_add_nc_u32_e32 v5, 2, v2
	v_cmp_lt_u32_e32 vcc_lo, v5, v4
	v_add_lshl_u32 v5, v6, v2, 2
	s_wait_dscnt 0x0
	s_wait_alu 0xfffd
	v_cndmask_b32_e32 v3, 0, v3, vcc_lo
	v_cmp_gt_u32_e32 vcc_lo, 24, v2
	s_delay_alu instid0(VALU_DEP_2) | instskip(SKIP_4) | instid1(VALU_DEP_1)
	v_add_nc_u32_e32 v1, v1, v3
	s_wait_alu 0xfffd
	v_cndmask_b32_e64 v6, 0, 8, vcc_lo
	ds_bpermute_b32 v3, v5, v1
	v_add_nc_u32_e32 v5, 4, v2
	v_cmp_lt_u32_e32 vcc_lo, v5, v4
	v_add_lshl_u32 v5, v6, v2, 2
	s_wait_dscnt 0x0
	s_wait_alu 0xfffd
	v_cndmask_b32_e32 v3, 0, v3, vcc_lo
	s_delay_alu instid0(VALU_DEP_1) | instskip(SKIP_3) | instid1(VALU_DEP_1)
	v_add_nc_u32_e32 v1, v1, v3
	v_lshlrev_b32_e32 v3, 2, v2
	ds_bpermute_b32 v5, v5, v1
	v_add_nc_u32_e32 v6, 8, v2
	v_cmp_lt_u32_e32 vcc_lo, v6, v4
	v_or_b32_e32 v6, 64, v3
	s_wait_dscnt 0x0
	s_wait_alu 0xfffd
	v_cndmask_b32_e32 v5, 0, v5, vcc_lo
	s_delay_alu instid0(VALU_DEP_1) | instskip(SKIP_2) | instid1(VALU_DEP_1)
	v_add_nc_u32_e32 v1, v1, v5
	ds_bpermute_b32 v5, v6, v1
	v_add_nc_u32_e32 v6, 16, v2
	v_cmp_lt_u32_e32 vcc_lo, v6, v4
	s_wait_dscnt 0x0
	s_wait_alu 0xfffd
	v_cndmask_b32_e32 v4, 0, v5, vcc_lo
	s_delay_alu instid0(VALU_DEP_1)
	v_add_nc_u32_e32 v1, v1, v4
	v_cmpx_eq_u32_e32 0, v2
; %bb.592:
	v_lshrrev_b32_e32 v4, 3, v0
	s_delay_alu instid0(VALU_DEP_1)
	v_and_b32_e32 v4, 28, v4
	ds_store_b32 v4, v1 offset:256
; %bb.593:
	s_or_b32 exec_lo, exec_lo, s3
	s_delay_alu instid0(SALU_CYCLE_1)
	s_mov_b32 s3, exec_lo
	s_wait_loadcnt_dscnt 0x0
	s_barrier_signal -1
	s_barrier_wait -1
	global_inv scope:SCOPE_SE
	v_cmpx_gt_u32_e32 8, v0
	s_cbranch_execz .LBB318_595
; %bb.594:
	ds_load_b32 v1, v3 offset:256
	v_and_b32_e32 v4, 7, v2
	s_add_co_i32 s2, s2, 31
	s_wait_alu 0xfffe
	s_lshr_b32 s2, s2, 5
	s_delay_alu instid0(VALU_DEP_1) | instskip(SKIP_4) | instid1(VALU_DEP_2)
	v_cmp_ne_u32_e32 vcc_lo, 7, v4
	v_add_nc_u32_e32 v6, 1, v4
	s_wait_alu 0xfffd
	v_add_co_ci_u32_e64 v5, null, 0, v2, vcc_lo
	v_cmp_gt_u32_e32 vcc_lo, 6, v4
	v_lshlrev_b32_e32 v5, 2, v5
	s_wait_alu 0xfffd
	v_cndmask_b32_e64 v7, 0, 2, vcc_lo
	s_wait_alu 0xfffe
	v_cmp_gt_u32_e32 vcc_lo, s2, v6
	s_wait_dscnt 0x0
	ds_bpermute_b32 v5, v5, v1
	v_add_lshl_u32 v2, v7, v2, 2
	s_wait_dscnt 0x0
	s_wait_alu 0xfffd
	v_cndmask_b32_e32 v5, 0, v5, vcc_lo
	s_delay_alu instid0(VALU_DEP_1)
	v_add_nc_u32_e32 v1, v5, v1
	v_add_nc_u32_e32 v5, 2, v4
	ds_bpermute_b32 v2, v2, v1
	v_cmp_gt_u32_e32 vcc_lo, s2, v5
	s_wait_dscnt 0x0
	s_wait_alu 0xfffd
	v_cndmask_b32_e32 v2, 0, v2, vcc_lo
	s_delay_alu instid0(VALU_DEP_1)
	v_add_nc_u32_e32 v1, v1, v2
	v_or_b32_e32 v2, 16, v3
	v_add_nc_u32_e32 v3, 4, v4
	ds_bpermute_b32 v2, v2, v1
	v_cmp_gt_u32_e32 vcc_lo, s2, v3
	s_wait_dscnt 0x0
	s_wait_alu 0xfffd
	v_cndmask_b32_e32 v2, 0, v2, vcc_lo
	s_delay_alu instid0(VALU_DEP_1)
	v_add_nc_u32_e32 v1, v1, v2
.LBB318_595:
	s_wait_alu 0xfffe
	s_or_b32 exec_lo, exec_lo, s3
.LBB318_596:
	v_cmp_eq_u32_e64 s2, 0, v0
.LBB318_597:
	s_branch .LBB318_623
.LBB318_598:
	s_mov_b32 s3, -1
                                        ; implicit-def: $vgpr1
.LBB318_599:
	s_delay_alu instid0(SALU_CYCLE_1)
	s_and_b32 vcc_lo, exec_lo, s3
	s_wait_alu 0xfffe
	s_cbranch_vccz .LBB318_613
; %bb.600:
	v_mov_b32_e32 v1, 0
	s_sub_co_i32 s6, s36, s2
	s_mov_b32 s2, exec_lo
	s_delay_alu instid0(VALU_DEP_1)
	v_dual_mov_b32 v2, v1 :: v_dual_mov_b32 v3, v1
	v_mov_b32_e32 v4, v1
	v_cmpx_gt_u32_e64 s6, v0
	s_cbranch_execz .LBB318_602
; %bb.601:
	v_dual_mov_b32 v3, v1 :: v_dual_lshlrev_b32 v2, 1, v0
	v_dual_mov_b32 v4, v1 :: v_dual_mov_b32 v5, v1
	global_load_u16 v2, v2, s[4:5]
	s_wait_loadcnt 0x0
	v_cmp_ne_u16_e32 vcc_lo, 0, v2
	s_wait_alu 0xfffd
	v_cndmask_b32_e64 v2, 0, 1, vcc_lo
	s_delay_alu instid0(VALU_DEP_1) | instskip(NEXT) | instid1(VALU_DEP_1)
	v_and_b32_e32 v2, 0xffff, v2
	v_mov_b32_e32 v1, v2
	v_mov_b32_e32 v2, v3
	;; [unrolled: 1-line block ×4, first 2 shown]
.LBB318_602:
	s_or_b32 exec_lo, exec_lo, s2
	v_or_b32_e32 v5, 0x100, v0
	s_delay_alu instid0(VALU_DEP_1)
	v_cmp_gt_u32_e32 vcc_lo, s6, v5
	s_and_saveexec_b32 s3, vcc_lo
	s_cbranch_execz .LBB318_604
; %bb.603:
	v_lshlrev_b32_e32 v2, 1, v0
	global_load_u16 v2, v2, s[4:5] offset:512
	s_wait_loadcnt 0x0
	v_cmp_ne_u16_e64 s2, 0, v2
	s_delay_alu instid0(VALU_DEP_1)
	v_cndmask_b32_e64 v2, 0, 1, s2
.LBB318_604:
	s_or_b32 exec_lo, exec_lo, s3
	v_or_b32_e32 v5, 0x200, v0
	s_delay_alu instid0(VALU_DEP_1)
	v_cmp_gt_u32_e64 s2, s6, v5
	s_and_saveexec_b32 s7, s2
	s_cbranch_execz .LBB318_606
; %bb.605:
	v_lshlrev_b32_e32 v3, 1, v0
	global_load_u16 v3, v3, s[4:5] offset:1024
	s_wait_loadcnt 0x0
	v_cmp_ne_u16_e64 s3, 0, v3
	s_wait_alu 0xf1ff
	s_delay_alu instid0(VALU_DEP_1)
	v_cndmask_b32_e64 v3, 0, 1, s3
.LBB318_606:
	s_wait_alu 0xfffe
	s_or_b32 exec_lo, exec_lo, s7
	v_or_b32_e32 v5, 0x300, v0
	s_delay_alu instid0(VALU_DEP_1)
	v_cmp_gt_u32_e64 s3, s6, v5
	s_and_saveexec_b32 s7, s3
	s_cbranch_execz .LBB318_608
; %bb.607:
	v_lshlrev_b32_e32 v4, 1, v0
	global_load_u16 v4, v4, s[4:5] offset:1536
	s_wait_loadcnt 0x0
	v_cmp_ne_u16_e64 s4, 0, v4
	s_delay_alu instid0(VALU_DEP_1)
	v_cndmask_b32_e64 v4, 0, 1, s4
.LBB318_608:
	s_wait_alu 0xfffe
	s_or_b32 exec_lo, exec_lo, s7
	v_cndmask_b32_e32 v5, 0, v2, vcc_lo
	v_mbcnt_lo_u32_b32 v2, -1, 0
	v_cndmask_b32_e64 v3, 0, v3, s2
	v_cndmask_b32_e64 v4, 0, v4, s3
	s_min_u32 s2, s6, 0x100
	v_add_nc_u32_e32 v1, v5, v1
	v_cmp_ne_u32_e32 vcc_lo, 31, v2
	s_mov_b32 s3, exec_lo
	s_delay_alu instid0(VALU_DEP_2) | instskip(SKIP_4) | instid1(VALU_DEP_3)
	v_add3_u32 v1, v1, v3, v4
	s_wait_alu 0xfffd
	v_add_co_ci_u32_e64 v5, null, 0, v2, vcc_lo
	v_and_b32_e32 v4, 0xe0, v0
	v_cmp_gt_u32_e32 vcc_lo, 30, v2
	v_lshlrev_b32_e32 v3, 2, v5
	v_add_nc_u32_e32 v5, 1, v2
	s_wait_alu 0xfffe
	v_sub_nc_u32_e64 v4, s2, v4 clamp
	s_wait_alu 0xfffd
	v_cndmask_b32_e64 v6, 0, 2, vcc_lo
	ds_bpermute_b32 v3, v3, v1
	v_cmp_lt_u32_e32 vcc_lo, v5, v4
	v_add_lshl_u32 v5, v6, v2, 2
	s_wait_dscnt 0x0
	s_wait_alu 0xfffd
	v_cndmask_b32_e32 v3, 0, v3, vcc_lo
	v_cmp_gt_u32_e32 vcc_lo, 28, v2
	s_delay_alu instid0(VALU_DEP_2) | instskip(SKIP_4) | instid1(VALU_DEP_1)
	v_add_nc_u32_e32 v1, v3, v1
	s_wait_alu 0xfffd
	v_cndmask_b32_e64 v6, 0, 4, vcc_lo
	ds_bpermute_b32 v3, v5, v1
	v_add_nc_u32_e32 v5, 2, v2
	v_cmp_lt_u32_e32 vcc_lo, v5, v4
	v_add_lshl_u32 v5, v6, v2, 2
	s_wait_dscnt 0x0
	s_wait_alu 0xfffd
	v_cndmask_b32_e32 v3, 0, v3, vcc_lo
	v_cmp_gt_u32_e32 vcc_lo, 24, v2
	s_delay_alu instid0(VALU_DEP_2) | instskip(SKIP_4) | instid1(VALU_DEP_1)
	v_add_nc_u32_e32 v1, v1, v3
	s_wait_alu 0xfffd
	v_cndmask_b32_e64 v6, 0, 8, vcc_lo
	ds_bpermute_b32 v3, v5, v1
	v_add_nc_u32_e32 v5, 4, v2
	v_cmp_lt_u32_e32 vcc_lo, v5, v4
	v_add_lshl_u32 v5, v6, v2, 2
	s_wait_dscnt 0x0
	s_wait_alu 0xfffd
	v_dual_cndmask_b32 v3, 0, v3 :: v_dual_add_nc_u32 v6, 8, v2
	s_delay_alu instid0(VALU_DEP_1) | instskip(NEXT) | instid1(VALU_DEP_2)
	v_cmp_lt_u32_e32 vcc_lo, v6, v4
	v_add_nc_u32_e32 v1, v1, v3
	v_lshlrev_b32_e32 v3, 2, v2
	ds_bpermute_b32 v5, v5, v1
	v_or_b32_e32 v6, 64, v3
	s_wait_dscnt 0x0
	s_wait_alu 0xfffd
	v_cndmask_b32_e32 v5, 0, v5, vcc_lo
	s_delay_alu instid0(VALU_DEP_1) | instskip(SKIP_2) | instid1(VALU_DEP_1)
	v_add_nc_u32_e32 v1, v1, v5
	ds_bpermute_b32 v5, v6, v1
	v_add_nc_u32_e32 v6, 16, v2
	v_cmp_lt_u32_e32 vcc_lo, v6, v4
	s_wait_dscnt 0x0
	s_wait_alu 0xfffd
	v_cndmask_b32_e32 v4, 0, v5, vcc_lo
	s_delay_alu instid0(VALU_DEP_1)
	v_add_nc_u32_e32 v1, v1, v4
	v_cmpx_eq_u32_e32 0, v2
; %bb.609:
	v_lshrrev_b32_e32 v4, 3, v0
	s_delay_alu instid0(VALU_DEP_1)
	v_and_b32_e32 v4, 28, v4
	ds_store_b32 v4, v1 offset:256
; %bb.610:
	s_or_b32 exec_lo, exec_lo, s3
	s_delay_alu instid0(SALU_CYCLE_1)
	s_mov_b32 s3, exec_lo
	s_wait_loadcnt_dscnt 0x0
	s_barrier_signal -1
	s_barrier_wait -1
	global_inv scope:SCOPE_SE
	v_cmpx_gt_u32_e32 8, v0
	s_cbranch_execz .LBB318_612
; %bb.611:
	ds_load_b32 v1, v3 offset:256
	v_and_b32_e32 v4, 7, v2
	s_add_co_i32 s2, s2, 31
	s_wait_alu 0xfffe
	s_lshr_b32 s2, s2, 5
	s_delay_alu instid0(VALU_DEP_1) | instskip(SKIP_4) | instid1(VALU_DEP_2)
	v_cmp_ne_u32_e32 vcc_lo, 7, v4
	v_add_nc_u32_e32 v6, 1, v4
	s_wait_alu 0xfffd
	v_add_co_ci_u32_e64 v5, null, 0, v2, vcc_lo
	v_cmp_gt_u32_e32 vcc_lo, 6, v4
	v_lshlrev_b32_e32 v5, 2, v5
	s_wait_alu 0xfffd
	v_cndmask_b32_e64 v7, 0, 2, vcc_lo
	s_wait_alu 0xfffe
	v_cmp_gt_u32_e32 vcc_lo, s2, v6
	s_wait_dscnt 0x0
	ds_bpermute_b32 v5, v5, v1
	v_add_lshl_u32 v2, v7, v2, 2
	s_wait_dscnt 0x0
	s_wait_alu 0xfffd
	v_cndmask_b32_e32 v5, 0, v5, vcc_lo
	s_delay_alu instid0(VALU_DEP_1)
	v_add_nc_u32_e32 v1, v5, v1
	v_add_nc_u32_e32 v5, 2, v4
	ds_bpermute_b32 v2, v2, v1
	v_cmp_gt_u32_e32 vcc_lo, s2, v5
	s_wait_dscnt 0x0
	s_wait_alu 0xfffd
	v_cndmask_b32_e32 v2, 0, v2, vcc_lo
	s_delay_alu instid0(VALU_DEP_1)
	v_add_nc_u32_e32 v1, v1, v2
	v_or_b32_e32 v2, 16, v3
	v_add_nc_u32_e32 v3, 4, v4
	ds_bpermute_b32 v2, v2, v1
	v_cmp_gt_u32_e32 vcc_lo, s2, v3
	s_wait_dscnt 0x0
	s_wait_alu 0xfffd
	v_cndmask_b32_e32 v2, 0, v2, vcc_lo
	s_delay_alu instid0(VALU_DEP_1)
	v_add_nc_u32_e32 v1, v1, v2
.LBB318_612:
	s_wait_alu 0xfffe
	s_or_b32 exec_lo, exec_lo, s3
.LBB318_613:
	v_cmp_eq_u32_e64 s2, 0, v0
	s_branch .LBB318_623
.LBB318_614:
	s_cmp_gt_i32 s44, 1
	s_cbranch_scc0 .LBB318_622
; %bb.615:
	s_cmp_eq_u32 s44, 2
	s_cbranch_scc0 .LBB318_626
; %bb.616:
	s_mov_b32 s35, 0
	s_lshl_b32 s4, s34, 9
	s_mov_b32 s5, s35
	s_lshr_b64 s[2:3], s[36:37], 9
	s_lshl_b64 s[6:7], s[4:5], 1
	s_cmp_lg_u64 s[2:3], s[34:35]
	s_add_nc_u64 s[2:3], s[40:41], s[6:7]
	s_cbranch_scc0 .LBB318_627
; %bb.617:
	v_lshlrev_b32_e32 v1, 1, v0
	s_mov_b32 s5, exec_lo
	s_clause 0x1
	global_load_u16 v2, v1, s[2:3]
	global_load_u16 v1, v1, s[2:3] offset:512
	s_wait_loadcnt 0x1
	v_cmp_ne_u16_e32 vcc_lo, 0, v2
	v_cndmask_b32_e64 v2, 0, 1, vcc_lo
	s_wait_loadcnt 0x0
	v_cmp_ne_u16_e32 vcc_lo, 0, v1
	s_wait_alu 0xfffd
	s_delay_alu instid0(VALU_DEP_2) | instskip(NEXT) | instid1(VALU_DEP_1)
	v_add_co_ci_u32_e64 v1, null, 0, v2, vcc_lo
	v_mov_b32_dpp v1, v1 quad_perm:[1,0,3,2] row_mask:0xf bank_mask:0xf
	s_delay_alu instid0(VALU_DEP_1) | instskip(NEXT) | instid1(VALU_DEP_1)
	v_add_co_ci_u32_e64 v1, null, v1, v2, vcc_lo
	v_mov_b32_dpp v2, v1 quad_perm:[2,3,0,1] row_mask:0xf bank_mask:0xf
	s_delay_alu instid0(VALU_DEP_1) | instskip(NEXT) | instid1(VALU_DEP_1)
	v_add_nc_u32_e32 v1, v1, v2
	v_mov_b32_dpp v2, v1 row_ror:4 row_mask:0xf bank_mask:0xf
	s_delay_alu instid0(VALU_DEP_1) | instskip(NEXT) | instid1(VALU_DEP_1)
	v_add_nc_u32_e32 v1, v1, v2
	v_mov_b32_dpp v2, v1 row_ror:8 row_mask:0xf bank_mask:0xf
	s_delay_alu instid0(VALU_DEP_1)
	v_add_nc_u32_e32 v1, v1, v2
	ds_swizzle_b32 v2, v1 offset:swizzle(BROADCAST,32,15)
	s_wait_dscnt 0x0
	v_dual_mov_b32 v2, 0 :: v_dual_add_nc_u32 v1, v1, v2
	ds_bpermute_b32 v1, v2, v1 offset:124
	v_mbcnt_lo_u32_b32 v2, -1, 0
	s_delay_alu instid0(VALU_DEP_1)
	v_cmpx_eq_u32_e32 0, v2
	s_cbranch_execz .LBB318_619
; %bb.618:
	v_lshrrev_b32_e32 v3, 3, v0
	s_delay_alu instid0(VALU_DEP_1)
	v_and_b32_e32 v3, 28, v3
	s_wait_dscnt 0x0
	ds_store_b32 v3, v1 offset:96
.LBB318_619:
	s_or_b32 exec_lo, exec_lo, s5
	s_delay_alu instid0(SALU_CYCLE_1)
	s_mov_b32 s5, exec_lo
	s_wait_dscnt 0x0
	s_barrier_signal -1
	s_barrier_wait -1
	global_inv scope:SCOPE_SE
	v_cmpx_gt_u32_e32 32, v0
	s_cbranch_execz .LBB318_621
; %bb.620:
	v_lshl_or_b32 v1, v2, 2, 0x60
	v_and_b32_e32 v3, 7, v2
	ds_load_b32 v1, v1
	v_cmp_ne_u32_e32 vcc_lo, 7, v3
	s_wait_alu 0xfffd
	v_add_co_ci_u32_e64 v4, null, 0, v2, vcc_lo
	v_cmp_gt_u32_e32 vcc_lo, 6, v3
	s_delay_alu instid0(VALU_DEP_2) | instskip(SKIP_2) | instid1(VALU_DEP_1)
	v_lshlrev_b32_e32 v4, 2, v4
	s_wait_alu 0xfffd
	v_cndmask_b32_e64 v3, 0, 2, vcc_lo
	v_add_lshl_u32 v3, v3, v2, 2
	v_lshlrev_b32_e32 v2, 2, v2
	s_wait_dscnt 0x0
	ds_bpermute_b32 v4, v4, v1
	v_or_b32_e32 v2, 16, v2
	s_wait_dscnt 0x0
	v_add_nc_u32_e32 v1, v4, v1
	ds_bpermute_b32 v3, v3, v1
	s_wait_dscnt 0x0
	v_add_nc_u32_e32 v1, v3, v1
	ds_bpermute_b32 v2, v2, v1
	s_wait_dscnt 0x0
	v_add_nc_u32_e32 v1, v2, v1
.LBB318_621:
	s_or_b32 exec_lo, exec_lo, s5
	s_mov_b32 s5, 0
	s_branch .LBB318_628
.LBB318_622:
                                        ; implicit-def: $vgpr1
	s_cbranch_execnz .LBB318_639
.LBB318_623:
	s_delay_alu instid0(VALU_DEP_1)
	s_and_saveexec_b32 s3, s2
	s_cbranch_execz .LBB318_625
.LBB318_624:
	s_load_b32 s2, s[0:1], 0x28
	s_lshl_b64 s[0:1], s[34:35], 2
	s_cmp_lg_u64 s[36:37], 0
	s_add_nc_u64 s[0:1], s[38:39], s[0:1]
	s_cselect_b32 vcc_lo, -1, 0
	s_wait_alu 0xfffe
	v_dual_cndmask_b32 v0, 0, v1 :: v_dual_mov_b32 v1, 0
	s_wait_kmcnt 0x0
	s_delay_alu instid0(VALU_DEP_1)
	v_add_nc_u32_e32 v0, s2, v0
	global_store_b32 v1, v0, s[0:1]
.LBB318_625:
	s_nop 0
	s_sendmsg sendmsg(MSG_DEALLOC_VGPRS)
	s_endpgm
.LBB318_626:
                                        ; implicit-def: $vgpr1
	s_branch .LBB318_623
.LBB318_627:
	s_mov_b32 s5, -1
                                        ; implicit-def: $vgpr1
.LBB318_628:
	s_delay_alu instid0(SALU_CYCLE_1)
	s_and_b32 vcc_lo, exec_lo, s5
	s_wait_alu 0xfffe
	s_cbranch_vccz .LBB318_638
; %bb.629:
	v_mov_b32_e32 v1, 0
	s_sub_co_i32 s4, s36, s4
	s_mov_b32 s5, exec_lo
	s_delay_alu instid0(VALU_DEP_1)
	v_mov_b32_e32 v2, v1
	v_cmpx_gt_u32_e64 s4, v0
	s_cbranch_execz .LBB318_631
; %bb.630:
	v_dual_mov_b32 v3, v1 :: v_dual_lshlrev_b32 v2, 1, v0
	global_load_u16 v2, v2, s[2:3]
	s_wait_loadcnt 0x0
	v_cmp_ne_u16_e32 vcc_lo, 0, v2
	s_wait_alu 0xfffd
	v_cndmask_b32_e64 v2, 0, 1, vcc_lo
	s_delay_alu instid0(VALU_DEP_1) | instskip(NEXT) | instid1(VALU_DEP_1)
	v_and_b32_e32 v2, 0xffff, v2
	v_mov_b32_e32 v1, v2
	v_mov_b32_e32 v2, v3
.LBB318_631:
	s_or_b32 exec_lo, exec_lo, s5
	v_or_b32_e32 v3, 0x100, v0
	s_delay_alu instid0(VALU_DEP_1)
	v_cmp_gt_u32_e32 vcc_lo, s4, v3
	s_and_saveexec_b32 s5, vcc_lo
	s_cbranch_execz .LBB318_633
; %bb.632:
	v_lshlrev_b32_e32 v2, 1, v0
	global_load_u16 v2, v2, s[2:3] offset:512
	s_wait_loadcnt 0x0
	v_cmp_ne_u16_e64 s2, 0, v2
	s_delay_alu instid0(VALU_DEP_1)
	v_cndmask_b32_e64 v2, 0, 1, s2
.LBB318_633:
	s_wait_alu 0xfffe
	s_or_b32 exec_lo, exec_lo, s5
	v_mbcnt_lo_u32_b32 v3, -1, 0
	s_delay_alu instid0(VALU_DEP_2) | instskip(SKIP_2) | instid1(VALU_DEP_2)
	v_cndmask_b32_e32 v2, 0, v2, vcc_lo
	s_min_u32 s2, s4, 0x100
	s_mov_b32 s3, exec_lo
	v_cmp_ne_u32_e32 vcc_lo, 31, v3
	v_add_nc_u32_e32 v5, 1, v3
	v_add_nc_u32_e32 v1, v2, v1
	s_wait_alu 0xfffd
	v_add_co_ci_u32_e64 v4, null, 0, v3, vcc_lo
	v_cmp_gt_u32_e32 vcc_lo, 30, v3
	s_delay_alu instid0(VALU_DEP_2)
	v_lshlrev_b32_e32 v2, 2, v4
	v_and_b32_e32 v4, 0xe0, v0
	s_wait_alu 0xfffd
	v_cndmask_b32_e64 v6, 0, 2, vcc_lo
	ds_bpermute_b32 v2, v2, v1
	s_wait_alu 0xfffe
	v_sub_nc_u32_e64 v4, s2, v4 clamp
	s_delay_alu instid0(VALU_DEP_1)
	v_cmp_lt_u32_e32 vcc_lo, v5, v4
	v_add_lshl_u32 v5, v6, v3, 2
	s_wait_dscnt 0x0
	s_wait_alu 0xfffd
	v_cndmask_b32_e32 v2, 0, v2, vcc_lo
	v_cmp_gt_u32_e32 vcc_lo, 28, v3
	s_delay_alu instid0(VALU_DEP_2) | instskip(SKIP_4) | instid1(VALU_DEP_1)
	v_add_nc_u32_e32 v1, v2, v1
	s_wait_alu 0xfffd
	v_cndmask_b32_e64 v6, 0, 4, vcc_lo
	ds_bpermute_b32 v2, v5, v1
	v_add_nc_u32_e32 v5, 2, v3
	v_cmp_lt_u32_e32 vcc_lo, v5, v4
	v_add_lshl_u32 v5, v6, v3, 2
	s_wait_dscnt 0x0
	s_wait_alu 0xfffd
	v_cndmask_b32_e32 v2, 0, v2, vcc_lo
	v_cmp_gt_u32_e32 vcc_lo, 24, v3
	s_delay_alu instid0(VALU_DEP_2) | instskip(SKIP_4) | instid1(VALU_DEP_1)
	v_add_nc_u32_e32 v1, v1, v2
	s_wait_alu 0xfffd
	v_cndmask_b32_e64 v6, 0, 8, vcc_lo
	ds_bpermute_b32 v2, v5, v1
	v_add_nc_u32_e32 v5, 4, v3
	v_cmp_lt_u32_e32 vcc_lo, v5, v4
	v_add_lshl_u32 v5, v6, v3, 2
	v_add_nc_u32_e32 v6, 8, v3
	s_wait_dscnt 0x0
	s_wait_alu 0xfffd
	v_cndmask_b32_e32 v2, 0, v2, vcc_lo
	s_delay_alu instid0(VALU_DEP_2) | instskip(NEXT) | instid1(VALU_DEP_2)
	v_cmp_lt_u32_e32 vcc_lo, v6, v4
	v_add_nc_u32_e32 v1, v1, v2
	v_lshlrev_b32_e32 v2, 2, v3
	ds_bpermute_b32 v5, v5, v1
	v_or_b32_e32 v6, 64, v2
	s_wait_dscnt 0x0
	s_wait_alu 0xfffd
	v_cndmask_b32_e32 v5, 0, v5, vcc_lo
	s_delay_alu instid0(VALU_DEP_1) | instskip(SKIP_2) | instid1(VALU_DEP_1)
	v_add_nc_u32_e32 v1, v1, v5
	ds_bpermute_b32 v5, v6, v1
	v_add_nc_u32_e32 v6, 16, v3
	v_cmp_lt_u32_e32 vcc_lo, v6, v4
	s_wait_dscnt 0x0
	s_wait_alu 0xfffd
	v_cndmask_b32_e32 v4, 0, v5, vcc_lo
	s_delay_alu instid0(VALU_DEP_1)
	v_add_nc_u32_e32 v1, v1, v4
	v_cmpx_eq_u32_e32 0, v3
; %bb.634:
	v_lshrrev_b32_e32 v4, 3, v0
	s_delay_alu instid0(VALU_DEP_1)
	v_and_b32_e32 v4, 28, v4
	ds_store_b32 v4, v1 offset:256
; %bb.635:
	s_or_b32 exec_lo, exec_lo, s3
	s_delay_alu instid0(SALU_CYCLE_1)
	s_mov_b32 s3, exec_lo
	s_wait_loadcnt_dscnt 0x0
	s_barrier_signal -1
	s_barrier_wait -1
	global_inv scope:SCOPE_SE
	v_cmpx_gt_u32_e32 8, v0
	s_cbranch_execz .LBB318_637
; %bb.636:
	ds_load_b32 v1, v2 offset:256
	v_and_b32_e32 v4, 7, v3
	s_add_co_i32 s2, s2, 31
	v_or_b32_e32 v2, 16, v2
	s_wait_alu 0xfffe
	s_lshr_b32 s2, s2, 5
	v_cmp_ne_u32_e32 vcc_lo, 7, v4
	v_add_nc_u32_e32 v6, 1, v4
	s_wait_alu 0xfffd
	v_add_co_ci_u32_e64 v5, null, 0, v3, vcc_lo
	v_cmp_gt_u32_e32 vcc_lo, 6, v4
	s_delay_alu instid0(VALU_DEP_2)
	v_lshlrev_b32_e32 v5, 2, v5
	s_wait_alu 0xfffd
	v_cndmask_b32_e64 v7, 0, 2, vcc_lo
	s_wait_alu 0xfffe
	v_cmp_gt_u32_e32 vcc_lo, s2, v6
	s_wait_dscnt 0x0
	ds_bpermute_b32 v5, v5, v1
	v_add_lshl_u32 v3, v7, v3, 2
	s_wait_dscnt 0x0
	s_wait_alu 0xfffd
	v_cndmask_b32_e32 v5, 0, v5, vcc_lo
	s_delay_alu instid0(VALU_DEP_1)
	v_add_nc_u32_e32 v1, v5, v1
	v_add_nc_u32_e32 v5, 2, v4
	ds_bpermute_b32 v3, v3, v1
	v_cmp_gt_u32_e32 vcc_lo, s2, v5
	s_wait_dscnt 0x0
	s_wait_alu 0xfffd
	v_cndmask_b32_e32 v3, 0, v3, vcc_lo
	s_delay_alu instid0(VALU_DEP_1)
	v_add_nc_u32_e32 v1, v1, v3
	v_add_nc_u32_e32 v3, 4, v4
	ds_bpermute_b32 v2, v2, v1
	v_cmp_gt_u32_e32 vcc_lo, s2, v3
	s_wait_dscnt 0x0
	s_wait_alu 0xfffd
	v_cndmask_b32_e32 v2, 0, v2, vcc_lo
	s_delay_alu instid0(VALU_DEP_1)
	v_add_nc_u32_e32 v1, v1, v2
.LBB318_637:
	s_wait_alu 0xfffe
	s_or_b32 exec_lo, exec_lo, s3
.LBB318_638:
	v_cmp_eq_u32_e64 s2, 0, v0
	s_branch .LBB318_623
.LBB318_639:
	s_cmp_eq_u32 s44, 1
	s_cbranch_scc0 .LBB318_647
; %bb.640:
	s_mov_b32 s3, 0
	v_mbcnt_lo_u32_b32 v2, -1, 0
	s_lshr_b64 s[4:5], s[36:37], 8
	s_mov_b32 s35, s3
	s_lshl_b32 s2, s34, 8
	s_cmp_lg_u64 s[4:5], s[34:35]
	s_cbranch_scc0 .LBB318_648
; %bb.641:
	v_lshlrev_b32_e32 v1, 1, v0
	s_lshl_b64 s[4:5], s[2:3], 1
	s_delay_alu instid0(SALU_CYCLE_1)
	s_add_nc_u64 s[4:5], s[40:41], s[4:5]
	global_load_u16 v1, v1, s[4:5]
	s_mov_b32 s4, exec_lo
	s_wait_loadcnt 0x0
	v_cmp_ne_u16_e32 vcc_lo, 0, v1
	v_cndmask_b32_e64 v1, 0, 1, vcc_lo
	s_delay_alu instid0(VALU_DEP_1) | instskip(NEXT) | instid1(VALU_DEP_1)
	v_mov_b32_dpp v1, v1 quad_perm:[1,0,3,2] row_mask:0xf bank_mask:0xf
	v_add_co_ci_u32_e64 v3, null, 0, v1, vcc_lo
	s_delay_alu instid0(VALU_DEP_1) | instskip(NEXT) | instid1(VALU_DEP_1)
	v_mov_b32_dpp v3, v3 quad_perm:[2,3,0,1] row_mask:0xf bank_mask:0xf
	v_add_co_ci_u32_e64 v1, null, v3, v1, vcc_lo
	s_delay_alu instid0(VALU_DEP_1) | instskip(NEXT) | instid1(VALU_DEP_1)
	v_mov_b32_dpp v3, v1 row_ror:4 row_mask:0xf bank_mask:0xf
	v_add_nc_u32_e32 v1, v1, v3
	s_delay_alu instid0(VALU_DEP_1) | instskip(NEXT) | instid1(VALU_DEP_1)
	v_mov_b32_dpp v3, v1 row_ror:8 row_mask:0xf bank_mask:0xf
	v_add_nc_u32_e32 v1, v1, v3
	ds_swizzle_b32 v3, v1 offset:swizzle(BROADCAST,32,15)
	s_wait_dscnt 0x0
	v_add_nc_u32_e32 v1, v1, v3
	v_mov_b32_e32 v3, 0
	ds_bpermute_b32 v1, v3, v1 offset:124
	v_cmpx_eq_u32_e32 0, v2
	s_cbranch_execz .LBB318_643
; %bb.642:
	v_lshrrev_b32_e32 v3, 3, v0
	s_delay_alu instid0(VALU_DEP_1)
	v_and_b32_e32 v3, 28, v3
	s_wait_dscnt 0x0
	ds_store_b32 v3, v1 offset:64
.LBB318_643:
	s_or_b32 exec_lo, exec_lo, s4
	s_delay_alu instid0(SALU_CYCLE_1)
	s_mov_b32 s4, exec_lo
	s_wait_dscnt 0x0
	s_barrier_signal -1
	s_barrier_wait -1
	global_inv scope:SCOPE_SE
	v_cmpx_gt_u32_e32 32, v0
	s_cbranch_execz .LBB318_645
; %bb.644:
	v_and_b32_e32 v1, 7, v2
	s_delay_alu instid0(VALU_DEP_1)
	v_lshlrev_b32_e32 v3, 2, v1
	v_cmp_ne_u32_e32 vcc_lo, 7, v1
	ds_load_b32 v3, v3 offset:64
	s_wait_alu 0xfffd
	v_add_co_ci_u32_e64 v4, null, 0, v2, vcc_lo
	v_cmp_gt_u32_e32 vcc_lo, 6, v1
	s_delay_alu instid0(VALU_DEP_2) | instskip(SKIP_2) | instid1(VALU_DEP_1)
	v_lshlrev_b32_e32 v4, 2, v4
	s_wait_alu 0xfffd
	v_cndmask_b32_e64 v1, 0, 2, vcc_lo
	v_add_lshl_u32 v1, v1, v2, 2
	s_wait_dscnt 0x0
	ds_bpermute_b32 v4, v4, v3
	s_wait_dscnt 0x0
	v_add_nc_u32_e32 v3, v4, v3
	v_lshlrev_b32_e32 v4, 2, v2
	ds_bpermute_b32 v1, v1, v3
	s_wait_dscnt 0x0
	v_add_nc_u32_e32 v1, v1, v3
	v_or_b32_e32 v3, 16, v4
	ds_bpermute_b32 v3, v3, v1
	s_wait_dscnt 0x0
	v_add_nc_u32_e32 v1, v3, v1
.LBB318_645:
	s_or_b32 exec_lo, exec_lo, s4
.LBB318_646:
	v_cmp_eq_u32_e64 s2, 0, v0
	s_and_saveexec_b32 s3, s2
	s_cbranch_execnz .LBB318_624
	s_branch .LBB318_625
.LBB318_647:
                                        ; implicit-def: $vgpr1
                                        ; implicit-def: $sgpr34_sgpr35
	s_and_saveexec_b32 s3, s2
	s_cbranch_execz .LBB318_625
	s_branch .LBB318_624
.LBB318_648:
                                        ; implicit-def: $vgpr1
	s_cbranch_execz .LBB318_646
; %bb.649:
	s_sub_co_i32 s4, s36, s2
	s_mov_b32 s5, exec_lo
                                        ; implicit-def: $vgpr1
	v_cmpx_gt_u32_e64 s4, v0
	s_cbranch_execz .LBB318_651
; %bb.650:
	v_lshlrev_b32_e32 v1, 1, v0
	s_lshl_b64 s[2:3], s[2:3], 1
	s_delay_alu instid0(SALU_CYCLE_1)
	s_add_nc_u64 s[2:3], s[40:41], s[2:3]
	global_load_u16 v1, v1, s[2:3]
	s_wait_loadcnt 0x0
	v_cmp_ne_u16_e32 vcc_lo, 0, v1
	v_cndmask_b32_e64 v1, 0, 1, vcc_lo
.LBB318_651:
	s_or_b32 exec_lo, exec_lo, s5
	v_cmp_ne_u32_e32 vcc_lo, 31, v2
	s_min_u32 s2, s4, 0x100
	v_add_nc_u32_e32 v5, 1, v2
	s_mov_b32 s3, exec_lo
	s_wait_alu 0xfffd
	v_add_co_ci_u32_e64 v3, null, 0, v2, vcc_lo
	v_cmp_gt_u32_e32 vcc_lo, 30, v2
	s_delay_alu instid0(VALU_DEP_2) | instskip(SKIP_4) | instid1(VALU_DEP_1)
	v_lshlrev_b32_e32 v3, 2, v3
	s_wait_alu 0xfffd
	v_cndmask_b32_e64 v6, 0, 2, vcc_lo
	ds_bpermute_b32 v3, v3, v1
	v_and_b32_e32 v4, 0xe0, v0
	v_sub_nc_u32_e64 v4, s2, v4 clamp
	s_delay_alu instid0(VALU_DEP_1)
	v_cmp_lt_u32_e32 vcc_lo, v5, v4
	v_add_lshl_u32 v5, v6, v2, 2
	s_wait_dscnt 0x0
	s_wait_alu 0xfffd
	v_cndmask_b32_e32 v3, 0, v3, vcc_lo
	v_cmp_gt_u32_e32 vcc_lo, 28, v2
	s_delay_alu instid0(VALU_DEP_2) | instskip(SKIP_4) | instid1(VALU_DEP_1)
	v_add_nc_u32_e32 v1, v3, v1
	s_wait_alu 0xfffd
	v_cndmask_b32_e64 v6, 0, 4, vcc_lo
	ds_bpermute_b32 v3, v5, v1
	v_add_nc_u32_e32 v5, 2, v2
	v_cmp_lt_u32_e32 vcc_lo, v5, v4
	v_add_lshl_u32 v5, v6, v2, 2
	s_wait_dscnt 0x0
	s_wait_alu 0xfffd
	v_cndmask_b32_e32 v3, 0, v3, vcc_lo
	v_cmp_gt_u32_e32 vcc_lo, 24, v2
	s_delay_alu instid0(VALU_DEP_2) | instskip(SKIP_4) | instid1(VALU_DEP_1)
	v_add_nc_u32_e32 v1, v1, v3
	s_wait_alu 0xfffd
	v_cndmask_b32_e64 v6, 0, 8, vcc_lo
	ds_bpermute_b32 v3, v5, v1
	v_add_nc_u32_e32 v5, 4, v2
	v_cmp_lt_u32_e32 vcc_lo, v5, v4
	v_add_lshl_u32 v5, v6, v2, 2
	s_wait_dscnt 0x0
	s_wait_alu 0xfffd
	v_dual_cndmask_b32 v3, 0, v3 :: v_dual_add_nc_u32 v6, 8, v2
	s_delay_alu instid0(VALU_DEP_1) | instskip(NEXT) | instid1(VALU_DEP_2)
	v_cmp_lt_u32_e32 vcc_lo, v6, v4
	v_add_nc_u32_e32 v1, v1, v3
	v_lshlrev_b32_e32 v3, 2, v2
	ds_bpermute_b32 v5, v5, v1
	v_or_b32_e32 v6, 64, v3
	s_wait_dscnt 0x0
	s_wait_alu 0xfffd
	v_cndmask_b32_e32 v5, 0, v5, vcc_lo
	s_delay_alu instid0(VALU_DEP_1) | instskip(SKIP_2) | instid1(VALU_DEP_1)
	v_add_nc_u32_e32 v1, v1, v5
	ds_bpermute_b32 v5, v6, v1
	v_add_nc_u32_e32 v6, 16, v2
	v_cmp_lt_u32_e32 vcc_lo, v6, v4
	s_wait_dscnt 0x0
	s_wait_alu 0xfffd
	v_cndmask_b32_e32 v4, 0, v5, vcc_lo
	s_delay_alu instid0(VALU_DEP_1)
	v_add_nc_u32_e32 v1, v1, v4
	v_cmpx_eq_u32_e32 0, v2
; %bb.652:
	v_lshrrev_b32_e32 v4, 3, v0
	s_delay_alu instid0(VALU_DEP_1)
	v_and_b32_e32 v4, 28, v4
	ds_store_b32 v4, v1 offset:256
; %bb.653:
	s_or_b32 exec_lo, exec_lo, s3
	s_delay_alu instid0(SALU_CYCLE_1)
	s_mov_b32 s3, exec_lo
	s_wait_loadcnt_dscnt 0x0
	s_barrier_signal -1
	s_barrier_wait -1
	global_inv scope:SCOPE_SE
	v_cmpx_gt_u32_e32 8, v0
	s_cbranch_execz .LBB318_655
; %bb.654:
	ds_load_b32 v1, v3 offset:256
	v_and_b32_e32 v4, 7, v2
	s_add_co_i32 s2, s2, 31
	s_wait_alu 0xfffe
	s_lshr_b32 s2, s2, 5
	s_delay_alu instid0(VALU_DEP_1) | instskip(SKIP_4) | instid1(VALU_DEP_2)
	v_cmp_ne_u32_e32 vcc_lo, 7, v4
	v_add_nc_u32_e32 v6, 1, v4
	s_wait_alu 0xfffd
	v_add_co_ci_u32_e64 v5, null, 0, v2, vcc_lo
	v_cmp_gt_u32_e32 vcc_lo, 6, v4
	v_lshlrev_b32_e32 v5, 2, v5
	s_wait_alu 0xfffd
	v_cndmask_b32_e64 v7, 0, 2, vcc_lo
	s_wait_alu 0xfffe
	v_cmp_gt_u32_e32 vcc_lo, s2, v6
	s_wait_dscnt 0x0
	ds_bpermute_b32 v5, v5, v1
	v_add_lshl_u32 v2, v7, v2, 2
	s_wait_dscnt 0x0
	s_wait_alu 0xfffd
	v_cndmask_b32_e32 v5, 0, v5, vcc_lo
	s_delay_alu instid0(VALU_DEP_1)
	v_add_nc_u32_e32 v1, v5, v1
	v_add_nc_u32_e32 v5, 2, v4
	ds_bpermute_b32 v2, v2, v1
	v_cmp_gt_u32_e32 vcc_lo, s2, v5
	s_wait_dscnt 0x0
	s_wait_alu 0xfffd
	v_cndmask_b32_e32 v2, 0, v2, vcc_lo
	s_delay_alu instid0(VALU_DEP_1)
	v_add_nc_u32_e32 v1, v1, v2
	v_or_b32_e32 v2, 16, v3
	v_add_nc_u32_e32 v3, 4, v4
	ds_bpermute_b32 v2, v2, v1
	v_cmp_gt_u32_e32 vcc_lo, s2, v3
	s_wait_dscnt 0x0
	s_wait_alu 0xfffd
	v_cndmask_b32_e32 v2, 0, v2, vcc_lo
	s_delay_alu instid0(VALU_DEP_1)
	v_add_nc_u32_e32 v1, v1, v2
.LBB318_655:
	s_wait_alu 0xfffe
	s_or_b32 exec_lo, exec_lo, s3
	v_cmp_eq_u32_e64 s2, 0, v0
	s_and_saveexec_b32 s3, s2
	s_cbranch_execnz .LBB318_624
	s_branch .LBB318_625
	.section	.rodata,"a",@progbits
	.p2align	6, 0x0
	.amdhsa_kernel _ZN7rocprim17ROCPRIM_400000_NS6detail17trampoline_kernelINS0_14default_configENS1_22reduce_config_selectorIbEEZNS1_11reduce_implILb1ES3_N6hipcub16HIPCUB_304000_NS22TransformInputIteratorIbN2at6native12_GLOBAL__N_19NonZeroOpIsEEPKslEEPiiNS8_6detail34convert_binary_result_type_wrapperINS8_3SumESH_iEEEE10hipError_tPvRmT1_T2_T3_mT4_P12ihipStream_tbEUlT_E1_NS1_11comp_targetILNS1_3genE10ELNS1_11target_archE1201ELNS1_3gpuE5ELNS1_3repE0EEENS1_30default_config_static_selectorELNS0_4arch9wavefront6targetE0EEEvSQ_
		.amdhsa_group_segment_fixed_size 288
		.amdhsa_private_segment_fixed_size 0
		.amdhsa_kernarg_size 48
		.amdhsa_user_sgpr_count 2
		.amdhsa_user_sgpr_dispatch_ptr 0
		.amdhsa_user_sgpr_queue_ptr 0
		.amdhsa_user_sgpr_kernarg_segment_ptr 1
		.amdhsa_user_sgpr_dispatch_id 0
		.amdhsa_user_sgpr_private_segment_size 0
		.amdhsa_wavefront_size32 1
		.amdhsa_uses_dynamic_stack 0
		.amdhsa_enable_private_segment 0
		.amdhsa_system_sgpr_workgroup_id_x 1
		.amdhsa_system_sgpr_workgroup_id_y 0
		.amdhsa_system_sgpr_workgroup_id_z 0
		.amdhsa_system_sgpr_workgroup_info 0
		.amdhsa_system_vgpr_workitem_id 0
		.amdhsa_next_free_vgpr 129
		.amdhsa_next_free_sgpr 47
		.amdhsa_reserve_vcc 1
		.amdhsa_float_round_mode_32 0
		.amdhsa_float_round_mode_16_64 0
		.amdhsa_float_denorm_mode_32 3
		.amdhsa_float_denorm_mode_16_64 3
		.amdhsa_fp16_overflow 0
		.amdhsa_workgroup_processor_mode 1
		.amdhsa_memory_ordered 1
		.amdhsa_forward_progress 1
		.amdhsa_inst_pref_size 255
		.amdhsa_round_robin_scheduling 0
		.amdhsa_exception_fp_ieee_invalid_op 0
		.amdhsa_exception_fp_denorm_src 0
		.amdhsa_exception_fp_ieee_div_zero 0
		.amdhsa_exception_fp_ieee_overflow 0
		.amdhsa_exception_fp_ieee_underflow 0
		.amdhsa_exception_fp_ieee_inexact 0
		.amdhsa_exception_int_div_zero 0
	.end_amdhsa_kernel
	.section	.text._ZN7rocprim17ROCPRIM_400000_NS6detail17trampoline_kernelINS0_14default_configENS1_22reduce_config_selectorIbEEZNS1_11reduce_implILb1ES3_N6hipcub16HIPCUB_304000_NS22TransformInputIteratorIbN2at6native12_GLOBAL__N_19NonZeroOpIsEEPKslEEPiiNS8_6detail34convert_binary_result_type_wrapperINS8_3SumESH_iEEEE10hipError_tPvRmT1_T2_T3_mT4_P12ihipStream_tbEUlT_E1_NS1_11comp_targetILNS1_3genE10ELNS1_11target_archE1201ELNS1_3gpuE5ELNS1_3repE0EEENS1_30default_config_static_selectorELNS0_4arch9wavefront6targetE0EEEvSQ_,"axG",@progbits,_ZN7rocprim17ROCPRIM_400000_NS6detail17trampoline_kernelINS0_14default_configENS1_22reduce_config_selectorIbEEZNS1_11reduce_implILb1ES3_N6hipcub16HIPCUB_304000_NS22TransformInputIteratorIbN2at6native12_GLOBAL__N_19NonZeroOpIsEEPKslEEPiiNS8_6detail34convert_binary_result_type_wrapperINS8_3SumESH_iEEEE10hipError_tPvRmT1_T2_T3_mT4_P12ihipStream_tbEUlT_E1_NS1_11comp_targetILNS1_3genE10ELNS1_11target_archE1201ELNS1_3gpuE5ELNS1_3repE0EEENS1_30default_config_static_selectorELNS0_4arch9wavefront6targetE0EEEvSQ_,comdat
.Lfunc_end318:
	.size	_ZN7rocprim17ROCPRIM_400000_NS6detail17trampoline_kernelINS0_14default_configENS1_22reduce_config_selectorIbEEZNS1_11reduce_implILb1ES3_N6hipcub16HIPCUB_304000_NS22TransformInputIteratorIbN2at6native12_GLOBAL__N_19NonZeroOpIsEEPKslEEPiiNS8_6detail34convert_binary_result_type_wrapperINS8_3SumESH_iEEEE10hipError_tPvRmT1_T2_T3_mT4_P12ihipStream_tbEUlT_E1_NS1_11comp_targetILNS1_3genE10ELNS1_11target_archE1201ELNS1_3gpuE5ELNS1_3repE0EEENS1_30default_config_static_selectorELNS0_4arch9wavefront6targetE0EEEvSQ_, .Lfunc_end318-_ZN7rocprim17ROCPRIM_400000_NS6detail17trampoline_kernelINS0_14default_configENS1_22reduce_config_selectorIbEEZNS1_11reduce_implILb1ES3_N6hipcub16HIPCUB_304000_NS22TransformInputIteratorIbN2at6native12_GLOBAL__N_19NonZeroOpIsEEPKslEEPiiNS8_6detail34convert_binary_result_type_wrapperINS8_3SumESH_iEEEE10hipError_tPvRmT1_T2_T3_mT4_P12ihipStream_tbEUlT_E1_NS1_11comp_targetILNS1_3genE10ELNS1_11target_archE1201ELNS1_3gpuE5ELNS1_3repE0EEENS1_30default_config_static_selectorELNS0_4arch9wavefront6targetE0EEEvSQ_
                                        ; -- End function
	.set _ZN7rocprim17ROCPRIM_400000_NS6detail17trampoline_kernelINS0_14default_configENS1_22reduce_config_selectorIbEEZNS1_11reduce_implILb1ES3_N6hipcub16HIPCUB_304000_NS22TransformInputIteratorIbN2at6native12_GLOBAL__N_19NonZeroOpIsEEPKslEEPiiNS8_6detail34convert_binary_result_type_wrapperINS8_3SumESH_iEEEE10hipError_tPvRmT1_T2_T3_mT4_P12ihipStream_tbEUlT_E1_NS1_11comp_targetILNS1_3genE10ELNS1_11target_archE1201ELNS1_3gpuE5ELNS1_3repE0EEENS1_30default_config_static_selectorELNS0_4arch9wavefront6targetE0EEEvSQ_.num_vgpr, 129
	.set _ZN7rocprim17ROCPRIM_400000_NS6detail17trampoline_kernelINS0_14default_configENS1_22reduce_config_selectorIbEEZNS1_11reduce_implILb1ES3_N6hipcub16HIPCUB_304000_NS22TransformInputIteratorIbN2at6native12_GLOBAL__N_19NonZeroOpIsEEPKslEEPiiNS8_6detail34convert_binary_result_type_wrapperINS8_3SumESH_iEEEE10hipError_tPvRmT1_T2_T3_mT4_P12ihipStream_tbEUlT_E1_NS1_11comp_targetILNS1_3genE10ELNS1_11target_archE1201ELNS1_3gpuE5ELNS1_3repE0EEENS1_30default_config_static_selectorELNS0_4arch9wavefront6targetE0EEEvSQ_.num_agpr, 0
	.set _ZN7rocprim17ROCPRIM_400000_NS6detail17trampoline_kernelINS0_14default_configENS1_22reduce_config_selectorIbEEZNS1_11reduce_implILb1ES3_N6hipcub16HIPCUB_304000_NS22TransformInputIteratorIbN2at6native12_GLOBAL__N_19NonZeroOpIsEEPKslEEPiiNS8_6detail34convert_binary_result_type_wrapperINS8_3SumESH_iEEEE10hipError_tPvRmT1_T2_T3_mT4_P12ihipStream_tbEUlT_E1_NS1_11comp_targetILNS1_3genE10ELNS1_11target_archE1201ELNS1_3gpuE5ELNS1_3repE0EEENS1_30default_config_static_selectorELNS0_4arch9wavefront6targetE0EEEvSQ_.numbered_sgpr, 47
	.set _ZN7rocprim17ROCPRIM_400000_NS6detail17trampoline_kernelINS0_14default_configENS1_22reduce_config_selectorIbEEZNS1_11reduce_implILb1ES3_N6hipcub16HIPCUB_304000_NS22TransformInputIteratorIbN2at6native12_GLOBAL__N_19NonZeroOpIsEEPKslEEPiiNS8_6detail34convert_binary_result_type_wrapperINS8_3SumESH_iEEEE10hipError_tPvRmT1_T2_T3_mT4_P12ihipStream_tbEUlT_E1_NS1_11comp_targetILNS1_3genE10ELNS1_11target_archE1201ELNS1_3gpuE5ELNS1_3repE0EEENS1_30default_config_static_selectorELNS0_4arch9wavefront6targetE0EEEvSQ_.num_named_barrier, 0
	.set _ZN7rocprim17ROCPRIM_400000_NS6detail17trampoline_kernelINS0_14default_configENS1_22reduce_config_selectorIbEEZNS1_11reduce_implILb1ES3_N6hipcub16HIPCUB_304000_NS22TransformInputIteratorIbN2at6native12_GLOBAL__N_19NonZeroOpIsEEPKslEEPiiNS8_6detail34convert_binary_result_type_wrapperINS8_3SumESH_iEEEE10hipError_tPvRmT1_T2_T3_mT4_P12ihipStream_tbEUlT_E1_NS1_11comp_targetILNS1_3genE10ELNS1_11target_archE1201ELNS1_3gpuE5ELNS1_3repE0EEENS1_30default_config_static_selectorELNS0_4arch9wavefront6targetE0EEEvSQ_.private_seg_size, 0
	.set _ZN7rocprim17ROCPRIM_400000_NS6detail17trampoline_kernelINS0_14default_configENS1_22reduce_config_selectorIbEEZNS1_11reduce_implILb1ES3_N6hipcub16HIPCUB_304000_NS22TransformInputIteratorIbN2at6native12_GLOBAL__N_19NonZeroOpIsEEPKslEEPiiNS8_6detail34convert_binary_result_type_wrapperINS8_3SumESH_iEEEE10hipError_tPvRmT1_T2_T3_mT4_P12ihipStream_tbEUlT_E1_NS1_11comp_targetILNS1_3genE10ELNS1_11target_archE1201ELNS1_3gpuE5ELNS1_3repE0EEENS1_30default_config_static_selectorELNS0_4arch9wavefront6targetE0EEEvSQ_.uses_vcc, 1
	.set _ZN7rocprim17ROCPRIM_400000_NS6detail17trampoline_kernelINS0_14default_configENS1_22reduce_config_selectorIbEEZNS1_11reduce_implILb1ES3_N6hipcub16HIPCUB_304000_NS22TransformInputIteratorIbN2at6native12_GLOBAL__N_19NonZeroOpIsEEPKslEEPiiNS8_6detail34convert_binary_result_type_wrapperINS8_3SumESH_iEEEE10hipError_tPvRmT1_T2_T3_mT4_P12ihipStream_tbEUlT_E1_NS1_11comp_targetILNS1_3genE10ELNS1_11target_archE1201ELNS1_3gpuE5ELNS1_3repE0EEENS1_30default_config_static_selectorELNS0_4arch9wavefront6targetE0EEEvSQ_.uses_flat_scratch, 0
	.set _ZN7rocprim17ROCPRIM_400000_NS6detail17trampoline_kernelINS0_14default_configENS1_22reduce_config_selectorIbEEZNS1_11reduce_implILb1ES3_N6hipcub16HIPCUB_304000_NS22TransformInputIteratorIbN2at6native12_GLOBAL__N_19NonZeroOpIsEEPKslEEPiiNS8_6detail34convert_binary_result_type_wrapperINS8_3SumESH_iEEEE10hipError_tPvRmT1_T2_T3_mT4_P12ihipStream_tbEUlT_E1_NS1_11comp_targetILNS1_3genE10ELNS1_11target_archE1201ELNS1_3gpuE5ELNS1_3repE0EEENS1_30default_config_static_selectorELNS0_4arch9wavefront6targetE0EEEvSQ_.has_dyn_sized_stack, 0
	.set _ZN7rocprim17ROCPRIM_400000_NS6detail17trampoline_kernelINS0_14default_configENS1_22reduce_config_selectorIbEEZNS1_11reduce_implILb1ES3_N6hipcub16HIPCUB_304000_NS22TransformInputIteratorIbN2at6native12_GLOBAL__N_19NonZeroOpIsEEPKslEEPiiNS8_6detail34convert_binary_result_type_wrapperINS8_3SumESH_iEEEE10hipError_tPvRmT1_T2_T3_mT4_P12ihipStream_tbEUlT_E1_NS1_11comp_targetILNS1_3genE10ELNS1_11target_archE1201ELNS1_3gpuE5ELNS1_3repE0EEENS1_30default_config_static_selectorELNS0_4arch9wavefront6targetE0EEEvSQ_.has_recursion, 0
	.set _ZN7rocprim17ROCPRIM_400000_NS6detail17trampoline_kernelINS0_14default_configENS1_22reduce_config_selectorIbEEZNS1_11reduce_implILb1ES3_N6hipcub16HIPCUB_304000_NS22TransformInputIteratorIbN2at6native12_GLOBAL__N_19NonZeroOpIsEEPKslEEPiiNS8_6detail34convert_binary_result_type_wrapperINS8_3SumESH_iEEEE10hipError_tPvRmT1_T2_T3_mT4_P12ihipStream_tbEUlT_E1_NS1_11comp_targetILNS1_3genE10ELNS1_11target_archE1201ELNS1_3gpuE5ELNS1_3repE0EEENS1_30default_config_static_selectorELNS0_4arch9wavefront6targetE0EEEvSQ_.has_indirect_call, 0
	.section	.AMDGPU.csdata,"",@progbits
; Kernel info:
; codeLenInByte = 37476
; TotalNumSgprs: 49
; NumVgprs: 129
; ScratchSize: 0
; MemoryBound: 0
; FloatMode: 240
; IeeeMode: 1
; LDSByteSize: 288 bytes/workgroup (compile time only)
; SGPRBlocks: 0
; VGPRBlocks: 16
; NumSGPRsForWavesPerEU: 49
; NumVGPRsForWavesPerEU: 129
; Occupancy: 10
; WaveLimiterHint : 1
; COMPUTE_PGM_RSRC2:SCRATCH_EN: 0
; COMPUTE_PGM_RSRC2:USER_SGPR: 2
; COMPUTE_PGM_RSRC2:TRAP_HANDLER: 0
; COMPUTE_PGM_RSRC2:TGID_X_EN: 1
; COMPUTE_PGM_RSRC2:TGID_Y_EN: 0
; COMPUTE_PGM_RSRC2:TGID_Z_EN: 0
; COMPUTE_PGM_RSRC2:TIDIG_COMP_CNT: 0
	.section	.text._ZN7rocprim17ROCPRIM_400000_NS6detail17trampoline_kernelINS0_14default_configENS1_22reduce_config_selectorIbEEZNS1_11reduce_implILb1ES3_N6hipcub16HIPCUB_304000_NS22TransformInputIteratorIbN2at6native12_GLOBAL__N_19NonZeroOpIsEEPKslEEPiiNS8_6detail34convert_binary_result_type_wrapperINS8_3SumESH_iEEEE10hipError_tPvRmT1_T2_T3_mT4_P12ihipStream_tbEUlT_E1_NS1_11comp_targetILNS1_3genE10ELNS1_11target_archE1200ELNS1_3gpuE4ELNS1_3repE0EEENS1_30default_config_static_selectorELNS0_4arch9wavefront6targetE0EEEvSQ_,"axG",@progbits,_ZN7rocprim17ROCPRIM_400000_NS6detail17trampoline_kernelINS0_14default_configENS1_22reduce_config_selectorIbEEZNS1_11reduce_implILb1ES3_N6hipcub16HIPCUB_304000_NS22TransformInputIteratorIbN2at6native12_GLOBAL__N_19NonZeroOpIsEEPKslEEPiiNS8_6detail34convert_binary_result_type_wrapperINS8_3SumESH_iEEEE10hipError_tPvRmT1_T2_T3_mT4_P12ihipStream_tbEUlT_E1_NS1_11comp_targetILNS1_3genE10ELNS1_11target_archE1200ELNS1_3gpuE4ELNS1_3repE0EEENS1_30default_config_static_selectorELNS0_4arch9wavefront6targetE0EEEvSQ_,comdat
	.globl	_ZN7rocprim17ROCPRIM_400000_NS6detail17trampoline_kernelINS0_14default_configENS1_22reduce_config_selectorIbEEZNS1_11reduce_implILb1ES3_N6hipcub16HIPCUB_304000_NS22TransformInputIteratorIbN2at6native12_GLOBAL__N_19NonZeroOpIsEEPKslEEPiiNS8_6detail34convert_binary_result_type_wrapperINS8_3SumESH_iEEEE10hipError_tPvRmT1_T2_T3_mT4_P12ihipStream_tbEUlT_E1_NS1_11comp_targetILNS1_3genE10ELNS1_11target_archE1200ELNS1_3gpuE4ELNS1_3repE0EEENS1_30default_config_static_selectorELNS0_4arch9wavefront6targetE0EEEvSQ_ ; -- Begin function _ZN7rocprim17ROCPRIM_400000_NS6detail17trampoline_kernelINS0_14default_configENS1_22reduce_config_selectorIbEEZNS1_11reduce_implILb1ES3_N6hipcub16HIPCUB_304000_NS22TransformInputIteratorIbN2at6native12_GLOBAL__N_19NonZeroOpIsEEPKslEEPiiNS8_6detail34convert_binary_result_type_wrapperINS8_3SumESH_iEEEE10hipError_tPvRmT1_T2_T3_mT4_P12ihipStream_tbEUlT_E1_NS1_11comp_targetILNS1_3genE10ELNS1_11target_archE1200ELNS1_3gpuE4ELNS1_3repE0EEENS1_30default_config_static_selectorELNS0_4arch9wavefront6targetE0EEEvSQ_
	.p2align	8
	.type	_ZN7rocprim17ROCPRIM_400000_NS6detail17trampoline_kernelINS0_14default_configENS1_22reduce_config_selectorIbEEZNS1_11reduce_implILb1ES3_N6hipcub16HIPCUB_304000_NS22TransformInputIteratorIbN2at6native12_GLOBAL__N_19NonZeroOpIsEEPKslEEPiiNS8_6detail34convert_binary_result_type_wrapperINS8_3SumESH_iEEEE10hipError_tPvRmT1_T2_T3_mT4_P12ihipStream_tbEUlT_E1_NS1_11comp_targetILNS1_3genE10ELNS1_11target_archE1200ELNS1_3gpuE4ELNS1_3repE0EEENS1_30default_config_static_selectorELNS0_4arch9wavefront6targetE0EEEvSQ_,@function
_ZN7rocprim17ROCPRIM_400000_NS6detail17trampoline_kernelINS0_14default_configENS1_22reduce_config_selectorIbEEZNS1_11reduce_implILb1ES3_N6hipcub16HIPCUB_304000_NS22TransformInputIteratorIbN2at6native12_GLOBAL__N_19NonZeroOpIsEEPKslEEPiiNS8_6detail34convert_binary_result_type_wrapperINS8_3SumESH_iEEEE10hipError_tPvRmT1_T2_T3_mT4_P12ihipStream_tbEUlT_E1_NS1_11comp_targetILNS1_3genE10ELNS1_11target_archE1200ELNS1_3gpuE4ELNS1_3repE0EEENS1_30default_config_static_selectorELNS0_4arch9wavefront6targetE0EEEvSQ_: ; @_ZN7rocprim17ROCPRIM_400000_NS6detail17trampoline_kernelINS0_14default_configENS1_22reduce_config_selectorIbEEZNS1_11reduce_implILb1ES3_N6hipcub16HIPCUB_304000_NS22TransformInputIteratorIbN2at6native12_GLOBAL__N_19NonZeroOpIsEEPKslEEPiiNS8_6detail34convert_binary_result_type_wrapperINS8_3SumESH_iEEEE10hipError_tPvRmT1_T2_T3_mT4_P12ihipStream_tbEUlT_E1_NS1_11comp_targetILNS1_3genE10ELNS1_11target_archE1200ELNS1_3gpuE4ELNS1_3repE0EEENS1_30default_config_static_selectorELNS0_4arch9wavefront6targetE0EEEvSQ_
; %bb.0:
	.section	.rodata,"a",@progbits
	.p2align	6, 0x0
	.amdhsa_kernel _ZN7rocprim17ROCPRIM_400000_NS6detail17trampoline_kernelINS0_14default_configENS1_22reduce_config_selectorIbEEZNS1_11reduce_implILb1ES3_N6hipcub16HIPCUB_304000_NS22TransformInputIteratorIbN2at6native12_GLOBAL__N_19NonZeroOpIsEEPKslEEPiiNS8_6detail34convert_binary_result_type_wrapperINS8_3SumESH_iEEEE10hipError_tPvRmT1_T2_T3_mT4_P12ihipStream_tbEUlT_E1_NS1_11comp_targetILNS1_3genE10ELNS1_11target_archE1200ELNS1_3gpuE4ELNS1_3repE0EEENS1_30default_config_static_selectorELNS0_4arch9wavefront6targetE0EEEvSQ_
		.amdhsa_group_segment_fixed_size 0
		.amdhsa_private_segment_fixed_size 0
		.amdhsa_kernarg_size 48
		.amdhsa_user_sgpr_count 2
		.amdhsa_user_sgpr_dispatch_ptr 0
		.amdhsa_user_sgpr_queue_ptr 0
		.amdhsa_user_sgpr_kernarg_segment_ptr 1
		.amdhsa_user_sgpr_dispatch_id 0
		.amdhsa_user_sgpr_private_segment_size 0
		.amdhsa_wavefront_size32 1
		.amdhsa_uses_dynamic_stack 0
		.amdhsa_enable_private_segment 0
		.amdhsa_system_sgpr_workgroup_id_x 1
		.amdhsa_system_sgpr_workgroup_id_y 0
		.amdhsa_system_sgpr_workgroup_id_z 0
		.amdhsa_system_sgpr_workgroup_info 0
		.amdhsa_system_vgpr_workitem_id 0
		.amdhsa_next_free_vgpr 1
		.amdhsa_next_free_sgpr 1
		.amdhsa_reserve_vcc 0
		.amdhsa_float_round_mode_32 0
		.amdhsa_float_round_mode_16_64 0
		.amdhsa_float_denorm_mode_32 3
		.amdhsa_float_denorm_mode_16_64 3
		.amdhsa_fp16_overflow 0
		.amdhsa_workgroup_processor_mode 1
		.amdhsa_memory_ordered 1
		.amdhsa_forward_progress 1
		.amdhsa_inst_pref_size 0
		.amdhsa_round_robin_scheduling 0
		.amdhsa_exception_fp_ieee_invalid_op 0
		.amdhsa_exception_fp_denorm_src 0
		.amdhsa_exception_fp_ieee_div_zero 0
		.amdhsa_exception_fp_ieee_overflow 0
		.amdhsa_exception_fp_ieee_underflow 0
		.amdhsa_exception_fp_ieee_inexact 0
		.amdhsa_exception_int_div_zero 0
	.end_amdhsa_kernel
	.section	.text._ZN7rocprim17ROCPRIM_400000_NS6detail17trampoline_kernelINS0_14default_configENS1_22reduce_config_selectorIbEEZNS1_11reduce_implILb1ES3_N6hipcub16HIPCUB_304000_NS22TransformInputIteratorIbN2at6native12_GLOBAL__N_19NonZeroOpIsEEPKslEEPiiNS8_6detail34convert_binary_result_type_wrapperINS8_3SumESH_iEEEE10hipError_tPvRmT1_T2_T3_mT4_P12ihipStream_tbEUlT_E1_NS1_11comp_targetILNS1_3genE10ELNS1_11target_archE1200ELNS1_3gpuE4ELNS1_3repE0EEENS1_30default_config_static_selectorELNS0_4arch9wavefront6targetE0EEEvSQ_,"axG",@progbits,_ZN7rocprim17ROCPRIM_400000_NS6detail17trampoline_kernelINS0_14default_configENS1_22reduce_config_selectorIbEEZNS1_11reduce_implILb1ES3_N6hipcub16HIPCUB_304000_NS22TransformInputIteratorIbN2at6native12_GLOBAL__N_19NonZeroOpIsEEPKslEEPiiNS8_6detail34convert_binary_result_type_wrapperINS8_3SumESH_iEEEE10hipError_tPvRmT1_T2_T3_mT4_P12ihipStream_tbEUlT_E1_NS1_11comp_targetILNS1_3genE10ELNS1_11target_archE1200ELNS1_3gpuE4ELNS1_3repE0EEENS1_30default_config_static_selectorELNS0_4arch9wavefront6targetE0EEEvSQ_,comdat
.Lfunc_end319:
	.size	_ZN7rocprim17ROCPRIM_400000_NS6detail17trampoline_kernelINS0_14default_configENS1_22reduce_config_selectorIbEEZNS1_11reduce_implILb1ES3_N6hipcub16HIPCUB_304000_NS22TransformInputIteratorIbN2at6native12_GLOBAL__N_19NonZeroOpIsEEPKslEEPiiNS8_6detail34convert_binary_result_type_wrapperINS8_3SumESH_iEEEE10hipError_tPvRmT1_T2_T3_mT4_P12ihipStream_tbEUlT_E1_NS1_11comp_targetILNS1_3genE10ELNS1_11target_archE1200ELNS1_3gpuE4ELNS1_3repE0EEENS1_30default_config_static_selectorELNS0_4arch9wavefront6targetE0EEEvSQ_, .Lfunc_end319-_ZN7rocprim17ROCPRIM_400000_NS6detail17trampoline_kernelINS0_14default_configENS1_22reduce_config_selectorIbEEZNS1_11reduce_implILb1ES3_N6hipcub16HIPCUB_304000_NS22TransformInputIteratorIbN2at6native12_GLOBAL__N_19NonZeroOpIsEEPKslEEPiiNS8_6detail34convert_binary_result_type_wrapperINS8_3SumESH_iEEEE10hipError_tPvRmT1_T2_T3_mT4_P12ihipStream_tbEUlT_E1_NS1_11comp_targetILNS1_3genE10ELNS1_11target_archE1200ELNS1_3gpuE4ELNS1_3repE0EEENS1_30default_config_static_selectorELNS0_4arch9wavefront6targetE0EEEvSQ_
                                        ; -- End function
	.set _ZN7rocprim17ROCPRIM_400000_NS6detail17trampoline_kernelINS0_14default_configENS1_22reduce_config_selectorIbEEZNS1_11reduce_implILb1ES3_N6hipcub16HIPCUB_304000_NS22TransformInputIteratorIbN2at6native12_GLOBAL__N_19NonZeroOpIsEEPKslEEPiiNS8_6detail34convert_binary_result_type_wrapperINS8_3SumESH_iEEEE10hipError_tPvRmT1_T2_T3_mT4_P12ihipStream_tbEUlT_E1_NS1_11comp_targetILNS1_3genE10ELNS1_11target_archE1200ELNS1_3gpuE4ELNS1_3repE0EEENS1_30default_config_static_selectorELNS0_4arch9wavefront6targetE0EEEvSQ_.num_vgpr, 0
	.set _ZN7rocprim17ROCPRIM_400000_NS6detail17trampoline_kernelINS0_14default_configENS1_22reduce_config_selectorIbEEZNS1_11reduce_implILb1ES3_N6hipcub16HIPCUB_304000_NS22TransformInputIteratorIbN2at6native12_GLOBAL__N_19NonZeroOpIsEEPKslEEPiiNS8_6detail34convert_binary_result_type_wrapperINS8_3SumESH_iEEEE10hipError_tPvRmT1_T2_T3_mT4_P12ihipStream_tbEUlT_E1_NS1_11comp_targetILNS1_3genE10ELNS1_11target_archE1200ELNS1_3gpuE4ELNS1_3repE0EEENS1_30default_config_static_selectorELNS0_4arch9wavefront6targetE0EEEvSQ_.num_agpr, 0
	.set _ZN7rocprim17ROCPRIM_400000_NS6detail17trampoline_kernelINS0_14default_configENS1_22reduce_config_selectorIbEEZNS1_11reduce_implILb1ES3_N6hipcub16HIPCUB_304000_NS22TransformInputIteratorIbN2at6native12_GLOBAL__N_19NonZeroOpIsEEPKslEEPiiNS8_6detail34convert_binary_result_type_wrapperINS8_3SumESH_iEEEE10hipError_tPvRmT1_T2_T3_mT4_P12ihipStream_tbEUlT_E1_NS1_11comp_targetILNS1_3genE10ELNS1_11target_archE1200ELNS1_3gpuE4ELNS1_3repE0EEENS1_30default_config_static_selectorELNS0_4arch9wavefront6targetE0EEEvSQ_.numbered_sgpr, 0
	.set _ZN7rocprim17ROCPRIM_400000_NS6detail17trampoline_kernelINS0_14default_configENS1_22reduce_config_selectorIbEEZNS1_11reduce_implILb1ES3_N6hipcub16HIPCUB_304000_NS22TransformInputIteratorIbN2at6native12_GLOBAL__N_19NonZeroOpIsEEPKslEEPiiNS8_6detail34convert_binary_result_type_wrapperINS8_3SumESH_iEEEE10hipError_tPvRmT1_T2_T3_mT4_P12ihipStream_tbEUlT_E1_NS1_11comp_targetILNS1_3genE10ELNS1_11target_archE1200ELNS1_3gpuE4ELNS1_3repE0EEENS1_30default_config_static_selectorELNS0_4arch9wavefront6targetE0EEEvSQ_.num_named_barrier, 0
	.set _ZN7rocprim17ROCPRIM_400000_NS6detail17trampoline_kernelINS0_14default_configENS1_22reduce_config_selectorIbEEZNS1_11reduce_implILb1ES3_N6hipcub16HIPCUB_304000_NS22TransformInputIteratorIbN2at6native12_GLOBAL__N_19NonZeroOpIsEEPKslEEPiiNS8_6detail34convert_binary_result_type_wrapperINS8_3SumESH_iEEEE10hipError_tPvRmT1_T2_T3_mT4_P12ihipStream_tbEUlT_E1_NS1_11comp_targetILNS1_3genE10ELNS1_11target_archE1200ELNS1_3gpuE4ELNS1_3repE0EEENS1_30default_config_static_selectorELNS0_4arch9wavefront6targetE0EEEvSQ_.private_seg_size, 0
	.set _ZN7rocprim17ROCPRIM_400000_NS6detail17trampoline_kernelINS0_14default_configENS1_22reduce_config_selectorIbEEZNS1_11reduce_implILb1ES3_N6hipcub16HIPCUB_304000_NS22TransformInputIteratorIbN2at6native12_GLOBAL__N_19NonZeroOpIsEEPKslEEPiiNS8_6detail34convert_binary_result_type_wrapperINS8_3SumESH_iEEEE10hipError_tPvRmT1_T2_T3_mT4_P12ihipStream_tbEUlT_E1_NS1_11comp_targetILNS1_3genE10ELNS1_11target_archE1200ELNS1_3gpuE4ELNS1_3repE0EEENS1_30default_config_static_selectorELNS0_4arch9wavefront6targetE0EEEvSQ_.uses_vcc, 0
	.set _ZN7rocprim17ROCPRIM_400000_NS6detail17trampoline_kernelINS0_14default_configENS1_22reduce_config_selectorIbEEZNS1_11reduce_implILb1ES3_N6hipcub16HIPCUB_304000_NS22TransformInputIteratorIbN2at6native12_GLOBAL__N_19NonZeroOpIsEEPKslEEPiiNS8_6detail34convert_binary_result_type_wrapperINS8_3SumESH_iEEEE10hipError_tPvRmT1_T2_T3_mT4_P12ihipStream_tbEUlT_E1_NS1_11comp_targetILNS1_3genE10ELNS1_11target_archE1200ELNS1_3gpuE4ELNS1_3repE0EEENS1_30default_config_static_selectorELNS0_4arch9wavefront6targetE0EEEvSQ_.uses_flat_scratch, 0
	.set _ZN7rocprim17ROCPRIM_400000_NS6detail17trampoline_kernelINS0_14default_configENS1_22reduce_config_selectorIbEEZNS1_11reduce_implILb1ES3_N6hipcub16HIPCUB_304000_NS22TransformInputIteratorIbN2at6native12_GLOBAL__N_19NonZeroOpIsEEPKslEEPiiNS8_6detail34convert_binary_result_type_wrapperINS8_3SumESH_iEEEE10hipError_tPvRmT1_T2_T3_mT4_P12ihipStream_tbEUlT_E1_NS1_11comp_targetILNS1_3genE10ELNS1_11target_archE1200ELNS1_3gpuE4ELNS1_3repE0EEENS1_30default_config_static_selectorELNS0_4arch9wavefront6targetE0EEEvSQ_.has_dyn_sized_stack, 0
	.set _ZN7rocprim17ROCPRIM_400000_NS6detail17trampoline_kernelINS0_14default_configENS1_22reduce_config_selectorIbEEZNS1_11reduce_implILb1ES3_N6hipcub16HIPCUB_304000_NS22TransformInputIteratorIbN2at6native12_GLOBAL__N_19NonZeroOpIsEEPKslEEPiiNS8_6detail34convert_binary_result_type_wrapperINS8_3SumESH_iEEEE10hipError_tPvRmT1_T2_T3_mT4_P12ihipStream_tbEUlT_E1_NS1_11comp_targetILNS1_3genE10ELNS1_11target_archE1200ELNS1_3gpuE4ELNS1_3repE0EEENS1_30default_config_static_selectorELNS0_4arch9wavefront6targetE0EEEvSQ_.has_recursion, 0
	.set _ZN7rocprim17ROCPRIM_400000_NS6detail17trampoline_kernelINS0_14default_configENS1_22reduce_config_selectorIbEEZNS1_11reduce_implILb1ES3_N6hipcub16HIPCUB_304000_NS22TransformInputIteratorIbN2at6native12_GLOBAL__N_19NonZeroOpIsEEPKslEEPiiNS8_6detail34convert_binary_result_type_wrapperINS8_3SumESH_iEEEE10hipError_tPvRmT1_T2_T3_mT4_P12ihipStream_tbEUlT_E1_NS1_11comp_targetILNS1_3genE10ELNS1_11target_archE1200ELNS1_3gpuE4ELNS1_3repE0EEENS1_30default_config_static_selectorELNS0_4arch9wavefront6targetE0EEEvSQ_.has_indirect_call, 0
	.section	.AMDGPU.csdata,"",@progbits
; Kernel info:
; codeLenInByte = 0
; TotalNumSgprs: 0
; NumVgprs: 0
; ScratchSize: 0
; MemoryBound: 0
; FloatMode: 240
; IeeeMode: 1
; LDSByteSize: 0 bytes/workgroup (compile time only)
; SGPRBlocks: 0
; VGPRBlocks: 0
; NumSGPRsForWavesPerEU: 1
; NumVGPRsForWavesPerEU: 1
; Occupancy: 16
; WaveLimiterHint : 0
; COMPUTE_PGM_RSRC2:SCRATCH_EN: 0
; COMPUTE_PGM_RSRC2:USER_SGPR: 2
; COMPUTE_PGM_RSRC2:TRAP_HANDLER: 0
; COMPUTE_PGM_RSRC2:TGID_X_EN: 1
; COMPUTE_PGM_RSRC2:TGID_Y_EN: 0
; COMPUTE_PGM_RSRC2:TGID_Z_EN: 0
; COMPUTE_PGM_RSRC2:TIDIG_COMP_CNT: 0
	.section	.text._ZN7rocprim17ROCPRIM_400000_NS6detail17trampoline_kernelINS0_14default_configENS1_22reduce_config_selectorIbEEZNS1_11reduce_implILb1ES3_N6hipcub16HIPCUB_304000_NS22TransformInputIteratorIbN2at6native12_GLOBAL__N_19NonZeroOpIsEEPKslEEPiiNS8_6detail34convert_binary_result_type_wrapperINS8_3SumESH_iEEEE10hipError_tPvRmT1_T2_T3_mT4_P12ihipStream_tbEUlT_E1_NS1_11comp_targetILNS1_3genE9ELNS1_11target_archE1100ELNS1_3gpuE3ELNS1_3repE0EEENS1_30default_config_static_selectorELNS0_4arch9wavefront6targetE0EEEvSQ_,"axG",@progbits,_ZN7rocprim17ROCPRIM_400000_NS6detail17trampoline_kernelINS0_14default_configENS1_22reduce_config_selectorIbEEZNS1_11reduce_implILb1ES3_N6hipcub16HIPCUB_304000_NS22TransformInputIteratorIbN2at6native12_GLOBAL__N_19NonZeroOpIsEEPKslEEPiiNS8_6detail34convert_binary_result_type_wrapperINS8_3SumESH_iEEEE10hipError_tPvRmT1_T2_T3_mT4_P12ihipStream_tbEUlT_E1_NS1_11comp_targetILNS1_3genE9ELNS1_11target_archE1100ELNS1_3gpuE3ELNS1_3repE0EEENS1_30default_config_static_selectorELNS0_4arch9wavefront6targetE0EEEvSQ_,comdat
	.globl	_ZN7rocprim17ROCPRIM_400000_NS6detail17trampoline_kernelINS0_14default_configENS1_22reduce_config_selectorIbEEZNS1_11reduce_implILb1ES3_N6hipcub16HIPCUB_304000_NS22TransformInputIteratorIbN2at6native12_GLOBAL__N_19NonZeroOpIsEEPKslEEPiiNS8_6detail34convert_binary_result_type_wrapperINS8_3SumESH_iEEEE10hipError_tPvRmT1_T2_T3_mT4_P12ihipStream_tbEUlT_E1_NS1_11comp_targetILNS1_3genE9ELNS1_11target_archE1100ELNS1_3gpuE3ELNS1_3repE0EEENS1_30default_config_static_selectorELNS0_4arch9wavefront6targetE0EEEvSQ_ ; -- Begin function _ZN7rocprim17ROCPRIM_400000_NS6detail17trampoline_kernelINS0_14default_configENS1_22reduce_config_selectorIbEEZNS1_11reduce_implILb1ES3_N6hipcub16HIPCUB_304000_NS22TransformInputIteratorIbN2at6native12_GLOBAL__N_19NonZeroOpIsEEPKslEEPiiNS8_6detail34convert_binary_result_type_wrapperINS8_3SumESH_iEEEE10hipError_tPvRmT1_T2_T3_mT4_P12ihipStream_tbEUlT_E1_NS1_11comp_targetILNS1_3genE9ELNS1_11target_archE1100ELNS1_3gpuE3ELNS1_3repE0EEENS1_30default_config_static_selectorELNS0_4arch9wavefront6targetE0EEEvSQ_
	.p2align	8
	.type	_ZN7rocprim17ROCPRIM_400000_NS6detail17trampoline_kernelINS0_14default_configENS1_22reduce_config_selectorIbEEZNS1_11reduce_implILb1ES3_N6hipcub16HIPCUB_304000_NS22TransformInputIteratorIbN2at6native12_GLOBAL__N_19NonZeroOpIsEEPKslEEPiiNS8_6detail34convert_binary_result_type_wrapperINS8_3SumESH_iEEEE10hipError_tPvRmT1_T2_T3_mT4_P12ihipStream_tbEUlT_E1_NS1_11comp_targetILNS1_3genE9ELNS1_11target_archE1100ELNS1_3gpuE3ELNS1_3repE0EEENS1_30default_config_static_selectorELNS0_4arch9wavefront6targetE0EEEvSQ_,@function
_ZN7rocprim17ROCPRIM_400000_NS6detail17trampoline_kernelINS0_14default_configENS1_22reduce_config_selectorIbEEZNS1_11reduce_implILb1ES3_N6hipcub16HIPCUB_304000_NS22TransformInputIteratorIbN2at6native12_GLOBAL__N_19NonZeroOpIsEEPKslEEPiiNS8_6detail34convert_binary_result_type_wrapperINS8_3SumESH_iEEEE10hipError_tPvRmT1_T2_T3_mT4_P12ihipStream_tbEUlT_E1_NS1_11comp_targetILNS1_3genE9ELNS1_11target_archE1100ELNS1_3gpuE3ELNS1_3repE0EEENS1_30default_config_static_selectorELNS0_4arch9wavefront6targetE0EEEvSQ_: ; @_ZN7rocprim17ROCPRIM_400000_NS6detail17trampoline_kernelINS0_14default_configENS1_22reduce_config_selectorIbEEZNS1_11reduce_implILb1ES3_N6hipcub16HIPCUB_304000_NS22TransformInputIteratorIbN2at6native12_GLOBAL__N_19NonZeroOpIsEEPKslEEPiiNS8_6detail34convert_binary_result_type_wrapperINS8_3SumESH_iEEEE10hipError_tPvRmT1_T2_T3_mT4_P12ihipStream_tbEUlT_E1_NS1_11comp_targetILNS1_3genE9ELNS1_11target_archE1100ELNS1_3gpuE3ELNS1_3repE0EEENS1_30default_config_static_selectorELNS0_4arch9wavefront6targetE0EEEvSQ_
; %bb.0:
	.section	.rodata,"a",@progbits
	.p2align	6, 0x0
	.amdhsa_kernel _ZN7rocprim17ROCPRIM_400000_NS6detail17trampoline_kernelINS0_14default_configENS1_22reduce_config_selectorIbEEZNS1_11reduce_implILb1ES3_N6hipcub16HIPCUB_304000_NS22TransformInputIteratorIbN2at6native12_GLOBAL__N_19NonZeroOpIsEEPKslEEPiiNS8_6detail34convert_binary_result_type_wrapperINS8_3SumESH_iEEEE10hipError_tPvRmT1_T2_T3_mT4_P12ihipStream_tbEUlT_E1_NS1_11comp_targetILNS1_3genE9ELNS1_11target_archE1100ELNS1_3gpuE3ELNS1_3repE0EEENS1_30default_config_static_selectorELNS0_4arch9wavefront6targetE0EEEvSQ_
		.amdhsa_group_segment_fixed_size 0
		.amdhsa_private_segment_fixed_size 0
		.amdhsa_kernarg_size 48
		.amdhsa_user_sgpr_count 2
		.amdhsa_user_sgpr_dispatch_ptr 0
		.amdhsa_user_sgpr_queue_ptr 0
		.amdhsa_user_sgpr_kernarg_segment_ptr 1
		.amdhsa_user_sgpr_dispatch_id 0
		.amdhsa_user_sgpr_private_segment_size 0
		.amdhsa_wavefront_size32 1
		.amdhsa_uses_dynamic_stack 0
		.amdhsa_enable_private_segment 0
		.amdhsa_system_sgpr_workgroup_id_x 1
		.amdhsa_system_sgpr_workgroup_id_y 0
		.amdhsa_system_sgpr_workgroup_id_z 0
		.amdhsa_system_sgpr_workgroup_info 0
		.amdhsa_system_vgpr_workitem_id 0
		.amdhsa_next_free_vgpr 1
		.amdhsa_next_free_sgpr 1
		.amdhsa_reserve_vcc 0
		.amdhsa_float_round_mode_32 0
		.amdhsa_float_round_mode_16_64 0
		.amdhsa_float_denorm_mode_32 3
		.amdhsa_float_denorm_mode_16_64 3
		.amdhsa_fp16_overflow 0
		.amdhsa_workgroup_processor_mode 1
		.amdhsa_memory_ordered 1
		.amdhsa_forward_progress 1
		.amdhsa_inst_pref_size 0
		.amdhsa_round_robin_scheduling 0
		.amdhsa_exception_fp_ieee_invalid_op 0
		.amdhsa_exception_fp_denorm_src 0
		.amdhsa_exception_fp_ieee_div_zero 0
		.amdhsa_exception_fp_ieee_overflow 0
		.amdhsa_exception_fp_ieee_underflow 0
		.amdhsa_exception_fp_ieee_inexact 0
		.amdhsa_exception_int_div_zero 0
	.end_amdhsa_kernel
	.section	.text._ZN7rocprim17ROCPRIM_400000_NS6detail17trampoline_kernelINS0_14default_configENS1_22reduce_config_selectorIbEEZNS1_11reduce_implILb1ES3_N6hipcub16HIPCUB_304000_NS22TransformInputIteratorIbN2at6native12_GLOBAL__N_19NonZeroOpIsEEPKslEEPiiNS8_6detail34convert_binary_result_type_wrapperINS8_3SumESH_iEEEE10hipError_tPvRmT1_T2_T3_mT4_P12ihipStream_tbEUlT_E1_NS1_11comp_targetILNS1_3genE9ELNS1_11target_archE1100ELNS1_3gpuE3ELNS1_3repE0EEENS1_30default_config_static_selectorELNS0_4arch9wavefront6targetE0EEEvSQ_,"axG",@progbits,_ZN7rocprim17ROCPRIM_400000_NS6detail17trampoline_kernelINS0_14default_configENS1_22reduce_config_selectorIbEEZNS1_11reduce_implILb1ES3_N6hipcub16HIPCUB_304000_NS22TransformInputIteratorIbN2at6native12_GLOBAL__N_19NonZeroOpIsEEPKslEEPiiNS8_6detail34convert_binary_result_type_wrapperINS8_3SumESH_iEEEE10hipError_tPvRmT1_T2_T3_mT4_P12ihipStream_tbEUlT_E1_NS1_11comp_targetILNS1_3genE9ELNS1_11target_archE1100ELNS1_3gpuE3ELNS1_3repE0EEENS1_30default_config_static_selectorELNS0_4arch9wavefront6targetE0EEEvSQ_,comdat
.Lfunc_end320:
	.size	_ZN7rocprim17ROCPRIM_400000_NS6detail17trampoline_kernelINS0_14default_configENS1_22reduce_config_selectorIbEEZNS1_11reduce_implILb1ES3_N6hipcub16HIPCUB_304000_NS22TransformInputIteratorIbN2at6native12_GLOBAL__N_19NonZeroOpIsEEPKslEEPiiNS8_6detail34convert_binary_result_type_wrapperINS8_3SumESH_iEEEE10hipError_tPvRmT1_T2_T3_mT4_P12ihipStream_tbEUlT_E1_NS1_11comp_targetILNS1_3genE9ELNS1_11target_archE1100ELNS1_3gpuE3ELNS1_3repE0EEENS1_30default_config_static_selectorELNS0_4arch9wavefront6targetE0EEEvSQ_, .Lfunc_end320-_ZN7rocprim17ROCPRIM_400000_NS6detail17trampoline_kernelINS0_14default_configENS1_22reduce_config_selectorIbEEZNS1_11reduce_implILb1ES3_N6hipcub16HIPCUB_304000_NS22TransformInputIteratorIbN2at6native12_GLOBAL__N_19NonZeroOpIsEEPKslEEPiiNS8_6detail34convert_binary_result_type_wrapperINS8_3SumESH_iEEEE10hipError_tPvRmT1_T2_T3_mT4_P12ihipStream_tbEUlT_E1_NS1_11comp_targetILNS1_3genE9ELNS1_11target_archE1100ELNS1_3gpuE3ELNS1_3repE0EEENS1_30default_config_static_selectorELNS0_4arch9wavefront6targetE0EEEvSQ_
                                        ; -- End function
	.set _ZN7rocprim17ROCPRIM_400000_NS6detail17trampoline_kernelINS0_14default_configENS1_22reduce_config_selectorIbEEZNS1_11reduce_implILb1ES3_N6hipcub16HIPCUB_304000_NS22TransformInputIteratorIbN2at6native12_GLOBAL__N_19NonZeroOpIsEEPKslEEPiiNS8_6detail34convert_binary_result_type_wrapperINS8_3SumESH_iEEEE10hipError_tPvRmT1_T2_T3_mT4_P12ihipStream_tbEUlT_E1_NS1_11comp_targetILNS1_3genE9ELNS1_11target_archE1100ELNS1_3gpuE3ELNS1_3repE0EEENS1_30default_config_static_selectorELNS0_4arch9wavefront6targetE0EEEvSQ_.num_vgpr, 0
	.set _ZN7rocprim17ROCPRIM_400000_NS6detail17trampoline_kernelINS0_14default_configENS1_22reduce_config_selectorIbEEZNS1_11reduce_implILb1ES3_N6hipcub16HIPCUB_304000_NS22TransformInputIteratorIbN2at6native12_GLOBAL__N_19NonZeroOpIsEEPKslEEPiiNS8_6detail34convert_binary_result_type_wrapperINS8_3SumESH_iEEEE10hipError_tPvRmT1_T2_T3_mT4_P12ihipStream_tbEUlT_E1_NS1_11comp_targetILNS1_3genE9ELNS1_11target_archE1100ELNS1_3gpuE3ELNS1_3repE0EEENS1_30default_config_static_selectorELNS0_4arch9wavefront6targetE0EEEvSQ_.num_agpr, 0
	.set _ZN7rocprim17ROCPRIM_400000_NS6detail17trampoline_kernelINS0_14default_configENS1_22reduce_config_selectorIbEEZNS1_11reduce_implILb1ES3_N6hipcub16HIPCUB_304000_NS22TransformInputIteratorIbN2at6native12_GLOBAL__N_19NonZeroOpIsEEPKslEEPiiNS8_6detail34convert_binary_result_type_wrapperINS8_3SumESH_iEEEE10hipError_tPvRmT1_T2_T3_mT4_P12ihipStream_tbEUlT_E1_NS1_11comp_targetILNS1_3genE9ELNS1_11target_archE1100ELNS1_3gpuE3ELNS1_3repE0EEENS1_30default_config_static_selectorELNS0_4arch9wavefront6targetE0EEEvSQ_.numbered_sgpr, 0
	.set _ZN7rocprim17ROCPRIM_400000_NS6detail17trampoline_kernelINS0_14default_configENS1_22reduce_config_selectorIbEEZNS1_11reduce_implILb1ES3_N6hipcub16HIPCUB_304000_NS22TransformInputIteratorIbN2at6native12_GLOBAL__N_19NonZeroOpIsEEPKslEEPiiNS8_6detail34convert_binary_result_type_wrapperINS8_3SumESH_iEEEE10hipError_tPvRmT1_T2_T3_mT4_P12ihipStream_tbEUlT_E1_NS1_11comp_targetILNS1_3genE9ELNS1_11target_archE1100ELNS1_3gpuE3ELNS1_3repE0EEENS1_30default_config_static_selectorELNS0_4arch9wavefront6targetE0EEEvSQ_.num_named_barrier, 0
	.set _ZN7rocprim17ROCPRIM_400000_NS6detail17trampoline_kernelINS0_14default_configENS1_22reduce_config_selectorIbEEZNS1_11reduce_implILb1ES3_N6hipcub16HIPCUB_304000_NS22TransformInputIteratorIbN2at6native12_GLOBAL__N_19NonZeroOpIsEEPKslEEPiiNS8_6detail34convert_binary_result_type_wrapperINS8_3SumESH_iEEEE10hipError_tPvRmT1_T2_T3_mT4_P12ihipStream_tbEUlT_E1_NS1_11comp_targetILNS1_3genE9ELNS1_11target_archE1100ELNS1_3gpuE3ELNS1_3repE0EEENS1_30default_config_static_selectorELNS0_4arch9wavefront6targetE0EEEvSQ_.private_seg_size, 0
	.set _ZN7rocprim17ROCPRIM_400000_NS6detail17trampoline_kernelINS0_14default_configENS1_22reduce_config_selectorIbEEZNS1_11reduce_implILb1ES3_N6hipcub16HIPCUB_304000_NS22TransformInputIteratorIbN2at6native12_GLOBAL__N_19NonZeroOpIsEEPKslEEPiiNS8_6detail34convert_binary_result_type_wrapperINS8_3SumESH_iEEEE10hipError_tPvRmT1_T2_T3_mT4_P12ihipStream_tbEUlT_E1_NS1_11comp_targetILNS1_3genE9ELNS1_11target_archE1100ELNS1_3gpuE3ELNS1_3repE0EEENS1_30default_config_static_selectorELNS0_4arch9wavefront6targetE0EEEvSQ_.uses_vcc, 0
	.set _ZN7rocprim17ROCPRIM_400000_NS6detail17trampoline_kernelINS0_14default_configENS1_22reduce_config_selectorIbEEZNS1_11reduce_implILb1ES3_N6hipcub16HIPCUB_304000_NS22TransformInputIteratorIbN2at6native12_GLOBAL__N_19NonZeroOpIsEEPKslEEPiiNS8_6detail34convert_binary_result_type_wrapperINS8_3SumESH_iEEEE10hipError_tPvRmT1_T2_T3_mT4_P12ihipStream_tbEUlT_E1_NS1_11comp_targetILNS1_3genE9ELNS1_11target_archE1100ELNS1_3gpuE3ELNS1_3repE0EEENS1_30default_config_static_selectorELNS0_4arch9wavefront6targetE0EEEvSQ_.uses_flat_scratch, 0
	.set _ZN7rocprim17ROCPRIM_400000_NS6detail17trampoline_kernelINS0_14default_configENS1_22reduce_config_selectorIbEEZNS1_11reduce_implILb1ES3_N6hipcub16HIPCUB_304000_NS22TransformInputIteratorIbN2at6native12_GLOBAL__N_19NonZeroOpIsEEPKslEEPiiNS8_6detail34convert_binary_result_type_wrapperINS8_3SumESH_iEEEE10hipError_tPvRmT1_T2_T3_mT4_P12ihipStream_tbEUlT_E1_NS1_11comp_targetILNS1_3genE9ELNS1_11target_archE1100ELNS1_3gpuE3ELNS1_3repE0EEENS1_30default_config_static_selectorELNS0_4arch9wavefront6targetE0EEEvSQ_.has_dyn_sized_stack, 0
	.set _ZN7rocprim17ROCPRIM_400000_NS6detail17trampoline_kernelINS0_14default_configENS1_22reduce_config_selectorIbEEZNS1_11reduce_implILb1ES3_N6hipcub16HIPCUB_304000_NS22TransformInputIteratorIbN2at6native12_GLOBAL__N_19NonZeroOpIsEEPKslEEPiiNS8_6detail34convert_binary_result_type_wrapperINS8_3SumESH_iEEEE10hipError_tPvRmT1_T2_T3_mT4_P12ihipStream_tbEUlT_E1_NS1_11comp_targetILNS1_3genE9ELNS1_11target_archE1100ELNS1_3gpuE3ELNS1_3repE0EEENS1_30default_config_static_selectorELNS0_4arch9wavefront6targetE0EEEvSQ_.has_recursion, 0
	.set _ZN7rocprim17ROCPRIM_400000_NS6detail17trampoline_kernelINS0_14default_configENS1_22reduce_config_selectorIbEEZNS1_11reduce_implILb1ES3_N6hipcub16HIPCUB_304000_NS22TransformInputIteratorIbN2at6native12_GLOBAL__N_19NonZeroOpIsEEPKslEEPiiNS8_6detail34convert_binary_result_type_wrapperINS8_3SumESH_iEEEE10hipError_tPvRmT1_T2_T3_mT4_P12ihipStream_tbEUlT_E1_NS1_11comp_targetILNS1_3genE9ELNS1_11target_archE1100ELNS1_3gpuE3ELNS1_3repE0EEENS1_30default_config_static_selectorELNS0_4arch9wavefront6targetE0EEEvSQ_.has_indirect_call, 0
	.section	.AMDGPU.csdata,"",@progbits
; Kernel info:
; codeLenInByte = 0
; TotalNumSgprs: 0
; NumVgprs: 0
; ScratchSize: 0
; MemoryBound: 0
; FloatMode: 240
; IeeeMode: 1
; LDSByteSize: 0 bytes/workgroup (compile time only)
; SGPRBlocks: 0
; VGPRBlocks: 0
; NumSGPRsForWavesPerEU: 1
; NumVGPRsForWavesPerEU: 1
; Occupancy: 16
; WaveLimiterHint : 0
; COMPUTE_PGM_RSRC2:SCRATCH_EN: 0
; COMPUTE_PGM_RSRC2:USER_SGPR: 2
; COMPUTE_PGM_RSRC2:TRAP_HANDLER: 0
; COMPUTE_PGM_RSRC2:TGID_X_EN: 1
; COMPUTE_PGM_RSRC2:TGID_Y_EN: 0
; COMPUTE_PGM_RSRC2:TGID_Z_EN: 0
; COMPUTE_PGM_RSRC2:TIDIG_COMP_CNT: 0
	.section	.text._ZN7rocprim17ROCPRIM_400000_NS6detail17trampoline_kernelINS0_14default_configENS1_22reduce_config_selectorIbEEZNS1_11reduce_implILb1ES3_N6hipcub16HIPCUB_304000_NS22TransformInputIteratorIbN2at6native12_GLOBAL__N_19NonZeroOpIsEEPKslEEPiiNS8_6detail34convert_binary_result_type_wrapperINS8_3SumESH_iEEEE10hipError_tPvRmT1_T2_T3_mT4_P12ihipStream_tbEUlT_E1_NS1_11comp_targetILNS1_3genE8ELNS1_11target_archE1030ELNS1_3gpuE2ELNS1_3repE0EEENS1_30default_config_static_selectorELNS0_4arch9wavefront6targetE0EEEvSQ_,"axG",@progbits,_ZN7rocprim17ROCPRIM_400000_NS6detail17trampoline_kernelINS0_14default_configENS1_22reduce_config_selectorIbEEZNS1_11reduce_implILb1ES3_N6hipcub16HIPCUB_304000_NS22TransformInputIteratorIbN2at6native12_GLOBAL__N_19NonZeroOpIsEEPKslEEPiiNS8_6detail34convert_binary_result_type_wrapperINS8_3SumESH_iEEEE10hipError_tPvRmT1_T2_T3_mT4_P12ihipStream_tbEUlT_E1_NS1_11comp_targetILNS1_3genE8ELNS1_11target_archE1030ELNS1_3gpuE2ELNS1_3repE0EEENS1_30default_config_static_selectorELNS0_4arch9wavefront6targetE0EEEvSQ_,comdat
	.globl	_ZN7rocprim17ROCPRIM_400000_NS6detail17trampoline_kernelINS0_14default_configENS1_22reduce_config_selectorIbEEZNS1_11reduce_implILb1ES3_N6hipcub16HIPCUB_304000_NS22TransformInputIteratorIbN2at6native12_GLOBAL__N_19NonZeroOpIsEEPKslEEPiiNS8_6detail34convert_binary_result_type_wrapperINS8_3SumESH_iEEEE10hipError_tPvRmT1_T2_T3_mT4_P12ihipStream_tbEUlT_E1_NS1_11comp_targetILNS1_3genE8ELNS1_11target_archE1030ELNS1_3gpuE2ELNS1_3repE0EEENS1_30default_config_static_selectorELNS0_4arch9wavefront6targetE0EEEvSQ_ ; -- Begin function _ZN7rocprim17ROCPRIM_400000_NS6detail17trampoline_kernelINS0_14default_configENS1_22reduce_config_selectorIbEEZNS1_11reduce_implILb1ES3_N6hipcub16HIPCUB_304000_NS22TransformInputIteratorIbN2at6native12_GLOBAL__N_19NonZeroOpIsEEPKslEEPiiNS8_6detail34convert_binary_result_type_wrapperINS8_3SumESH_iEEEE10hipError_tPvRmT1_T2_T3_mT4_P12ihipStream_tbEUlT_E1_NS1_11comp_targetILNS1_3genE8ELNS1_11target_archE1030ELNS1_3gpuE2ELNS1_3repE0EEENS1_30default_config_static_selectorELNS0_4arch9wavefront6targetE0EEEvSQ_
	.p2align	8
	.type	_ZN7rocprim17ROCPRIM_400000_NS6detail17trampoline_kernelINS0_14default_configENS1_22reduce_config_selectorIbEEZNS1_11reduce_implILb1ES3_N6hipcub16HIPCUB_304000_NS22TransformInputIteratorIbN2at6native12_GLOBAL__N_19NonZeroOpIsEEPKslEEPiiNS8_6detail34convert_binary_result_type_wrapperINS8_3SumESH_iEEEE10hipError_tPvRmT1_T2_T3_mT4_P12ihipStream_tbEUlT_E1_NS1_11comp_targetILNS1_3genE8ELNS1_11target_archE1030ELNS1_3gpuE2ELNS1_3repE0EEENS1_30default_config_static_selectorELNS0_4arch9wavefront6targetE0EEEvSQ_,@function
_ZN7rocprim17ROCPRIM_400000_NS6detail17trampoline_kernelINS0_14default_configENS1_22reduce_config_selectorIbEEZNS1_11reduce_implILb1ES3_N6hipcub16HIPCUB_304000_NS22TransformInputIteratorIbN2at6native12_GLOBAL__N_19NonZeroOpIsEEPKslEEPiiNS8_6detail34convert_binary_result_type_wrapperINS8_3SumESH_iEEEE10hipError_tPvRmT1_T2_T3_mT4_P12ihipStream_tbEUlT_E1_NS1_11comp_targetILNS1_3genE8ELNS1_11target_archE1030ELNS1_3gpuE2ELNS1_3repE0EEENS1_30default_config_static_selectorELNS0_4arch9wavefront6targetE0EEEvSQ_: ; @_ZN7rocprim17ROCPRIM_400000_NS6detail17trampoline_kernelINS0_14default_configENS1_22reduce_config_selectorIbEEZNS1_11reduce_implILb1ES3_N6hipcub16HIPCUB_304000_NS22TransformInputIteratorIbN2at6native12_GLOBAL__N_19NonZeroOpIsEEPKslEEPiiNS8_6detail34convert_binary_result_type_wrapperINS8_3SumESH_iEEEE10hipError_tPvRmT1_T2_T3_mT4_P12ihipStream_tbEUlT_E1_NS1_11comp_targetILNS1_3genE8ELNS1_11target_archE1030ELNS1_3gpuE2ELNS1_3repE0EEENS1_30default_config_static_selectorELNS0_4arch9wavefront6targetE0EEEvSQ_
; %bb.0:
	.section	.rodata,"a",@progbits
	.p2align	6, 0x0
	.amdhsa_kernel _ZN7rocprim17ROCPRIM_400000_NS6detail17trampoline_kernelINS0_14default_configENS1_22reduce_config_selectorIbEEZNS1_11reduce_implILb1ES3_N6hipcub16HIPCUB_304000_NS22TransformInputIteratorIbN2at6native12_GLOBAL__N_19NonZeroOpIsEEPKslEEPiiNS8_6detail34convert_binary_result_type_wrapperINS8_3SumESH_iEEEE10hipError_tPvRmT1_T2_T3_mT4_P12ihipStream_tbEUlT_E1_NS1_11comp_targetILNS1_3genE8ELNS1_11target_archE1030ELNS1_3gpuE2ELNS1_3repE0EEENS1_30default_config_static_selectorELNS0_4arch9wavefront6targetE0EEEvSQ_
		.amdhsa_group_segment_fixed_size 0
		.amdhsa_private_segment_fixed_size 0
		.amdhsa_kernarg_size 48
		.amdhsa_user_sgpr_count 2
		.amdhsa_user_sgpr_dispatch_ptr 0
		.amdhsa_user_sgpr_queue_ptr 0
		.amdhsa_user_sgpr_kernarg_segment_ptr 1
		.amdhsa_user_sgpr_dispatch_id 0
		.amdhsa_user_sgpr_private_segment_size 0
		.amdhsa_wavefront_size32 1
		.amdhsa_uses_dynamic_stack 0
		.amdhsa_enable_private_segment 0
		.amdhsa_system_sgpr_workgroup_id_x 1
		.amdhsa_system_sgpr_workgroup_id_y 0
		.amdhsa_system_sgpr_workgroup_id_z 0
		.amdhsa_system_sgpr_workgroup_info 0
		.amdhsa_system_vgpr_workitem_id 0
		.amdhsa_next_free_vgpr 1
		.amdhsa_next_free_sgpr 1
		.amdhsa_reserve_vcc 0
		.amdhsa_float_round_mode_32 0
		.amdhsa_float_round_mode_16_64 0
		.amdhsa_float_denorm_mode_32 3
		.amdhsa_float_denorm_mode_16_64 3
		.amdhsa_fp16_overflow 0
		.amdhsa_workgroup_processor_mode 1
		.amdhsa_memory_ordered 1
		.amdhsa_forward_progress 1
		.amdhsa_inst_pref_size 0
		.amdhsa_round_robin_scheduling 0
		.amdhsa_exception_fp_ieee_invalid_op 0
		.amdhsa_exception_fp_denorm_src 0
		.amdhsa_exception_fp_ieee_div_zero 0
		.amdhsa_exception_fp_ieee_overflow 0
		.amdhsa_exception_fp_ieee_underflow 0
		.amdhsa_exception_fp_ieee_inexact 0
		.amdhsa_exception_int_div_zero 0
	.end_amdhsa_kernel
	.section	.text._ZN7rocprim17ROCPRIM_400000_NS6detail17trampoline_kernelINS0_14default_configENS1_22reduce_config_selectorIbEEZNS1_11reduce_implILb1ES3_N6hipcub16HIPCUB_304000_NS22TransformInputIteratorIbN2at6native12_GLOBAL__N_19NonZeroOpIsEEPKslEEPiiNS8_6detail34convert_binary_result_type_wrapperINS8_3SumESH_iEEEE10hipError_tPvRmT1_T2_T3_mT4_P12ihipStream_tbEUlT_E1_NS1_11comp_targetILNS1_3genE8ELNS1_11target_archE1030ELNS1_3gpuE2ELNS1_3repE0EEENS1_30default_config_static_selectorELNS0_4arch9wavefront6targetE0EEEvSQ_,"axG",@progbits,_ZN7rocprim17ROCPRIM_400000_NS6detail17trampoline_kernelINS0_14default_configENS1_22reduce_config_selectorIbEEZNS1_11reduce_implILb1ES3_N6hipcub16HIPCUB_304000_NS22TransformInputIteratorIbN2at6native12_GLOBAL__N_19NonZeroOpIsEEPKslEEPiiNS8_6detail34convert_binary_result_type_wrapperINS8_3SumESH_iEEEE10hipError_tPvRmT1_T2_T3_mT4_P12ihipStream_tbEUlT_E1_NS1_11comp_targetILNS1_3genE8ELNS1_11target_archE1030ELNS1_3gpuE2ELNS1_3repE0EEENS1_30default_config_static_selectorELNS0_4arch9wavefront6targetE0EEEvSQ_,comdat
.Lfunc_end321:
	.size	_ZN7rocprim17ROCPRIM_400000_NS6detail17trampoline_kernelINS0_14default_configENS1_22reduce_config_selectorIbEEZNS1_11reduce_implILb1ES3_N6hipcub16HIPCUB_304000_NS22TransformInputIteratorIbN2at6native12_GLOBAL__N_19NonZeroOpIsEEPKslEEPiiNS8_6detail34convert_binary_result_type_wrapperINS8_3SumESH_iEEEE10hipError_tPvRmT1_T2_T3_mT4_P12ihipStream_tbEUlT_E1_NS1_11comp_targetILNS1_3genE8ELNS1_11target_archE1030ELNS1_3gpuE2ELNS1_3repE0EEENS1_30default_config_static_selectorELNS0_4arch9wavefront6targetE0EEEvSQ_, .Lfunc_end321-_ZN7rocprim17ROCPRIM_400000_NS6detail17trampoline_kernelINS0_14default_configENS1_22reduce_config_selectorIbEEZNS1_11reduce_implILb1ES3_N6hipcub16HIPCUB_304000_NS22TransformInputIteratorIbN2at6native12_GLOBAL__N_19NonZeroOpIsEEPKslEEPiiNS8_6detail34convert_binary_result_type_wrapperINS8_3SumESH_iEEEE10hipError_tPvRmT1_T2_T3_mT4_P12ihipStream_tbEUlT_E1_NS1_11comp_targetILNS1_3genE8ELNS1_11target_archE1030ELNS1_3gpuE2ELNS1_3repE0EEENS1_30default_config_static_selectorELNS0_4arch9wavefront6targetE0EEEvSQ_
                                        ; -- End function
	.set _ZN7rocprim17ROCPRIM_400000_NS6detail17trampoline_kernelINS0_14default_configENS1_22reduce_config_selectorIbEEZNS1_11reduce_implILb1ES3_N6hipcub16HIPCUB_304000_NS22TransformInputIteratorIbN2at6native12_GLOBAL__N_19NonZeroOpIsEEPKslEEPiiNS8_6detail34convert_binary_result_type_wrapperINS8_3SumESH_iEEEE10hipError_tPvRmT1_T2_T3_mT4_P12ihipStream_tbEUlT_E1_NS1_11comp_targetILNS1_3genE8ELNS1_11target_archE1030ELNS1_3gpuE2ELNS1_3repE0EEENS1_30default_config_static_selectorELNS0_4arch9wavefront6targetE0EEEvSQ_.num_vgpr, 0
	.set _ZN7rocprim17ROCPRIM_400000_NS6detail17trampoline_kernelINS0_14default_configENS1_22reduce_config_selectorIbEEZNS1_11reduce_implILb1ES3_N6hipcub16HIPCUB_304000_NS22TransformInputIteratorIbN2at6native12_GLOBAL__N_19NonZeroOpIsEEPKslEEPiiNS8_6detail34convert_binary_result_type_wrapperINS8_3SumESH_iEEEE10hipError_tPvRmT1_T2_T3_mT4_P12ihipStream_tbEUlT_E1_NS1_11comp_targetILNS1_3genE8ELNS1_11target_archE1030ELNS1_3gpuE2ELNS1_3repE0EEENS1_30default_config_static_selectorELNS0_4arch9wavefront6targetE0EEEvSQ_.num_agpr, 0
	.set _ZN7rocprim17ROCPRIM_400000_NS6detail17trampoline_kernelINS0_14default_configENS1_22reduce_config_selectorIbEEZNS1_11reduce_implILb1ES3_N6hipcub16HIPCUB_304000_NS22TransformInputIteratorIbN2at6native12_GLOBAL__N_19NonZeroOpIsEEPKslEEPiiNS8_6detail34convert_binary_result_type_wrapperINS8_3SumESH_iEEEE10hipError_tPvRmT1_T2_T3_mT4_P12ihipStream_tbEUlT_E1_NS1_11comp_targetILNS1_3genE8ELNS1_11target_archE1030ELNS1_3gpuE2ELNS1_3repE0EEENS1_30default_config_static_selectorELNS0_4arch9wavefront6targetE0EEEvSQ_.numbered_sgpr, 0
	.set _ZN7rocprim17ROCPRIM_400000_NS6detail17trampoline_kernelINS0_14default_configENS1_22reduce_config_selectorIbEEZNS1_11reduce_implILb1ES3_N6hipcub16HIPCUB_304000_NS22TransformInputIteratorIbN2at6native12_GLOBAL__N_19NonZeroOpIsEEPKslEEPiiNS8_6detail34convert_binary_result_type_wrapperINS8_3SumESH_iEEEE10hipError_tPvRmT1_T2_T3_mT4_P12ihipStream_tbEUlT_E1_NS1_11comp_targetILNS1_3genE8ELNS1_11target_archE1030ELNS1_3gpuE2ELNS1_3repE0EEENS1_30default_config_static_selectorELNS0_4arch9wavefront6targetE0EEEvSQ_.num_named_barrier, 0
	.set _ZN7rocprim17ROCPRIM_400000_NS6detail17trampoline_kernelINS0_14default_configENS1_22reduce_config_selectorIbEEZNS1_11reduce_implILb1ES3_N6hipcub16HIPCUB_304000_NS22TransformInputIteratorIbN2at6native12_GLOBAL__N_19NonZeroOpIsEEPKslEEPiiNS8_6detail34convert_binary_result_type_wrapperINS8_3SumESH_iEEEE10hipError_tPvRmT1_T2_T3_mT4_P12ihipStream_tbEUlT_E1_NS1_11comp_targetILNS1_3genE8ELNS1_11target_archE1030ELNS1_3gpuE2ELNS1_3repE0EEENS1_30default_config_static_selectorELNS0_4arch9wavefront6targetE0EEEvSQ_.private_seg_size, 0
	.set _ZN7rocprim17ROCPRIM_400000_NS6detail17trampoline_kernelINS0_14default_configENS1_22reduce_config_selectorIbEEZNS1_11reduce_implILb1ES3_N6hipcub16HIPCUB_304000_NS22TransformInputIteratorIbN2at6native12_GLOBAL__N_19NonZeroOpIsEEPKslEEPiiNS8_6detail34convert_binary_result_type_wrapperINS8_3SumESH_iEEEE10hipError_tPvRmT1_T2_T3_mT4_P12ihipStream_tbEUlT_E1_NS1_11comp_targetILNS1_3genE8ELNS1_11target_archE1030ELNS1_3gpuE2ELNS1_3repE0EEENS1_30default_config_static_selectorELNS0_4arch9wavefront6targetE0EEEvSQ_.uses_vcc, 0
	.set _ZN7rocprim17ROCPRIM_400000_NS6detail17trampoline_kernelINS0_14default_configENS1_22reduce_config_selectorIbEEZNS1_11reduce_implILb1ES3_N6hipcub16HIPCUB_304000_NS22TransformInputIteratorIbN2at6native12_GLOBAL__N_19NonZeroOpIsEEPKslEEPiiNS8_6detail34convert_binary_result_type_wrapperINS8_3SumESH_iEEEE10hipError_tPvRmT1_T2_T3_mT4_P12ihipStream_tbEUlT_E1_NS1_11comp_targetILNS1_3genE8ELNS1_11target_archE1030ELNS1_3gpuE2ELNS1_3repE0EEENS1_30default_config_static_selectorELNS0_4arch9wavefront6targetE0EEEvSQ_.uses_flat_scratch, 0
	.set _ZN7rocprim17ROCPRIM_400000_NS6detail17trampoline_kernelINS0_14default_configENS1_22reduce_config_selectorIbEEZNS1_11reduce_implILb1ES3_N6hipcub16HIPCUB_304000_NS22TransformInputIteratorIbN2at6native12_GLOBAL__N_19NonZeroOpIsEEPKslEEPiiNS8_6detail34convert_binary_result_type_wrapperINS8_3SumESH_iEEEE10hipError_tPvRmT1_T2_T3_mT4_P12ihipStream_tbEUlT_E1_NS1_11comp_targetILNS1_3genE8ELNS1_11target_archE1030ELNS1_3gpuE2ELNS1_3repE0EEENS1_30default_config_static_selectorELNS0_4arch9wavefront6targetE0EEEvSQ_.has_dyn_sized_stack, 0
	.set _ZN7rocprim17ROCPRIM_400000_NS6detail17trampoline_kernelINS0_14default_configENS1_22reduce_config_selectorIbEEZNS1_11reduce_implILb1ES3_N6hipcub16HIPCUB_304000_NS22TransformInputIteratorIbN2at6native12_GLOBAL__N_19NonZeroOpIsEEPKslEEPiiNS8_6detail34convert_binary_result_type_wrapperINS8_3SumESH_iEEEE10hipError_tPvRmT1_T2_T3_mT4_P12ihipStream_tbEUlT_E1_NS1_11comp_targetILNS1_3genE8ELNS1_11target_archE1030ELNS1_3gpuE2ELNS1_3repE0EEENS1_30default_config_static_selectorELNS0_4arch9wavefront6targetE0EEEvSQ_.has_recursion, 0
	.set _ZN7rocprim17ROCPRIM_400000_NS6detail17trampoline_kernelINS0_14default_configENS1_22reduce_config_selectorIbEEZNS1_11reduce_implILb1ES3_N6hipcub16HIPCUB_304000_NS22TransformInputIteratorIbN2at6native12_GLOBAL__N_19NonZeroOpIsEEPKslEEPiiNS8_6detail34convert_binary_result_type_wrapperINS8_3SumESH_iEEEE10hipError_tPvRmT1_T2_T3_mT4_P12ihipStream_tbEUlT_E1_NS1_11comp_targetILNS1_3genE8ELNS1_11target_archE1030ELNS1_3gpuE2ELNS1_3repE0EEENS1_30default_config_static_selectorELNS0_4arch9wavefront6targetE0EEEvSQ_.has_indirect_call, 0
	.section	.AMDGPU.csdata,"",@progbits
; Kernel info:
; codeLenInByte = 0
; TotalNumSgprs: 0
; NumVgprs: 0
; ScratchSize: 0
; MemoryBound: 0
; FloatMode: 240
; IeeeMode: 1
; LDSByteSize: 0 bytes/workgroup (compile time only)
; SGPRBlocks: 0
; VGPRBlocks: 0
; NumSGPRsForWavesPerEU: 1
; NumVGPRsForWavesPerEU: 1
; Occupancy: 16
; WaveLimiterHint : 0
; COMPUTE_PGM_RSRC2:SCRATCH_EN: 0
; COMPUTE_PGM_RSRC2:USER_SGPR: 2
; COMPUTE_PGM_RSRC2:TRAP_HANDLER: 0
; COMPUTE_PGM_RSRC2:TGID_X_EN: 1
; COMPUTE_PGM_RSRC2:TGID_Y_EN: 0
; COMPUTE_PGM_RSRC2:TGID_Z_EN: 0
; COMPUTE_PGM_RSRC2:TIDIG_COMP_CNT: 0
	.section	.text._ZN7rocprim17ROCPRIM_400000_NS6detail17trampoline_kernelINS0_14default_configENS1_25partition_config_selectorILNS1_17partition_subalgoE5ElNS0_10empty_typeEbEEZZNS1_14partition_implILS5_5ELb0ES3_mN6hipcub16HIPCUB_304000_NS21CountingInputIteratorIllEEPS6_NSA_22TransformInputIteratorIbN2at6native12_GLOBAL__N_19NonZeroOpIsEEPKslEENS0_5tupleIJPlS6_EEENSN_IJSD_SD_EEES6_PiJS6_EEE10hipError_tPvRmT3_T4_T5_T6_T7_T9_mT8_P12ihipStream_tbDpT10_ENKUlT_T0_E_clISt17integral_constantIbLb0EES1B_EEDaS16_S17_EUlS16_E_NS1_11comp_targetILNS1_3genE0ELNS1_11target_archE4294967295ELNS1_3gpuE0ELNS1_3repE0EEENS1_30default_config_static_selectorELNS0_4arch9wavefront6targetE0EEEvT1_,"axG",@progbits,_ZN7rocprim17ROCPRIM_400000_NS6detail17trampoline_kernelINS0_14default_configENS1_25partition_config_selectorILNS1_17partition_subalgoE5ElNS0_10empty_typeEbEEZZNS1_14partition_implILS5_5ELb0ES3_mN6hipcub16HIPCUB_304000_NS21CountingInputIteratorIllEEPS6_NSA_22TransformInputIteratorIbN2at6native12_GLOBAL__N_19NonZeroOpIsEEPKslEENS0_5tupleIJPlS6_EEENSN_IJSD_SD_EEES6_PiJS6_EEE10hipError_tPvRmT3_T4_T5_T6_T7_T9_mT8_P12ihipStream_tbDpT10_ENKUlT_T0_E_clISt17integral_constantIbLb0EES1B_EEDaS16_S17_EUlS16_E_NS1_11comp_targetILNS1_3genE0ELNS1_11target_archE4294967295ELNS1_3gpuE0ELNS1_3repE0EEENS1_30default_config_static_selectorELNS0_4arch9wavefront6targetE0EEEvT1_,comdat
	.globl	_ZN7rocprim17ROCPRIM_400000_NS6detail17trampoline_kernelINS0_14default_configENS1_25partition_config_selectorILNS1_17partition_subalgoE5ElNS0_10empty_typeEbEEZZNS1_14partition_implILS5_5ELb0ES3_mN6hipcub16HIPCUB_304000_NS21CountingInputIteratorIllEEPS6_NSA_22TransformInputIteratorIbN2at6native12_GLOBAL__N_19NonZeroOpIsEEPKslEENS0_5tupleIJPlS6_EEENSN_IJSD_SD_EEES6_PiJS6_EEE10hipError_tPvRmT3_T4_T5_T6_T7_T9_mT8_P12ihipStream_tbDpT10_ENKUlT_T0_E_clISt17integral_constantIbLb0EES1B_EEDaS16_S17_EUlS16_E_NS1_11comp_targetILNS1_3genE0ELNS1_11target_archE4294967295ELNS1_3gpuE0ELNS1_3repE0EEENS1_30default_config_static_selectorELNS0_4arch9wavefront6targetE0EEEvT1_ ; -- Begin function _ZN7rocprim17ROCPRIM_400000_NS6detail17trampoline_kernelINS0_14default_configENS1_25partition_config_selectorILNS1_17partition_subalgoE5ElNS0_10empty_typeEbEEZZNS1_14partition_implILS5_5ELb0ES3_mN6hipcub16HIPCUB_304000_NS21CountingInputIteratorIllEEPS6_NSA_22TransformInputIteratorIbN2at6native12_GLOBAL__N_19NonZeroOpIsEEPKslEENS0_5tupleIJPlS6_EEENSN_IJSD_SD_EEES6_PiJS6_EEE10hipError_tPvRmT3_T4_T5_T6_T7_T9_mT8_P12ihipStream_tbDpT10_ENKUlT_T0_E_clISt17integral_constantIbLb0EES1B_EEDaS16_S17_EUlS16_E_NS1_11comp_targetILNS1_3genE0ELNS1_11target_archE4294967295ELNS1_3gpuE0ELNS1_3repE0EEENS1_30default_config_static_selectorELNS0_4arch9wavefront6targetE0EEEvT1_
	.p2align	8
	.type	_ZN7rocprim17ROCPRIM_400000_NS6detail17trampoline_kernelINS0_14default_configENS1_25partition_config_selectorILNS1_17partition_subalgoE5ElNS0_10empty_typeEbEEZZNS1_14partition_implILS5_5ELb0ES3_mN6hipcub16HIPCUB_304000_NS21CountingInputIteratorIllEEPS6_NSA_22TransformInputIteratorIbN2at6native12_GLOBAL__N_19NonZeroOpIsEEPKslEENS0_5tupleIJPlS6_EEENSN_IJSD_SD_EEES6_PiJS6_EEE10hipError_tPvRmT3_T4_T5_T6_T7_T9_mT8_P12ihipStream_tbDpT10_ENKUlT_T0_E_clISt17integral_constantIbLb0EES1B_EEDaS16_S17_EUlS16_E_NS1_11comp_targetILNS1_3genE0ELNS1_11target_archE4294967295ELNS1_3gpuE0ELNS1_3repE0EEENS1_30default_config_static_selectorELNS0_4arch9wavefront6targetE0EEEvT1_,@function
_ZN7rocprim17ROCPRIM_400000_NS6detail17trampoline_kernelINS0_14default_configENS1_25partition_config_selectorILNS1_17partition_subalgoE5ElNS0_10empty_typeEbEEZZNS1_14partition_implILS5_5ELb0ES3_mN6hipcub16HIPCUB_304000_NS21CountingInputIteratorIllEEPS6_NSA_22TransformInputIteratorIbN2at6native12_GLOBAL__N_19NonZeroOpIsEEPKslEENS0_5tupleIJPlS6_EEENSN_IJSD_SD_EEES6_PiJS6_EEE10hipError_tPvRmT3_T4_T5_T6_T7_T9_mT8_P12ihipStream_tbDpT10_ENKUlT_T0_E_clISt17integral_constantIbLb0EES1B_EEDaS16_S17_EUlS16_E_NS1_11comp_targetILNS1_3genE0ELNS1_11target_archE4294967295ELNS1_3gpuE0ELNS1_3repE0EEENS1_30default_config_static_selectorELNS0_4arch9wavefront6targetE0EEEvT1_: ; @_ZN7rocprim17ROCPRIM_400000_NS6detail17trampoline_kernelINS0_14default_configENS1_25partition_config_selectorILNS1_17partition_subalgoE5ElNS0_10empty_typeEbEEZZNS1_14partition_implILS5_5ELb0ES3_mN6hipcub16HIPCUB_304000_NS21CountingInputIteratorIllEEPS6_NSA_22TransformInputIteratorIbN2at6native12_GLOBAL__N_19NonZeroOpIsEEPKslEENS0_5tupleIJPlS6_EEENSN_IJSD_SD_EEES6_PiJS6_EEE10hipError_tPvRmT3_T4_T5_T6_T7_T9_mT8_P12ihipStream_tbDpT10_ENKUlT_T0_E_clISt17integral_constantIbLb0EES1B_EEDaS16_S17_EUlS16_E_NS1_11comp_targetILNS1_3genE0ELNS1_11target_archE4294967295ELNS1_3gpuE0ELNS1_3repE0EEENS1_30default_config_static_selectorELNS0_4arch9wavefront6targetE0EEEvT1_
; %bb.0:
	.section	.rodata,"a",@progbits
	.p2align	6, 0x0
	.amdhsa_kernel _ZN7rocprim17ROCPRIM_400000_NS6detail17trampoline_kernelINS0_14default_configENS1_25partition_config_selectorILNS1_17partition_subalgoE5ElNS0_10empty_typeEbEEZZNS1_14partition_implILS5_5ELb0ES3_mN6hipcub16HIPCUB_304000_NS21CountingInputIteratorIllEEPS6_NSA_22TransformInputIteratorIbN2at6native12_GLOBAL__N_19NonZeroOpIsEEPKslEENS0_5tupleIJPlS6_EEENSN_IJSD_SD_EEES6_PiJS6_EEE10hipError_tPvRmT3_T4_T5_T6_T7_T9_mT8_P12ihipStream_tbDpT10_ENKUlT_T0_E_clISt17integral_constantIbLb0EES1B_EEDaS16_S17_EUlS16_E_NS1_11comp_targetILNS1_3genE0ELNS1_11target_archE4294967295ELNS1_3gpuE0ELNS1_3repE0EEENS1_30default_config_static_selectorELNS0_4arch9wavefront6targetE0EEEvT1_
		.amdhsa_group_segment_fixed_size 0
		.amdhsa_private_segment_fixed_size 0
		.amdhsa_kernarg_size 120
		.amdhsa_user_sgpr_count 2
		.amdhsa_user_sgpr_dispatch_ptr 0
		.amdhsa_user_sgpr_queue_ptr 0
		.amdhsa_user_sgpr_kernarg_segment_ptr 1
		.amdhsa_user_sgpr_dispatch_id 0
		.amdhsa_user_sgpr_private_segment_size 0
		.amdhsa_wavefront_size32 1
		.amdhsa_uses_dynamic_stack 0
		.amdhsa_enable_private_segment 0
		.amdhsa_system_sgpr_workgroup_id_x 1
		.amdhsa_system_sgpr_workgroup_id_y 0
		.amdhsa_system_sgpr_workgroup_id_z 0
		.amdhsa_system_sgpr_workgroup_info 0
		.amdhsa_system_vgpr_workitem_id 0
		.amdhsa_next_free_vgpr 1
		.amdhsa_next_free_sgpr 1
		.amdhsa_reserve_vcc 0
		.amdhsa_float_round_mode_32 0
		.amdhsa_float_round_mode_16_64 0
		.amdhsa_float_denorm_mode_32 3
		.amdhsa_float_denorm_mode_16_64 3
		.amdhsa_fp16_overflow 0
		.amdhsa_workgroup_processor_mode 1
		.amdhsa_memory_ordered 1
		.amdhsa_forward_progress 1
		.amdhsa_inst_pref_size 0
		.amdhsa_round_robin_scheduling 0
		.amdhsa_exception_fp_ieee_invalid_op 0
		.amdhsa_exception_fp_denorm_src 0
		.amdhsa_exception_fp_ieee_div_zero 0
		.amdhsa_exception_fp_ieee_overflow 0
		.amdhsa_exception_fp_ieee_underflow 0
		.amdhsa_exception_fp_ieee_inexact 0
		.amdhsa_exception_int_div_zero 0
	.end_amdhsa_kernel
	.section	.text._ZN7rocprim17ROCPRIM_400000_NS6detail17trampoline_kernelINS0_14default_configENS1_25partition_config_selectorILNS1_17partition_subalgoE5ElNS0_10empty_typeEbEEZZNS1_14partition_implILS5_5ELb0ES3_mN6hipcub16HIPCUB_304000_NS21CountingInputIteratorIllEEPS6_NSA_22TransformInputIteratorIbN2at6native12_GLOBAL__N_19NonZeroOpIsEEPKslEENS0_5tupleIJPlS6_EEENSN_IJSD_SD_EEES6_PiJS6_EEE10hipError_tPvRmT3_T4_T5_T6_T7_T9_mT8_P12ihipStream_tbDpT10_ENKUlT_T0_E_clISt17integral_constantIbLb0EES1B_EEDaS16_S17_EUlS16_E_NS1_11comp_targetILNS1_3genE0ELNS1_11target_archE4294967295ELNS1_3gpuE0ELNS1_3repE0EEENS1_30default_config_static_selectorELNS0_4arch9wavefront6targetE0EEEvT1_,"axG",@progbits,_ZN7rocprim17ROCPRIM_400000_NS6detail17trampoline_kernelINS0_14default_configENS1_25partition_config_selectorILNS1_17partition_subalgoE5ElNS0_10empty_typeEbEEZZNS1_14partition_implILS5_5ELb0ES3_mN6hipcub16HIPCUB_304000_NS21CountingInputIteratorIllEEPS6_NSA_22TransformInputIteratorIbN2at6native12_GLOBAL__N_19NonZeroOpIsEEPKslEENS0_5tupleIJPlS6_EEENSN_IJSD_SD_EEES6_PiJS6_EEE10hipError_tPvRmT3_T4_T5_T6_T7_T9_mT8_P12ihipStream_tbDpT10_ENKUlT_T0_E_clISt17integral_constantIbLb0EES1B_EEDaS16_S17_EUlS16_E_NS1_11comp_targetILNS1_3genE0ELNS1_11target_archE4294967295ELNS1_3gpuE0ELNS1_3repE0EEENS1_30default_config_static_selectorELNS0_4arch9wavefront6targetE0EEEvT1_,comdat
.Lfunc_end322:
	.size	_ZN7rocprim17ROCPRIM_400000_NS6detail17trampoline_kernelINS0_14default_configENS1_25partition_config_selectorILNS1_17partition_subalgoE5ElNS0_10empty_typeEbEEZZNS1_14partition_implILS5_5ELb0ES3_mN6hipcub16HIPCUB_304000_NS21CountingInputIteratorIllEEPS6_NSA_22TransformInputIteratorIbN2at6native12_GLOBAL__N_19NonZeroOpIsEEPKslEENS0_5tupleIJPlS6_EEENSN_IJSD_SD_EEES6_PiJS6_EEE10hipError_tPvRmT3_T4_T5_T6_T7_T9_mT8_P12ihipStream_tbDpT10_ENKUlT_T0_E_clISt17integral_constantIbLb0EES1B_EEDaS16_S17_EUlS16_E_NS1_11comp_targetILNS1_3genE0ELNS1_11target_archE4294967295ELNS1_3gpuE0ELNS1_3repE0EEENS1_30default_config_static_selectorELNS0_4arch9wavefront6targetE0EEEvT1_, .Lfunc_end322-_ZN7rocprim17ROCPRIM_400000_NS6detail17trampoline_kernelINS0_14default_configENS1_25partition_config_selectorILNS1_17partition_subalgoE5ElNS0_10empty_typeEbEEZZNS1_14partition_implILS5_5ELb0ES3_mN6hipcub16HIPCUB_304000_NS21CountingInputIteratorIllEEPS6_NSA_22TransformInputIteratorIbN2at6native12_GLOBAL__N_19NonZeroOpIsEEPKslEENS0_5tupleIJPlS6_EEENSN_IJSD_SD_EEES6_PiJS6_EEE10hipError_tPvRmT3_T4_T5_T6_T7_T9_mT8_P12ihipStream_tbDpT10_ENKUlT_T0_E_clISt17integral_constantIbLb0EES1B_EEDaS16_S17_EUlS16_E_NS1_11comp_targetILNS1_3genE0ELNS1_11target_archE4294967295ELNS1_3gpuE0ELNS1_3repE0EEENS1_30default_config_static_selectorELNS0_4arch9wavefront6targetE0EEEvT1_
                                        ; -- End function
	.set _ZN7rocprim17ROCPRIM_400000_NS6detail17trampoline_kernelINS0_14default_configENS1_25partition_config_selectorILNS1_17partition_subalgoE5ElNS0_10empty_typeEbEEZZNS1_14partition_implILS5_5ELb0ES3_mN6hipcub16HIPCUB_304000_NS21CountingInputIteratorIllEEPS6_NSA_22TransformInputIteratorIbN2at6native12_GLOBAL__N_19NonZeroOpIsEEPKslEENS0_5tupleIJPlS6_EEENSN_IJSD_SD_EEES6_PiJS6_EEE10hipError_tPvRmT3_T4_T5_T6_T7_T9_mT8_P12ihipStream_tbDpT10_ENKUlT_T0_E_clISt17integral_constantIbLb0EES1B_EEDaS16_S17_EUlS16_E_NS1_11comp_targetILNS1_3genE0ELNS1_11target_archE4294967295ELNS1_3gpuE0ELNS1_3repE0EEENS1_30default_config_static_selectorELNS0_4arch9wavefront6targetE0EEEvT1_.num_vgpr, 0
	.set _ZN7rocprim17ROCPRIM_400000_NS6detail17trampoline_kernelINS0_14default_configENS1_25partition_config_selectorILNS1_17partition_subalgoE5ElNS0_10empty_typeEbEEZZNS1_14partition_implILS5_5ELb0ES3_mN6hipcub16HIPCUB_304000_NS21CountingInputIteratorIllEEPS6_NSA_22TransformInputIteratorIbN2at6native12_GLOBAL__N_19NonZeroOpIsEEPKslEENS0_5tupleIJPlS6_EEENSN_IJSD_SD_EEES6_PiJS6_EEE10hipError_tPvRmT3_T4_T5_T6_T7_T9_mT8_P12ihipStream_tbDpT10_ENKUlT_T0_E_clISt17integral_constantIbLb0EES1B_EEDaS16_S17_EUlS16_E_NS1_11comp_targetILNS1_3genE0ELNS1_11target_archE4294967295ELNS1_3gpuE0ELNS1_3repE0EEENS1_30default_config_static_selectorELNS0_4arch9wavefront6targetE0EEEvT1_.num_agpr, 0
	.set _ZN7rocprim17ROCPRIM_400000_NS6detail17trampoline_kernelINS0_14default_configENS1_25partition_config_selectorILNS1_17partition_subalgoE5ElNS0_10empty_typeEbEEZZNS1_14partition_implILS5_5ELb0ES3_mN6hipcub16HIPCUB_304000_NS21CountingInputIteratorIllEEPS6_NSA_22TransformInputIteratorIbN2at6native12_GLOBAL__N_19NonZeroOpIsEEPKslEENS0_5tupleIJPlS6_EEENSN_IJSD_SD_EEES6_PiJS6_EEE10hipError_tPvRmT3_T4_T5_T6_T7_T9_mT8_P12ihipStream_tbDpT10_ENKUlT_T0_E_clISt17integral_constantIbLb0EES1B_EEDaS16_S17_EUlS16_E_NS1_11comp_targetILNS1_3genE0ELNS1_11target_archE4294967295ELNS1_3gpuE0ELNS1_3repE0EEENS1_30default_config_static_selectorELNS0_4arch9wavefront6targetE0EEEvT1_.numbered_sgpr, 0
	.set _ZN7rocprim17ROCPRIM_400000_NS6detail17trampoline_kernelINS0_14default_configENS1_25partition_config_selectorILNS1_17partition_subalgoE5ElNS0_10empty_typeEbEEZZNS1_14partition_implILS5_5ELb0ES3_mN6hipcub16HIPCUB_304000_NS21CountingInputIteratorIllEEPS6_NSA_22TransformInputIteratorIbN2at6native12_GLOBAL__N_19NonZeroOpIsEEPKslEENS0_5tupleIJPlS6_EEENSN_IJSD_SD_EEES6_PiJS6_EEE10hipError_tPvRmT3_T4_T5_T6_T7_T9_mT8_P12ihipStream_tbDpT10_ENKUlT_T0_E_clISt17integral_constantIbLb0EES1B_EEDaS16_S17_EUlS16_E_NS1_11comp_targetILNS1_3genE0ELNS1_11target_archE4294967295ELNS1_3gpuE0ELNS1_3repE0EEENS1_30default_config_static_selectorELNS0_4arch9wavefront6targetE0EEEvT1_.num_named_barrier, 0
	.set _ZN7rocprim17ROCPRIM_400000_NS6detail17trampoline_kernelINS0_14default_configENS1_25partition_config_selectorILNS1_17partition_subalgoE5ElNS0_10empty_typeEbEEZZNS1_14partition_implILS5_5ELb0ES3_mN6hipcub16HIPCUB_304000_NS21CountingInputIteratorIllEEPS6_NSA_22TransformInputIteratorIbN2at6native12_GLOBAL__N_19NonZeroOpIsEEPKslEENS0_5tupleIJPlS6_EEENSN_IJSD_SD_EEES6_PiJS6_EEE10hipError_tPvRmT3_T4_T5_T6_T7_T9_mT8_P12ihipStream_tbDpT10_ENKUlT_T0_E_clISt17integral_constantIbLb0EES1B_EEDaS16_S17_EUlS16_E_NS1_11comp_targetILNS1_3genE0ELNS1_11target_archE4294967295ELNS1_3gpuE0ELNS1_3repE0EEENS1_30default_config_static_selectorELNS0_4arch9wavefront6targetE0EEEvT1_.private_seg_size, 0
	.set _ZN7rocprim17ROCPRIM_400000_NS6detail17trampoline_kernelINS0_14default_configENS1_25partition_config_selectorILNS1_17partition_subalgoE5ElNS0_10empty_typeEbEEZZNS1_14partition_implILS5_5ELb0ES3_mN6hipcub16HIPCUB_304000_NS21CountingInputIteratorIllEEPS6_NSA_22TransformInputIteratorIbN2at6native12_GLOBAL__N_19NonZeroOpIsEEPKslEENS0_5tupleIJPlS6_EEENSN_IJSD_SD_EEES6_PiJS6_EEE10hipError_tPvRmT3_T4_T5_T6_T7_T9_mT8_P12ihipStream_tbDpT10_ENKUlT_T0_E_clISt17integral_constantIbLb0EES1B_EEDaS16_S17_EUlS16_E_NS1_11comp_targetILNS1_3genE0ELNS1_11target_archE4294967295ELNS1_3gpuE0ELNS1_3repE0EEENS1_30default_config_static_selectorELNS0_4arch9wavefront6targetE0EEEvT1_.uses_vcc, 0
	.set _ZN7rocprim17ROCPRIM_400000_NS6detail17trampoline_kernelINS0_14default_configENS1_25partition_config_selectorILNS1_17partition_subalgoE5ElNS0_10empty_typeEbEEZZNS1_14partition_implILS5_5ELb0ES3_mN6hipcub16HIPCUB_304000_NS21CountingInputIteratorIllEEPS6_NSA_22TransformInputIteratorIbN2at6native12_GLOBAL__N_19NonZeroOpIsEEPKslEENS0_5tupleIJPlS6_EEENSN_IJSD_SD_EEES6_PiJS6_EEE10hipError_tPvRmT3_T4_T5_T6_T7_T9_mT8_P12ihipStream_tbDpT10_ENKUlT_T0_E_clISt17integral_constantIbLb0EES1B_EEDaS16_S17_EUlS16_E_NS1_11comp_targetILNS1_3genE0ELNS1_11target_archE4294967295ELNS1_3gpuE0ELNS1_3repE0EEENS1_30default_config_static_selectorELNS0_4arch9wavefront6targetE0EEEvT1_.uses_flat_scratch, 0
	.set _ZN7rocprim17ROCPRIM_400000_NS6detail17trampoline_kernelINS0_14default_configENS1_25partition_config_selectorILNS1_17partition_subalgoE5ElNS0_10empty_typeEbEEZZNS1_14partition_implILS5_5ELb0ES3_mN6hipcub16HIPCUB_304000_NS21CountingInputIteratorIllEEPS6_NSA_22TransformInputIteratorIbN2at6native12_GLOBAL__N_19NonZeroOpIsEEPKslEENS0_5tupleIJPlS6_EEENSN_IJSD_SD_EEES6_PiJS6_EEE10hipError_tPvRmT3_T4_T5_T6_T7_T9_mT8_P12ihipStream_tbDpT10_ENKUlT_T0_E_clISt17integral_constantIbLb0EES1B_EEDaS16_S17_EUlS16_E_NS1_11comp_targetILNS1_3genE0ELNS1_11target_archE4294967295ELNS1_3gpuE0ELNS1_3repE0EEENS1_30default_config_static_selectorELNS0_4arch9wavefront6targetE0EEEvT1_.has_dyn_sized_stack, 0
	.set _ZN7rocprim17ROCPRIM_400000_NS6detail17trampoline_kernelINS0_14default_configENS1_25partition_config_selectorILNS1_17partition_subalgoE5ElNS0_10empty_typeEbEEZZNS1_14partition_implILS5_5ELb0ES3_mN6hipcub16HIPCUB_304000_NS21CountingInputIteratorIllEEPS6_NSA_22TransformInputIteratorIbN2at6native12_GLOBAL__N_19NonZeroOpIsEEPKslEENS0_5tupleIJPlS6_EEENSN_IJSD_SD_EEES6_PiJS6_EEE10hipError_tPvRmT3_T4_T5_T6_T7_T9_mT8_P12ihipStream_tbDpT10_ENKUlT_T0_E_clISt17integral_constantIbLb0EES1B_EEDaS16_S17_EUlS16_E_NS1_11comp_targetILNS1_3genE0ELNS1_11target_archE4294967295ELNS1_3gpuE0ELNS1_3repE0EEENS1_30default_config_static_selectorELNS0_4arch9wavefront6targetE0EEEvT1_.has_recursion, 0
	.set _ZN7rocprim17ROCPRIM_400000_NS6detail17trampoline_kernelINS0_14default_configENS1_25partition_config_selectorILNS1_17partition_subalgoE5ElNS0_10empty_typeEbEEZZNS1_14partition_implILS5_5ELb0ES3_mN6hipcub16HIPCUB_304000_NS21CountingInputIteratorIllEEPS6_NSA_22TransformInputIteratorIbN2at6native12_GLOBAL__N_19NonZeroOpIsEEPKslEENS0_5tupleIJPlS6_EEENSN_IJSD_SD_EEES6_PiJS6_EEE10hipError_tPvRmT3_T4_T5_T6_T7_T9_mT8_P12ihipStream_tbDpT10_ENKUlT_T0_E_clISt17integral_constantIbLb0EES1B_EEDaS16_S17_EUlS16_E_NS1_11comp_targetILNS1_3genE0ELNS1_11target_archE4294967295ELNS1_3gpuE0ELNS1_3repE0EEENS1_30default_config_static_selectorELNS0_4arch9wavefront6targetE0EEEvT1_.has_indirect_call, 0
	.section	.AMDGPU.csdata,"",@progbits
; Kernel info:
; codeLenInByte = 0
; TotalNumSgprs: 0
; NumVgprs: 0
; ScratchSize: 0
; MemoryBound: 0
; FloatMode: 240
; IeeeMode: 1
; LDSByteSize: 0 bytes/workgroup (compile time only)
; SGPRBlocks: 0
; VGPRBlocks: 0
; NumSGPRsForWavesPerEU: 1
; NumVGPRsForWavesPerEU: 1
; Occupancy: 16
; WaveLimiterHint : 0
; COMPUTE_PGM_RSRC2:SCRATCH_EN: 0
; COMPUTE_PGM_RSRC2:USER_SGPR: 2
; COMPUTE_PGM_RSRC2:TRAP_HANDLER: 0
; COMPUTE_PGM_RSRC2:TGID_X_EN: 1
; COMPUTE_PGM_RSRC2:TGID_Y_EN: 0
; COMPUTE_PGM_RSRC2:TGID_Z_EN: 0
; COMPUTE_PGM_RSRC2:TIDIG_COMP_CNT: 0
	.section	.text._ZN7rocprim17ROCPRIM_400000_NS6detail17trampoline_kernelINS0_14default_configENS1_25partition_config_selectorILNS1_17partition_subalgoE5ElNS0_10empty_typeEbEEZZNS1_14partition_implILS5_5ELb0ES3_mN6hipcub16HIPCUB_304000_NS21CountingInputIteratorIllEEPS6_NSA_22TransformInputIteratorIbN2at6native12_GLOBAL__N_19NonZeroOpIsEEPKslEENS0_5tupleIJPlS6_EEENSN_IJSD_SD_EEES6_PiJS6_EEE10hipError_tPvRmT3_T4_T5_T6_T7_T9_mT8_P12ihipStream_tbDpT10_ENKUlT_T0_E_clISt17integral_constantIbLb0EES1B_EEDaS16_S17_EUlS16_E_NS1_11comp_targetILNS1_3genE5ELNS1_11target_archE942ELNS1_3gpuE9ELNS1_3repE0EEENS1_30default_config_static_selectorELNS0_4arch9wavefront6targetE0EEEvT1_,"axG",@progbits,_ZN7rocprim17ROCPRIM_400000_NS6detail17trampoline_kernelINS0_14default_configENS1_25partition_config_selectorILNS1_17partition_subalgoE5ElNS0_10empty_typeEbEEZZNS1_14partition_implILS5_5ELb0ES3_mN6hipcub16HIPCUB_304000_NS21CountingInputIteratorIllEEPS6_NSA_22TransformInputIteratorIbN2at6native12_GLOBAL__N_19NonZeroOpIsEEPKslEENS0_5tupleIJPlS6_EEENSN_IJSD_SD_EEES6_PiJS6_EEE10hipError_tPvRmT3_T4_T5_T6_T7_T9_mT8_P12ihipStream_tbDpT10_ENKUlT_T0_E_clISt17integral_constantIbLb0EES1B_EEDaS16_S17_EUlS16_E_NS1_11comp_targetILNS1_3genE5ELNS1_11target_archE942ELNS1_3gpuE9ELNS1_3repE0EEENS1_30default_config_static_selectorELNS0_4arch9wavefront6targetE0EEEvT1_,comdat
	.globl	_ZN7rocprim17ROCPRIM_400000_NS6detail17trampoline_kernelINS0_14default_configENS1_25partition_config_selectorILNS1_17partition_subalgoE5ElNS0_10empty_typeEbEEZZNS1_14partition_implILS5_5ELb0ES3_mN6hipcub16HIPCUB_304000_NS21CountingInputIteratorIllEEPS6_NSA_22TransformInputIteratorIbN2at6native12_GLOBAL__N_19NonZeroOpIsEEPKslEENS0_5tupleIJPlS6_EEENSN_IJSD_SD_EEES6_PiJS6_EEE10hipError_tPvRmT3_T4_T5_T6_T7_T9_mT8_P12ihipStream_tbDpT10_ENKUlT_T0_E_clISt17integral_constantIbLb0EES1B_EEDaS16_S17_EUlS16_E_NS1_11comp_targetILNS1_3genE5ELNS1_11target_archE942ELNS1_3gpuE9ELNS1_3repE0EEENS1_30default_config_static_selectorELNS0_4arch9wavefront6targetE0EEEvT1_ ; -- Begin function _ZN7rocprim17ROCPRIM_400000_NS6detail17trampoline_kernelINS0_14default_configENS1_25partition_config_selectorILNS1_17partition_subalgoE5ElNS0_10empty_typeEbEEZZNS1_14partition_implILS5_5ELb0ES3_mN6hipcub16HIPCUB_304000_NS21CountingInputIteratorIllEEPS6_NSA_22TransformInputIteratorIbN2at6native12_GLOBAL__N_19NonZeroOpIsEEPKslEENS0_5tupleIJPlS6_EEENSN_IJSD_SD_EEES6_PiJS6_EEE10hipError_tPvRmT3_T4_T5_T6_T7_T9_mT8_P12ihipStream_tbDpT10_ENKUlT_T0_E_clISt17integral_constantIbLb0EES1B_EEDaS16_S17_EUlS16_E_NS1_11comp_targetILNS1_3genE5ELNS1_11target_archE942ELNS1_3gpuE9ELNS1_3repE0EEENS1_30default_config_static_selectorELNS0_4arch9wavefront6targetE0EEEvT1_
	.p2align	8
	.type	_ZN7rocprim17ROCPRIM_400000_NS6detail17trampoline_kernelINS0_14default_configENS1_25partition_config_selectorILNS1_17partition_subalgoE5ElNS0_10empty_typeEbEEZZNS1_14partition_implILS5_5ELb0ES3_mN6hipcub16HIPCUB_304000_NS21CountingInputIteratorIllEEPS6_NSA_22TransformInputIteratorIbN2at6native12_GLOBAL__N_19NonZeroOpIsEEPKslEENS0_5tupleIJPlS6_EEENSN_IJSD_SD_EEES6_PiJS6_EEE10hipError_tPvRmT3_T4_T5_T6_T7_T9_mT8_P12ihipStream_tbDpT10_ENKUlT_T0_E_clISt17integral_constantIbLb0EES1B_EEDaS16_S17_EUlS16_E_NS1_11comp_targetILNS1_3genE5ELNS1_11target_archE942ELNS1_3gpuE9ELNS1_3repE0EEENS1_30default_config_static_selectorELNS0_4arch9wavefront6targetE0EEEvT1_,@function
_ZN7rocprim17ROCPRIM_400000_NS6detail17trampoline_kernelINS0_14default_configENS1_25partition_config_selectorILNS1_17partition_subalgoE5ElNS0_10empty_typeEbEEZZNS1_14partition_implILS5_5ELb0ES3_mN6hipcub16HIPCUB_304000_NS21CountingInputIteratorIllEEPS6_NSA_22TransformInputIteratorIbN2at6native12_GLOBAL__N_19NonZeroOpIsEEPKslEENS0_5tupleIJPlS6_EEENSN_IJSD_SD_EEES6_PiJS6_EEE10hipError_tPvRmT3_T4_T5_T6_T7_T9_mT8_P12ihipStream_tbDpT10_ENKUlT_T0_E_clISt17integral_constantIbLb0EES1B_EEDaS16_S17_EUlS16_E_NS1_11comp_targetILNS1_3genE5ELNS1_11target_archE942ELNS1_3gpuE9ELNS1_3repE0EEENS1_30default_config_static_selectorELNS0_4arch9wavefront6targetE0EEEvT1_: ; @_ZN7rocprim17ROCPRIM_400000_NS6detail17trampoline_kernelINS0_14default_configENS1_25partition_config_selectorILNS1_17partition_subalgoE5ElNS0_10empty_typeEbEEZZNS1_14partition_implILS5_5ELb0ES3_mN6hipcub16HIPCUB_304000_NS21CountingInputIteratorIllEEPS6_NSA_22TransformInputIteratorIbN2at6native12_GLOBAL__N_19NonZeroOpIsEEPKslEENS0_5tupleIJPlS6_EEENSN_IJSD_SD_EEES6_PiJS6_EEE10hipError_tPvRmT3_T4_T5_T6_T7_T9_mT8_P12ihipStream_tbDpT10_ENKUlT_T0_E_clISt17integral_constantIbLb0EES1B_EEDaS16_S17_EUlS16_E_NS1_11comp_targetILNS1_3genE5ELNS1_11target_archE942ELNS1_3gpuE9ELNS1_3repE0EEENS1_30default_config_static_selectorELNS0_4arch9wavefront6targetE0EEEvT1_
; %bb.0:
	.section	.rodata,"a",@progbits
	.p2align	6, 0x0
	.amdhsa_kernel _ZN7rocprim17ROCPRIM_400000_NS6detail17trampoline_kernelINS0_14default_configENS1_25partition_config_selectorILNS1_17partition_subalgoE5ElNS0_10empty_typeEbEEZZNS1_14partition_implILS5_5ELb0ES3_mN6hipcub16HIPCUB_304000_NS21CountingInputIteratorIllEEPS6_NSA_22TransformInputIteratorIbN2at6native12_GLOBAL__N_19NonZeroOpIsEEPKslEENS0_5tupleIJPlS6_EEENSN_IJSD_SD_EEES6_PiJS6_EEE10hipError_tPvRmT3_T4_T5_T6_T7_T9_mT8_P12ihipStream_tbDpT10_ENKUlT_T0_E_clISt17integral_constantIbLb0EES1B_EEDaS16_S17_EUlS16_E_NS1_11comp_targetILNS1_3genE5ELNS1_11target_archE942ELNS1_3gpuE9ELNS1_3repE0EEENS1_30default_config_static_selectorELNS0_4arch9wavefront6targetE0EEEvT1_
		.amdhsa_group_segment_fixed_size 0
		.amdhsa_private_segment_fixed_size 0
		.amdhsa_kernarg_size 120
		.amdhsa_user_sgpr_count 2
		.amdhsa_user_sgpr_dispatch_ptr 0
		.amdhsa_user_sgpr_queue_ptr 0
		.amdhsa_user_sgpr_kernarg_segment_ptr 1
		.amdhsa_user_sgpr_dispatch_id 0
		.amdhsa_user_sgpr_private_segment_size 0
		.amdhsa_wavefront_size32 1
		.amdhsa_uses_dynamic_stack 0
		.amdhsa_enable_private_segment 0
		.amdhsa_system_sgpr_workgroup_id_x 1
		.amdhsa_system_sgpr_workgroup_id_y 0
		.amdhsa_system_sgpr_workgroup_id_z 0
		.amdhsa_system_sgpr_workgroup_info 0
		.amdhsa_system_vgpr_workitem_id 0
		.amdhsa_next_free_vgpr 1
		.amdhsa_next_free_sgpr 1
		.amdhsa_reserve_vcc 0
		.amdhsa_float_round_mode_32 0
		.amdhsa_float_round_mode_16_64 0
		.amdhsa_float_denorm_mode_32 3
		.amdhsa_float_denorm_mode_16_64 3
		.amdhsa_fp16_overflow 0
		.amdhsa_workgroup_processor_mode 1
		.amdhsa_memory_ordered 1
		.amdhsa_forward_progress 1
		.amdhsa_inst_pref_size 0
		.amdhsa_round_robin_scheduling 0
		.amdhsa_exception_fp_ieee_invalid_op 0
		.amdhsa_exception_fp_denorm_src 0
		.amdhsa_exception_fp_ieee_div_zero 0
		.amdhsa_exception_fp_ieee_overflow 0
		.amdhsa_exception_fp_ieee_underflow 0
		.amdhsa_exception_fp_ieee_inexact 0
		.amdhsa_exception_int_div_zero 0
	.end_amdhsa_kernel
	.section	.text._ZN7rocprim17ROCPRIM_400000_NS6detail17trampoline_kernelINS0_14default_configENS1_25partition_config_selectorILNS1_17partition_subalgoE5ElNS0_10empty_typeEbEEZZNS1_14partition_implILS5_5ELb0ES3_mN6hipcub16HIPCUB_304000_NS21CountingInputIteratorIllEEPS6_NSA_22TransformInputIteratorIbN2at6native12_GLOBAL__N_19NonZeroOpIsEEPKslEENS0_5tupleIJPlS6_EEENSN_IJSD_SD_EEES6_PiJS6_EEE10hipError_tPvRmT3_T4_T5_T6_T7_T9_mT8_P12ihipStream_tbDpT10_ENKUlT_T0_E_clISt17integral_constantIbLb0EES1B_EEDaS16_S17_EUlS16_E_NS1_11comp_targetILNS1_3genE5ELNS1_11target_archE942ELNS1_3gpuE9ELNS1_3repE0EEENS1_30default_config_static_selectorELNS0_4arch9wavefront6targetE0EEEvT1_,"axG",@progbits,_ZN7rocprim17ROCPRIM_400000_NS6detail17trampoline_kernelINS0_14default_configENS1_25partition_config_selectorILNS1_17partition_subalgoE5ElNS0_10empty_typeEbEEZZNS1_14partition_implILS5_5ELb0ES3_mN6hipcub16HIPCUB_304000_NS21CountingInputIteratorIllEEPS6_NSA_22TransformInputIteratorIbN2at6native12_GLOBAL__N_19NonZeroOpIsEEPKslEENS0_5tupleIJPlS6_EEENSN_IJSD_SD_EEES6_PiJS6_EEE10hipError_tPvRmT3_T4_T5_T6_T7_T9_mT8_P12ihipStream_tbDpT10_ENKUlT_T0_E_clISt17integral_constantIbLb0EES1B_EEDaS16_S17_EUlS16_E_NS1_11comp_targetILNS1_3genE5ELNS1_11target_archE942ELNS1_3gpuE9ELNS1_3repE0EEENS1_30default_config_static_selectorELNS0_4arch9wavefront6targetE0EEEvT1_,comdat
.Lfunc_end323:
	.size	_ZN7rocprim17ROCPRIM_400000_NS6detail17trampoline_kernelINS0_14default_configENS1_25partition_config_selectorILNS1_17partition_subalgoE5ElNS0_10empty_typeEbEEZZNS1_14partition_implILS5_5ELb0ES3_mN6hipcub16HIPCUB_304000_NS21CountingInputIteratorIllEEPS6_NSA_22TransformInputIteratorIbN2at6native12_GLOBAL__N_19NonZeroOpIsEEPKslEENS0_5tupleIJPlS6_EEENSN_IJSD_SD_EEES6_PiJS6_EEE10hipError_tPvRmT3_T4_T5_T6_T7_T9_mT8_P12ihipStream_tbDpT10_ENKUlT_T0_E_clISt17integral_constantIbLb0EES1B_EEDaS16_S17_EUlS16_E_NS1_11comp_targetILNS1_3genE5ELNS1_11target_archE942ELNS1_3gpuE9ELNS1_3repE0EEENS1_30default_config_static_selectorELNS0_4arch9wavefront6targetE0EEEvT1_, .Lfunc_end323-_ZN7rocprim17ROCPRIM_400000_NS6detail17trampoline_kernelINS0_14default_configENS1_25partition_config_selectorILNS1_17partition_subalgoE5ElNS0_10empty_typeEbEEZZNS1_14partition_implILS5_5ELb0ES3_mN6hipcub16HIPCUB_304000_NS21CountingInputIteratorIllEEPS6_NSA_22TransformInputIteratorIbN2at6native12_GLOBAL__N_19NonZeroOpIsEEPKslEENS0_5tupleIJPlS6_EEENSN_IJSD_SD_EEES6_PiJS6_EEE10hipError_tPvRmT3_T4_T5_T6_T7_T9_mT8_P12ihipStream_tbDpT10_ENKUlT_T0_E_clISt17integral_constantIbLb0EES1B_EEDaS16_S17_EUlS16_E_NS1_11comp_targetILNS1_3genE5ELNS1_11target_archE942ELNS1_3gpuE9ELNS1_3repE0EEENS1_30default_config_static_selectorELNS0_4arch9wavefront6targetE0EEEvT1_
                                        ; -- End function
	.set _ZN7rocprim17ROCPRIM_400000_NS6detail17trampoline_kernelINS0_14default_configENS1_25partition_config_selectorILNS1_17partition_subalgoE5ElNS0_10empty_typeEbEEZZNS1_14partition_implILS5_5ELb0ES3_mN6hipcub16HIPCUB_304000_NS21CountingInputIteratorIllEEPS6_NSA_22TransformInputIteratorIbN2at6native12_GLOBAL__N_19NonZeroOpIsEEPKslEENS0_5tupleIJPlS6_EEENSN_IJSD_SD_EEES6_PiJS6_EEE10hipError_tPvRmT3_T4_T5_T6_T7_T9_mT8_P12ihipStream_tbDpT10_ENKUlT_T0_E_clISt17integral_constantIbLb0EES1B_EEDaS16_S17_EUlS16_E_NS1_11comp_targetILNS1_3genE5ELNS1_11target_archE942ELNS1_3gpuE9ELNS1_3repE0EEENS1_30default_config_static_selectorELNS0_4arch9wavefront6targetE0EEEvT1_.num_vgpr, 0
	.set _ZN7rocprim17ROCPRIM_400000_NS6detail17trampoline_kernelINS0_14default_configENS1_25partition_config_selectorILNS1_17partition_subalgoE5ElNS0_10empty_typeEbEEZZNS1_14partition_implILS5_5ELb0ES3_mN6hipcub16HIPCUB_304000_NS21CountingInputIteratorIllEEPS6_NSA_22TransformInputIteratorIbN2at6native12_GLOBAL__N_19NonZeroOpIsEEPKslEENS0_5tupleIJPlS6_EEENSN_IJSD_SD_EEES6_PiJS6_EEE10hipError_tPvRmT3_T4_T5_T6_T7_T9_mT8_P12ihipStream_tbDpT10_ENKUlT_T0_E_clISt17integral_constantIbLb0EES1B_EEDaS16_S17_EUlS16_E_NS1_11comp_targetILNS1_3genE5ELNS1_11target_archE942ELNS1_3gpuE9ELNS1_3repE0EEENS1_30default_config_static_selectorELNS0_4arch9wavefront6targetE0EEEvT1_.num_agpr, 0
	.set _ZN7rocprim17ROCPRIM_400000_NS6detail17trampoline_kernelINS0_14default_configENS1_25partition_config_selectorILNS1_17partition_subalgoE5ElNS0_10empty_typeEbEEZZNS1_14partition_implILS5_5ELb0ES3_mN6hipcub16HIPCUB_304000_NS21CountingInputIteratorIllEEPS6_NSA_22TransformInputIteratorIbN2at6native12_GLOBAL__N_19NonZeroOpIsEEPKslEENS0_5tupleIJPlS6_EEENSN_IJSD_SD_EEES6_PiJS6_EEE10hipError_tPvRmT3_T4_T5_T6_T7_T9_mT8_P12ihipStream_tbDpT10_ENKUlT_T0_E_clISt17integral_constantIbLb0EES1B_EEDaS16_S17_EUlS16_E_NS1_11comp_targetILNS1_3genE5ELNS1_11target_archE942ELNS1_3gpuE9ELNS1_3repE0EEENS1_30default_config_static_selectorELNS0_4arch9wavefront6targetE0EEEvT1_.numbered_sgpr, 0
	.set _ZN7rocprim17ROCPRIM_400000_NS6detail17trampoline_kernelINS0_14default_configENS1_25partition_config_selectorILNS1_17partition_subalgoE5ElNS0_10empty_typeEbEEZZNS1_14partition_implILS5_5ELb0ES3_mN6hipcub16HIPCUB_304000_NS21CountingInputIteratorIllEEPS6_NSA_22TransformInputIteratorIbN2at6native12_GLOBAL__N_19NonZeroOpIsEEPKslEENS0_5tupleIJPlS6_EEENSN_IJSD_SD_EEES6_PiJS6_EEE10hipError_tPvRmT3_T4_T5_T6_T7_T9_mT8_P12ihipStream_tbDpT10_ENKUlT_T0_E_clISt17integral_constantIbLb0EES1B_EEDaS16_S17_EUlS16_E_NS1_11comp_targetILNS1_3genE5ELNS1_11target_archE942ELNS1_3gpuE9ELNS1_3repE0EEENS1_30default_config_static_selectorELNS0_4arch9wavefront6targetE0EEEvT1_.num_named_barrier, 0
	.set _ZN7rocprim17ROCPRIM_400000_NS6detail17trampoline_kernelINS0_14default_configENS1_25partition_config_selectorILNS1_17partition_subalgoE5ElNS0_10empty_typeEbEEZZNS1_14partition_implILS5_5ELb0ES3_mN6hipcub16HIPCUB_304000_NS21CountingInputIteratorIllEEPS6_NSA_22TransformInputIteratorIbN2at6native12_GLOBAL__N_19NonZeroOpIsEEPKslEENS0_5tupleIJPlS6_EEENSN_IJSD_SD_EEES6_PiJS6_EEE10hipError_tPvRmT3_T4_T5_T6_T7_T9_mT8_P12ihipStream_tbDpT10_ENKUlT_T0_E_clISt17integral_constantIbLb0EES1B_EEDaS16_S17_EUlS16_E_NS1_11comp_targetILNS1_3genE5ELNS1_11target_archE942ELNS1_3gpuE9ELNS1_3repE0EEENS1_30default_config_static_selectorELNS0_4arch9wavefront6targetE0EEEvT1_.private_seg_size, 0
	.set _ZN7rocprim17ROCPRIM_400000_NS6detail17trampoline_kernelINS0_14default_configENS1_25partition_config_selectorILNS1_17partition_subalgoE5ElNS0_10empty_typeEbEEZZNS1_14partition_implILS5_5ELb0ES3_mN6hipcub16HIPCUB_304000_NS21CountingInputIteratorIllEEPS6_NSA_22TransformInputIteratorIbN2at6native12_GLOBAL__N_19NonZeroOpIsEEPKslEENS0_5tupleIJPlS6_EEENSN_IJSD_SD_EEES6_PiJS6_EEE10hipError_tPvRmT3_T4_T5_T6_T7_T9_mT8_P12ihipStream_tbDpT10_ENKUlT_T0_E_clISt17integral_constantIbLb0EES1B_EEDaS16_S17_EUlS16_E_NS1_11comp_targetILNS1_3genE5ELNS1_11target_archE942ELNS1_3gpuE9ELNS1_3repE0EEENS1_30default_config_static_selectorELNS0_4arch9wavefront6targetE0EEEvT1_.uses_vcc, 0
	.set _ZN7rocprim17ROCPRIM_400000_NS6detail17trampoline_kernelINS0_14default_configENS1_25partition_config_selectorILNS1_17partition_subalgoE5ElNS0_10empty_typeEbEEZZNS1_14partition_implILS5_5ELb0ES3_mN6hipcub16HIPCUB_304000_NS21CountingInputIteratorIllEEPS6_NSA_22TransformInputIteratorIbN2at6native12_GLOBAL__N_19NonZeroOpIsEEPKslEENS0_5tupleIJPlS6_EEENSN_IJSD_SD_EEES6_PiJS6_EEE10hipError_tPvRmT3_T4_T5_T6_T7_T9_mT8_P12ihipStream_tbDpT10_ENKUlT_T0_E_clISt17integral_constantIbLb0EES1B_EEDaS16_S17_EUlS16_E_NS1_11comp_targetILNS1_3genE5ELNS1_11target_archE942ELNS1_3gpuE9ELNS1_3repE0EEENS1_30default_config_static_selectorELNS0_4arch9wavefront6targetE0EEEvT1_.uses_flat_scratch, 0
	.set _ZN7rocprim17ROCPRIM_400000_NS6detail17trampoline_kernelINS0_14default_configENS1_25partition_config_selectorILNS1_17partition_subalgoE5ElNS0_10empty_typeEbEEZZNS1_14partition_implILS5_5ELb0ES3_mN6hipcub16HIPCUB_304000_NS21CountingInputIteratorIllEEPS6_NSA_22TransformInputIteratorIbN2at6native12_GLOBAL__N_19NonZeroOpIsEEPKslEENS0_5tupleIJPlS6_EEENSN_IJSD_SD_EEES6_PiJS6_EEE10hipError_tPvRmT3_T4_T5_T6_T7_T9_mT8_P12ihipStream_tbDpT10_ENKUlT_T0_E_clISt17integral_constantIbLb0EES1B_EEDaS16_S17_EUlS16_E_NS1_11comp_targetILNS1_3genE5ELNS1_11target_archE942ELNS1_3gpuE9ELNS1_3repE0EEENS1_30default_config_static_selectorELNS0_4arch9wavefront6targetE0EEEvT1_.has_dyn_sized_stack, 0
	.set _ZN7rocprim17ROCPRIM_400000_NS6detail17trampoline_kernelINS0_14default_configENS1_25partition_config_selectorILNS1_17partition_subalgoE5ElNS0_10empty_typeEbEEZZNS1_14partition_implILS5_5ELb0ES3_mN6hipcub16HIPCUB_304000_NS21CountingInputIteratorIllEEPS6_NSA_22TransformInputIteratorIbN2at6native12_GLOBAL__N_19NonZeroOpIsEEPKslEENS0_5tupleIJPlS6_EEENSN_IJSD_SD_EEES6_PiJS6_EEE10hipError_tPvRmT3_T4_T5_T6_T7_T9_mT8_P12ihipStream_tbDpT10_ENKUlT_T0_E_clISt17integral_constantIbLb0EES1B_EEDaS16_S17_EUlS16_E_NS1_11comp_targetILNS1_3genE5ELNS1_11target_archE942ELNS1_3gpuE9ELNS1_3repE0EEENS1_30default_config_static_selectorELNS0_4arch9wavefront6targetE0EEEvT1_.has_recursion, 0
	.set _ZN7rocprim17ROCPRIM_400000_NS6detail17trampoline_kernelINS0_14default_configENS1_25partition_config_selectorILNS1_17partition_subalgoE5ElNS0_10empty_typeEbEEZZNS1_14partition_implILS5_5ELb0ES3_mN6hipcub16HIPCUB_304000_NS21CountingInputIteratorIllEEPS6_NSA_22TransformInputIteratorIbN2at6native12_GLOBAL__N_19NonZeroOpIsEEPKslEENS0_5tupleIJPlS6_EEENSN_IJSD_SD_EEES6_PiJS6_EEE10hipError_tPvRmT3_T4_T5_T6_T7_T9_mT8_P12ihipStream_tbDpT10_ENKUlT_T0_E_clISt17integral_constantIbLb0EES1B_EEDaS16_S17_EUlS16_E_NS1_11comp_targetILNS1_3genE5ELNS1_11target_archE942ELNS1_3gpuE9ELNS1_3repE0EEENS1_30default_config_static_selectorELNS0_4arch9wavefront6targetE0EEEvT1_.has_indirect_call, 0
	.section	.AMDGPU.csdata,"",@progbits
; Kernel info:
; codeLenInByte = 0
; TotalNumSgprs: 0
; NumVgprs: 0
; ScratchSize: 0
; MemoryBound: 0
; FloatMode: 240
; IeeeMode: 1
; LDSByteSize: 0 bytes/workgroup (compile time only)
; SGPRBlocks: 0
; VGPRBlocks: 0
; NumSGPRsForWavesPerEU: 1
; NumVGPRsForWavesPerEU: 1
; Occupancy: 16
; WaveLimiterHint : 0
; COMPUTE_PGM_RSRC2:SCRATCH_EN: 0
; COMPUTE_PGM_RSRC2:USER_SGPR: 2
; COMPUTE_PGM_RSRC2:TRAP_HANDLER: 0
; COMPUTE_PGM_RSRC2:TGID_X_EN: 1
; COMPUTE_PGM_RSRC2:TGID_Y_EN: 0
; COMPUTE_PGM_RSRC2:TGID_Z_EN: 0
; COMPUTE_PGM_RSRC2:TIDIG_COMP_CNT: 0
	.section	.text._ZN7rocprim17ROCPRIM_400000_NS6detail17trampoline_kernelINS0_14default_configENS1_25partition_config_selectorILNS1_17partition_subalgoE5ElNS0_10empty_typeEbEEZZNS1_14partition_implILS5_5ELb0ES3_mN6hipcub16HIPCUB_304000_NS21CountingInputIteratorIllEEPS6_NSA_22TransformInputIteratorIbN2at6native12_GLOBAL__N_19NonZeroOpIsEEPKslEENS0_5tupleIJPlS6_EEENSN_IJSD_SD_EEES6_PiJS6_EEE10hipError_tPvRmT3_T4_T5_T6_T7_T9_mT8_P12ihipStream_tbDpT10_ENKUlT_T0_E_clISt17integral_constantIbLb0EES1B_EEDaS16_S17_EUlS16_E_NS1_11comp_targetILNS1_3genE4ELNS1_11target_archE910ELNS1_3gpuE8ELNS1_3repE0EEENS1_30default_config_static_selectorELNS0_4arch9wavefront6targetE0EEEvT1_,"axG",@progbits,_ZN7rocprim17ROCPRIM_400000_NS6detail17trampoline_kernelINS0_14default_configENS1_25partition_config_selectorILNS1_17partition_subalgoE5ElNS0_10empty_typeEbEEZZNS1_14partition_implILS5_5ELb0ES3_mN6hipcub16HIPCUB_304000_NS21CountingInputIteratorIllEEPS6_NSA_22TransformInputIteratorIbN2at6native12_GLOBAL__N_19NonZeroOpIsEEPKslEENS0_5tupleIJPlS6_EEENSN_IJSD_SD_EEES6_PiJS6_EEE10hipError_tPvRmT3_T4_T5_T6_T7_T9_mT8_P12ihipStream_tbDpT10_ENKUlT_T0_E_clISt17integral_constantIbLb0EES1B_EEDaS16_S17_EUlS16_E_NS1_11comp_targetILNS1_3genE4ELNS1_11target_archE910ELNS1_3gpuE8ELNS1_3repE0EEENS1_30default_config_static_selectorELNS0_4arch9wavefront6targetE0EEEvT1_,comdat
	.globl	_ZN7rocprim17ROCPRIM_400000_NS6detail17trampoline_kernelINS0_14default_configENS1_25partition_config_selectorILNS1_17partition_subalgoE5ElNS0_10empty_typeEbEEZZNS1_14partition_implILS5_5ELb0ES3_mN6hipcub16HIPCUB_304000_NS21CountingInputIteratorIllEEPS6_NSA_22TransformInputIteratorIbN2at6native12_GLOBAL__N_19NonZeroOpIsEEPKslEENS0_5tupleIJPlS6_EEENSN_IJSD_SD_EEES6_PiJS6_EEE10hipError_tPvRmT3_T4_T5_T6_T7_T9_mT8_P12ihipStream_tbDpT10_ENKUlT_T0_E_clISt17integral_constantIbLb0EES1B_EEDaS16_S17_EUlS16_E_NS1_11comp_targetILNS1_3genE4ELNS1_11target_archE910ELNS1_3gpuE8ELNS1_3repE0EEENS1_30default_config_static_selectorELNS0_4arch9wavefront6targetE0EEEvT1_ ; -- Begin function _ZN7rocprim17ROCPRIM_400000_NS6detail17trampoline_kernelINS0_14default_configENS1_25partition_config_selectorILNS1_17partition_subalgoE5ElNS0_10empty_typeEbEEZZNS1_14partition_implILS5_5ELb0ES3_mN6hipcub16HIPCUB_304000_NS21CountingInputIteratorIllEEPS6_NSA_22TransformInputIteratorIbN2at6native12_GLOBAL__N_19NonZeroOpIsEEPKslEENS0_5tupleIJPlS6_EEENSN_IJSD_SD_EEES6_PiJS6_EEE10hipError_tPvRmT3_T4_T5_T6_T7_T9_mT8_P12ihipStream_tbDpT10_ENKUlT_T0_E_clISt17integral_constantIbLb0EES1B_EEDaS16_S17_EUlS16_E_NS1_11comp_targetILNS1_3genE4ELNS1_11target_archE910ELNS1_3gpuE8ELNS1_3repE0EEENS1_30default_config_static_selectorELNS0_4arch9wavefront6targetE0EEEvT1_
	.p2align	8
	.type	_ZN7rocprim17ROCPRIM_400000_NS6detail17trampoline_kernelINS0_14default_configENS1_25partition_config_selectorILNS1_17partition_subalgoE5ElNS0_10empty_typeEbEEZZNS1_14partition_implILS5_5ELb0ES3_mN6hipcub16HIPCUB_304000_NS21CountingInputIteratorIllEEPS6_NSA_22TransformInputIteratorIbN2at6native12_GLOBAL__N_19NonZeroOpIsEEPKslEENS0_5tupleIJPlS6_EEENSN_IJSD_SD_EEES6_PiJS6_EEE10hipError_tPvRmT3_T4_T5_T6_T7_T9_mT8_P12ihipStream_tbDpT10_ENKUlT_T0_E_clISt17integral_constantIbLb0EES1B_EEDaS16_S17_EUlS16_E_NS1_11comp_targetILNS1_3genE4ELNS1_11target_archE910ELNS1_3gpuE8ELNS1_3repE0EEENS1_30default_config_static_selectorELNS0_4arch9wavefront6targetE0EEEvT1_,@function
_ZN7rocprim17ROCPRIM_400000_NS6detail17trampoline_kernelINS0_14default_configENS1_25partition_config_selectorILNS1_17partition_subalgoE5ElNS0_10empty_typeEbEEZZNS1_14partition_implILS5_5ELb0ES3_mN6hipcub16HIPCUB_304000_NS21CountingInputIteratorIllEEPS6_NSA_22TransformInputIteratorIbN2at6native12_GLOBAL__N_19NonZeroOpIsEEPKslEENS0_5tupleIJPlS6_EEENSN_IJSD_SD_EEES6_PiJS6_EEE10hipError_tPvRmT3_T4_T5_T6_T7_T9_mT8_P12ihipStream_tbDpT10_ENKUlT_T0_E_clISt17integral_constantIbLb0EES1B_EEDaS16_S17_EUlS16_E_NS1_11comp_targetILNS1_3genE4ELNS1_11target_archE910ELNS1_3gpuE8ELNS1_3repE0EEENS1_30default_config_static_selectorELNS0_4arch9wavefront6targetE0EEEvT1_: ; @_ZN7rocprim17ROCPRIM_400000_NS6detail17trampoline_kernelINS0_14default_configENS1_25partition_config_selectorILNS1_17partition_subalgoE5ElNS0_10empty_typeEbEEZZNS1_14partition_implILS5_5ELb0ES3_mN6hipcub16HIPCUB_304000_NS21CountingInputIteratorIllEEPS6_NSA_22TransformInputIteratorIbN2at6native12_GLOBAL__N_19NonZeroOpIsEEPKslEENS0_5tupleIJPlS6_EEENSN_IJSD_SD_EEES6_PiJS6_EEE10hipError_tPvRmT3_T4_T5_T6_T7_T9_mT8_P12ihipStream_tbDpT10_ENKUlT_T0_E_clISt17integral_constantIbLb0EES1B_EEDaS16_S17_EUlS16_E_NS1_11comp_targetILNS1_3genE4ELNS1_11target_archE910ELNS1_3gpuE8ELNS1_3repE0EEENS1_30default_config_static_selectorELNS0_4arch9wavefront6targetE0EEEvT1_
; %bb.0:
	.section	.rodata,"a",@progbits
	.p2align	6, 0x0
	.amdhsa_kernel _ZN7rocprim17ROCPRIM_400000_NS6detail17trampoline_kernelINS0_14default_configENS1_25partition_config_selectorILNS1_17partition_subalgoE5ElNS0_10empty_typeEbEEZZNS1_14partition_implILS5_5ELb0ES3_mN6hipcub16HIPCUB_304000_NS21CountingInputIteratorIllEEPS6_NSA_22TransformInputIteratorIbN2at6native12_GLOBAL__N_19NonZeroOpIsEEPKslEENS0_5tupleIJPlS6_EEENSN_IJSD_SD_EEES6_PiJS6_EEE10hipError_tPvRmT3_T4_T5_T6_T7_T9_mT8_P12ihipStream_tbDpT10_ENKUlT_T0_E_clISt17integral_constantIbLb0EES1B_EEDaS16_S17_EUlS16_E_NS1_11comp_targetILNS1_3genE4ELNS1_11target_archE910ELNS1_3gpuE8ELNS1_3repE0EEENS1_30default_config_static_selectorELNS0_4arch9wavefront6targetE0EEEvT1_
		.amdhsa_group_segment_fixed_size 0
		.amdhsa_private_segment_fixed_size 0
		.amdhsa_kernarg_size 120
		.amdhsa_user_sgpr_count 2
		.amdhsa_user_sgpr_dispatch_ptr 0
		.amdhsa_user_sgpr_queue_ptr 0
		.amdhsa_user_sgpr_kernarg_segment_ptr 1
		.amdhsa_user_sgpr_dispatch_id 0
		.amdhsa_user_sgpr_private_segment_size 0
		.amdhsa_wavefront_size32 1
		.amdhsa_uses_dynamic_stack 0
		.amdhsa_enable_private_segment 0
		.amdhsa_system_sgpr_workgroup_id_x 1
		.amdhsa_system_sgpr_workgroup_id_y 0
		.amdhsa_system_sgpr_workgroup_id_z 0
		.amdhsa_system_sgpr_workgroup_info 0
		.amdhsa_system_vgpr_workitem_id 0
		.amdhsa_next_free_vgpr 1
		.amdhsa_next_free_sgpr 1
		.amdhsa_reserve_vcc 0
		.amdhsa_float_round_mode_32 0
		.amdhsa_float_round_mode_16_64 0
		.amdhsa_float_denorm_mode_32 3
		.amdhsa_float_denorm_mode_16_64 3
		.amdhsa_fp16_overflow 0
		.amdhsa_workgroup_processor_mode 1
		.amdhsa_memory_ordered 1
		.amdhsa_forward_progress 1
		.amdhsa_inst_pref_size 0
		.amdhsa_round_robin_scheduling 0
		.amdhsa_exception_fp_ieee_invalid_op 0
		.amdhsa_exception_fp_denorm_src 0
		.amdhsa_exception_fp_ieee_div_zero 0
		.amdhsa_exception_fp_ieee_overflow 0
		.amdhsa_exception_fp_ieee_underflow 0
		.amdhsa_exception_fp_ieee_inexact 0
		.amdhsa_exception_int_div_zero 0
	.end_amdhsa_kernel
	.section	.text._ZN7rocprim17ROCPRIM_400000_NS6detail17trampoline_kernelINS0_14default_configENS1_25partition_config_selectorILNS1_17partition_subalgoE5ElNS0_10empty_typeEbEEZZNS1_14partition_implILS5_5ELb0ES3_mN6hipcub16HIPCUB_304000_NS21CountingInputIteratorIllEEPS6_NSA_22TransformInputIteratorIbN2at6native12_GLOBAL__N_19NonZeroOpIsEEPKslEENS0_5tupleIJPlS6_EEENSN_IJSD_SD_EEES6_PiJS6_EEE10hipError_tPvRmT3_T4_T5_T6_T7_T9_mT8_P12ihipStream_tbDpT10_ENKUlT_T0_E_clISt17integral_constantIbLb0EES1B_EEDaS16_S17_EUlS16_E_NS1_11comp_targetILNS1_3genE4ELNS1_11target_archE910ELNS1_3gpuE8ELNS1_3repE0EEENS1_30default_config_static_selectorELNS0_4arch9wavefront6targetE0EEEvT1_,"axG",@progbits,_ZN7rocprim17ROCPRIM_400000_NS6detail17trampoline_kernelINS0_14default_configENS1_25partition_config_selectorILNS1_17partition_subalgoE5ElNS0_10empty_typeEbEEZZNS1_14partition_implILS5_5ELb0ES3_mN6hipcub16HIPCUB_304000_NS21CountingInputIteratorIllEEPS6_NSA_22TransformInputIteratorIbN2at6native12_GLOBAL__N_19NonZeroOpIsEEPKslEENS0_5tupleIJPlS6_EEENSN_IJSD_SD_EEES6_PiJS6_EEE10hipError_tPvRmT3_T4_T5_T6_T7_T9_mT8_P12ihipStream_tbDpT10_ENKUlT_T0_E_clISt17integral_constantIbLb0EES1B_EEDaS16_S17_EUlS16_E_NS1_11comp_targetILNS1_3genE4ELNS1_11target_archE910ELNS1_3gpuE8ELNS1_3repE0EEENS1_30default_config_static_selectorELNS0_4arch9wavefront6targetE0EEEvT1_,comdat
.Lfunc_end324:
	.size	_ZN7rocprim17ROCPRIM_400000_NS6detail17trampoline_kernelINS0_14default_configENS1_25partition_config_selectorILNS1_17partition_subalgoE5ElNS0_10empty_typeEbEEZZNS1_14partition_implILS5_5ELb0ES3_mN6hipcub16HIPCUB_304000_NS21CountingInputIteratorIllEEPS6_NSA_22TransformInputIteratorIbN2at6native12_GLOBAL__N_19NonZeroOpIsEEPKslEENS0_5tupleIJPlS6_EEENSN_IJSD_SD_EEES6_PiJS6_EEE10hipError_tPvRmT3_T4_T5_T6_T7_T9_mT8_P12ihipStream_tbDpT10_ENKUlT_T0_E_clISt17integral_constantIbLb0EES1B_EEDaS16_S17_EUlS16_E_NS1_11comp_targetILNS1_3genE4ELNS1_11target_archE910ELNS1_3gpuE8ELNS1_3repE0EEENS1_30default_config_static_selectorELNS0_4arch9wavefront6targetE0EEEvT1_, .Lfunc_end324-_ZN7rocprim17ROCPRIM_400000_NS6detail17trampoline_kernelINS0_14default_configENS1_25partition_config_selectorILNS1_17partition_subalgoE5ElNS0_10empty_typeEbEEZZNS1_14partition_implILS5_5ELb0ES3_mN6hipcub16HIPCUB_304000_NS21CountingInputIteratorIllEEPS6_NSA_22TransformInputIteratorIbN2at6native12_GLOBAL__N_19NonZeroOpIsEEPKslEENS0_5tupleIJPlS6_EEENSN_IJSD_SD_EEES6_PiJS6_EEE10hipError_tPvRmT3_T4_T5_T6_T7_T9_mT8_P12ihipStream_tbDpT10_ENKUlT_T0_E_clISt17integral_constantIbLb0EES1B_EEDaS16_S17_EUlS16_E_NS1_11comp_targetILNS1_3genE4ELNS1_11target_archE910ELNS1_3gpuE8ELNS1_3repE0EEENS1_30default_config_static_selectorELNS0_4arch9wavefront6targetE0EEEvT1_
                                        ; -- End function
	.set _ZN7rocprim17ROCPRIM_400000_NS6detail17trampoline_kernelINS0_14default_configENS1_25partition_config_selectorILNS1_17partition_subalgoE5ElNS0_10empty_typeEbEEZZNS1_14partition_implILS5_5ELb0ES3_mN6hipcub16HIPCUB_304000_NS21CountingInputIteratorIllEEPS6_NSA_22TransformInputIteratorIbN2at6native12_GLOBAL__N_19NonZeroOpIsEEPKslEENS0_5tupleIJPlS6_EEENSN_IJSD_SD_EEES6_PiJS6_EEE10hipError_tPvRmT3_T4_T5_T6_T7_T9_mT8_P12ihipStream_tbDpT10_ENKUlT_T0_E_clISt17integral_constantIbLb0EES1B_EEDaS16_S17_EUlS16_E_NS1_11comp_targetILNS1_3genE4ELNS1_11target_archE910ELNS1_3gpuE8ELNS1_3repE0EEENS1_30default_config_static_selectorELNS0_4arch9wavefront6targetE0EEEvT1_.num_vgpr, 0
	.set _ZN7rocprim17ROCPRIM_400000_NS6detail17trampoline_kernelINS0_14default_configENS1_25partition_config_selectorILNS1_17partition_subalgoE5ElNS0_10empty_typeEbEEZZNS1_14partition_implILS5_5ELb0ES3_mN6hipcub16HIPCUB_304000_NS21CountingInputIteratorIllEEPS6_NSA_22TransformInputIteratorIbN2at6native12_GLOBAL__N_19NonZeroOpIsEEPKslEENS0_5tupleIJPlS6_EEENSN_IJSD_SD_EEES6_PiJS6_EEE10hipError_tPvRmT3_T4_T5_T6_T7_T9_mT8_P12ihipStream_tbDpT10_ENKUlT_T0_E_clISt17integral_constantIbLb0EES1B_EEDaS16_S17_EUlS16_E_NS1_11comp_targetILNS1_3genE4ELNS1_11target_archE910ELNS1_3gpuE8ELNS1_3repE0EEENS1_30default_config_static_selectorELNS0_4arch9wavefront6targetE0EEEvT1_.num_agpr, 0
	.set _ZN7rocprim17ROCPRIM_400000_NS6detail17trampoline_kernelINS0_14default_configENS1_25partition_config_selectorILNS1_17partition_subalgoE5ElNS0_10empty_typeEbEEZZNS1_14partition_implILS5_5ELb0ES3_mN6hipcub16HIPCUB_304000_NS21CountingInputIteratorIllEEPS6_NSA_22TransformInputIteratorIbN2at6native12_GLOBAL__N_19NonZeroOpIsEEPKslEENS0_5tupleIJPlS6_EEENSN_IJSD_SD_EEES6_PiJS6_EEE10hipError_tPvRmT3_T4_T5_T6_T7_T9_mT8_P12ihipStream_tbDpT10_ENKUlT_T0_E_clISt17integral_constantIbLb0EES1B_EEDaS16_S17_EUlS16_E_NS1_11comp_targetILNS1_3genE4ELNS1_11target_archE910ELNS1_3gpuE8ELNS1_3repE0EEENS1_30default_config_static_selectorELNS0_4arch9wavefront6targetE0EEEvT1_.numbered_sgpr, 0
	.set _ZN7rocprim17ROCPRIM_400000_NS6detail17trampoline_kernelINS0_14default_configENS1_25partition_config_selectorILNS1_17partition_subalgoE5ElNS0_10empty_typeEbEEZZNS1_14partition_implILS5_5ELb0ES3_mN6hipcub16HIPCUB_304000_NS21CountingInputIteratorIllEEPS6_NSA_22TransformInputIteratorIbN2at6native12_GLOBAL__N_19NonZeroOpIsEEPKslEENS0_5tupleIJPlS6_EEENSN_IJSD_SD_EEES6_PiJS6_EEE10hipError_tPvRmT3_T4_T5_T6_T7_T9_mT8_P12ihipStream_tbDpT10_ENKUlT_T0_E_clISt17integral_constantIbLb0EES1B_EEDaS16_S17_EUlS16_E_NS1_11comp_targetILNS1_3genE4ELNS1_11target_archE910ELNS1_3gpuE8ELNS1_3repE0EEENS1_30default_config_static_selectorELNS0_4arch9wavefront6targetE0EEEvT1_.num_named_barrier, 0
	.set _ZN7rocprim17ROCPRIM_400000_NS6detail17trampoline_kernelINS0_14default_configENS1_25partition_config_selectorILNS1_17partition_subalgoE5ElNS0_10empty_typeEbEEZZNS1_14partition_implILS5_5ELb0ES3_mN6hipcub16HIPCUB_304000_NS21CountingInputIteratorIllEEPS6_NSA_22TransformInputIteratorIbN2at6native12_GLOBAL__N_19NonZeroOpIsEEPKslEENS0_5tupleIJPlS6_EEENSN_IJSD_SD_EEES6_PiJS6_EEE10hipError_tPvRmT3_T4_T5_T6_T7_T9_mT8_P12ihipStream_tbDpT10_ENKUlT_T0_E_clISt17integral_constantIbLb0EES1B_EEDaS16_S17_EUlS16_E_NS1_11comp_targetILNS1_3genE4ELNS1_11target_archE910ELNS1_3gpuE8ELNS1_3repE0EEENS1_30default_config_static_selectorELNS0_4arch9wavefront6targetE0EEEvT1_.private_seg_size, 0
	.set _ZN7rocprim17ROCPRIM_400000_NS6detail17trampoline_kernelINS0_14default_configENS1_25partition_config_selectorILNS1_17partition_subalgoE5ElNS0_10empty_typeEbEEZZNS1_14partition_implILS5_5ELb0ES3_mN6hipcub16HIPCUB_304000_NS21CountingInputIteratorIllEEPS6_NSA_22TransformInputIteratorIbN2at6native12_GLOBAL__N_19NonZeroOpIsEEPKslEENS0_5tupleIJPlS6_EEENSN_IJSD_SD_EEES6_PiJS6_EEE10hipError_tPvRmT3_T4_T5_T6_T7_T9_mT8_P12ihipStream_tbDpT10_ENKUlT_T0_E_clISt17integral_constantIbLb0EES1B_EEDaS16_S17_EUlS16_E_NS1_11comp_targetILNS1_3genE4ELNS1_11target_archE910ELNS1_3gpuE8ELNS1_3repE0EEENS1_30default_config_static_selectorELNS0_4arch9wavefront6targetE0EEEvT1_.uses_vcc, 0
	.set _ZN7rocprim17ROCPRIM_400000_NS6detail17trampoline_kernelINS0_14default_configENS1_25partition_config_selectorILNS1_17partition_subalgoE5ElNS0_10empty_typeEbEEZZNS1_14partition_implILS5_5ELb0ES3_mN6hipcub16HIPCUB_304000_NS21CountingInputIteratorIllEEPS6_NSA_22TransformInputIteratorIbN2at6native12_GLOBAL__N_19NonZeroOpIsEEPKslEENS0_5tupleIJPlS6_EEENSN_IJSD_SD_EEES6_PiJS6_EEE10hipError_tPvRmT3_T4_T5_T6_T7_T9_mT8_P12ihipStream_tbDpT10_ENKUlT_T0_E_clISt17integral_constantIbLb0EES1B_EEDaS16_S17_EUlS16_E_NS1_11comp_targetILNS1_3genE4ELNS1_11target_archE910ELNS1_3gpuE8ELNS1_3repE0EEENS1_30default_config_static_selectorELNS0_4arch9wavefront6targetE0EEEvT1_.uses_flat_scratch, 0
	.set _ZN7rocprim17ROCPRIM_400000_NS6detail17trampoline_kernelINS0_14default_configENS1_25partition_config_selectorILNS1_17partition_subalgoE5ElNS0_10empty_typeEbEEZZNS1_14partition_implILS5_5ELb0ES3_mN6hipcub16HIPCUB_304000_NS21CountingInputIteratorIllEEPS6_NSA_22TransformInputIteratorIbN2at6native12_GLOBAL__N_19NonZeroOpIsEEPKslEENS0_5tupleIJPlS6_EEENSN_IJSD_SD_EEES6_PiJS6_EEE10hipError_tPvRmT3_T4_T5_T6_T7_T9_mT8_P12ihipStream_tbDpT10_ENKUlT_T0_E_clISt17integral_constantIbLb0EES1B_EEDaS16_S17_EUlS16_E_NS1_11comp_targetILNS1_3genE4ELNS1_11target_archE910ELNS1_3gpuE8ELNS1_3repE0EEENS1_30default_config_static_selectorELNS0_4arch9wavefront6targetE0EEEvT1_.has_dyn_sized_stack, 0
	.set _ZN7rocprim17ROCPRIM_400000_NS6detail17trampoline_kernelINS0_14default_configENS1_25partition_config_selectorILNS1_17partition_subalgoE5ElNS0_10empty_typeEbEEZZNS1_14partition_implILS5_5ELb0ES3_mN6hipcub16HIPCUB_304000_NS21CountingInputIteratorIllEEPS6_NSA_22TransformInputIteratorIbN2at6native12_GLOBAL__N_19NonZeroOpIsEEPKslEENS0_5tupleIJPlS6_EEENSN_IJSD_SD_EEES6_PiJS6_EEE10hipError_tPvRmT3_T4_T5_T6_T7_T9_mT8_P12ihipStream_tbDpT10_ENKUlT_T0_E_clISt17integral_constantIbLb0EES1B_EEDaS16_S17_EUlS16_E_NS1_11comp_targetILNS1_3genE4ELNS1_11target_archE910ELNS1_3gpuE8ELNS1_3repE0EEENS1_30default_config_static_selectorELNS0_4arch9wavefront6targetE0EEEvT1_.has_recursion, 0
	.set _ZN7rocprim17ROCPRIM_400000_NS6detail17trampoline_kernelINS0_14default_configENS1_25partition_config_selectorILNS1_17partition_subalgoE5ElNS0_10empty_typeEbEEZZNS1_14partition_implILS5_5ELb0ES3_mN6hipcub16HIPCUB_304000_NS21CountingInputIteratorIllEEPS6_NSA_22TransformInputIteratorIbN2at6native12_GLOBAL__N_19NonZeroOpIsEEPKslEENS0_5tupleIJPlS6_EEENSN_IJSD_SD_EEES6_PiJS6_EEE10hipError_tPvRmT3_T4_T5_T6_T7_T9_mT8_P12ihipStream_tbDpT10_ENKUlT_T0_E_clISt17integral_constantIbLb0EES1B_EEDaS16_S17_EUlS16_E_NS1_11comp_targetILNS1_3genE4ELNS1_11target_archE910ELNS1_3gpuE8ELNS1_3repE0EEENS1_30default_config_static_selectorELNS0_4arch9wavefront6targetE0EEEvT1_.has_indirect_call, 0
	.section	.AMDGPU.csdata,"",@progbits
; Kernel info:
; codeLenInByte = 0
; TotalNumSgprs: 0
; NumVgprs: 0
; ScratchSize: 0
; MemoryBound: 0
; FloatMode: 240
; IeeeMode: 1
; LDSByteSize: 0 bytes/workgroup (compile time only)
; SGPRBlocks: 0
; VGPRBlocks: 0
; NumSGPRsForWavesPerEU: 1
; NumVGPRsForWavesPerEU: 1
; Occupancy: 16
; WaveLimiterHint : 0
; COMPUTE_PGM_RSRC2:SCRATCH_EN: 0
; COMPUTE_PGM_RSRC2:USER_SGPR: 2
; COMPUTE_PGM_RSRC2:TRAP_HANDLER: 0
; COMPUTE_PGM_RSRC2:TGID_X_EN: 1
; COMPUTE_PGM_RSRC2:TGID_Y_EN: 0
; COMPUTE_PGM_RSRC2:TGID_Z_EN: 0
; COMPUTE_PGM_RSRC2:TIDIG_COMP_CNT: 0
	.section	.text._ZN7rocprim17ROCPRIM_400000_NS6detail17trampoline_kernelINS0_14default_configENS1_25partition_config_selectorILNS1_17partition_subalgoE5ElNS0_10empty_typeEbEEZZNS1_14partition_implILS5_5ELb0ES3_mN6hipcub16HIPCUB_304000_NS21CountingInputIteratorIllEEPS6_NSA_22TransformInputIteratorIbN2at6native12_GLOBAL__N_19NonZeroOpIsEEPKslEENS0_5tupleIJPlS6_EEENSN_IJSD_SD_EEES6_PiJS6_EEE10hipError_tPvRmT3_T4_T5_T6_T7_T9_mT8_P12ihipStream_tbDpT10_ENKUlT_T0_E_clISt17integral_constantIbLb0EES1B_EEDaS16_S17_EUlS16_E_NS1_11comp_targetILNS1_3genE3ELNS1_11target_archE908ELNS1_3gpuE7ELNS1_3repE0EEENS1_30default_config_static_selectorELNS0_4arch9wavefront6targetE0EEEvT1_,"axG",@progbits,_ZN7rocprim17ROCPRIM_400000_NS6detail17trampoline_kernelINS0_14default_configENS1_25partition_config_selectorILNS1_17partition_subalgoE5ElNS0_10empty_typeEbEEZZNS1_14partition_implILS5_5ELb0ES3_mN6hipcub16HIPCUB_304000_NS21CountingInputIteratorIllEEPS6_NSA_22TransformInputIteratorIbN2at6native12_GLOBAL__N_19NonZeroOpIsEEPKslEENS0_5tupleIJPlS6_EEENSN_IJSD_SD_EEES6_PiJS6_EEE10hipError_tPvRmT3_T4_T5_T6_T7_T9_mT8_P12ihipStream_tbDpT10_ENKUlT_T0_E_clISt17integral_constantIbLb0EES1B_EEDaS16_S17_EUlS16_E_NS1_11comp_targetILNS1_3genE3ELNS1_11target_archE908ELNS1_3gpuE7ELNS1_3repE0EEENS1_30default_config_static_selectorELNS0_4arch9wavefront6targetE0EEEvT1_,comdat
	.globl	_ZN7rocprim17ROCPRIM_400000_NS6detail17trampoline_kernelINS0_14default_configENS1_25partition_config_selectorILNS1_17partition_subalgoE5ElNS0_10empty_typeEbEEZZNS1_14partition_implILS5_5ELb0ES3_mN6hipcub16HIPCUB_304000_NS21CountingInputIteratorIllEEPS6_NSA_22TransformInputIteratorIbN2at6native12_GLOBAL__N_19NonZeroOpIsEEPKslEENS0_5tupleIJPlS6_EEENSN_IJSD_SD_EEES6_PiJS6_EEE10hipError_tPvRmT3_T4_T5_T6_T7_T9_mT8_P12ihipStream_tbDpT10_ENKUlT_T0_E_clISt17integral_constantIbLb0EES1B_EEDaS16_S17_EUlS16_E_NS1_11comp_targetILNS1_3genE3ELNS1_11target_archE908ELNS1_3gpuE7ELNS1_3repE0EEENS1_30default_config_static_selectorELNS0_4arch9wavefront6targetE0EEEvT1_ ; -- Begin function _ZN7rocprim17ROCPRIM_400000_NS6detail17trampoline_kernelINS0_14default_configENS1_25partition_config_selectorILNS1_17partition_subalgoE5ElNS0_10empty_typeEbEEZZNS1_14partition_implILS5_5ELb0ES3_mN6hipcub16HIPCUB_304000_NS21CountingInputIteratorIllEEPS6_NSA_22TransformInputIteratorIbN2at6native12_GLOBAL__N_19NonZeroOpIsEEPKslEENS0_5tupleIJPlS6_EEENSN_IJSD_SD_EEES6_PiJS6_EEE10hipError_tPvRmT3_T4_T5_T6_T7_T9_mT8_P12ihipStream_tbDpT10_ENKUlT_T0_E_clISt17integral_constantIbLb0EES1B_EEDaS16_S17_EUlS16_E_NS1_11comp_targetILNS1_3genE3ELNS1_11target_archE908ELNS1_3gpuE7ELNS1_3repE0EEENS1_30default_config_static_selectorELNS0_4arch9wavefront6targetE0EEEvT1_
	.p2align	8
	.type	_ZN7rocprim17ROCPRIM_400000_NS6detail17trampoline_kernelINS0_14default_configENS1_25partition_config_selectorILNS1_17partition_subalgoE5ElNS0_10empty_typeEbEEZZNS1_14partition_implILS5_5ELb0ES3_mN6hipcub16HIPCUB_304000_NS21CountingInputIteratorIllEEPS6_NSA_22TransformInputIteratorIbN2at6native12_GLOBAL__N_19NonZeroOpIsEEPKslEENS0_5tupleIJPlS6_EEENSN_IJSD_SD_EEES6_PiJS6_EEE10hipError_tPvRmT3_T4_T5_T6_T7_T9_mT8_P12ihipStream_tbDpT10_ENKUlT_T0_E_clISt17integral_constantIbLb0EES1B_EEDaS16_S17_EUlS16_E_NS1_11comp_targetILNS1_3genE3ELNS1_11target_archE908ELNS1_3gpuE7ELNS1_3repE0EEENS1_30default_config_static_selectorELNS0_4arch9wavefront6targetE0EEEvT1_,@function
_ZN7rocprim17ROCPRIM_400000_NS6detail17trampoline_kernelINS0_14default_configENS1_25partition_config_selectorILNS1_17partition_subalgoE5ElNS0_10empty_typeEbEEZZNS1_14partition_implILS5_5ELb0ES3_mN6hipcub16HIPCUB_304000_NS21CountingInputIteratorIllEEPS6_NSA_22TransformInputIteratorIbN2at6native12_GLOBAL__N_19NonZeroOpIsEEPKslEENS0_5tupleIJPlS6_EEENSN_IJSD_SD_EEES6_PiJS6_EEE10hipError_tPvRmT3_T4_T5_T6_T7_T9_mT8_P12ihipStream_tbDpT10_ENKUlT_T0_E_clISt17integral_constantIbLb0EES1B_EEDaS16_S17_EUlS16_E_NS1_11comp_targetILNS1_3genE3ELNS1_11target_archE908ELNS1_3gpuE7ELNS1_3repE0EEENS1_30default_config_static_selectorELNS0_4arch9wavefront6targetE0EEEvT1_: ; @_ZN7rocprim17ROCPRIM_400000_NS6detail17trampoline_kernelINS0_14default_configENS1_25partition_config_selectorILNS1_17partition_subalgoE5ElNS0_10empty_typeEbEEZZNS1_14partition_implILS5_5ELb0ES3_mN6hipcub16HIPCUB_304000_NS21CountingInputIteratorIllEEPS6_NSA_22TransformInputIteratorIbN2at6native12_GLOBAL__N_19NonZeroOpIsEEPKslEENS0_5tupleIJPlS6_EEENSN_IJSD_SD_EEES6_PiJS6_EEE10hipError_tPvRmT3_T4_T5_T6_T7_T9_mT8_P12ihipStream_tbDpT10_ENKUlT_T0_E_clISt17integral_constantIbLb0EES1B_EEDaS16_S17_EUlS16_E_NS1_11comp_targetILNS1_3genE3ELNS1_11target_archE908ELNS1_3gpuE7ELNS1_3repE0EEENS1_30default_config_static_selectorELNS0_4arch9wavefront6targetE0EEEvT1_
; %bb.0:
	.section	.rodata,"a",@progbits
	.p2align	6, 0x0
	.amdhsa_kernel _ZN7rocprim17ROCPRIM_400000_NS6detail17trampoline_kernelINS0_14default_configENS1_25partition_config_selectorILNS1_17partition_subalgoE5ElNS0_10empty_typeEbEEZZNS1_14partition_implILS5_5ELb0ES3_mN6hipcub16HIPCUB_304000_NS21CountingInputIteratorIllEEPS6_NSA_22TransformInputIteratorIbN2at6native12_GLOBAL__N_19NonZeroOpIsEEPKslEENS0_5tupleIJPlS6_EEENSN_IJSD_SD_EEES6_PiJS6_EEE10hipError_tPvRmT3_T4_T5_T6_T7_T9_mT8_P12ihipStream_tbDpT10_ENKUlT_T0_E_clISt17integral_constantIbLb0EES1B_EEDaS16_S17_EUlS16_E_NS1_11comp_targetILNS1_3genE3ELNS1_11target_archE908ELNS1_3gpuE7ELNS1_3repE0EEENS1_30default_config_static_selectorELNS0_4arch9wavefront6targetE0EEEvT1_
		.amdhsa_group_segment_fixed_size 0
		.amdhsa_private_segment_fixed_size 0
		.amdhsa_kernarg_size 120
		.amdhsa_user_sgpr_count 2
		.amdhsa_user_sgpr_dispatch_ptr 0
		.amdhsa_user_sgpr_queue_ptr 0
		.amdhsa_user_sgpr_kernarg_segment_ptr 1
		.amdhsa_user_sgpr_dispatch_id 0
		.amdhsa_user_sgpr_private_segment_size 0
		.amdhsa_wavefront_size32 1
		.amdhsa_uses_dynamic_stack 0
		.amdhsa_enable_private_segment 0
		.amdhsa_system_sgpr_workgroup_id_x 1
		.amdhsa_system_sgpr_workgroup_id_y 0
		.amdhsa_system_sgpr_workgroup_id_z 0
		.amdhsa_system_sgpr_workgroup_info 0
		.amdhsa_system_vgpr_workitem_id 0
		.amdhsa_next_free_vgpr 1
		.amdhsa_next_free_sgpr 1
		.amdhsa_reserve_vcc 0
		.amdhsa_float_round_mode_32 0
		.amdhsa_float_round_mode_16_64 0
		.amdhsa_float_denorm_mode_32 3
		.amdhsa_float_denorm_mode_16_64 3
		.amdhsa_fp16_overflow 0
		.amdhsa_workgroup_processor_mode 1
		.amdhsa_memory_ordered 1
		.amdhsa_forward_progress 1
		.amdhsa_inst_pref_size 0
		.amdhsa_round_robin_scheduling 0
		.amdhsa_exception_fp_ieee_invalid_op 0
		.amdhsa_exception_fp_denorm_src 0
		.amdhsa_exception_fp_ieee_div_zero 0
		.amdhsa_exception_fp_ieee_overflow 0
		.amdhsa_exception_fp_ieee_underflow 0
		.amdhsa_exception_fp_ieee_inexact 0
		.amdhsa_exception_int_div_zero 0
	.end_amdhsa_kernel
	.section	.text._ZN7rocprim17ROCPRIM_400000_NS6detail17trampoline_kernelINS0_14default_configENS1_25partition_config_selectorILNS1_17partition_subalgoE5ElNS0_10empty_typeEbEEZZNS1_14partition_implILS5_5ELb0ES3_mN6hipcub16HIPCUB_304000_NS21CountingInputIteratorIllEEPS6_NSA_22TransformInputIteratorIbN2at6native12_GLOBAL__N_19NonZeroOpIsEEPKslEENS0_5tupleIJPlS6_EEENSN_IJSD_SD_EEES6_PiJS6_EEE10hipError_tPvRmT3_T4_T5_T6_T7_T9_mT8_P12ihipStream_tbDpT10_ENKUlT_T0_E_clISt17integral_constantIbLb0EES1B_EEDaS16_S17_EUlS16_E_NS1_11comp_targetILNS1_3genE3ELNS1_11target_archE908ELNS1_3gpuE7ELNS1_3repE0EEENS1_30default_config_static_selectorELNS0_4arch9wavefront6targetE0EEEvT1_,"axG",@progbits,_ZN7rocprim17ROCPRIM_400000_NS6detail17trampoline_kernelINS0_14default_configENS1_25partition_config_selectorILNS1_17partition_subalgoE5ElNS0_10empty_typeEbEEZZNS1_14partition_implILS5_5ELb0ES3_mN6hipcub16HIPCUB_304000_NS21CountingInputIteratorIllEEPS6_NSA_22TransformInputIteratorIbN2at6native12_GLOBAL__N_19NonZeroOpIsEEPKslEENS0_5tupleIJPlS6_EEENSN_IJSD_SD_EEES6_PiJS6_EEE10hipError_tPvRmT3_T4_T5_T6_T7_T9_mT8_P12ihipStream_tbDpT10_ENKUlT_T0_E_clISt17integral_constantIbLb0EES1B_EEDaS16_S17_EUlS16_E_NS1_11comp_targetILNS1_3genE3ELNS1_11target_archE908ELNS1_3gpuE7ELNS1_3repE0EEENS1_30default_config_static_selectorELNS0_4arch9wavefront6targetE0EEEvT1_,comdat
.Lfunc_end325:
	.size	_ZN7rocprim17ROCPRIM_400000_NS6detail17trampoline_kernelINS0_14default_configENS1_25partition_config_selectorILNS1_17partition_subalgoE5ElNS0_10empty_typeEbEEZZNS1_14partition_implILS5_5ELb0ES3_mN6hipcub16HIPCUB_304000_NS21CountingInputIteratorIllEEPS6_NSA_22TransformInputIteratorIbN2at6native12_GLOBAL__N_19NonZeroOpIsEEPKslEENS0_5tupleIJPlS6_EEENSN_IJSD_SD_EEES6_PiJS6_EEE10hipError_tPvRmT3_T4_T5_T6_T7_T9_mT8_P12ihipStream_tbDpT10_ENKUlT_T0_E_clISt17integral_constantIbLb0EES1B_EEDaS16_S17_EUlS16_E_NS1_11comp_targetILNS1_3genE3ELNS1_11target_archE908ELNS1_3gpuE7ELNS1_3repE0EEENS1_30default_config_static_selectorELNS0_4arch9wavefront6targetE0EEEvT1_, .Lfunc_end325-_ZN7rocprim17ROCPRIM_400000_NS6detail17trampoline_kernelINS0_14default_configENS1_25partition_config_selectorILNS1_17partition_subalgoE5ElNS0_10empty_typeEbEEZZNS1_14partition_implILS5_5ELb0ES3_mN6hipcub16HIPCUB_304000_NS21CountingInputIteratorIllEEPS6_NSA_22TransformInputIteratorIbN2at6native12_GLOBAL__N_19NonZeroOpIsEEPKslEENS0_5tupleIJPlS6_EEENSN_IJSD_SD_EEES6_PiJS6_EEE10hipError_tPvRmT3_T4_T5_T6_T7_T9_mT8_P12ihipStream_tbDpT10_ENKUlT_T0_E_clISt17integral_constantIbLb0EES1B_EEDaS16_S17_EUlS16_E_NS1_11comp_targetILNS1_3genE3ELNS1_11target_archE908ELNS1_3gpuE7ELNS1_3repE0EEENS1_30default_config_static_selectorELNS0_4arch9wavefront6targetE0EEEvT1_
                                        ; -- End function
	.set _ZN7rocprim17ROCPRIM_400000_NS6detail17trampoline_kernelINS0_14default_configENS1_25partition_config_selectorILNS1_17partition_subalgoE5ElNS0_10empty_typeEbEEZZNS1_14partition_implILS5_5ELb0ES3_mN6hipcub16HIPCUB_304000_NS21CountingInputIteratorIllEEPS6_NSA_22TransformInputIteratorIbN2at6native12_GLOBAL__N_19NonZeroOpIsEEPKslEENS0_5tupleIJPlS6_EEENSN_IJSD_SD_EEES6_PiJS6_EEE10hipError_tPvRmT3_T4_T5_T6_T7_T9_mT8_P12ihipStream_tbDpT10_ENKUlT_T0_E_clISt17integral_constantIbLb0EES1B_EEDaS16_S17_EUlS16_E_NS1_11comp_targetILNS1_3genE3ELNS1_11target_archE908ELNS1_3gpuE7ELNS1_3repE0EEENS1_30default_config_static_selectorELNS0_4arch9wavefront6targetE0EEEvT1_.num_vgpr, 0
	.set _ZN7rocprim17ROCPRIM_400000_NS6detail17trampoline_kernelINS0_14default_configENS1_25partition_config_selectorILNS1_17partition_subalgoE5ElNS0_10empty_typeEbEEZZNS1_14partition_implILS5_5ELb0ES3_mN6hipcub16HIPCUB_304000_NS21CountingInputIteratorIllEEPS6_NSA_22TransformInputIteratorIbN2at6native12_GLOBAL__N_19NonZeroOpIsEEPKslEENS0_5tupleIJPlS6_EEENSN_IJSD_SD_EEES6_PiJS6_EEE10hipError_tPvRmT3_T4_T5_T6_T7_T9_mT8_P12ihipStream_tbDpT10_ENKUlT_T0_E_clISt17integral_constantIbLb0EES1B_EEDaS16_S17_EUlS16_E_NS1_11comp_targetILNS1_3genE3ELNS1_11target_archE908ELNS1_3gpuE7ELNS1_3repE0EEENS1_30default_config_static_selectorELNS0_4arch9wavefront6targetE0EEEvT1_.num_agpr, 0
	.set _ZN7rocprim17ROCPRIM_400000_NS6detail17trampoline_kernelINS0_14default_configENS1_25partition_config_selectorILNS1_17partition_subalgoE5ElNS0_10empty_typeEbEEZZNS1_14partition_implILS5_5ELb0ES3_mN6hipcub16HIPCUB_304000_NS21CountingInputIteratorIllEEPS6_NSA_22TransformInputIteratorIbN2at6native12_GLOBAL__N_19NonZeroOpIsEEPKslEENS0_5tupleIJPlS6_EEENSN_IJSD_SD_EEES6_PiJS6_EEE10hipError_tPvRmT3_T4_T5_T6_T7_T9_mT8_P12ihipStream_tbDpT10_ENKUlT_T0_E_clISt17integral_constantIbLb0EES1B_EEDaS16_S17_EUlS16_E_NS1_11comp_targetILNS1_3genE3ELNS1_11target_archE908ELNS1_3gpuE7ELNS1_3repE0EEENS1_30default_config_static_selectorELNS0_4arch9wavefront6targetE0EEEvT1_.numbered_sgpr, 0
	.set _ZN7rocprim17ROCPRIM_400000_NS6detail17trampoline_kernelINS0_14default_configENS1_25partition_config_selectorILNS1_17partition_subalgoE5ElNS0_10empty_typeEbEEZZNS1_14partition_implILS5_5ELb0ES3_mN6hipcub16HIPCUB_304000_NS21CountingInputIteratorIllEEPS6_NSA_22TransformInputIteratorIbN2at6native12_GLOBAL__N_19NonZeroOpIsEEPKslEENS0_5tupleIJPlS6_EEENSN_IJSD_SD_EEES6_PiJS6_EEE10hipError_tPvRmT3_T4_T5_T6_T7_T9_mT8_P12ihipStream_tbDpT10_ENKUlT_T0_E_clISt17integral_constantIbLb0EES1B_EEDaS16_S17_EUlS16_E_NS1_11comp_targetILNS1_3genE3ELNS1_11target_archE908ELNS1_3gpuE7ELNS1_3repE0EEENS1_30default_config_static_selectorELNS0_4arch9wavefront6targetE0EEEvT1_.num_named_barrier, 0
	.set _ZN7rocprim17ROCPRIM_400000_NS6detail17trampoline_kernelINS0_14default_configENS1_25partition_config_selectorILNS1_17partition_subalgoE5ElNS0_10empty_typeEbEEZZNS1_14partition_implILS5_5ELb0ES3_mN6hipcub16HIPCUB_304000_NS21CountingInputIteratorIllEEPS6_NSA_22TransformInputIteratorIbN2at6native12_GLOBAL__N_19NonZeroOpIsEEPKslEENS0_5tupleIJPlS6_EEENSN_IJSD_SD_EEES6_PiJS6_EEE10hipError_tPvRmT3_T4_T5_T6_T7_T9_mT8_P12ihipStream_tbDpT10_ENKUlT_T0_E_clISt17integral_constantIbLb0EES1B_EEDaS16_S17_EUlS16_E_NS1_11comp_targetILNS1_3genE3ELNS1_11target_archE908ELNS1_3gpuE7ELNS1_3repE0EEENS1_30default_config_static_selectorELNS0_4arch9wavefront6targetE0EEEvT1_.private_seg_size, 0
	.set _ZN7rocprim17ROCPRIM_400000_NS6detail17trampoline_kernelINS0_14default_configENS1_25partition_config_selectorILNS1_17partition_subalgoE5ElNS0_10empty_typeEbEEZZNS1_14partition_implILS5_5ELb0ES3_mN6hipcub16HIPCUB_304000_NS21CountingInputIteratorIllEEPS6_NSA_22TransformInputIteratorIbN2at6native12_GLOBAL__N_19NonZeroOpIsEEPKslEENS0_5tupleIJPlS6_EEENSN_IJSD_SD_EEES6_PiJS6_EEE10hipError_tPvRmT3_T4_T5_T6_T7_T9_mT8_P12ihipStream_tbDpT10_ENKUlT_T0_E_clISt17integral_constantIbLb0EES1B_EEDaS16_S17_EUlS16_E_NS1_11comp_targetILNS1_3genE3ELNS1_11target_archE908ELNS1_3gpuE7ELNS1_3repE0EEENS1_30default_config_static_selectorELNS0_4arch9wavefront6targetE0EEEvT1_.uses_vcc, 0
	.set _ZN7rocprim17ROCPRIM_400000_NS6detail17trampoline_kernelINS0_14default_configENS1_25partition_config_selectorILNS1_17partition_subalgoE5ElNS0_10empty_typeEbEEZZNS1_14partition_implILS5_5ELb0ES3_mN6hipcub16HIPCUB_304000_NS21CountingInputIteratorIllEEPS6_NSA_22TransformInputIteratorIbN2at6native12_GLOBAL__N_19NonZeroOpIsEEPKslEENS0_5tupleIJPlS6_EEENSN_IJSD_SD_EEES6_PiJS6_EEE10hipError_tPvRmT3_T4_T5_T6_T7_T9_mT8_P12ihipStream_tbDpT10_ENKUlT_T0_E_clISt17integral_constantIbLb0EES1B_EEDaS16_S17_EUlS16_E_NS1_11comp_targetILNS1_3genE3ELNS1_11target_archE908ELNS1_3gpuE7ELNS1_3repE0EEENS1_30default_config_static_selectorELNS0_4arch9wavefront6targetE0EEEvT1_.uses_flat_scratch, 0
	.set _ZN7rocprim17ROCPRIM_400000_NS6detail17trampoline_kernelINS0_14default_configENS1_25partition_config_selectorILNS1_17partition_subalgoE5ElNS0_10empty_typeEbEEZZNS1_14partition_implILS5_5ELb0ES3_mN6hipcub16HIPCUB_304000_NS21CountingInputIteratorIllEEPS6_NSA_22TransformInputIteratorIbN2at6native12_GLOBAL__N_19NonZeroOpIsEEPKslEENS0_5tupleIJPlS6_EEENSN_IJSD_SD_EEES6_PiJS6_EEE10hipError_tPvRmT3_T4_T5_T6_T7_T9_mT8_P12ihipStream_tbDpT10_ENKUlT_T0_E_clISt17integral_constantIbLb0EES1B_EEDaS16_S17_EUlS16_E_NS1_11comp_targetILNS1_3genE3ELNS1_11target_archE908ELNS1_3gpuE7ELNS1_3repE0EEENS1_30default_config_static_selectorELNS0_4arch9wavefront6targetE0EEEvT1_.has_dyn_sized_stack, 0
	.set _ZN7rocprim17ROCPRIM_400000_NS6detail17trampoline_kernelINS0_14default_configENS1_25partition_config_selectorILNS1_17partition_subalgoE5ElNS0_10empty_typeEbEEZZNS1_14partition_implILS5_5ELb0ES3_mN6hipcub16HIPCUB_304000_NS21CountingInputIteratorIllEEPS6_NSA_22TransformInputIteratorIbN2at6native12_GLOBAL__N_19NonZeroOpIsEEPKslEENS0_5tupleIJPlS6_EEENSN_IJSD_SD_EEES6_PiJS6_EEE10hipError_tPvRmT3_T4_T5_T6_T7_T9_mT8_P12ihipStream_tbDpT10_ENKUlT_T0_E_clISt17integral_constantIbLb0EES1B_EEDaS16_S17_EUlS16_E_NS1_11comp_targetILNS1_3genE3ELNS1_11target_archE908ELNS1_3gpuE7ELNS1_3repE0EEENS1_30default_config_static_selectorELNS0_4arch9wavefront6targetE0EEEvT1_.has_recursion, 0
	.set _ZN7rocprim17ROCPRIM_400000_NS6detail17trampoline_kernelINS0_14default_configENS1_25partition_config_selectorILNS1_17partition_subalgoE5ElNS0_10empty_typeEbEEZZNS1_14partition_implILS5_5ELb0ES3_mN6hipcub16HIPCUB_304000_NS21CountingInputIteratorIllEEPS6_NSA_22TransformInputIteratorIbN2at6native12_GLOBAL__N_19NonZeroOpIsEEPKslEENS0_5tupleIJPlS6_EEENSN_IJSD_SD_EEES6_PiJS6_EEE10hipError_tPvRmT3_T4_T5_T6_T7_T9_mT8_P12ihipStream_tbDpT10_ENKUlT_T0_E_clISt17integral_constantIbLb0EES1B_EEDaS16_S17_EUlS16_E_NS1_11comp_targetILNS1_3genE3ELNS1_11target_archE908ELNS1_3gpuE7ELNS1_3repE0EEENS1_30default_config_static_selectorELNS0_4arch9wavefront6targetE0EEEvT1_.has_indirect_call, 0
	.section	.AMDGPU.csdata,"",@progbits
; Kernel info:
; codeLenInByte = 0
; TotalNumSgprs: 0
; NumVgprs: 0
; ScratchSize: 0
; MemoryBound: 0
; FloatMode: 240
; IeeeMode: 1
; LDSByteSize: 0 bytes/workgroup (compile time only)
; SGPRBlocks: 0
; VGPRBlocks: 0
; NumSGPRsForWavesPerEU: 1
; NumVGPRsForWavesPerEU: 1
; Occupancy: 16
; WaveLimiterHint : 0
; COMPUTE_PGM_RSRC2:SCRATCH_EN: 0
; COMPUTE_PGM_RSRC2:USER_SGPR: 2
; COMPUTE_PGM_RSRC2:TRAP_HANDLER: 0
; COMPUTE_PGM_RSRC2:TGID_X_EN: 1
; COMPUTE_PGM_RSRC2:TGID_Y_EN: 0
; COMPUTE_PGM_RSRC2:TGID_Z_EN: 0
; COMPUTE_PGM_RSRC2:TIDIG_COMP_CNT: 0
	.section	.text._ZN7rocprim17ROCPRIM_400000_NS6detail17trampoline_kernelINS0_14default_configENS1_25partition_config_selectorILNS1_17partition_subalgoE5ElNS0_10empty_typeEbEEZZNS1_14partition_implILS5_5ELb0ES3_mN6hipcub16HIPCUB_304000_NS21CountingInputIteratorIllEEPS6_NSA_22TransformInputIteratorIbN2at6native12_GLOBAL__N_19NonZeroOpIsEEPKslEENS0_5tupleIJPlS6_EEENSN_IJSD_SD_EEES6_PiJS6_EEE10hipError_tPvRmT3_T4_T5_T6_T7_T9_mT8_P12ihipStream_tbDpT10_ENKUlT_T0_E_clISt17integral_constantIbLb0EES1B_EEDaS16_S17_EUlS16_E_NS1_11comp_targetILNS1_3genE2ELNS1_11target_archE906ELNS1_3gpuE6ELNS1_3repE0EEENS1_30default_config_static_selectorELNS0_4arch9wavefront6targetE0EEEvT1_,"axG",@progbits,_ZN7rocprim17ROCPRIM_400000_NS6detail17trampoline_kernelINS0_14default_configENS1_25partition_config_selectorILNS1_17partition_subalgoE5ElNS0_10empty_typeEbEEZZNS1_14partition_implILS5_5ELb0ES3_mN6hipcub16HIPCUB_304000_NS21CountingInputIteratorIllEEPS6_NSA_22TransformInputIteratorIbN2at6native12_GLOBAL__N_19NonZeroOpIsEEPKslEENS0_5tupleIJPlS6_EEENSN_IJSD_SD_EEES6_PiJS6_EEE10hipError_tPvRmT3_T4_T5_T6_T7_T9_mT8_P12ihipStream_tbDpT10_ENKUlT_T0_E_clISt17integral_constantIbLb0EES1B_EEDaS16_S17_EUlS16_E_NS1_11comp_targetILNS1_3genE2ELNS1_11target_archE906ELNS1_3gpuE6ELNS1_3repE0EEENS1_30default_config_static_selectorELNS0_4arch9wavefront6targetE0EEEvT1_,comdat
	.globl	_ZN7rocprim17ROCPRIM_400000_NS6detail17trampoline_kernelINS0_14default_configENS1_25partition_config_selectorILNS1_17partition_subalgoE5ElNS0_10empty_typeEbEEZZNS1_14partition_implILS5_5ELb0ES3_mN6hipcub16HIPCUB_304000_NS21CountingInputIteratorIllEEPS6_NSA_22TransformInputIteratorIbN2at6native12_GLOBAL__N_19NonZeroOpIsEEPKslEENS0_5tupleIJPlS6_EEENSN_IJSD_SD_EEES6_PiJS6_EEE10hipError_tPvRmT3_T4_T5_T6_T7_T9_mT8_P12ihipStream_tbDpT10_ENKUlT_T0_E_clISt17integral_constantIbLb0EES1B_EEDaS16_S17_EUlS16_E_NS1_11comp_targetILNS1_3genE2ELNS1_11target_archE906ELNS1_3gpuE6ELNS1_3repE0EEENS1_30default_config_static_selectorELNS0_4arch9wavefront6targetE0EEEvT1_ ; -- Begin function _ZN7rocprim17ROCPRIM_400000_NS6detail17trampoline_kernelINS0_14default_configENS1_25partition_config_selectorILNS1_17partition_subalgoE5ElNS0_10empty_typeEbEEZZNS1_14partition_implILS5_5ELb0ES3_mN6hipcub16HIPCUB_304000_NS21CountingInputIteratorIllEEPS6_NSA_22TransformInputIteratorIbN2at6native12_GLOBAL__N_19NonZeroOpIsEEPKslEENS0_5tupleIJPlS6_EEENSN_IJSD_SD_EEES6_PiJS6_EEE10hipError_tPvRmT3_T4_T5_T6_T7_T9_mT8_P12ihipStream_tbDpT10_ENKUlT_T0_E_clISt17integral_constantIbLb0EES1B_EEDaS16_S17_EUlS16_E_NS1_11comp_targetILNS1_3genE2ELNS1_11target_archE906ELNS1_3gpuE6ELNS1_3repE0EEENS1_30default_config_static_selectorELNS0_4arch9wavefront6targetE0EEEvT1_
	.p2align	8
	.type	_ZN7rocprim17ROCPRIM_400000_NS6detail17trampoline_kernelINS0_14default_configENS1_25partition_config_selectorILNS1_17partition_subalgoE5ElNS0_10empty_typeEbEEZZNS1_14partition_implILS5_5ELb0ES3_mN6hipcub16HIPCUB_304000_NS21CountingInputIteratorIllEEPS6_NSA_22TransformInputIteratorIbN2at6native12_GLOBAL__N_19NonZeroOpIsEEPKslEENS0_5tupleIJPlS6_EEENSN_IJSD_SD_EEES6_PiJS6_EEE10hipError_tPvRmT3_T4_T5_T6_T7_T9_mT8_P12ihipStream_tbDpT10_ENKUlT_T0_E_clISt17integral_constantIbLb0EES1B_EEDaS16_S17_EUlS16_E_NS1_11comp_targetILNS1_3genE2ELNS1_11target_archE906ELNS1_3gpuE6ELNS1_3repE0EEENS1_30default_config_static_selectorELNS0_4arch9wavefront6targetE0EEEvT1_,@function
_ZN7rocprim17ROCPRIM_400000_NS6detail17trampoline_kernelINS0_14default_configENS1_25partition_config_selectorILNS1_17partition_subalgoE5ElNS0_10empty_typeEbEEZZNS1_14partition_implILS5_5ELb0ES3_mN6hipcub16HIPCUB_304000_NS21CountingInputIteratorIllEEPS6_NSA_22TransformInputIteratorIbN2at6native12_GLOBAL__N_19NonZeroOpIsEEPKslEENS0_5tupleIJPlS6_EEENSN_IJSD_SD_EEES6_PiJS6_EEE10hipError_tPvRmT3_T4_T5_T6_T7_T9_mT8_P12ihipStream_tbDpT10_ENKUlT_T0_E_clISt17integral_constantIbLb0EES1B_EEDaS16_S17_EUlS16_E_NS1_11comp_targetILNS1_3genE2ELNS1_11target_archE906ELNS1_3gpuE6ELNS1_3repE0EEENS1_30default_config_static_selectorELNS0_4arch9wavefront6targetE0EEEvT1_: ; @_ZN7rocprim17ROCPRIM_400000_NS6detail17trampoline_kernelINS0_14default_configENS1_25partition_config_selectorILNS1_17partition_subalgoE5ElNS0_10empty_typeEbEEZZNS1_14partition_implILS5_5ELb0ES3_mN6hipcub16HIPCUB_304000_NS21CountingInputIteratorIllEEPS6_NSA_22TransformInputIteratorIbN2at6native12_GLOBAL__N_19NonZeroOpIsEEPKslEENS0_5tupleIJPlS6_EEENSN_IJSD_SD_EEES6_PiJS6_EEE10hipError_tPvRmT3_T4_T5_T6_T7_T9_mT8_P12ihipStream_tbDpT10_ENKUlT_T0_E_clISt17integral_constantIbLb0EES1B_EEDaS16_S17_EUlS16_E_NS1_11comp_targetILNS1_3genE2ELNS1_11target_archE906ELNS1_3gpuE6ELNS1_3repE0EEENS1_30default_config_static_selectorELNS0_4arch9wavefront6targetE0EEEvT1_
; %bb.0:
	.section	.rodata,"a",@progbits
	.p2align	6, 0x0
	.amdhsa_kernel _ZN7rocprim17ROCPRIM_400000_NS6detail17trampoline_kernelINS0_14default_configENS1_25partition_config_selectorILNS1_17partition_subalgoE5ElNS0_10empty_typeEbEEZZNS1_14partition_implILS5_5ELb0ES3_mN6hipcub16HIPCUB_304000_NS21CountingInputIteratorIllEEPS6_NSA_22TransformInputIteratorIbN2at6native12_GLOBAL__N_19NonZeroOpIsEEPKslEENS0_5tupleIJPlS6_EEENSN_IJSD_SD_EEES6_PiJS6_EEE10hipError_tPvRmT3_T4_T5_T6_T7_T9_mT8_P12ihipStream_tbDpT10_ENKUlT_T0_E_clISt17integral_constantIbLb0EES1B_EEDaS16_S17_EUlS16_E_NS1_11comp_targetILNS1_3genE2ELNS1_11target_archE906ELNS1_3gpuE6ELNS1_3repE0EEENS1_30default_config_static_selectorELNS0_4arch9wavefront6targetE0EEEvT1_
		.amdhsa_group_segment_fixed_size 0
		.amdhsa_private_segment_fixed_size 0
		.amdhsa_kernarg_size 120
		.amdhsa_user_sgpr_count 2
		.amdhsa_user_sgpr_dispatch_ptr 0
		.amdhsa_user_sgpr_queue_ptr 0
		.amdhsa_user_sgpr_kernarg_segment_ptr 1
		.amdhsa_user_sgpr_dispatch_id 0
		.amdhsa_user_sgpr_private_segment_size 0
		.amdhsa_wavefront_size32 1
		.amdhsa_uses_dynamic_stack 0
		.amdhsa_enable_private_segment 0
		.amdhsa_system_sgpr_workgroup_id_x 1
		.amdhsa_system_sgpr_workgroup_id_y 0
		.amdhsa_system_sgpr_workgroup_id_z 0
		.amdhsa_system_sgpr_workgroup_info 0
		.amdhsa_system_vgpr_workitem_id 0
		.amdhsa_next_free_vgpr 1
		.amdhsa_next_free_sgpr 1
		.amdhsa_reserve_vcc 0
		.amdhsa_float_round_mode_32 0
		.amdhsa_float_round_mode_16_64 0
		.amdhsa_float_denorm_mode_32 3
		.amdhsa_float_denorm_mode_16_64 3
		.amdhsa_fp16_overflow 0
		.amdhsa_workgroup_processor_mode 1
		.amdhsa_memory_ordered 1
		.amdhsa_forward_progress 1
		.amdhsa_inst_pref_size 0
		.amdhsa_round_robin_scheduling 0
		.amdhsa_exception_fp_ieee_invalid_op 0
		.amdhsa_exception_fp_denorm_src 0
		.amdhsa_exception_fp_ieee_div_zero 0
		.amdhsa_exception_fp_ieee_overflow 0
		.amdhsa_exception_fp_ieee_underflow 0
		.amdhsa_exception_fp_ieee_inexact 0
		.amdhsa_exception_int_div_zero 0
	.end_amdhsa_kernel
	.section	.text._ZN7rocprim17ROCPRIM_400000_NS6detail17trampoline_kernelINS0_14default_configENS1_25partition_config_selectorILNS1_17partition_subalgoE5ElNS0_10empty_typeEbEEZZNS1_14partition_implILS5_5ELb0ES3_mN6hipcub16HIPCUB_304000_NS21CountingInputIteratorIllEEPS6_NSA_22TransformInputIteratorIbN2at6native12_GLOBAL__N_19NonZeroOpIsEEPKslEENS0_5tupleIJPlS6_EEENSN_IJSD_SD_EEES6_PiJS6_EEE10hipError_tPvRmT3_T4_T5_T6_T7_T9_mT8_P12ihipStream_tbDpT10_ENKUlT_T0_E_clISt17integral_constantIbLb0EES1B_EEDaS16_S17_EUlS16_E_NS1_11comp_targetILNS1_3genE2ELNS1_11target_archE906ELNS1_3gpuE6ELNS1_3repE0EEENS1_30default_config_static_selectorELNS0_4arch9wavefront6targetE0EEEvT1_,"axG",@progbits,_ZN7rocprim17ROCPRIM_400000_NS6detail17trampoline_kernelINS0_14default_configENS1_25partition_config_selectorILNS1_17partition_subalgoE5ElNS0_10empty_typeEbEEZZNS1_14partition_implILS5_5ELb0ES3_mN6hipcub16HIPCUB_304000_NS21CountingInputIteratorIllEEPS6_NSA_22TransformInputIteratorIbN2at6native12_GLOBAL__N_19NonZeroOpIsEEPKslEENS0_5tupleIJPlS6_EEENSN_IJSD_SD_EEES6_PiJS6_EEE10hipError_tPvRmT3_T4_T5_T6_T7_T9_mT8_P12ihipStream_tbDpT10_ENKUlT_T0_E_clISt17integral_constantIbLb0EES1B_EEDaS16_S17_EUlS16_E_NS1_11comp_targetILNS1_3genE2ELNS1_11target_archE906ELNS1_3gpuE6ELNS1_3repE0EEENS1_30default_config_static_selectorELNS0_4arch9wavefront6targetE0EEEvT1_,comdat
.Lfunc_end326:
	.size	_ZN7rocprim17ROCPRIM_400000_NS6detail17trampoline_kernelINS0_14default_configENS1_25partition_config_selectorILNS1_17partition_subalgoE5ElNS0_10empty_typeEbEEZZNS1_14partition_implILS5_5ELb0ES3_mN6hipcub16HIPCUB_304000_NS21CountingInputIteratorIllEEPS6_NSA_22TransformInputIteratorIbN2at6native12_GLOBAL__N_19NonZeroOpIsEEPKslEENS0_5tupleIJPlS6_EEENSN_IJSD_SD_EEES6_PiJS6_EEE10hipError_tPvRmT3_T4_T5_T6_T7_T9_mT8_P12ihipStream_tbDpT10_ENKUlT_T0_E_clISt17integral_constantIbLb0EES1B_EEDaS16_S17_EUlS16_E_NS1_11comp_targetILNS1_3genE2ELNS1_11target_archE906ELNS1_3gpuE6ELNS1_3repE0EEENS1_30default_config_static_selectorELNS0_4arch9wavefront6targetE0EEEvT1_, .Lfunc_end326-_ZN7rocprim17ROCPRIM_400000_NS6detail17trampoline_kernelINS0_14default_configENS1_25partition_config_selectorILNS1_17partition_subalgoE5ElNS0_10empty_typeEbEEZZNS1_14partition_implILS5_5ELb0ES3_mN6hipcub16HIPCUB_304000_NS21CountingInputIteratorIllEEPS6_NSA_22TransformInputIteratorIbN2at6native12_GLOBAL__N_19NonZeroOpIsEEPKslEENS0_5tupleIJPlS6_EEENSN_IJSD_SD_EEES6_PiJS6_EEE10hipError_tPvRmT3_T4_T5_T6_T7_T9_mT8_P12ihipStream_tbDpT10_ENKUlT_T0_E_clISt17integral_constantIbLb0EES1B_EEDaS16_S17_EUlS16_E_NS1_11comp_targetILNS1_3genE2ELNS1_11target_archE906ELNS1_3gpuE6ELNS1_3repE0EEENS1_30default_config_static_selectorELNS0_4arch9wavefront6targetE0EEEvT1_
                                        ; -- End function
	.set _ZN7rocprim17ROCPRIM_400000_NS6detail17trampoline_kernelINS0_14default_configENS1_25partition_config_selectorILNS1_17partition_subalgoE5ElNS0_10empty_typeEbEEZZNS1_14partition_implILS5_5ELb0ES3_mN6hipcub16HIPCUB_304000_NS21CountingInputIteratorIllEEPS6_NSA_22TransformInputIteratorIbN2at6native12_GLOBAL__N_19NonZeroOpIsEEPKslEENS0_5tupleIJPlS6_EEENSN_IJSD_SD_EEES6_PiJS6_EEE10hipError_tPvRmT3_T4_T5_T6_T7_T9_mT8_P12ihipStream_tbDpT10_ENKUlT_T0_E_clISt17integral_constantIbLb0EES1B_EEDaS16_S17_EUlS16_E_NS1_11comp_targetILNS1_3genE2ELNS1_11target_archE906ELNS1_3gpuE6ELNS1_3repE0EEENS1_30default_config_static_selectorELNS0_4arch9wavefront6targetE0EEEvT1_.num_vgpr, 0
	.set _ZN7rocprim17ROCPRIM_400000_NS6detail17trampoline_kernelINS0_14default_configENS1_25partition_config_selectorILNS1_17partition_subalgoE5ElNS0_10empty_typeEbEEZZNS1_14partition_implILS5_5ELb0ES3_mN6hipcub16HIPCUB_304000_NS21CountingInputIteratorIllEEPS6_NSA_22TransformInputIteratorIbN2at6native12_GLOBAL__N_19NonZeroOpIsEEPKslEENS0_5tupleIJPlS6_EEENSN_IJSD_SD_EEES6_PiJS6_EEE10hipError_tPvRmT3_T4_T5_T6_T7_T9_mT8_P12ihipStream_tbDpT10_ENKUlT_T0_E_clISt17integral_constantIbLb0EES1B_EEDaS16_S17_EUlS16_E_NS1_11comp_targetILNS1_3genE2ELNS1_11target_archE906ELNS1_3gpuE6ELNS1_3repE0EEENS1_30default_config_static_selectorELNS0_4arch9wavefront6targetE0EEEvT1_.num_agpr, 0
	.set _ZN7rocprim17ROCPRIM_400000_NS6detail17trampoline_kernelINS0_14default_configENS1_25partition_config_selectorILNS1_17partition_subalgoE5ElNS0_10empty_typeEbEEZZNS1_14partition_implILS5_5ELb0ES3_mN6hipcub16HIPCUB_304000_NS21CountingInputIteratorIllEEPS6_NSA_22TransformInputIteratorIbN2at6native12_GLOBAL__N_19NonZeroOpIsEEPKslEENS0_5tupleIJPlS6_EEENSN_IJSD_SD_EEES6_PiJS6_EEE10hipError_tPvRmT3_T4_T5_T6_T7_T9_mT8_P12ihipStream_tbDpT10_ENKUlT_T0_E_clISt17integral_constantIbLb0EES1B_EEDaS16_S17_EUlS16_E_NS1_11comp_targetILNS1_3genE2ELNS1_11target_archE906ELNS1_3gpuE6ELNS1_3repE0EEENS1_30default_config_static_selectorELNS0_4arch9wavefront6targetE0EEEvT1_.numbered_sgpr, 0
	.set _ZN7rocprim17ROCPRIM_400000_NS6detail17trampoline_kernelINS0_14default_configENS1_25partition_config_selectorILNS1_17partition_subalgoE5ElNS0_10empty_typeEbEEZZNS1_14partition_implILS5_5ELb0ES3_mN6hipcub16HIPCUB_304000_NS21CountingInputIteratorIllEEPS6_NSA_22TransformInputIteratorIbN2at6native12_GLOBAL__N_19NonZeroOpIsEEPKslEENS0_5tupleIJPlS6_EEENSN_IJSD_SD_EEES6_PiJS6_EEE10hipError_tPvRmT3_T4_T5_T6_T7_T9_mT8_P12ihipStream_tbDpT10_ENKUlT_T0_E_clISt17integral_constantIbLb0EES1B_EEDaS16_S17_EUlS16_E_NS1_11comp_targetILNS1_3genE2ELNS1_11target_archE906ELNS1_3gpuE6ELNS1_3repE0EEENS1_30default_config_static_selectorELNS0_4arch9wavefront6targetE0EEEvT1_.num_named_barrier, 0
	.set _ZN7rocprim17ROCPRIM_400000_NS6detail17trampoline_kernelINS0_14default_configENS1_25partition_config_selectorILNS1_17partition_subalgoE5ElNS0_10empty_typeEbEEZZNS1_14partition_implILS5_5ELb0ES3_mN6hipcub16HIPCUB_304000_NS21CountingInputIteratorIllEEPS6_NSA_22TransformInputIteratorIbN2at6native12_GLOBAL__N_19NonZeroOpIsEEPKslEENS0_5tupleIJPlS6_EEENSN_IJSD_SD_EEES6_PiJS6_EEE10hipError_tPvRmT3_T4_T5_T6_T7_T9_mT8_P12ihipStream_tbDpT10_ENKUlT_T0_E_clISt17integral_constantIbLb0EES1B_EEDaS16_S17_EUlS16_E_NS1_11comp_targetILNS1_3genE2ELNS1_11target_archE906ELNS1_3gpuE6ELNS1_3repE0EEENS1_30default_config_static_selectorELNS0_4arch9wavefront6targetE0EEEvT1_.private_seg_size, 0
	.set _ZN7rocprim17ROCPRIM_400000_NS6detail17trampoline_kernelINS0_14default_configENS1_25partition_config_selectorILNS1_17partition_subalgoE5ElNS0_10empty_typeEbEEZZNS1_14partition_implILS5_5ELb0ES3_mN6hipcub16HIPCUB_304000_NS21CountingInputIteratorIllEEPS6_NSA_22TransformInputIteratorIbN2at6native12_GLOBAL__N_19NonZeroOpIsEEPKslEENS0_5tupleIJPlS6_EEENSN_IJSD_SD_EEES6_PiJS6_EEE10hipError_tPvRmT3_T4_T5_T6_T7_T9_mT8_P12ihipStream_tbDpT10_ENKUlT_T0_E_clISt17integral_constantIbLb0EES1B_EEDaS16_S17_EUlS16_E_NS1_11comp_targetILNS1_3genE2ELNS1_11target_archE906ELNS1_3gpuE6ELNS1_3repE0EEENS1_30default_config_static_selectorELNS0_4arch9wavefront6targetE0EEEvT1_.uses_vcc, 0
	.set _ZN7rocprim17ROCPRIM_400000_NS6detail17trampoline_kernelINS0_14default_configENS1_25partition_config_selectorILNS1_17partition_subalgoE5ElNS0_10empty_typeEbEEZZNS1_14partition_implILS5_5ELb0ES3_mN6hipcub16HIPCUB_304000_NS21CountingInputIteratorIllEEPS6_NSA_22TransformInputIteratorIbN2at6native12_GLOBAL__N_19NonZeroOpIsEEPKslEENS0_5tupleIJPlS6_EEENSN_IJSD_SD_EEES6_PiJS6_EEE10hipError_tPvRmT3_T4_T5_T6_T7_T9_mT8_P12ihipStream_tbDpT10_ENKUlT_T0_E_clISt17integral_constantIbLb0EES1B_EEDaS16_S17_EUlS16_E_NS1_11comp_targetILNS1_3genE2ELNS1_11target_archE906ELNS1_3gpuE6ELNS1_3repE0EEENS1_30default_config_static_selectorELNS0_4arch9wavefront6targetE0EEEvT1_.uses_flat_scratch, 0
	.set _ZN7rocprim17ROCPRIM_400000_NS6detail17trampoline_kernelINS0_14default_configENS1_25partition_config_selectorILNS1_17partition_subalgoE5ElNS0_10empty_typeEbEEZZNS1_14partition_implILS5_5ELb0ES3_mN6hipcub16HIPCUB_304000_NS21CountingInputIteratorIllEEPS6_NSA_22TransformInputIteratorIbN2at6native12_GLOBAL__N_19NonZeroOpIsEEPKslEENS0_5tupleIJPlS6_EEENSN_IJSD_SD_EEES6_PiJS6_EEE10hipError_tPvRmT3_T4_T5_T6_T7_T9_mT8_P12ihipStream_tbDpT10_ENKUlT_T0_E_clISt17integral_constantIbLb0EES1B_EEDaS16_S17_EUlS16_E_NS1_11comp_targetILNS1_3genE2ELNS1_11target_archE906ELNS1_3gpuE6ELNS1_3repE0EEENS1_30default_config_static_selectorELNS0_4arch9wavefront6targetE0EEEvT1_.has_dyn_sized_stack, 0
	.set _ZN7rocprim17ROCPRIM_400000_NS6detail17trampoline_kernelINS0_14default_configENS1_25partition_config_selectorILNS1_17partition_subalgoE5ElNS0_10empty_typeEbEEZZNS1_14partition_implILS5_5ELb0ES3_mN6hipcub16HIPCUB_304000_NS21CountingInputIteratorIllEEPS6_NSA_22TransformInputIteratorIbN2at6native12_GLOBAL__N_19NonZeroOpIsEEPKslEENS0_5tupleIJPlS6_EEENSN_IJSD_SD_EEES6_PiJS6_EEE10hipError_tPvRmT3_T4_T5_T6_T7_T9_mT8_P12ihipStream_tbDpT10_ENKUlT_T0_E_clISt17integral_constantIbLb0EES1B_EEDaS16_S17_EUlS16_E_NS1_11comp_targetILNS1_3genE2ELNS1_11target_archE906ELNS1_3gpuE6ELNS1_3repE0EEENS1_30default_config_static_selectorELNS0_4arch9wavefront6targetE0EEEvT1_.has_recursion, 0
	.set _ZN7rocprim17ROCPRIM_400000_NS6detail17trampoline_kernelINS0_14default_configENS1_25partition_config_selectorILNS1_17partition_subalgoE5ElNS0_10empty_typeEbEEZZNS1_14partition_implILS5_5ELb0ES3_mN6hipcub16HIPCUB_304000_NS21CountingInputIteratorIllEEPS6_NSA_22TransformInputIteratorIbN2at6native12_GLOBAL__N_19NonZeroOpIsEEPKslEENS0_5tupleIJPlS6_EEENSN_IJSD_SD_EEES6_PiJS6_EEE10hipError_tPvRmT3_T4_T5_T6_T7_T9_mT8_P12ihipStream_tbDpT10_ENKUlT_T0_E_clISt17integral_constantIbLb0EES1B_EEDaS16_S17_EUlS16_E_NS1_11comp_targetILNS1_3genE2ELNS1_11target_archE906ELNS1_3gpuE6ELNS1_3repE0EEENS1_30default_config_static_selectorELNS0_4arch9wavefront6targetE0EEEvT1_.has_indirect_call, 0
	.section	.AMDGPU.csdata,"",@progbits
; Kernel info:
; codeLenInByte = 0
; TotalNumSgprs: 0
; NumVgprs: 0
; ScratchSize: 0
; MemoryBound: 0
; FloatMode: 240
; IeeeMode: 1
; LDSByteSize: 0 bytes/workgroup (compile time only)
; SGPRBlocks: 0
; VGPRBlocks: 0
; NumSGPRsForWavesPerEU: 1
; NumVGPRsForWavesPerEU: 1
; Occupancy: 16
; WaveLimiterHint : 0
; COMPUTE_PGM_RSRC2:SCRATCH_EN: 0
; COMPUTE_PGM_RSRC2:USER_SGPR: 2
; COMPUTE_PGM_RSRC2:TRAP_HANDLER: 0
; COMPUTE_PGM_RSRC2:TGID_X_EN: 1
; COMPUTE_PGM_RSRC2:TGID_Y_EN: 0
; COMPUTE_PGM_RSRC2:TGID_Z_EN: 0
; COMPUTE_PGM_RSRC2:TIDIG_COMP_CNT: 0
	.section	.text._ZN7rocprim17ROCPRIM_400000_NS6detail17trampoline_kernelINS0_14default_configENS1_25partition_config_selectorILNS1_17partition_subalgoE5ElNS0_10empty_typeEbEEZZNS1_14partition_implILS5_5ELb0ES3_mN6hipcub16HIPCUB_304000_NS21CountingInputIteratorIllEEPS6_NSA_22TransformInputIteratorIbN2at6native12_GLOBAL__N_19NonZeroOpIsEEPKslEENS0_5tupleIJPlS6_EEENSN_IJSD_SD_EEES6_PiJS6_EEE10hipError_tPvRmT3_T4_T5_T6_T7_T9_mT8_P12ihipStream_tbDpT10_ENKUlT_T0_E_clISt17integral_constantIbLb0EES1B_EEDaS16_S17_EUlS16_E_NS1_11comp_targetILNS1_3genE10ELNS1_11target_archE1200ELNS1_3gpuE4ELNS1_3repE0EEENS1_30default_config_static_selectorELNS0_4arch9wavefront6targetE0EEEvT1_,"axG",@progbits,_ZN7rocprim17ROCPRIM_400000_NS6detail17trampoline_kernelINS0_14default_configENS1_25partition_config_selectorILNS1_17partition_subalgoE5ElNS0_10empty_typeEbEEZZNS1_14partition_implILS5_5ELb0ES3_mN6hipcub16HIPCUB_304000_NS21CountingInputIteratorIllEEPS6_NSA_22TransformInputIteratorIbN2at6native12_GLOBAL__N_19NonZeroOpIsEEPKslEENS0_5tupleIJPlS6_EEENSN_IJSD_SD_EEES6_PiJS6_EEE10hipError_tPvRmT3_T4_T5_T6_T7_T9_mT8_P12ihipStream_tbDpT10_ENKUlT_T0_E_clISt17integral_constantIbLb0EES1B_EEDaS16_S17_EUlS16_E_NS1_11comp_targetILNS1_3genE10ELNS1_11target_archE1200ELNS1_3gpuE4ELNS1_3repE0EEENS1_30default_config_static_selectorELNS0_4arch9wavefront6targetE0EEEvT1_,comdat
	.globl	_ZN7rocprim17ROCPRIM_400000_NS6detail17trampoline_kernelINS0_14default_configENS1_25partition_config_selectorILNS1_17partition_subalgoE5ElNS0_10empty_typeEbEEZZNS1_14partition_implILS5_5ELb0ES3_mN6hipcub16HIPCUB_304000_NS21CountingInputIteratorIllEEPS6_NSA_22TransformInputIteratorIbN2at6native12_GLOBAL__N_19NonZeroOpIsEEPKslEENS0_5tupleIJPlS6_EEENSN_IJSD_SD_EEES6_PiJS6_EEE10hipError_tPvRmT3_T4_T5_T6_T7_T9_mT8_P12ihipStream_tbDpT10_ENKUlT_T0_E_clISt17integral_constantIbLb0EES1B_EEDaS16_S17_EUlS16_E_NS1_11comp_targetILNS1_3genE10ELNS1_11target_archE1200ELNS1_3gpuE4ELNS1_3repE0EEENS1_30default_config_static_selectorELNS0_4arch9wavefront6targetE0EEEvT1_ ; -- Begin function _ZN7rocprim17ROCPRIM_400000_NS6detail17trampoline_kernelINS0_14default_configENS1_25partition_config_selectorILNS1_17partition_subalgoE5ElNS0_10empty_typeEbEEZZNS1_14partition_implILS5_5ELb0ES3_mN6hipcub16HIPCUB_304000_NS21CountingInputIteratorIllEEPS6_NSA_22TransformInputIteratorIbN2at6native12_GLOBAL__N_19NonZeroOpIsEEPKslEENS0_5tupleIJPlS6_EEENSN_IJSD_SD_EEES6_PiJS6_EEE10hipError_tPvRmT3_T4_T5_T6_T7_T9_mT8_P12ihipStream_tbDpT10_ENKUlT_T0_E_clISt17integral_constantIbLb0EES1B_EEDaS16_S17_EUlS16_E_NS1_11comp_targetILNS1_3genE10ELNS1_11target_archE1200ELNS1_3gpuE4ELNS1_3repE0EEENS1_30default_config_static_selectorELNS0_4arch9wavefront6targetE0EEEvT1_
	.p2align	8
	.type	_ZN7rocprim17ROCPRIM_400000_NS6detail17trampoline_kernelINS0_14default_configENS1_25partition_config_selectorILNS1_17partition_subalgoE5ElNS0_10empty_typeEbEEZZNS1_14partition_implILS5_5ELb0ES3_mN6hipcub16HIPCUB_304000_NS21CountingInputIteratorIllEEPS6_NSA_22TransformInputIteratorIbN2at6native12_GLOBAL__N_19NonZeroOpIsEEPKslEENS0_5tupleIJPlS6_EEENSN_IJSD_SD_EEES6_PiJS6_EEE10hipError_tPvRmT3_T4_T5_T6_T7_T9_mT8_P12ihipStream_tbDpT10_ENKUlT_T0_E_clISt17integral_constantIbLb0EES1B_EEDaS16_S17_EUlS16_E_NS1_11comp_targetILNS1_3genE10ELNS1_11target_archE1200ELNS1_3gpuE4ELNS1_3repE0EEENS1_30default_config_static_selectorELNS0_4arch9wavefront6targetE0EEEvT1_,@function
_ZN7rocprim17ROCPRIM_400000_NS6detail17trampoline_kernelINS0_14default_configENS1_25partition_config_selectorILNS1_17partition_subalgoE5ElNS0_10empty_typeEbEEZZNS1_14partition_implILS5_5ELb0ES3_mN6hipcub16HIPCUB_304000_NS21CountingInputIteratorIllEEPS6_NSA_22TransformInputIteratorIbN2at6native12_GLOBAL__N_19NonZeroOpIsEEPKslEENS0_5tupleIJPlS6_EEENSN_IJSD_SD_EEES6_PiJS6_EEE10hipError_tPvRmT3_T4_T5_T6_T7_T9_mT8_P12ihipStream_tbDpT10_ENKUlT_T0_E_clISt17integral_constantIbLb0EES1B_EEDaS16_S17_EUlS16_E_NS1_11comp_targetILNS1_3genE10ELNS1_11target_archE1200ELNS1_3gpuE4ELNS1_3repE0EEENS1_30default_config_static_selectorELNS0_4arch9wavefront6targetE0EEEvT1_: ; @_ZN7rocprim17ROCPRIM_400000_NS6detail17trampoline_kernelINS0_14default_configENS1_25partition_config_selectorILNS1_17partition_subalgoE5ElNS0_10empty_typeEbEEZZNS1_14partition_implILS5_5ELb0ES3_mN6hipcub16HIPCUB_304000_NS21CountingInputIteratorIllEEPS6_NSA_22TransformInputIteratorIbN2at6native12_GLOBAL__N_19NonZeroOpIsEEPKslEENS0_5tupleIJPlS6_EEENSN_IJSD_SD_EEES6_PiJS6_EEE10hipError_tPvRmT3_T4_T5_T6_T7_T9_mT8_P12ihipStream_tbDpT10_ENKUlT_T0_E_clISt17integral_constantIbLb0EES1B_EEDaS16_S17_EUlS16_E_NS1_11comp_targetILNS1_3genE10ELNS1_11target_archE1200ELNS1_3gpuE4ELNS1_3repE0EEENS1_30default_config_static_selectorELNS0_4arch9wavefront6targetE0EEEvT1_
; %bb.0:
	s_clause 0x3
	s_load_b128 s[8:11], s[0:1], 0x48
	s_load_b32 s16, s[0:1], 0x70
	s_load_b128 s[4:7], s[0:1], 0x8
	s_load_b64 s[2:3], s[0:1], 0x58
	s_mov_b32 s13, 0
	s_lshl_b32 s12, ttmp9, 10
	s_mov_b32 s15, s13
	v_lshrrev_b32_e32 v12, 2, v0
	v_or_b32_e32 v9, 0x200, v0
	v_or_b32_e32 v10, 0x300, v0
	v_and_b32_e32 v11, 0xf8, v0
	s_mov_b32 s19, -1
	s_wait_kmcnt 0x0
	s_load_b64 s[10:11], s[10:11], 0x0
	s_lshl_b32 s14, s16, 10
	s_add_co_i32 s16, s16, -1
	s_add_nc_u64 s[14:15], s[6:7], s[14:15]
	s_lshl_b32 s17, s16, 10
	v_cmp_le_u64_e64 s14, s[2:3], s[14:15]
	s_add_co_i32 s3, s6, s17
	s_cmp_eq_u32 ttmp9, s16
	s_add_nc_u64 s[4:5], s[6:7], s[4:5]
	s_cselect_b32 s16, -1, 0
	s_delay_alu instid0(SALU_CYCLE_1) | instskip(SKIP_2) | instid1(SALU_CYCLE_1)
	s_and_b32 s14, s16, s14
	s_wait_alu 0xfffe
	s_xor_b32 s17, s14, -1
	s_and_b32 vcc_lo, exec_lo, s17
	s_cbranch_vccz .LBB327_2
; %bb.1:
	v_or_b32_e32 v7, 0x100, v0
	v_or_b32_e32 v1, s12, v0
	v_lshrrev_b32_e32 v8, 2, v9
	v_lshrrev_b32_e32 v13, 2, v10
	v_and_b32_e32 v14, 56, v12
	v_lshrrev_b32_e32 v7, 2, v7
	v_add_co_u32 v1, s14, s4, v1
	s_wait_alu 0xf1ff
	v_add_co_ci_u32_e64 v2, null, s5, 0, s14
	v_lshlrev_b32_e32 v15, 3, v0
	v_and_b32_e32 v16, 0x78, v7
	v_add_co_u32 v3, vcc_lo, 0x100, v1
	v_and_b32_e32 v17, 0xb8, v8
	v_and_b32_e32 v13, 0xf8, v13
	v_add_co_ci_u32_e64 v4, null, 0, v2, vcc_lo
	v_add_co_u32 v5, vcc_lo, 0x200, v1
	v_add_nc_u32_e32 v14, v14, v15
	s_wait_alu 0xfffd
	v_add_co_ci_u32_e64 v6, null, 0, v2, vcc_lo
	v_add_co_u32 v7, vcc_lo, 0x300, v1
	v_add_nc_u32_e32 v16, v16, v15
	v_add_nc_u32_e32 v17, v17, v15
	s_wait_alu 0xfffd
	v_add_co_ci_u32_e64 v8, null, 0, v2, vcc_lo
	v_add_nc_u32_e32 v13, v13, v15
	ds_store_b64 v14, v[1:2]
	ds_store_b64 v16, v[3:4] offset:2048
	ds_store_b64 v17, v[5:6] offset:4096
	;; [unrolled: 1-line block ×3, first 2 shown]
	v_lshl_add_u32 v1, v0, 5, v11
	s_wait_dscnt 0x0
	s_barrier_signal -1
	s_barrier_wait -1
	global_inv scope:SCOPE_SE
	ds_load_2addr_b64 v[5:8], v1 offset1:1
	ds_load_2addr_b64 v[1:4], v1 offset0:2 offset1:3
	s_mov_b32 s19, s13
	s_branch .LBB327_3
.LBB327_2:
                                        ; implicit-def: $vgpr3_vgpr4
                                        ; implicit-def: $vgpr7_vgpr8
.LBB327_3:
	s_load_b64 s[14:15], s[0:1], 0x20
	s_sub_co_i32 s18, s2, s3
	s_and_not1_b32 vcc_lo, exec_lo, s19
	v_cmp_gt_u32_e64 s2, s18, v0
	s_wait_alu 0xfffe
	s_cbranch_vccnz .LBB327_5
; %bb.4:
	s_wait_dscnt 0x1
	v_or_b32_e32 v7, 0x100, v0
	s_add_nc_u64 s[4:5], s[4:5], s[12:13]
	v_lshrrev_b32_e32 v14, 2, v9
	s_wait_dscnt 0x0
	s_wait_alu 0xfffe
	v_add_co_u32 v1, s3, s4, v0
	s_wait_alu 0xf1ff
	v_add_co_ci_u32_e64 v2, null, s5, 0, s3
	v_add_co_u32 v3, s3, s4, v7
	s_wait_alu 0xf1ff
	v_add_co_ci_u32_e64 v4, null, s5, 0, s3
	v_cmp_gt_u32_e32 vcc_lo, s18, v7
	v_add_co_u32 v13, s3, s4, v10
	s_wait_alu 0xf1ff
	v_add_co_ci_u32_e64 v8, null, s5, 0, s3
	s_wait_alu 0xfffd
	v_dual_cndmask_b32 v4, 0, v4 :: v_dual_cndmask_b32 v3, 0, v3
	v_cmp_gt_u32_e32 vcc_lo, s18, v10
	v_lshrrev_b32_e32 v7, 2, v7
	v_lshrrev_b32_e32 v15, 2, v10
	v_cndmask_b32_e64 v2, 0, v2, s2
	v_cndmask_b32_e64 v1, 0, v1, s2
	v_add_co_u32 v5, s2, s4, v9
	v_and_b32_e32 v12, 56, v12
	v_lshlrev_b32_e32 v16, 3, v0
	s_wait_alu 0xfffd
	v_dual_cndmask_b32 v8, 0, v8 :: v_dual_and_b32 v17, 0x78, v7
	s_wait_alu 0xf1ff
	v_add_co_ci_u32_e64 v6, null, s5, 0, s2
	v_cmp_gt_u32_e64 s2, s18, v9
	v_and_b32_e32 v14, 0xb8, v14
	v_and_b32_e32 v15, 0xf8, v15
	v_dual_cndmask_b32 v7, 0, v13 :: v_dual_add_nc_u32 v12, v12, v16
	v_add_nc_u32_e32 v13, v17, v16
	s_wait_alu 0xf1ff
	v_cndmask_b32_e64 v6, 0, v6, s2
	v_cndmask_b32_e64 v5, 0, v5, s2
	v_add_nc_u32_e32 v14, v14, v16
	v_add_nc_u32_e32 v15, v15, v16
	ds_store_b64 v12, v[1:2]
	ds_store_b64 v13, v[3:4] offset:2048
	ds_store_b64 v14, v[5:6] offset:4096
	;; [unrolled: 1-line block ×3, first 2 shown]
	v_lshl_add_u32 v1, v0, 5, v11
	s_wait_loadcnt_dscnt 0x0
	s_barrier_signal -1
	s_barrier_wait -1
	global_inv scope:SCOPE_SE
	ds_load_2addr_b64 v[5:8], v1 offset1:1
	ds_load_2addr_b64 v[1:4], v1 offset0:2 offset1:3
.LBB327_5:
	s_lshl_b64 s[2:3], s[6:7], 1
	v_lshlrev_b32_e32 v11, 1, v0
	v_lshrrev_b32_e32 v26, 5, v0
	s_wait_kmcnt 0x0
	s_wait_alu 0xfffe
	s_add_nc_u64 s[2:3], s[14:15], s[2:3]
	s_lshl_b64 s[4:5], s[12:13], 1
	s_and_b32 vcc_lo, exec_lo, s17
	s_wait_alu 0xfffe
	s_add_nc_u64 s[2:3], s[2:3], s[4:5]
	s_mov_b32 s4, -1
	s_wait_loadcnt_dscnt 0x0
	s_barrier_signal -1
	s_barrier_wait -1
	global_inv scope:SCOPE_SE
	s_cbranch_vccz .LBB327_7
; %bb.6:
	s_clause 0x3
	global_load_u16 v12, v11, s[2:3]
	global_load_u16 v13, v11, s[2:3] offset:512
	global_load_u16 v14, v11, s[2:3] offset:1024
	;; [unrolled: 1-line block ×3, first 2 shown]
	v_or_b32_e32 v16, 0x100, v0
	v_lshrrev_b32_e32 v17, 5, v9
	v_lshrrev_b32_e32 v18, 5, v10
	v_and_b32_e32 v19, 4, v26
	s_mov_b32 s4, 0
	v_lshrrev_b32_e32 v16, 5, v16
	v_and_b32_e32 v17, 20, v17
	v_and_b32_e32 v18, 28, v18
	v_add_nc_u32_e32 v19, v19, v0
	s_delay_alu instid0(VALU_DEP_4) | instskip(NEXT) | instid1(VALU_DEP_4)
	v_and_b32_e32 v16, 12, v16
	v_add_nc_u32_e32 v17, v17, v0
	s_delay_alu instid0(VALU_DEP_4) | instskip(NEXT) | instid1(VALU_DEP_3)
	v_add_nc_u32_e32 v18, v18, v0
	v_add_nc_u32_e32 v16, v16, v0
	s_wait_loadcnt 0x3
	v_cmp_ne_u16_e32 vcc_lo, 0, v12
	s_wait_alu 0xfffd
	v_cndmask_b32_e64 v12, 0, 1, vcc_lo
	s_wait_loadcnt 0x2
	v_cmp_ne_u16_e32 vcc_lo, 0, v13
	s_wait_alu 0xfffd
	v_cndmask_b32_e64 v13, 0, 1, vcc_lo
	s_wait_loadcnt 0x1
	v_cmp_ne_u16_e32 vcc_lo, 0, v14
	s_wait_alu 0xfffd
	v_cndmask_b32_e64 v14, 0, 1, vcc_lo
	s_wait_loadcnt 0x0
	v_cmp_ne_u16_e32 vcc_lo, 0, v15
	s_wait_alu 0xfffd
	v_cndmask_b32_e64 v15, 0, 1, vcc_lo
	ds_store_b8 v19, v12
	ds_store_b8 v16, v13 offset:256
	ds_store_b8 v17, v14 offset:512
	;; [unrolled: 1-line block ×3, first 2 shown]
	s_wait_dscnt 0x0
	s_barrier_signal -1
	s_barrier_wait -1
.LBB327_7:
	s_wait_alu 0xfffe
	s_and_not1_b32 vcc_lo, exec_lo, s4
	s_wait_alu 0xfffe
	s_cbranch_vccnz .LBB327_15
; %bb.8:
	v_dual_mov_b32 v12, 0 :: v_dual_mov_b32 v13, 0
	s_mov_b32 s4, exec_lo
	v_cmpx_gt_u32_e64 s18, v0
	s_cbranch_execz .LBB327_10
; %bb.9:
	global_load_u16 v12, v11, s[2:3]
	s_wait_loadcnt 0x0
	v_cmp_ne_u16_e32 vcc_lo, 0, v12
	s_wait_alu 0xfffd
	v_cndmask_b32_e64 v12, 0, 1, vcc_lo
	v_cndmask_b32_e64 v13, 0, 1, vcc_lo
.LBB327_10:
	s_wait_alu 0xfffe
	s_or_b32 exec_lo, exec_lo, s4
	v_or_b32_e32 v14, 0x100, v0
	s_mov_b32 s4, exec_lo
	s_delay_alu instid0(VALU_DEP_1)
	v_cmpx_gt_u32_e64 s18, v14
	s_cbranch_execnz .LBB327_129
; %bb.11:
	s_wait_alu 0xfffe
	s_or_b32 exec_lo, exec_lo, s4
	s_delay_alu instid0(SALU_CYCLE_1)
	s_mov_b32 s4, exec_lo
	v_cmpx_gt_u32_e64 s18, v9
	s_cbranch_execnz .LBB327_130
.LBB327_12:
	s_wait_alu 0xfffe
	s_or_b32 exec_lo, exec_lo, s4
	s_delay_alu instid0(SALU_CYCLE_1)
	s_mov_b32 s4, exec_lo
	v_cmpx_gt_u32_e64 s18, v10
	s_cbranch_execz .LBB327_14
.LBB327_13:
	global_load_u16 v11, v11, s[2:3] offset:1536
	v_lshrrev_b32_e32 v15, 16, v13
	s_wait_loadcnt 0x0
	v_cmp_ne_u16_e32 vcc_lo, 0, v11
	s_wait_alu 0xfffd
	v_cndmask_b32_e64 v11, 0, 1, vcc_lo
	s_delay_alu instid0(VALU_DEP_1) | instskip(NEXT) | instid1(VALU_DEP_1)
	v_lshlrev_b16 v11, 8, v11
	v_or_b32_e32 v11, v15, v11
	s_delay_alu instid0(VALU_DEP_1) | instskip(NEXT) | instid1(VALU_DEP_1)
	v_lshlrev_b32_e32 v11, 16, v11
	v_and_or_b32 v13, 0xffff, v13, v11
.LBB327_14:
	s_wait_alu 0xfffe
	s_or_b32 exec_lo, exec_lo, s4
	v_lshrrev_b32_e32 v11, 5, v14
	v_lshrrev_b32_e32 v9, 5, v9
	;; [unrolled: 1-line block ×3, first 2 shown]
	v_and_b32_e32 v14, 4, v26
	v_lshrrev_b32_e32 v15, 8, v13
	v_and_b32_e32 v11, 12, v11
	v_and_b32_e32 v9, 28, v9
	;; [unrolled: 1-line block ×3, first 2 shown]
	v_add_nc_u32_e32 v14, v14, v0
	v_lshrrev_b32_e32 v16, 24, v13
	v_add_nc_u32_e32 v11, v11, v0
	v_add_nc_u32_e32 v9, v9, v0
	;; [unrolled: 1-line block ×3, first 2 shown]
	ds_store_b8 v14, v12
	ds_store_b8 v11, v15 offset:256
	ds_store_b8_d16_hi v9, v13 offset:512
	ds_store_b8 v10, v16 offset:768
	s_wait_loadcnt_dscnt 0x0
	s_barrier_signal -1
	s_barrier_wait -1
.LBB327_15:
	v_lshrrev_b32_e32 v9, 3, v0
	s_wait_loadcnt 0x0
	global_inv scope:SCOPE_SE
	s_load_b64 s[6:7], s[0:1], 0x68
	v_mbcnt_lo_u32_b32 v31, -1, 0
	s_cmp_lg_u32 ttmp9, 0
	v_dual_mov_b32 v10, 0 :: v_dual_and_b32 v9, 28, v9
	s_mov_b32 s3, -1
	s_delay_alu instid0(VALU_DEP_2) | instskip(NEXT) | instid1(VALU_DEP_2)
	v_and_b32_e32 v32, 15, v31
	v_lshl_add_u32 v9, v0, 2, v9
	ds_load_b32 v27, v9
	s_wait_loadcnt_dscnt 0x0
	s_barrier_signal -1
	s_barrier_wait -1
	global_inv scope:SCOPE_SE
	v_and_b32_e32 v30, 0xff, v27
	v_bfe_u32 v29, v27, 8, 8
	v_bfe_u32 v28, v27, 16, 8
	v_lshrrev_b32_e32 v25, 24, v27
	s_delay_alu instid0(VALU_DEP_2) | instskip(NEXT) | instid1(VALU_DEP_1)
	v_add3_u32 v9, v29, v30, v28
	v_add_co_u32 v17, s2, v9, v25
	s_wait_alu 0xf1ff
	v_add_co_ci_u32_e64 v18, null, 0, 0, s2
	v_cmp_ne_u32_e64 s2, 0, v32
	s_cbranch_scc0 .LBB327_72
; %bb.16:
	v_mov_b32_e32 v11, v17
	v_mov_b32_dpp v9, v17 row_shr:1 row_mask:0xf bank_mask:0xf
	v_mov_b32_dpp v14, v10 row_shr:1 row_mask:0xf bank_mask:0xf
	v_dual_mov_b32 v13, v17 :: v_dual_mov_b32 v12, v18
	s_and_saveexec_b32 s3, s2
; %bb.17:
	s_delay_alu instid0(VALU_DEP_3) | instskip(SKIP_2) | instid1(VALU_DEP_2)
	v_add_co_u32 v13, vcc_lo, v17, v9
	s_wait_alu 0xfffd
	v_add_co_ci_u32_e64 v10, null, 0, v18, vcc_lo
	v_add_co_u32 v9, vcc_lo, 0, v13
	s_wait_alu 0xfffd
	s_delay_alu instid0(VALU_DEP_2) | instskip(NEXT) | instid1(VALU_DEP_1)
	v_add_co_ci_u32_e64 v10, null, v14, v10, vcc_lo
	v_dual_mov_b32 v12, v10 :: v_dual_mov_b32 v11, v9
; %bb.18:
	s_wait_alu 0xfffe
	s_or_b32 exec_lo, exec_lo, s3
	v_mov_b32_dpp v9, v13 row_shr:2 row_mask:0xf bank_mask:0xf
	v_mov_b32_dpp v14, v10 row_shr:2 row_mask:0xf bank_mask:0xf
	s_mov_b32 s3, exec_lo
	v_cmpx_lt_u32_e32 1, v32
; %bb.19:
	s_delay_alu instid0(VALU_DEP_3) | instskip(SKIP_2) | instid1(VALU_DEP_2)
	v_add_co_u32 v13, vcc_lo, v11, v9
	s_wait_alu 0xfffd
	v_add_co_ci_u32_e64 v10, null, 0, v12, vcc_lo
	v_add_co_u32 v9, vcc_lo, 0, v13
	s_wait_alu 0xfffd
	s_delay_alu instid0(VALU_DEP_2) | instskip(NEXT) | instid1(VALU_DEP_1)
	v_add_co_ci_u32_e64 v10, null, v14, v10, vcc_lo
	v_dual_mov_b32 v12, v10 :: v_dual_mov_b32 v11, v9
; %bb.20:
	s_wait_alu 0xfffe
	s_or_b32 exec_lo, exec_lo, s3
	v_mov_b32_dpp v9, v13 row_shr:4 row_mask:0xf bank_mask:0xf
	v_mov_b32_dpp v14, v10 row_shr:4 row_mask:0xf bank_mask:0xf
	s_mov_b32 s3, exec_lo
	v_cmpx_lt_u32_e32 3, v32
	;; [unrolled: 17-line block ×3, first 2 shown]
; %bb.23:
	s_delay_alu instid0(VALU_DEP_3) | instskip(SKIP_2) | instid1(VALU_DEP_2)
	v_add_co_u32 v13, vcc_lo, v11, v14
	s_wait_alu 0xfffd
	v_add_co_ci_u32_e64 v10, null, 0, v12, vcc_lo
	v_add_co_u32 v11, vcc_lo, 0, v13
	s_wait_alu 0xfffd
	s_delay_alu instid0(VALU_DEP_2) | instskip(NEXT) | instid1(VALU_DEP_1)
	v_add_co_ci_u32_e64 v12, null, v9, v10, vcc_lo
	v_mov_b32_e32 v10, v12
; %bb.24:
	s_wait_alu 0xfffe
	s_or_b32 exec_lo, exec_lo, s3
	ds_swizzle_b32 v9, v13 offset:swizzle(BROADCAST,32,15)
	ds_swizzle_b32 v14, v10 offset:swizzle(BROADCAST,32,15)
	v_and_b32_e32 v15, 16, v31
	s_mov_b32 s3, exec_lo
	s_delay_alu instid0(VALU_DEP_1)
	v_cmpx_ne_u32_e32 0, v15
	s_cbranch_execz .LBB327_26
; %bb.25:
	s_wait_dscnt 0x1
	v_add_co_u32 v13, vcc_lo, v11, v9
	s_wait_alu 0xfffd
	v_add_co_ci_u32_e64 v10, null, 0, v12, vcc_lo
	s_delay_alu instid0(VALU_DEP_2) | instskip(SKIP_2) | instid1(VALU_DEP_2)
	v_add_co_u32 v9, vcc_lo, 0, v13
	s_wait_dscnt 0x0
	s_wait_alu 0xfffd
	v_add_co_ci_u32_e64 v10, null, v14, v10, vcc_lo
	s_delay_alu instid0(VALU_DEP_1)
	v_dual_mov_b32 v12, v10 :: v_dual_mov_b32 v11, v9
.LBB327_26:
	s_wait_alu 0xfffe
	s_or_b32 exec_lo, exec_lo, s3
	s_wait_dscnt 0x1
	v_or_b32_e32 v9, 31, v0
	s_mov_b32 s3, exec_lo
	s_delay_alu instid0(VALU_DEP_1)
	v_cmpx_eq_u32_e64 v0, v9
; %bb.27:
	v_lshlrev_b32_e32 v9, 3, v26
	ds_store_b64 v9, v[11:12]
; %bb.28:
	s_wait_alu 0xfffe
	s_or_b32 exec_lo, exec_lo, s3
	s_delay_alu instid0(SALU_CYCLE_1)
	s_mov_b32 s3, exec_lo
	s_wait_loadcnt_dscnt 0x0
	s_barrier_signal -1
	s_barrier_wait -1
	global_inv scope:SCOPE_SE
	v_cmpx_gt_u32_e32 8, v0
	s_cbranch_execz .LBB327_36
; %bb.29:
	v_lshlrev_b32_e32 v9, 3, v0
	s_mov_b32 s4, exec_lo
	ds_load_b64 v[11:12], v9
	s_wait_dscnt 0x0
	v_dual_mov_b32 v15, v11 :: v_dual_and_b32 v14, 7, v31
	v_mov_b32_dpp v19, v11 row_shr:1 row_mask:0xf bank_mask:0xf
	v_mov_b32_dpp v16, v12 row_shr:1 row_mask:0xf bank_mask:0xf
	s_delay_alu instid0(VALU_DEP_3)
	v_cmpx_ne_u32_e32 0, v14
; %bb.30:
	s_delay_alu instid0(VALU_DEP_3) | instskip(SKIP_2) | instid1(VALU_DEP_2)
	v_add_co_u32 v15, vcc_lo, v11, v19
	s_wait_alu 0xfffd
	v_add_co_ci_u32_e64 v12, null, 0, v12, vcc_lo
	v_add_co_u32 v11, vcc_lo, 0, v15
	s_wait_alu 0xfffd
	s_delay_alu instid0(VALU_DEP_2)
	v_add_co_ci_u32_e64 v12, null, v16, v12, vcc_lo
; %bb.31:
	s_wait_alu 0xfffe
	s_or_b32 exec_lo, exec_lo, s4
	v_mov_b32_dpp v19, v15 row_shr:2 row_mask:0xf bank_mask:0xf
	s_delay_alu instid0(VALU_DEP_2)
	v_mov_b32_dpp v16, v12 row_shr:2 row_mask:0xf bank_mask:0xf
	s_mov_b32 s4, exec_lo
	v_cmpx_lt_u32_e32 1, v14
; %bb.32:
	s_delay_alu instid0(VALU_DEP_3) | instskip(SKIP_2) | instid1(VALU_DEP_2)
	v_add_co_u32 v15, vcc_lo, v11, v19
	s_wait_alu 0xfffd
	v_add_co_ci_u32_e64 v12, null, 0, v12, vcc_lo
	v_add_co_u32 v11, vcc_lo, 0, v15
	s_wait_alu 0xfffd
	s_delay_alu instid0(VALU_DEP_2)
	v_add_co_ci_u32_e64 v12, null, v16, v12, vcc_lo
; %bb.33:
	s_wait_alu 0xfffe
	s_or_b32 exec_lo, exec_lo, s4
	v_mov_b32_dpp v16, v15 row_shr:4 row_mask:0xf bank_mask:0xf
	s_delay_alu instid0(VALU_DEP_2)
	v_mov_b32_dpp v15, v12 row_shr:4 row_mask:0xf bank_mask:0xf
	s_mov_b32 s4, exec_lo
	v_cmpx_lt_u32_e32 3, v14
; %bb.34:
	s_delay_alu instid0(VALU_DEP_3) | instskip(SKIP_2) | instid1(VALU_DEP_2)
	v_add_co_u32 v11, vcc_lo, v11, v16
	s_wait_alu 0xfffd
	v_add_co_ci_u32_e64 v12, null, 0, v12, vcc_lo
	v_add_co_u32 v11, vcc_lo, v11, 0
	s_wait_alu 0xfffd
	s_delay_alu instid0(VALU_DEP_2)
	v_add_co_ci_u32_e64 v12, null, v12, v15, vcc_lo
; %bb.35:
	s_wait_alu 0xfffe
	s_or_b32 exec_lo, exec_lo, s4
	ds_store_b64 v9, v[11:12]
.LBB327_36:
	s_wait_alu 0xfffe
	s_or_b32 exec_lo, exec_lo, s3
	s_delay_alu instid0(SALU_CYCLE_1)
	s_mov_b32 s4, exec_lo
	v_cmp_gt_u32_e32 vcc_lo, 32, v0
	s_wait_loadcnt_dscnt 0x0
	s_barrier_signal -1
	s_barrier_wait -1
	global_inv scope:SCOPE_SE
                                        ; implicit-def: $vgpr19_vgpr20
	v_cmpx_lt_u32_e32 31, v0
	s_cbranch_execz .LBB327_38
; %bb.37:
	v_lshl_add_u32 v9, v26, 3, -8
	ds_load_b64 v[19:20], v9
	s_wait_dscnt 0x0
	v_add_co_u32 v13, s3, v13, v19
	s_wait_alu 0xf1ff
	v_add_co_ci_u32_e64 v10, null, v10, v20, s3
.LBB327_38:
	s_wait_alu 0xfffe
	s_or_b32 exec_lo, exec_lo, s4
	v_sub_co_u32 v9, s3, v31, 1
	s_delay_alu instid0(VALU_DEP_1) | instskip(SKIP_1) | instid1(VALU_DEP_1)
	v_cmp_gt_i32_e64 s4, 0, v9
	s_wait_alu 0xf1ff
	v_cndmask_b32_e64 v9, v9, v31, s4
	s_delay_alu instid0(VALU_DEP_1)
	v_lshlrev_b32_e32 v9, 2, v9
	ds_bpermute_b32 v33, v9, v13
	ds_bpermute_b32 v34, v9, v10
	s_and_saveexec_b32 s4, vcc_lo
	s_cbranch_execz .LBB327_77
; %bb.39:
	v_mov_b32_e32 v12, 0
	ds_load_b64 v[9:10], v12 offset:56
	s_and_saveexec_b32 s5, s3
	s_cbranch_execz .LBB327_41
; %bb.40:
	s_add_co_i32 s12, ttmp9, 32
	s_wait_alu 0xfffe
	s_lshl_b64 s[12:13], s[12:13], 4
	s_wait_kmcnt 0x0
	s_wait_alu 0xfffe
	s_add_nc_u64 s[12:13], s[6:7], s[12:13]
	s_wait_alu 0xfffe
	v_dual_mov_b32 v11, 1 :: v_dual_mov_b32 v14, s13
	v_mov_b32_e32 v13, s12
	s_wait_dscnt 0x0
	;;#ASMSTART
	global_store_b128 v[13:14], v[9:12] off scope:SCOPE_DEV	
s_wait_storecnt 0x0
	;;#ASMEND
.LBB327_41:
	s_wait_alu 0xfffe
	s_or_b32 exec_lo, exec_lo, s5
	v_xad_u32 v21, v31, -1, ttmp9
	s_mov_b32 s12, 0
	s_mov_b32 s5, exec_lo
	s_delay_alu instid0(VALU_DEP_1) | instskip(NEXT) | instid1(VALU_DEP_1)
	v_add_nc_u32_e32 v11, 32, v21
	v_lshlrev_b64_e32 v[11:12], 4, v[11:12]
	s_wait_kmcnt 0x0
	s_delay_alu instid0(VALU_DEP_1) | instskip(SKIP_1) | instid1(VALU_DEP_2)
	v_add_co_u32 v11, vcc_lo, s6, v11
	s_wait_alu 0xfffd
	v_add_co_ci_u32_e64 v12, null, s7, v12, vcc_lo
	;;#ASMSTART
	global_load_b128 v[13:16], v[11:12] off scope:SCOPE_DEV	
s_wait_loadcnt 0x0
	;;#ASMEND
	v_and_b32_e32 v16, 0xff, v15
	s_delay_alu instid0(VALU_DEP_1)
	v_cmpx_eq_u16_e32 0, v16
	s_cbranch_execz .LBB327_44
.LBB327_42:                             ; =>This Inner Loop Header: Depth=1
	;;#ASMSTART
	global_load_b128 v[13:16], v[11:12] off scope:SCOPE_DEV	
s_wait_loadcnt 0x0
	;;#ASMEND
	v_and_b32_e32 v16, 0xff, v15
	s_delay_alu instid0(VALU_DEP_1)
	v_cmp_ne_u16_e32 vcc_lo, 0, v16
	s_wait_alu 0xfffe
	s_or_b32 s12, vcc_lo, s12
	s_wait_alu 0xfffe
	s_and_not1_b32 exec_lo, exec_lo, s12
	s_cbranch_execnz .LBB327_42
; %bb.43:
	s_or_b32 exec_lo, exec_lo, s12
.LBB327_44:
	s_wait_alu 0xfffe
	s_or_b32 exec_lo, exec_lo, s5
	v_cmp_ne_u32_e32 vcc_lo, 31, v31
	v_and_b32_e32 v12, 0xff, v15
	v_lshlrev_b32_e64 v36, v31, -1
	s_mov_b32 s5, exec_lo
	s_wait_alu 0xfffd
	v_add_co_ci_u32_e64 v11, null, 0, v31, vcc_lo
	v_cmp_eq_u16_e32 vcc_lo, 2, v12
	s_delay_alu instid0(VALU_DEP_2)
	v_dual_mov_b32 v12, v13 :: v_dual_lshlrev_b32 v35, 2, v11
	s_wait_alu 0xfffd
	v_and_or_b32 v11, vcc_lo, v36, 0x80000000
	ds_bpermute_b32 v22, v35, v13
	ds_bpermute_b32 v16, v35, v14
	v_ctz_i32_b32_e32 v11, v11
	s_delay_alu instid0(VALU_DEP_1)
	v_cmpx_lt_u32_e64 v31, v11
	s_cbranch_execz .LBB327_46
; %bb.45:
	s_wait_dscnt 0x1
	v_add_co_u32 v12, vcc_lo, v13, v22
	s_wait_alu 0xfffd
	v_add_co_ci_u32_e64 v14, null, 0, v14, vcc_lo
	s_delay_alu instid0(VALU_DEP_2) | instskip(SKIP_2) | instid1(VALU_DEP_2)
	v_add_co_u32 v13, vcc_lo, 0, v12
	s_wait_dscnt 0x0
	s_wait_alu 0xfffd
	v_add_co_ci_u32_e64 v14, null, v16, v14, vcc_lo
.LBB327_46:
	s_wait_alu 0xfffe
	s_or_b32 exec_lo, exec_lo, s5
	v_cmp_gt_u32_e32 vcc_lo, 30, v31
	v_add_nc_u32_e32 v38, 2, v31
	s_mov_b32 s5, exec_lo
	s_wait_dscnt 0x0
	s_wait_alu 0xfffd
	v_cndmask_b32_e64 v16, 0, 2, vcc_lo
	s_delay_alu instid0(VALU_DEP_1)
	v_add_lshl_u32 v37, v16, v31, 2
	ds_bpermute_b32 v22, v37, v12
	ds_bpermute_b32 v16, v37, v14
	v_cmpx_le_u32_e64 v38, v11
	s_cbranch_execz .LBB327_48
; %bb.47:
	s_wait_dscnt 0x1
	v_add_co_u32 v12, vcc_lo, v13, v22
	s_wait_alu 0xfffd
	v_add_co_ci_u32_e64 v14, null, 0, v14, vcc_lo
	s_delay_alu instid0(VALU_DEP_2) | instskip(SKIP_2) | instid1(VALU_DEP_2)
	v_add_co_u32 v13, vcc_lo, 0, v12
	s_wait_dscnt 0x0
	s_wait_alu 0xfffd
	v_add_co_ci_u32_e64 v14, null, v16, v14, vcc_lo
.LBB327_48:
	s_wait_alu 0xfffe
	s_or_b32 exec_lo, exec_lo, s5
	v_cmp_gt_u32_e32 vcc_lo, 28, v31
	v_add_nc_u32_e32 v40, 4, v31
	s_mov_b32 s5, exec_lo
	s_wait_dscnt 0x0
	s_wait_alu 0xfffd
	v_cndmask_b32_e64 v16, 0, 4, vcc_lo
	s_delay_alu instid0(VALU_DEP_1)
	v_add_lshl_u32 v39, v16, v31, 2
	ds_bpermute_b32 v22, v39, v12
	ds_bpermute_b32 v16, v39, v14
	v_cmpx_le_u32_e64 v40, v11
	;; [unrolled: 25-line block ×3, first 2 shown]
	s_cbranch_execz .LBB327_52
; %bb.51:
	s_wait_dscnt 0x1
	v_add_co_u32 v12, vcc_lo, v13, v22
	s_wait_alu 0xfffd
	v_add_co_ci_u32_e64 v14, null, 0, v14, vcc_lo
	s_delay_alu instid0(VALU_DEP_2) | instskip(SKIP_2) | instid1(VALU_DEP_2)
	v_add_co_u32 v13, vcc_lo, 0, v12
	s_wait_dscnt 0x0
	s_wait_alu 0xfffd
	v_add_co_ci_u32_e64 v14, null, v16, v14, vcc_lo
.LBB327_52:
	s_wait_alu 0xfffe
	s_or_b32 exec_lo, exec_lo, s5
	v_lshl_or_b32 v43, v31, 2, 64
	v_add_nc_u32_e32 v44, 16, v31
	s_mov_b32 s5, exec_lo
	s_wait_dscnt 0x0
	ds_bpermute_b32 v16, v43, v12
	ds_bpermute_b32 v12, v43, v14
	v_cmpx_le_u32_e64 v44, v11
	s_cbranch_execz .LBB327_54
; %bb.53:
	s_wait_dscnt 0x1
	v_add_co_u32 v11, vcc_lo, v13, v16
	s_wait_alu 0xfffd
	v_add_co_ci_u32_e64 v14, null, 0, v14, vcc_lo
	s_delay_alu instid0(VALU_DEP_2) | instskip(SKIP_2) | instid1(VALU_DEP_2)
	v_add_co_u32 v13, vcc_lo, v11, 0
	s_wait_dscnt 0x0
	s_wait_alu 0xfffd
	v_add_co_ci_u32_e64 v14, null, v14, v12, vcc_lo
.LBB327_54:
	s_wait_alu 0xfffe
	s_or_b32 exec_lo, exec_lo, s5
	v_mov_b32_e32 v22, 0
	s_branch .LBB327_57
.LBB327_55:                             ;   in Loop: Header=BB327_57 Depth=1
	s_wait_alu 0xfffe
	s_or_b32 exec_lo, exec_lo, s5
	v_add_co_u32 v13, vcc_lo, v13, v11
	v_subrev_nc_u32_e32 v21, 32, v21
	s_wait_alu 0xfffd
	v_add_co_ci_u32_e64 v14, null, v14, v12, vcc_lo
	s_mov_b32 s5, 0
.LBB327_56:                             ;   in Loop: Header=BB327_57 Depth=1
	s_wait_alu 0xfffe
	s_and_b32 vcc_lo, exec_lo, s5
	s_wait_alu 0xfffe
	s_cbranch_vccnz .LBB327_73
.LBB327_57:                             ; =>This Loop Header: Depth=1
                                        ;     Child Loop BB327_60 Depth 2
	v_and_b32_e32 v11, 0xff, v15
	s_mov_b32 s5, -1
	s_delay_alu instid0(VALU_DEP_1)
	v_cmp_ne_u16_e32 vcc_lo, 2, v11
	s_wait_dscnt 0x0
	v_dual_mov_b32 v11, v13 :: v_dual_mov_b32 v12, v14
                                        ; implicit-def: $vgpr13_vgpr14
	s_cmp_lg_u32 vcc_lo, exec_lo
	s_cbranch_scc1 .LBB327_56
; %bb.58:                               ;   in Loop: Header=BB327_57 Depth=1
	v_lshlrev_b64_e32 v[13:14], 4, v[21:22]
	s_mov_b32 s5, exec_lo
	s_delay_alu instid0(VALU_DEP_1) | instskip(SKIP_1) | instid1(VALU_DEP_2)
	v_add_co_u32 v23, vcc_lo, s6, v13
	s_wait_alu 0xfffd
	v_add_co_ci_u32_e64 v24, null, s7, v14, vcc_lo
	;;#ASMSTART
	global_load_b128 v[13:16], v[23:24] off scope:SCOPE_DEV	
s_wait_loadcnt 0x0
	;;#ASMEND
	v_and_b32_e32 v16, 0xff, v15
	s_delay_alu instid0(VALU_DEP_1)
	v_cmpx_eq_u16_e32 0, v16
	s_cbranch_execz .LBB327_62
; %bb.59:                               ;   in Loop: Header=BB327_57 Depth=1
	s_mov_b32 s12, 0
.LBB327_60:                             ;   Parent Loop BB327_57 Depth=1
                                        ; =>  This Inner Loop Header: Depth=2
	;;#ASMSTART
	global_load_b128 v[13:16], v[23:24] off scope:SCOPE_DEV	
s_wait_loadcnt 0x0
	;;#ASMEND
	v_and_b32_e32 v16, 0xff, v15
	s_delay_alu instid0(VALU_DEP_1)
	v_cmp_ne_u16_e32 vcc_lo, 0, v16
	s_wait_alu 0xfffe
	s_or_b32 s12, vcc_lo, s12
	s_wait_alu 0xfffe
	s_and_not1_b32 exec_lo, exec_lo, s12
	s_cbranch_execnz .LBB327_60
; %bb.61:                               ;   in Loop: Header=BB327_57 Depth=1
	s_or_b32 exec_lo, exec_lo, s12
.LBB327_62:                             ;   in Loop: Header=BB327_57 Depth=1
	s_wait_alu 0xfffe
	s_or_b32 exec_lo, exec_lo, s5
	v_dual_mov_b32 v23, v13 :: v_dual_and_b32 v16, 0xff, v15
	ds_bpermute_b32 v45, v35, v13
	ds_bpermute_b32 v24, v35, v14
	s_mov_b32 s5, exec_lo
	v_cmp_eq_u16_e32 vcc_lo, 2, v16
	s_wait_alu 0xfffd
	v_and_or_b32 v16, vcc_lo, v36, 0x80000000
	s_delay_alu instid0(VALU_DEP_1) | instskip(NEXT) | instid1(VALU_DEP_1)
	v_ctz_i32_b32_e32 v16, v16
	v_cmpx_lt_u32_e64 v31, v16
	s_cbranch_execz .LBB327_64
; %bb.63:                               ;   in Loop: Header=BB327_57 Depth=1
	s_wait_dscnt 0x1
	v_add_co_u32 v23, vcc_lo, v13, v45
	s_wait_alu 0xfffd
	v_add_co_ci_u32_e64 v14, null, 0, v14, vcc_lo
	s_delay_alu instid0(VALU_DEP_2) | instskip(SKIP_2) | instid1(VALU_DEP_2)
	v_add_co_u32 v13, vcc_lo, 0, v23
	s_wait_dscnt 0x0
	s_wait_alu 0xfffd
	v_add_co_ci_u32_e64 v14, null, v24, v14, vcc_lo
.LBB327_64:                             ;   in Loop: Header=BB327_57 Depth=1
	s_wait_alu 0xfffe
	s_or_b32 exec_lo, exec_lo, s5
	s_wait_dscnt 0x1
	ds_bpermute_b32 v45, v37, v23
	s_wait_dscnt 0x1
	ds_bpermute_b32 v24, v37, v14
	s_mov_b32 s5, exec_lo
	v_cmpx_le_u32_e64 v38, v16
	s_cbranch_execz .LBB327_66
; %bb.65:                               ;   in Loop: Header=BB327_57 Depth=1
	s_wait_dscnt 0x1
	v_add_co_u32 v23, vcc_lo, v13, v45
	s_wait_alu 0xfffd
	v_add_co_ci_u32_e64 v14, null, 0, v14, vcc_lo
	s_delay_alu instid0(VALU_DEP_2) | instskip(SKIP_2) | instid1(VALU_DEP_2)
	v_add_co_u32 v13, vcc_lo, 0, v23
	s_wait_dscnt 0x0
	s_wait_alu 0xfffd
	v_add_co_ci_u32_e64 v14, null, v24, v14, vcc_lo
.LBB327_66:                             ;   in Loop: Header=BB327_57 Depth=1
	s_wait_alu 0xfffe
	s_or_b32 exec_lo, exec_lo, s5
	s_wait_dscnt 0x1
	ds_bpermute_b32 v45, v39, v23
	s_wait_dscnt 0x1
	ds_bpermute_b32 v24, v39, v14
	s_mov_b32 s5, exec_lo
	v_cmpx_le_u32_e64 v40, v16
	;; [unrolled: 20-line block ×3, first 2 shown]
	s_cbranch_execz .LBB327_70
; %bb.69:                               ;   in Loop: Header=BB327_57 Depth=1
	s_wait_dscnt 0x1
	v_add_co_u32 v23, vcc_lo, v13, v45
	s_wait_alu 0xfffd
	v_add_co_ci_u32_e64 v14, null, 0, v14, vcc_lo
	s_delay_alu instid0(VALU_DEP_2) | instskip(SKIP_2) | instid1(VALU_DEP_2)
	v_add_co_u32 v13, vcc_lo, 0, v23
	s_wait_dscnt 0x0
	s_wait_alu 0xfffd
	v_add_co_ci_u32_e64 v14, null, v24, v14, vcc_lo
.LBB327_70:                             ;   in Loop: Header=BB327_57 Depth=1
	s_wait_alu 0xfffe
	s_or_b32 exec_lo, exec_lo, s5
	s_wait_dscnt 0x0
	ds_bpermute_b32 v24, v43, v23
	ds_bpermute_b32 v23, v43, v14
	s_mov_b32 s5, exec_lo
	v_cmpx_le_u32_e64 v44, v16
	s_cbranch_execz .LBB327_55
; %bb.71:                               ;   in Loop: Header=BB327_57 Depth=1
	s_wait_dscnt 0x1
	v_add_co_u32 v13, vcc_lo, v13, v24
	s_wait_alu 0xfffd
	v_add_co_ci_u32_e64 v14, null, 0, v14, vcc_lo
	s_delay_alu instid0(VALU_DEP_2) | instskip(SKIP_2) | instid1(VALU_DEP_2)
	v_add_co_u32 v13, vcc_lo, v13, 0
	s_wait_dscnt 0x0
	s_wait_alu 0xfffd
	v_add_co_ci_u32_e64 v14, null, v14, v23, vcc_lo
	s_branch .LBB327_55
.LBB327_72:
                                        ; implicit-def: $vgpr15_vgpr16
                                        ; implicit-def: $vgpr13_vgpr14
                                        ; implicit-def: $vgpr19_vgpr20
                                        ; implicit-def: $vgpr21_vgpr22
                                        ; implicit-def: $vgpr11_vgpr12
	s_load_b64 s[4:5], s[0:1], 0x30
	s_and_b32 vcc_lo, exec_lo, s3
	s_wait_alu 0xfffe
	s_cbranch_vccnz .LBB327_78
	s_branch .LBB327_103
.LBB327_73:
	s_and_saveexec_b32 s5, s3
	s_cbranch_execz .LBB327_75
; %bb.74:
	s_add_co_i32 s12, ttmp9, 32
	s_mov_b32 s13, 0
	v_add_co_u32 v13, vcc_lo, v11, v9
	s_wait_alu 0xfffe
	s_lshl_b64 s[12:13], s[12:13], 4
	v_dual_mov_b32 v15, 2 :: v_dual_mov_b32 v16, 0
	s_wait_alu 0xfffe
	s_add_nc_u64 s[12:13], s[6:7], s[12:13]
	s_wait_alu 0xfffd
	v_add_co_ci_u32_e64 v14, null, v12, v10, vcc_lo
	s_wait_alu 0xfffe
	v_dual_mov_b32 v22, s13 :: v_dual_mov_b32 v21, s12
	;;#ASMSTART
	global_store_b128 v[21:22], v[13:16] off scope:SCOPE_DEV	
s_wait_storecnt 0x0
	;;#ASMEND
	ds_store_b128 v16, v[9:12] offset:8448
.LBB327_75:
	s_wait_alu 0xfffe
	s_or_b32 exec_lo, exec_lo, s5
	v_cmp_eq_u32_e32 vcc_lo, 0, v0
	s_and_b32 exec_lo, exec_lo, vcc_lo
; %bb.76:
	v_mov_b32_e32 v9, 0
	ds_store_b64 v9, v[11:12] offset:56
.LBB327_77:
	s_wait_alu 0xfffe
	s_or_b32 exec_lo, exec_lo, s4
	s_wait_dscnt 0x1
	v_cndmask_b32_e64 v10, v33, v19, s3
	v_cmp_ne_u32_e32 vcc_lo, 0, v0
	v_mov_b32_e32 v9, 0
	s_wait_loadcnt_dscnt 0x0
	s_barrier_signal -1
	s_barrier_wait -1
	global_inv scope:SCOPE_SE
	s_wait_alu 0xfffd
	v_cndmask_b32_e32 v16, 0, v10, vcc_lo
	ds_load_b64 v[13:14], v9 offset:56
	v_cndmask_b32_e64 v11, v34, v20, s3
	s_wait_loadcnt_dscnt 0x0
	s_barrier_signal -1
	s_barrier_wait -1
	global_inv scope:SCOPE_SE
	v_cndmask_b32_e32 v15, 0, v11, vcc_lo
	ds_load_b128 v[9:12], v9 offset:8448
	v_add_co_u32 v21, vcc_lo, v13, v16
	s_wait_alu 0xfffd
	v_add_co_ci_u32_e64 v22, null, v14, v15, vcc_lo
	s_delay_alu instid0(VALU_DEP_2) | instskip(SKIP_1) | instid1(VALU_DEP_2)
	v_add_co_u32 v19, vcc_lo, v21, v30
	s_wait_alu 0xfffd
	v_add_co_ci_u32_e64 v20, null, 0, v22, vcc_lo
	s_delay_alu instid0(VALU_DEP_2) | instskip(SKIP_1) | instid1(VALU_DEP_2)
	;; [unrolled: 4-line block ×3, first 2 shown]
	v_add_co_u32 v15, vcc_lo, v13, v28
	s_wait_alu 0xfffd
	v_add_co_ci_u32_e64 v16, null, 0, v14, vcc_lo
	s_load_b64 s[4:5], s[0:1], 0x30
	s_branch .LBB327_103
.LBB327_78:
	s_wait_dscnt 0x0
	v_dual_mov_b32 v10, 0 :: v_dual_mov_b32 v11, v17
	v_mov_b32_dpp v12, v17 row_shr:1 row_mask:0xf bank_mask:0xf
	s_delay_alu instid0(VALU_DEP_2)
	v_mov_b32_dpp v9, v10 row_shr:1 row_mask:0xf bank_mask:0xf
	s_and_saveexec_b32 s0, s2
; %bb.79:
	s_delay_alu instid0(VALU_DEP_2) | instskip(SKIP_2) | instid1(VALU_DEP_2)
	v_add_co_u32 v11, vcc_lo, v17, v12
	s_wait_alu 0xfffd
	v_add_co_ci_u32_e64 v10, null, 0, v18, vcc_lo
	v_add_co_u32 v17, vcc_lo, 0, v11
	s_wait_alu 0xfffd
	s_delay_alu instid0(VALU_DEP_2) | instskip(NEXT) | instid1(VALU_DEP_1)
	v_add_co_ci_u32_e64 v18, null, v9, v10, vcc_lo
	v_mov_b32_e32 v10, v18
; %bb.80:
	s_or_b32 exec_lo, exec_lo, s0
	v_mov_b32_dpp v9, v11 row_shr:2 row_mask:0xf bank_mask:0xf
	s_delay_alu instid0(VALU_DEP_2)
	v_mov_b32_dpp v12, v10 row_shr:2 row_mask:0xf bank_mask:0xf
	s_mov_b32 s0, exec_lo
	v_cmpx_lt_u32_e32 1, v32
; %bb.81:
	s_delay_alu instid0(VALU_DEP_3) | instskip(SKIP_2) | instid1(VALU_DEP_2)
	v_add_co_u32 v11, vcc_lo, v17, v9
	s_wait_alu 0xfffd
	v_add_co_ci_u32_e64 v10, null, 0, v18, vcc_lo
	v_add_co_u32 v9, vcc_lo, 0, v11
	s_wait_alu 0xfffd
	s_delay_alu instid0(VALU_DEP_2) | instskip(NEXT) | instid1(VALU_DEP_1)
	v_add_co_ci_u32_e64 v10, null, v12, v10, vcc_lo
	v_dual_mov_b32 v18, v10 :: v_dual_mov_b32 v17, v9
; %bb.82:
	s_or_b32 exec_lo, exec_lo, s0
	v_mov_b32_dpp v9, v11 row_shr:4 row_mask:0xf bank_mask:0xf
	v_mov_b32_dpp v12, v10 row_shr:4 row_mask:0xf bank_mask:0xf
	s_mov_b32 s0, exec_lo
	v_cmpx_lt_u32_e32 3, v32
; %bb.83:
	s_delay_alu instid0(VALU_DEP_3) | instskip(SKIP_2) | instid1(VALU_DEP_2)
	v_add_co_u32 v11, vcc_lo, v17, v9
	s_wait_alu 0xfffd
	v_add_co_ci_u32_e64 v10, null, 0, v18, vcc_lo
	v_add_co_u32 v9, vcc_lo, 0, v11
	s_wait_alu 0xfffd
	s_delay_alu instid0(VALU_DEP_2) | instskip(NEXT) | instid1(VALU_DEP_1)
	v_add_co_ci_u32_e64 v10, null, v12, v10, vcc_lo
	v_dual_mov_b32 v18, v10 :: v_dual_mov_b32 v17, v9
; %bb.84:
	s_or_b32 exec_lo, exec_lo, s0
	v_mov_b32_dpp v12, v11 row_shr:8 row_mask:0xf bank_mask:0xf
	v_mov_b32_dpp v9, v10 row_shr:8 row_mask:0xf bank_mask:0xf
	s_mov_b32 s0, exec_lo
	v_cmpx_lt_u32_e32 7, v32
; %bb.85:
	s_delay_alu instid0(VALU_DEP_3) | instskip(SKIP_2) | instid1(VALU_DEP_2)
	v_add_co_u32 v11, vcc_lo, v17, v12
	s_wait_alu 0xfffd
	v_add_co_ci_u32_e64 v10, null, 0, v18, vcc_lo
	v_add_co_u32 v17, vcc_lo, 0, v11
	s_wait_alu 0xfffd
	s_delay_alu instid0(VALU_DEP_2) | instskip(NEXT) | instid1(VALU_DEP_1)
	v_add_co_ci_u32_e64 v18, null, v9, v10, vcc_lo
	v_mov_b32_e32 v10, v18
; %bb.86:
	s_or_b32 exec_lo, exec_lo, s0
	ds_swizzle_b32 v11, v11 offset:swizzle(BROADCAST,32,15)
	ds_swizzle_b32 v9, v10 offset:swizzle(BROADCAST,32,15)
	v_and_b32_e32 v10, 16, v31
	s_mov_b32 s0, exec_lo
	s_delay_alu instid0(VALU_DEP_1)
	v_cmpx_ne_u32_e32 0, v10
	s_cbranch_execz .LBB327_88
; %bb.87:
	s_wait_dscnt 0x1
	v_add_co_u32 v10, vcc_lo, v17, v11
	s_wait_alu 0xfffd
	v_add_co_ci_u32_e64 v11, null, 0, v18, vcc_lo
	s_delay_alu instid0(VALU_DEP_2) | instskip(SKIP_2) | instid1(VALU_DEP_2)
	v_add_co_u32 v17, vcc_lo, v10, 0
	s_wait_dscnt 0x0
	s_wait_alu 0xfffd
	v_add_co_ci_u32_e64 v18, null, v11, v9, vcc_lo
.LBB327_88:
	s_or_b32 exec_lo, exec_lo, s0
	s_wait_dscnt 0x0
	v_or_b32_e32 v9, 31, v0
	s_mov_b32 s0, exec_lo
	s_delay_alu instid0(VALU_DEP_1)
	v_cmpx_eq_u32_e64 v0, v9
; %bb.89:
	v_lshlrev_b32_e32 v9, 3, v26
	ds_store_b64 v9, v[17:18]
; %bb.90:
	s_or_b32 exec_lo, exec_lo, s0
	s_delay_alu instid0(SALU_CYCLE_1)
	s_mov_b32 s0, exec_lo
	s_wait_loadcnt_dscnt 0x0
	s_barrier_signal -1
	s_barrier_wait -1
	global_inv scope:SCOPE_SE
	v_cmpx_gt_u32_e32 8, v0
	s_cbranch_execz .LBB327_98
; %bb.91:
	v_lshlrev_b32_e32 v11, 3, v0
	s_mov_b32 s1, exec_lo
	ds_load_b64 v[9:10], v11
	s_wait_dscnt 0x0
	v_dual_mov_b32 v13, v9 :: v_dual_and_b32 v12, 7, v31
	v_mov_b32_dpp v15, v9 row_shr:1 row_mask:0xf bank_mask:0xf
	v_mov_b32_dpp v14, v10 row_shr:1 row_mask:0xf bank_mask:0xf
	s_delay_alu instid0(VALU_DEP_3)
	v_cmpx_ne_u32_e32 0, v12
; %bb.92:
	s_delay_alu instid0(VALU_DEP_3) | instskip(SKIP_2) | instid1(VALU_DEP_2)
	v_add_co_u32 v13, vcc_lo, v9, v15
	s_wait_alu 0xfffd
	v_add_co_ci_u32_e64 v10, null, 0, v10, vcc_lo
	v_add_co_u32 v9, vcc_lo, 0, v13
	s_wait_alu 0xfffd
	s_delay_alu instid0(VALU_DEP_2)
	v_add_co_ci_u32_e64 v10, null, v14, v10, vcc_lo
; %bb.93:
	s_or_b32 exec_lo, exec_lo, s1
	v_mov_b32_dpp v15, v13 row_shr:2 row_mask:0xf bank_mask:0xf
	s_delay_alu instid0(VALU_DEP_2)
	v_mov_b32_dpp v14, v10 row_shr:2 row_mask:0xf bank_mask:0xf
	s_mov_b32 s1, exec_lo
	v_cmpx_lt_u32_e32 1, v12
; %bb.94:
	s_delay_alu instid0(VALU_DEP_3) | instskip(SKIP_2) | instid1(VALU_DEP_2)
	v_add_co_u32 v13, vcc_lo, v9, v15
	s_wait_alu 0xfffd
	v_add_co_ci_u32_e64 v10, null, 0, v10, vcc_lo
	v_add_co_u32 v9, vcc_lo, 0, v13
	s_wait_alu 0xfffd
	s_delay_alu instid0(VALU_DEP_2)
	v_add_co_ci_u32_e64 v10, null, v14, v10, vcc_lo
; %bb.95:
	s_or_b32 exec_lo, exec_lo, s1
	v_mov_b32_dpp v14, v13 row_shr:4 row_mask:0xf bank_mask:0xf
	s_delay_alu instid0(VALU_DEP_2)
	v_mov_b32_dpp v13, v10 row_shr:4 row_mask:0xf bank_mask:0xf
	s_mov_b32 s1, exec_lo
	v_cmpx_lt_u32_e32 3, v12
; %bb.96:
	s_delay_alu instid0(VALU_DEP_3) | instskip(SKIP_2) | instid1(VALU_DEP_2)
	v_add_co_u32 v9, vcc_lo, v9, v14
	s_wait_alu 0xfffd
	v_add_co_ci_u32_e64 v10, null, 0, v10, vcc_lo
	v_add_co_u32 v9, vcc_lo, v9, 0
	s_wait_alu 0xfffd
	s_delay_alu instid0(VALU_DEP_2)
	v_add_co_ci_u32_e64 v10, null, v10, v13, vcc_lo
; %bb.97:
	s_or_b32 exec_lo, exec_lo, s1
	ds_store_b64 v11, v[9:10]
.LBB327_98:
	s_or_b32 exec_lo, exec_lo, s0
	v_mov_b32_e32 v13, 0
	v_mov_b32_e32 v14, 0
	s_mov_b32 s0, exec_lo
	s_wait_loadcnt_dscnt 0x0
	s_barrier_signal -1
	s_barrier_wait -1
	global_inv scope:SCOPE_SE
	v_cmpx_lt_u32_e32 31, v0
; %bb.99:
	v_lshl_add_u32 v9, v26, 3, -8
	ds_load_b64 v[13:14], v9
; %bb.100:
	s_or_b32 exec_lo, exec_lo, s0
	v_sub_co_u32 v9, vcc_lo, v31, 1
	v_mov_b32_e32 v12, 0
	s_delay_alu instid0(VALU_DEP_2) | instskip(NEXT) | instid1(VALU_DEP_1)
	v_cmp_gt_i32_e64 s0, 0, v9
	v_cndmask_b32_e64 v9, v9, v31, s0
	s_wait_dscnt 0x0
	v_add_co_u32 v10, s0, v13, v17
	s_wait_alu 0xf1ff
	v_add_co_ci_u32_e64 v11, null, v14, v18, s0
	v_lshlrev_b32_e32 v9, 2, v9
	v_cmp_eq_u32_e64 s0, 0, v0
	ds_bpermute_b32 v15, v9, v10
	ds_bpermute_b32 v16, v9, v11
	ds_load_b64 v[9:10], v12 offset:56
	s_and_saveexec_b32 s1, s0
	s_cbranch_execz .LBB327_102
; %bb.101:
	s_wait_kmcnt 0x0
	s_add_nc_u64 s[2:3], s[6:7], 0x200
	s_wait_alu 0xfffe
	v_dual_mov_b32 v11, 2 :: v_dual_mov_b32 v18, s3
	v_mov_b32_e32 v17, s2
	s_wait_dscnt 0x0
	;;#ASMSTART
	global_store_b128 v[17:18], v[9:12] off scope:SCOPE_DEV	
s_wait_storecnt 0x0
	;;#ASMEND
.LBB327_102:
	s_wait_alu 0xfffe
	s_or_b32 exec_lo, exec_lo, s1
	s_wait_dscnt 0x1
	s_wait_alu 0xfffd
	v_dual_cndmask_b32 v11, v15, v13 :: v_dual_cndmask_b32 v12, v16, v14
	s_wait_loadcnt_dscnt 0x0
	s_barrier_signal -1
	s_barrier_wait -1
	s_delay_alu instid0(VALU_DEP_1)
	v_cndmask_b32_e64 v21, v11, 0, s0
	v_cndmask_b32_e64 v22, v12, 0, s0
	v_mov_b32_e32 v11, 0
	v_mov_b32_e32 v12, 0
	global_inv scope:SCOPE_SE
	v_add_co_u32 v19, vcc_lo, v21, v30
	s_wait_alu 0xfffd
	v_add_co_ci_u32_e64 v20, null, 0, v22, vcc_lo
	s_delay_alu instid0(VALU_DEP_2) | instskip(SKIP_1) | instid1(VALU_DEP_2)
	v_add_co_u32 v13, vcc_lo, v19, v29
	s_wait_alu 0xfffd
	v_add_co_ci_u32_e64 v14, null, 0, v20, vcc_lo
	s_delay_alu instid0(VALU_DEP_2) | instskip(SKIP_1) | instid1(VALU_DEP_2)
	v_add_co_u32 v15, vcc_lo, v13, v28
	s_wait_alu 0xfffd
	v_add_co_ci_u32_e64 v16, null, 0, v14, vcc_lo
.LBB327_103:
	v_and_b32_e32 v26, 1, v27
	s_wait_dscnt 0x0
	v_cmp_gt_u64_e32 vcc_lo, 0x101, v[9:10]
	v_lshrrev_b32_e32 v23, 16, v27
	v_lshrrev_b32_e32 v24, 8, v27
	s_mov_b32 s1, -1
	v_cmp_eq_u32_e64 s0, 1, v26
	s_cbranch_vccnz .LBB327_107
; %bb.104:
	s_wait_alu 0xfffe
	s_and_b32 vcc_lo, exec_lo, s1
	s_wait_alu 0xfffe
	s_cbranch_vccnz .LBB327_116
.LBB327_105:
	v_cmp_eq_u32_e32 vcc_lo, 0, v0
	s_and_b32 s0, vcc_lo, s16
	s_wait_alu 0xfffe
	s_and_saveexec_b32 s1, s0
	s_cbranch_execnz .LBB327_128
.LBB327_106:
	s_endpgm
.LBB327_107:
	v_add_co_u32 v17, vcc_lo, v11, v9
	s_wait_alu 0xfffd
	v_add_co_ci_u32_e64 v18, null, v12, v10, vcc_lo
	s_delay_alu instid0(VALU_DEP_1)
	v_cmp_lt_u64_e32 vcc_lo, v[21:22], v[17:18]
	s_or_b32 s1, s17, vcc_lo
	s_wait_alu 0xfffe
	s_and_b32 s1, s1, s0
	s_wait_alu 0xfffe
	s_and_saveexec_b32 s0, s1
	s_cbranch_execz .LBB327_109
; %bb.108:
	v_lshlrev_b64_e32 v[27:28], 3, v[21:22]
	s_lshl_b64 s[2:3], s[10:11], 3
	s_wait_kmcnt 0x0
	s_wait_alu 0xfffe
	s_add_nc_u64 s[2:3], s[4:5], s[2:3]
	s_wait_alu 0xfffe
	v_add_co_u32 v27, vcc_lo, s2, v27
	s_wait_alu 0xfffd
	v_add_co_ci_u32_e64 v28, null, s3, v28, vcc_lo
	global_store_b64 v[27:28], v[5:6], off
.LBB327_109:
	s_wait_alu 0xfffe
	s_or_b32 exec_lo, exec_lo, s0
	v_and_b32_e32 v22, 1, v24
	v_cmp_lt_u64_e32 vcc_lo, v[19:20], v[17:18]
	s_delay_alu instid0(VALU_DEP_2)
	v_cmp_eq_u32_e64 s0, 1, v22
	s_or_b32 s1, s17, vcc_lo
	s_wait_alu 0xfffe
	s_and_b32 s1, s1, s0
	s_wait_alu 0xfffe
	s_and_saveexec_b32 s0, s1
	s_cbranch_execz .LBB327_111
; %bb.110:
	v_lshlrev_b64_e32 v[27:28], 3, v[19:20]
	s_lshl_b64 s[2:3], s[10:11], 3
	s_wait_kmcnt 0x0
	s_wait_alu 0xfffe
	s_add_nc_u64 s[2:3], s[4:5], s[2:3]
	s_wait_alu 0xfffe
	v_add_co_u32 v27, vcc_lo, s2, v27
	s_wait_alu 0xfffd
	v_add_co_ci_u32_e64 v28, null, s3, v28, vcc_lo
	global_store_b64 v[27:28], v[7:8], off
.LBB327_111:
	s_wait_alu 0xfffe
	s_or_b32 exec_lo, exec_lo, s0
	v_and_b32_e32 v20, 1, v23
	v_cmp_lt_u64_e32 vcc_lo, v[13:14], v[17:18]
	s_delay_alu instid0(VALU_DEP_2)
	v_cmp_eq_u32_e64 s0, 1, v20
	;; [unrolled: 24-line block ×3, first 2 shown]
	s_or_b32 s1, s17, vcc_lo
	s_wait_alu 0xfffe
	s_and_b32 s1, s1, s0
	s_wait_alu 0xfffe
	s_and_saveexec_b32 s0, s1
	s_cbranch_execz .LBB327_115
; %bb.114:
	v_lshlrev_b64_e32 v[16:17], 3, v[15:16]
	s_lshl_b64 s[2:3], s[10:11], 3
	s_wait_kmcnt 0x0
	s_wait_alu 0xfffe
	s_add_nc_u64 s[2:3], s[4:5], s[2:3]
	s_wait_alu 0xfffe
	v_add_co_u32 v16, vcc_lo, s2, v16
	s_wait_alu 0xfffd
	v_add_co_ci_u32_e64 v17, null, s3, v17, vcc_lo
	global_store_b64 v[16:17], v[3:4], off
.LBB327_115:
	s_wait_alu 0xfffe
	s_or_b32 exec_lo, exec_lo, s0
	s_branch .LBB327_105
.LBB327_116:
	s_mov_b32 s0, exec_lo
	v_cmpx_eq_u32_e32 1, v26
; %bb.117:
	v_sub_nc_u32_e32 v14, v21, v11
	s_delay_alu instid0(VALU_DEP_1)
	v_lshlrev_b32_e32 v14, 3, v14
	ds_store_b64 v14, v[5:6]
; %bb.118:
	s_wait_alu 0xfffe
	s_or_b32 exec_lo, exec_lo, s0
	v_and_b32_e32 v5, 1, v24
	s_mov_b32 s0, exec_lo
	s_delay_alu instid0(VALU_DEP_1)
	v_cmpx_eq_u32_e32 1, v5
; %bb.119:
	v_sub_nc_u32_e32 v5, v19, v11
	s_delay_alu instid0(VALU_DEP_1)
	v_lshlrev_b32_e32 v5, 3, v5
	ds_store_b64 v5, v[7:8]
; %bb.120:
	s_wait_alu 0xfffe
	s_or_b32 exec_lo, exec_lo, s0
	v_and_b32_e32 v5, 1, v23
	s_mov_b32 s0, exec_lo
	s_delay_alu instid0(VALU_DEP_1)
	;; [unrolled: 12-line block ×3, first 2 shown]
	v_cmpx_eq_u32_e32 1, v1
; %bb.123:
	v_sub_nc_u32_e32 v1, v15, v11
	s_delay_alu instid0(VALU_DEP_1)
	v_lshlrev_b32_e32 v1, 3, v1
	ds_store_b64 v1, v[3:4]
; %bb.124:
	s_wait_alu 0xfffe
	s_or_b32 exec_lo, exec_lo, s0
	v_mov_b32_e32 v3, 0
	s_mov_b32 s1, exec_lo
	s_wait_storecnt 0x0
	s_wait_loadcnt_dscnt 0x0
	s_barrier_signal -1
	s_barrier_wait -1
	v_mov_b32_e32 v1, v3
	global_inv scope:SCOPE_SE
	v_cmpx_gt_u64_e64 v[9:10], v[0:1]
	s_cbranch_execz .LBB327_127
; %bb.125:
	v_lshlrev_b64_e32 v[4:5], 3, v[11:12]
	s_lshl_b64 s[2:3], s[10:11], 3
	v_or_b32_e32 v2, 0x100, v0
	s_wait_kmcnt 0x0
	s_delay_alu instid0(VALU_DEP_2) | instskip(SKIP_3) | instid1(VALU_DEP_2)
	v_add_co_u32 v4, vcc_lo, s4, v4
	s_wait_alu 0xfffd
	v_add_co_ci_u32_e64 v5, null, s5, v5, vcc_lo
	s_wait_alu 0xfffe
	v_add_co_u32 v6, vcc_lo, v4, s2
	s_wait_alu 0xfffd
	s_delay_alu instid0(VALU_DEP_2)
	v_add_co_ci_u32_e64 v7, null, s3, v5, vcc_lo
	v_dual_mov_b32 v5, v1 :: v_dual_mov_b32 v4, v0
	s_mov_b32 s2, 0
.LBB327_126:                            ; =>This Inner Loop Header: Depth=1
	s_delay_alu instid0(VALU_DEP_1) | instskip(NEXT) | instid1(VALU_DEP_2)
	v_lshlrev_b32_e32 v1, 3, v4
	v_lshlrev_b64_e32 v[15:16], 3, v[4:5]
	v_dual_mov_b32 v5, v3 :: v_dual_mov_b32 v4, v2
	v_cmp_le_u64_e32 vcc_lo, v[9:10], v[2:3]
	ds_load_b64 v[13:14], v1
	v_add_nc_u32_e32 v2, 0x100, v2
	v_add_co_u32 v15, s0, v6, v15
	s_wait_alu 0xf1ff
	v_add_co_ci_u32_e64 v16, null, v7, v16, s0
	s_wait_alu 0xfffe
	s_or_b32 s2, vcc_lo, s2
	s_wait_dscnt 0x0
	global_store_b64 v[15:16], v[13:14], off
	s_wait_alu 0xfffe
	s_and_not1_b32 exec_lo, exec_lo, s2
	s_cbranch_execnz .LBB327_126
.LBB327_127:
	s_wait_alu 0xfffe
	s_or_b32 exec_lo, exec_lo, s1
	v_cmp_eq_u32_e32 vcc_lo, 0, v0
	s_and_b32 s0, vcc_lo, s16
	s_wait_alu 0xfffe
	s_and_saveexec_b32 s1, s0
	s_cbranch_execz .LBB327_106
.LBB327_128:
	v_add_co_u32 v0, vcc_lo, v11, v9
	s_wait_alu 0xfffd
	v_add_co_ci_u32_e64 v1, null, v12, v10, vcc_lo
	v_mov_b32_e32 v2, 0
	s_delay_alu instid0(VALU_DEP_3) | instskip(SKIP_1) | instid1(VALU_DEP_3)
	v_add_co_u32 v0, vcc_lo, v0, s10
	s_wait_alu 0xfffd
	v_add_co_ci_u32_e64 v1, null, s11, v1, vcc_lo
	global_store_b64 v2, v[0:1], s[8:9]
	s_endpgm
.LBB327_129:
	global_load_u16 v15, v11, s[2:3] offset:512
	s_wait_loadcnt 0x0
	v_cmp_ne_u16_e32 vcc_lo, 0, v15
	s_wait_alu 0xfffd
	v_cndmask_b32_e64 v15, 0, 1, vcc_lo
	s_delay_alu instid0(VALU_DEP_1) | instskip(NEXT) | instid1(VALU_DEP_1)
	v_lshlrev_b16 v15, 8, v15
	v_or_b32_e32 v13, v13, v15
	s_delay_alu instid0(VALU_DEP_1) | instskip(SKIP_2) | instid1(SALU_CYCLE_1)
	v_and_b32_e32 v13, 0xffff, v13
	s_wait_alu 0xfffe
	s_or_b32 exec_lo, exec_lo, s4
	s_mov_b32 s4, exec_lo
	v_cmpx_gt_u32_e64 s18, v9
	s_cbranch_execz .LBB327_12
.LBB327_130:
	global_load_u16 v15, v11, s[2:3] offset:1024
	s_wait_loadcnt 0x0
	v_cmp_ne_u16_e32 vcc_lo, 0, v15
	s_wait_alu 0xfffd
	v_cndmask_b32_e64 v15, 0, 1, vcc_lo
	s_delay_alu instid0(VALU_DEP_1) | instskip(SKIP_2) | instid1(SALU_CYCLE_1)
	v_lshl_or_b32 v13, v15, 16, v13
	s_wait_alu 0xfffe
	s_or_b32 exec_lo, exec_lo, s4
	s_mov_b32 s4, exec_lo
	v_cmpx_gt_u32_e64 s18, v10
	s_cbranch_execnz .LBB327_13
	s_branch .LBB327_14
	.section	.rodata,"a",@progbits
	.p2align	6, 0x0
	.amdhsa_kernel _ZN7rocprim17ROCPRIM_400000_NS6detail17trampoline_kernelINS0_14default_configENS1_25partition_config_selectorILNS1_17partition_subalgoE5ElNS0_10empty_typeEbEEZZNS1_14partition_implILS5_5ELb0ES3_mN6hipcub16HIPCUB_304000_NS21CountingInputIteratorIllEEPS6_NSA_22TransformInputIteratorIbN2at6native12_GLOBAL__N_19NonZeroOpIsEEPKslEENS0_5tupleIJPlS6_EEENSN_IJSD_SD_EEES6_PiJS6_EEE10hipError_tPvRmT3_T4_T5_T6_T7_T9_mT8_P12ihipStream_tbDpT10_ENKUlT_T0_E_clISt17integral_constantIbLb0EES1B_EEDaS16_S17_EUlS16_E_NS1_11comp_targetILNS1_3genE10ELNS1_11target_archE1200ELNS1_3gpuE4ELNS1_3repE0EEENS1_30default_config_static_selectorELNS0_4arch9wavefront6targetE0EEEvT1_
		.amdhsa_group_segment_fixed_size 8464
		.amdhsa_private_segment_fixed_size 0
		.amdhsa_kernarg_size 120
		.amdhsa_user_sgpr_count 2
		.amdhsa_user_sgpr_dispatch_ptr 0
		.amdhsa_user_sgpr_queue_ptr 0
		.amdhsa_user_sgpr_kernarg_segment_ptr 1
		.amdhsa_user_sgpr_dispatch_id 0
		.amdhsa_user_sgpr_private_segment_size 0
		.amdhsa_wavefront_size32 1
		.amdhsa_uses_dynamic_stack 0
		.amdhsa_enable_private_segment 0
		.amdhsa_system_sgpr_workgroup_id_x 1
		.amdhsa_system_sgpr_workgroup_id_y 0
		.amdhsa_system_sgpr_workgroup_id_z 0
		.amdhsa_system_sgpr_workgroup_info 0
		.amdhsa_system_vgpr_workitem_id 0
		.amdhsa_next_free_vgpr 46
		.amdhsa_next_free_sgpr 20
		.amdhsa_reserve_vcc 1
		.amdhsa_float_round_mode_32 0
		.amdhsa_float_round_mode_16_64 0
		.amdhsa_float_denorm_mode_32 3
		.amdhsa_float_denorm_mode_16_64 3
		.amdhsa_fp16_overflow 0
		.amdhsa_workgroup_processor_mode 1
		.amdhsa_memory_ordered 1
		.amdhsa_forward_progress 1
		.amdhsa_inst_pref_size 54
		.amdhsa_round_robin_scheduling 0
		.amdhsa_exception_fp_ieee_invalid_op 0
		.amdhsa_exception_fp_denorm_src 0
		.amdhsa_exception_fp_ieee_div_zero 0
		.amdhsa_exception_fp_ieee_overflow 0
		.amdhsa_exception_fp_ieee_underflow 0
		.amdhsa_exception_fp_ieee_inexact 0
		.amdhsa_exception_int_div_zero 0
	.end_amdhsa_kernel
	.section	.text._ZN7rocprim17ROCPRIM_400000_NS6detail17trampoline_kernelINS0_14default_configENS1_25partition_config_selectorILNS1_17partition_subalgoE5ElNS0_10empty_typeEbEEZZNS1_14partition_implILS5_5ELb0ES3_mN6hipcub16HIPCUB_304000_NS21CountingInputIteratorIllEEPS6_NSA_22TransformInputIteratorIbN2at6native12_GLOBAL__N_19NonZeroOpIsEEPKslEENS0_5tupleIJPlS6_EEENSN_IJSD_SD_EEES6_PiJS6_EEE10hipError_tPvRmT3_T4_T5_T6_T7_T9_mT8_P12ihipStream_tbDpT10_ENKUlT_T0_E_clISt17integral_constantIbLb0EES1B_EEDaS16_S17_EUlS16_E_NS1_11comp_targetILNS1_3genE10ELNS1_11target_archE1200ELNS1_3gpuE4ELNS1_3repE0EEENS1_30default_config_static_selectorELNS0_4arch9wavefront6targetE0EEEvT1_,"axG",@progbits,_ZN7rocprim17ROCPRIM_400000_NS6detail17trampoline_kernelINS0_14default_configENS1_25partition_config_selectorILNS1_17partition_subalgoE5ElNS0_10empty_typeEbEEZZNS1_14partition_implILS5_5ELb0ES3_mN6hipcub16HIPCUB_304000_NS21CountingInputIteratorIllEEPS6_NSA_22TransformInputIteratorIbN2at6native12_GLOBAL__N_19NonZeroOpIsEEPKslEENS0_5tupleIJPlS6_EEENSN_IJSD_SD_EEES6_PiJS6_EEE10hipError_tPvRmT3_T4_T5_T6_T7_T9_mT8_P12ihipStream_tbDpT10_ENKUlT_T0_E_clISt17integral_constantIbLb0EES1B_EEDaS16_S17_EUlS16_E_NS1_11comp_targetILNS1_3genE10ELNS1_11target_archE1200ELNS1_3gpuE4ELNS1_3repE0EEENS1_30default_config_static_selectorELNS0_4arch9wavefront6targetE0EEEvT1_,comdat
.Lfunc_end327:
	.size	_ZN7rocprim17ROCPRIM_400000_NS6detail17trampoline_kernelINS0_14default_configENS1_25partition_config_selectorILNS1_17partition_subalgoE5ElNS0_10empty_typeEbEEZZNS1_14partition_implILS5_5ELb0ES3_mN6hipcub16HIPCUB_304000_NS21CountingInputIteratorIllEEPS6_NSA_22TransformInputIteratorIbN2at6native12_GLOBAL__N_19NonZeroOpIsEEPKslEENS0_5tupleIJPlS6_EEENSN_IJSD_SD_EEES6_PiJS6_EEE10hipError_tPvRmT3_T4_T5_T6_T7_T9_mT8_P12ihipStream_tbDpT10_ENKUlT_T0_E_clISt17integral_constantIbLb0EES1B_EEDaS16_S17_EUlS16_E_NS1_11comp_targetILNS1_3genE10ELNS1_11target_archE1200ELNS1_3gpuE4ELNS1_3repE0EEENS1_30default_config_static_selectorELNS0_4arch9wavefront6targetE0EEEvT1_, .Lfunc_end327-_ZN7rocprim17ROCPRIM_400000_NS6detail17trampoline_kernelINS0_14default_configENS1_25partition_config_selectorILNS1_17partition_subalgoE5ElNS0_10empty_typeEbEEZZNS1_14partition_implILS5_5ELb0ES3_mN6hipcub16HIPCUB_304000_NS21CountingInputIteratorIllEEPS6_NSA_22TransformInputIteratorIbN2at6native12_GLOBAL__N_19NonZeroOpIsEEPKslEENS0_5tupleIJPlS6_EEENSN_IJSD_SD_EEES6_PiJS6_EEE10hipError_tPvRmT3_T4_T5_T6_T7_T9_mT8_P12ihipStream_tbDpT10_ENKUlT_T0_E_clISt17integral_constantIbLb0EES1B_EEDaS16_S17_EUlS16_E_NS1_11comp_targetILNS1_3genE10ELNS1_11target_archE1200ELNS1_3gpuE4ELNS1_3repE0EEENS1_30default_config_static_selectorELNS0_4arch9wavefront6targetE0EEEvT1_
                                        ; -- End function
	.set _ZN7rocprim17ROCPRIM_400000_NS6detail17trampoline_kernelINS0_14default_configENS1_25partition_config_selectorILNS1_17partition_subalgoE5ElNS0_10empty_typeEbEEZZNS1_14partition_implILS5_5ELb0ES3_mN6hipcub16HIPCUB_304000_NS21CountingInputIteratorIllEEPS6_NSA_22TransformInputIteratorIbN2at6native12_GLOBAL__N_19NonZeroOpIsEEPKslEENS0_5tupleIJPlS6_EEENSN_IJSD_SD_EEES6_PiJS6_EEE10hipError_tPvRmT3_T4_T5_T6_T7_T9_mT8_P12ihipStream_tbDpT10_ENKUlT_T0_E_clISt17integral_constantIbLb0EES1B_EEDaS16_S17_EUlS16_E_NS1_11comp_targetILNS1_3genE10ELNS1_11target_archE1200ELNS1_3gpuE4ELNS1_3repE0EEENS1_30default_config_static_selectorELNS0_4arch9wavefront6targetE0EEEvT1_.num_vgpr, 46
	.set _ZN7rocprim17ROCPRIM_400000_NS6detail17trampoline_kernelINS0_14default_configENS1_25partition_config_selectorILNS1_17partition_subalgoE5ElNS0_10empty_typeEbEEZZNS1_14partition_implILS5_5ELb0ES3_mN6hipcub16HIPCUB_304000_NS21CountingInputIteratorIllEEPS6_NSA_22TransformInputIteratorIbN2at6native12_GLOBAL__N_19NonZeroOpIsEEPKslEENS0_5tupleIJPlS6_EEENSN_IJSD_SD_EEES6_PiJS6_EEE10hipError_tPvRmT3_T4_T5_T6_T7_T9_mT8_P12ihipStream_tbDpT10_ENKUlT_T0_E_clISt17integral_constantIbLb0EES1B_EEDaS16_S17_EUlS16_E_NS1_11comp_targetILNS1_3genE10ELNS1_11target_archE1200ELNS1_3gpuE4ELNS1_3repE0EEENS1_30default_config_static_selectorELNS0_4arch9wavefront6targetE0EEEvT1_.num_agpr, 0
	.set _ZN7rocprim17ROCPRIM_400000_NS6detail17trampoline_kernelINS0_14default_configENS1_25partition_config_selectorILNS1_17partition_subalgoE5ElNS0_10empty_typeEbEEZZNS1_14partition_implILS5_5ELb0ES3_mN6hipcub16HIPCUB_304000_NS21CountingInputIteratorIllEEPS6_NSA_22TransformInputIteratorIbN2at6native12_GLOBAL__N_19NonZeroOpIsEEPKslEENS0_5tupleIJPlS6_EEENSN_IJSD_SD_EEES6_PiJS6_EEE10hipError_tPvRmT3_T4_T5_T6_T7_T9_mT8_P12ihipStream_tbDpT10_ENKUlT_T0_E_clISt17integral_constantIbLb0EES1B_EEDaS16_S17_EUlS16_E_NS1_11comp_targetILNS1_3genE10ELNS1_11target_archE1200ELNS1_3gpuE4ELNS1_3repE0EEENS1_30default_config_static_selectorELNS0_4arch9wavefront6targetE0EEEvT1_.numbered_sgpr, 20
	.set _ZN7rocprim17ROCPRIM_400000_NS6detail17trampoline_kernelINS0_14default_configENS1_25partition_config_selectorILNS1_17partition_subalgoE5ElNS0_10empty_typeEbEEZZNS1_14partition_implILS5_5ELb0ES3_mN6hipcub16HIPCUB_304000_NS21CountingInputIteratorIllEEPS6_NSA_22TransformInputIteratorIbN2at6native12_GLOBAL__N_19NonZeroOpIsEEPKslEENS0_5tupleIJPlS6_EEENSN_IJSD_SD_EEES6_PiJS6_EEE10hipError_tPvRmT3_T4_T5_T6_T7_T9_mT8_P12ihipStream_tbDpT10_ENKUlT_T0_E_clISt17integral_constantIbLb0EES1B_EEDaS16_S17_EUlS16_E_NS1_11comp_targetILNS1_3genE10ELNS1_11target_archE1200ELNS1_3gpuE4ELNS1_3repE0EEENS1_30default_config_static_selectorELNS0_4arch9wavefront6targetE0EEEvT1_.num_named_barrier, 0
	.set _ZN7rocprim17ROCPRIM_400000_NS6detail17trampoline_kernelINS0_14default_configENS1_25partition_config_selectorILNS1_17partition_subalgoE5ElNS0_10empty_typeEbEEZZNS1_14partition_implILS5_5ELb0ES3_mN6hipcub16HIPCUB_304000_NS21CountingInputIteratorIllEEPS6_NSA_22TransformInputIteratorIbN2at6native12_GLOBAL__N_19NonZeroOpIsEEPKslEENS0_5tupleIJPlS6_EEENSN_IJSD_SD_EEES6_PiJS6_EEE10hipError_tPvRmT3_T4_T5_T6_T7_T9_mT8_P12ihipStream_tbDpT10_ENKUlT_T0_E_clISt17integral_constantIbLb0EES1B_EEDaS16_S17_EUlS16_E_NS1_11comp_targetILNS1_3genE10ELNS1_11target_archE1200ELNS1_3gpuE4ELNS1_3repE0EEENS1_30default_config_static_selectorELNS0_4arch9wavefront6targetE0EEEvT1_.private_seg_size, 0
	.set _ZN7rocprim17ROCPRIM_400000_NS6detail17trampoline_kernelINS0_14default_configENS1_25partition_config_selectorILNS1_17partition_subalgoE5ElNS0_10empty_typeEbEEZZNS1_14partition_implILS5_5ELb0ES3_mN6hipcub16HIPCUB_304000_NS21CountingInputIteratorIllEEPS6_NSA_22TransformInputIteratorIbN2at6native12_GLOBAL__N_19NonZeroOpIsEEPKslEENS0_5tupleIJPlS6_EEENSN_IJSD_SD_EEES6_PiJS6_EEE10hipError_tPvRmT3_T4_T5_T6_T7_T9_mT8_P12ihipStream_tbDpT10_ENKUlT_T0_E_clISt17integral_constantIbLb0EES1B_EEDaS16_S17_EUlS16_E_NS1_11comp_targetILNS1_3genE10ELNS1_11target_archE1200ELNS1_3gpuE4ELNS1_3repE0EEENS1_30default_config_static_selectorELNS0_4arch9wavefront6targetE0EEEvT1_.uses_vcc, 1
	.set _ZN7rocprim17ROCPRIM_400000_NS6detail17trampoline_kernelINS0_14default_configENS1_25partition_config_selectorILNS1_17partition_subalgoE5ElNS0_10empty_typeEbEEZZNS1_14partition_implILS5_5ELb0ES3_mN6hipcub16HIPCUB_304000_NS21CountingInputIteratorIllEEPS6_NSA_22TransformInputIteratorIbN2at6native12_GLOBAL__N_19NonZeroOpIsEEPKslEENS0_5tupleIJPlS6_EEENSN_IJSD_SD_EEES6_PiJS6_EEE10hipError_tPvRmT3_T4_T5_T6_T7_T9_mT8_P12ihipStream_tbDpT10_ENKUlT_T0_E_clISt17integral_constantIbLb0EES1B_EEDaS16_S17_EUlS16_E_NS1_11comp_targetILNS1_3genE10ELNS1_11target_archE1200ELNS1_3gpuE4ELNS1_3repE0EEENS1_30default_config_static_selectorELNS0_4arch9wavefront6targetE0EEEvT1_.uses_flat_scratch, 0
	.set _ZN7rocprim17ROCPRIM_400000_NS6detail17trampoline_kernelINS0_14default_configENS1_25partition_config_selectorILNS1_17partition_subalgoE5ElNS0_10empty_typeEbEEZZNS1_14partition_implILS5_5ELb0ES3_mN6hipcub16HIPCUB_304000_NS21CountingInputIteratorIllEEPS6_NSA_22TransformInputIteratorIbN2at6native12_GLOBAL__N_19NonZeroOpIsEEPKslEENS0_5tupleIJPlS6_EEENSN_IJSD_SD_EEES6_PiJS6_EEE10hipError_tPvRmT3_T4_T5_T6_T7_T9_mT8_P12ihipStream_tbDpT10_ENKUlT_T0_E_clISt17integral_constantIbLb0EES1B_EEDaS16_S17_EUlS16_E_NS1_11comp_targetILNS1_3genE10ELNS1_11target_archE1200ELNS1_3gpuE4ELNS1_3repE0EEENS1_30default_config_static_selectorELNS0_4arch9wavefront6targetE0EEEvT1_.has_dyn_sized_stack, 0
	.set _ZN7rocprim17ROCPRIM_400000_NS6detail17trampoline_kernelINS0_14default_configENS1_25partition_config_selectorILNS1_17partition_subalgoE5ElNS0_10empty_typeEbEEZZNS1_14partition_implILS5_5ELb0ES3_mN6hipcub16HIPCUB_304000_NS21CountingInputIteratorIllEEPS6_NSA_22TransformInputIteratorIbN2at6native12_GLOBAL__N_19NonZeroOpIsEEPKslEENS0_5tupleIJPlS6_EEENSN_IJSD_SD_EEES6_PiJS6_EEE10hipError_tPvRmT3_T4_T5_T6_T7_T9_mT8_P12ihipStream_tbDpT10_ENKUlT_T0_E_clISt17integral_constantIbLb0EES1B_EEDaS16_S17_EUlS16_E_NS1_11comp_targetILNS1_3genE10ELNS1_11target_archE1200ELNS1_3gpuE4ELNS1_3repE0EEENS1_30default_config_static_selectorELNS0_4arch9wavefront6targetE0EEEvT1_.has_recursion, 0
	.set _ZN7rocprim17ROCPRIM_400000_NS6detail17trampoline_kernelINS0_14default_configENS1_25partition_config_selectorILNS1_17partition_subalgoE5ElNS0_10empty_typeEbEEZZNS1_14partition_implILS5_5ELb0ES3_mN6hipcub16HIPCUB_304000_NS21CountingInputIteratorIllEEPS6_NSA_22TransformInputIteratorIbN2at6native12_GLOBAL__N_19NonZeroOpIsEEPKslEENS0_5tupleIJPlS6_EEENSN_IJSD_SD_EEES6_PiJS6_EEE10hipError_tPvRmT3_T4_T5_T6_T7_T9_mT8_P12ihipStream_tbDpT10_ENKUlT_T0_E_clISt17integral_constantIbLb0EES1B_EEDaS16_S17_EUlS16_E_NS1_11comp_targetILNS1_3genE10ELNS1_11target_archE1200ELNS1_3gpuE4ELNS1_3repE0EEENS1_30default_config_static_selectorELNS0_4arch9wavefront6targetE0EEEvT1_.has_indirect_call, 0
	.section	.AMDGPU.csdata,"",@progbits
; Kernel info:
; codeLenInByte = 6812
; TotalNumSgprs: 22
; NumVgprs: 46
; ScratchSize: 0
; MemoryBound: 0
; FloatMode: 240
; IeeeMode: 1
; LDSByteSize: 8464 bytes/workgroup (compile time only)
; SGPRBlocks: 0
; VGPRBlocks: 5
; NumSGPRsForWavesPerEU: 22
; NumVGPRsForWavesPerEU: 46
; Occupancy: 16
; WaveLimiterHint : 1
; COMPUTE_PGM_RSRC2:SCRATCH_EN: 0
; COMPUTE_PGM_RSRC2:USER_SGPR: 2
; COMPUTE_PGM_RSRC2:TRAP_HANDLER: 0
; COMPUTE_PGM_RSRC2:TGID_X_EN: 1
; COMPUTE_PGM_RSRC2:TGID_Y_EN: 0
; COMPUTE_PGM_RSRC2:TGID_Z_EN: 0
; COMPUTE_PGM_RSRC2:TIDIG_COMP_CNT: 0
	.section	.text._ZN7rocprim17ROCPRIM_400000_NS6detail17trampoline_kernelINS0_14default_configENS1_25partition_config_selectorILNS1_17partition_subalgoE5ElNS0_10empty_typeEbEEZZNS1_14partition_implILS5_5ELb0ES3_mN6hipcub16HIPCUB_304000_NS21CountingInputIteratorIllEEPS6_NSA_22TransformInputIteratorIbN2at6native12_GLOBAL__N_19NonZeroOpIsEEPKslEENS0_5tupleIJPlS6_EEENSN_IJSD_SD_EEES6_PiJS6_EEE10hipError_tPvRmT3_T4_T5_T6_T7_T9_mT8_P12ihipStream_tbDpT10_ENKUlT_T0_E_clISt17integral_constantIbLb0EES1B_EEDaS16_S17_EUlS16_E_NS1_11comp_targetILNS1_3genE9ELNS1_11target_archE1100ELNS1_3gpuE3ELNS1_3repE0EEENS1_30default_config_static_selectorELNS0_4arch9wavefront6targetE0EEEvT1_,"axG",@progbits,_ZN7rocprim17ROCPRIM_400000_NS6detail17trampoline_kernelINS0_14default_configENS1_25partition_config_selectorILNS1_17partition_subalgoE5ElNS0_10empty_typeEbEEZZNS1_14partition_implILS5_5ELb0ES3_mN6hipcub16HIPCUB_304000_NS21CountingInputIteratorIllEEPS6_NSA_22TransformInputIteratorIbN2at6native12_GLOBAL__N_19NonZeroOpIsEEPKslEENS0_5tupleIJPlS6_EEENSN_IJSD_SD_EEES6_PiJS6_EEE10hipError_tPvRmT3_T4_T5_T6_T7_T9_mT8_P12ihipStream_tbDpT10_ENKUlT_T0_E_clISt17integral_constantIbLb0EES1B_EEDaS16_S17_EUlS16_E_NS1_11comp_targetILNS1_3genE9ELNS1_11target_archE1100ELNS1_3gpuE3ELNS1_3repE0EEENS1_30default_config_static_selectorELNS0_4arch9wavefront6targetE0EEEvT1_,comdat
	.globl	_ZN7rocprim17ROCPRIM_400000_NS6detail17trampoline_kernelINS0_14default_configENS1_25partition_config_selectorILNS1_17partition_subalgoE5ElNS0_10empty_typeEbEEZZNS1_14partition_implILS5_5ELb0ES3_mN6hipcub16HIPCUB_304000_NS21CountingInputIteratorIllEEPS6_NSA_22TransformInputIteratorIbN2at6native12_GLOBAL__N_19NonZeroOpIsEEPKslEENS0_5tupleIJPlS6_EEENSN_IJSD_SD_EEES6_PiJS6_EEE10hipError_tPvRmT3_T4_T5_T6_T7_T9_mT8_P12ihipStream_tbDpT10_ENKUlT_T0_E_clISt17integral_constantIbLb0EES1B_EEDaS16_S17_EUlS16_E_NS1_11comp_targetILNS1_3genE9ELNS1_11target_archE1100ELNS1_3gpuE3ELNS1_3repE0EEENS1_30default_config_static_selectorELNS0_4arch9wavefront6targetE0EEEvT1_ ; -- Begin function _ZN7rocprim17ROCPRIM_400000_NS6detail17trampoline_kernelINS0_14default_configENS1_25partition_config_selectorILNS1_17partition_subalgoE5ElNS0_10empty_typeEbEEZZNS1_14partition_implILS5_5ELb0ES3_mN6hipcub16HIPCUB_304000_NS21CountingInputIteratorIllEEPS6_NSA_22TransformInputIteratorIbN2at6native12_GLOBAL__N_19NonZeroOpIsEEPKslEENS0_5tupleIJPlS6_EEENSN_IJSD_SD_EEES6_PiJS6_EEE10hipError_tPvRmT3_T4_T5_T6_T7_T9_mT8_P12ihipStream_tbDpT10_ENKUlT_T0_E_clISt17integral_constantIbLb0EES1B_EEDaS16_S17_EUlS16_E_NS1_11comp_targetILNS1_3genE9ELNS1_11target_archE1100ELNS1_3gpuE3ELNS1_3repE0EEENS1_30default_config_static_selectorELNS0_4arch9wavefront6targetE0EEEvT1_
	.p2align	8
	.type	_ZN7rocprim17ROCPRIM_400000_NS6detail17trampoline_kernelINS0_14default_configENS1_25partition_config_selectorILNS1_17partition_subalgoE5ElNS0_10empty_typeEbEEZZNS1_14partition_implILS5_5ELb0ES3_mN6hipcub16HIPCUB_304000_NS21CountingInputIteratorIllEEPS6_NSA_22TransformInputIteratorIbN2at6native12_GLOBAL__N_19NonZeroOpIsEEPKslEENS0_5tupleIJPlS6_EEENSN_IJSD_SD_EEES6_PiJS6_EEE10hipError_tPvRmT3_T4_T5_T6_T7_T9_mT8_P12ihipStream_tbDpT10_ENKUlT_T0_E_clISt17integral_constantIbLb0EES1B_EEDaS16_S17_EUlS16_E_NS1_11comp_targetILNS1_3genE9ELNS1_11target_archE1100ELNS1_3gpuE3ELNS1_3repE0EEENS1_30default_config_static_selectorELNS0_4arch9wavefront6targetE0EEEvT1_,@function
_ZN7rocprim17ROCPRIM_400000_NS6detail17trampoline_kernelINS0_14default_configENS1_25partition_config_selectorILNS1_17partition_subalgoE5ElNS0_10empty_typeEbEEZZNS1_14partition_implILS5_5ELb0ES3_mN6hipcub16HIPCUB_304000_NS21CountingInputIteratorIllEEPS6_NSA_22TransformInputIteratorIbN2at6native12_GLOBAL__N_19NonZeroOpIsEEPKslEENS0_5tupleIJPlS6_EEENSN_IJSD_SD_EEES6_PiJS6_EEE10hipError_tPvRmT3_T4_T5_T6_T7_T9_mT8_P12ihipStream_tbDpT10_ENKUlT_T0_E_clISt17integral_constantIbLb0EES1B_EEDaS16_S17_EUlS16_E_NS1_11comp_targetILNS1_3genE9ELNS1_11target_archE1100ELNS1_3gpuE3ELNS1_3repE0EEENS1_30default_config_static_selectorELNS0_4arch9wavefront6targetE0EEEvT1_: ; @_ZN7rocprim17ROCPRIM_400000_NS6detail17trampoline_kernelINS0_14default_configENS1_25partition_config_selectorILNS1_17partition_subalgoE5ElNS0_10empty_typeEbEEZZNS1_14partition_implILS5_5ELb0ES3_mN6hipcub16HIPCUB_304000_NS21CountingInputIteratorIllEEPS6_NSA_22TransformInputIteratorIbN2at6native12_GLOBAL__N_19NonZeroOpIsEEPKslEENS0_5tupleIJPlS6_EEENSN_IJSD_SD_EEES6_PiJS6_EEE10hipError_tPvRmT3_T4_T5_T6_T7_T9_mT8_P12ihipStream_tbDpT10_ENKUlT_T0_E_clISt17integral_constantIbLb0EES1B_EEDaS16_S17_EUlS16_E_NS1_11comp_targetILNS1_3genE9ELNS1_11target_archE1100ELNS1_3gpuE3ELNS1_3repE0EEENS1_30default_config_static_selectorELNS0_4arch9wavefront6targetE0EEEvT1_
; %bb.0:
	.section	.rodata,"a",@progbits
	.p2align	6, 0x0
	.amdhsa_kernel _ZN7rocprim17ROCPRIM_400000_NS6detail17trampoline_kernelINS0_14default_configENS1_25partition_config_selectorILNS1_17partition_subalgoE5ElNS0_10empty_typeEbEEZZNS1_14partition_implILS5_5ELb0ES3_mN6hipcub16HIPCUB_304000_NS21CountingInputIteratorIllEEPS6_NSA_22TransformInputIteratorIbN2at6native12_GLOBAL__N_19NonZeroOpIsEEPKslEENS0_5tupleIJPlS6_EEENSN_IJSD_SD_EEES6_PiJS6_EEE10hipError_tPvRmT3_T4_T5_T6_T7_T9_mT8_P12ihipStream_tbDpT10_ENKUlT_T0_E_clISt17integral_constantIbLb0EES1B_EEDaS16_S17_EUlS16_E_NS1_11comp_targetILNS1_3genE9ELNS1_11target_archE1100ELNS1_3gpuE3ELNS1_3repE0EEENS1_30default_config_static_selectorELNS0_4arch9wavefront6targetE0EEEvT1_
		.amdhsa_group_segment_fixed_size 0
		.amdhsa_private_segment_fixed_size 0
		.amdhsa_kernarg_size 120
		.amdhsa_user_sgpr_count 2
		.amdhsa_user_sgpr_dispatch_ptr 0
		.amdhsa_user_sgpr_queue_ptr 0
		.amdhsa_user_sgpr_kernarg_segment_ptr 1
		.amdhsa_user_sgpr_dispatch_id 0
		.amdhsa_user_sgpr_private_segment_size 0
		.amdhsa_wavefront_size32 1
		.amdhsa_uses_dynamic_stack 0
		.amdhsa_enable_private_segment 0
		.amdhsa_system_sgpr_workgroup_id_x 1
		.amdhsa_system_sgpr_workgroup_id_y 0
		.amdhsa_system_sgpr_workgroup_id_z 0
		.amdhsa_system_sgpr_workgroup_info 0
		.amdhsa_system_vgpr_workitem_id 0
		.amdhsa_next_free_vgpr 1
		.amdhsa_next_free_sgpr 1
		.amdhsa_reserve_vcc 0
		.amdhsa_float_round_mode_32 0
		.amdhsa_float_round_mode_16_64 0
		.amdhsa_float_denorm_mode_32 3
		.amdhsa_float_denorm_mode_16_64 3
		.amdhsa_fp16_overflow 0
		.amdhsa_workgroup_processor_mode 1
		.amdhsa_memory_ordered 1
		.amdhsa_forward_progress 1
		.amdhsa_inst_pref_size 0
		.amdhsa_round_robin_scheduling 0
		.amdhsa_exception_fp_ieee_invalid_op 0
		.amdhsa_exception_fp_denorm_src 0
		.amdhsa_exception_fp_ieee_div_zero 0
		.amdhsa_exception_fp_ieee_overflow 0
		.amdhsa_exception_fp_ieee_underflow 0
		.amdhsa_exception_fp_ieee_inexact 0
		.amdhsa_exception_int_div_zero 0
	.end_amdhsa_kernel
	.section	.text._ZN7rocprim17ROCPRIM_400000_NS6detail17trampoline_kernelINS0_14default_configENS1_25partition_config_selectorILNS1_17partition_subalgoE5ElNS0_10empty_typeEbEEZZNS1_14partition_implILS5_5ELb0ES3_mN6hipcub16HIPCUB_304000_NS21CountingInputIteratorIllEEPS6_NSA_22TransformInputIteratorIbN2at6native12_GLOBAL__N_19NonZeroOpIsEEPKslEENS0_5tupleIJPlS6_EEENSN_IJSD_SD_EEES6_PiJS6_EEE10hipError_tPvRmT3_T4_T5_T6_T7_T9_mT8_P12ihipStream_tbDpT10_ENKUlT_T0_E_clISt17integral_constantIbLb0EES1B_EEDaS16_S17_EUlS16_E_NS1_11comp_targetILNS1_3genE9ELNS1_11target_archE1100ELNS1_3gpuE3ELNS1_3repE0EEENS1_30default_config_static_selectorELNS0_4arch9wavefront6targetE0EEEvT1_,"axG",@progbits,_ZN7rocprim17ROCPRIM_400000_NS6detail17trampoline_kernelINS0_14default_configENS1_25partition_config_selectorILNS1_17partition_subalgoE5ElNS0_10empty_typeEbEEZZNS1_14partition_implILS5_5ELb0ES3_mN6hipcub16HIPCUB_304000_NS21CountingInputIteratorIllEEPS6_NSA_22TransformInputIteratorIbN2at6native12_GLOBAL__N_19NonZeroOpIsEEPKslEENS0_5tupleIJPlS6_EEENSN_IJSD_SD_EEES6_PiJS6_EEE10hipError_tPvRmT3_T4_T5_T6_T7_T9_mT8_P12ihipStream_tbDpT10_ENKUlT_T0_E_clISt17integral_constantIbLb0EES1B_EEDaS16_S17_EUlS16_E_NS1_11comp_targetILNS1_3genE9ELNS1_11target_archE1100ELNS1_3gpuE3ELNS1_3repE0EEENS1_30default_config_static_selectorELNS0_4arch9wavefront6targetE0EEEvT1_,comdat
.Lfunc_end328:
	.size	_ZN7rocprim17ROCPRIM_400000_NS6detail17trampoline_kernelINS0_14default_configENS1_25partition_config_selectorILNS1_17partition_subalgoE5ElNS0_10empty_typeEbEEZZNS1_14partition_implILS5_5ELb0ES3_mN6hipcub16HIPCUB_304000_NS21CountingInputIteratorIllEEPS6_NSA_22TransformInputIteratorIbN2at6native12_GLOBAL__N_19NonZeroOpIsEEPKslEENS0_5tupleIJPlS6_EEENSN_IJSD_SD_EEES6_PiJS6_EEE10hipError_tPvRmT3_T4_T5_T6_T7_T9_mT8_P12ihipStream_tbDpT10_ENKUlT_T0_E_clISt17integral_constantIbLb0EES1B_EEDaS16_S17_EUlS16_E_NS1_11comp_targetILNS1_3genE9ELNS1_11target_archE1100ELNS1_3gpuE3ELNS1_3repE0EEENS1_30default_config_static_selectorELNS0_4arch9wavefront6targetE0EEEvT1_, .Lfunc_end328-_ZN7rocprim17ROCPRIM_400000_NS6detail17trampoline_kernelINS0_14default_configENS1_25partition_config_selectorILNS1_17partition_subalgoE5ElNS0_10empty_typeEbEEZZNS1_14partition_implILS5_5ELb0ES3_mN6hipcub16HIPCUB_304000_NS21CountingInputIteratorIllEEPS6_NSA_22TransformInputIteratorIbN2at6native12_GLOBAL__N_19NonZeroOpIsEEPKslEENS0_5tupleIJPlS6_EEENSN_IJSD_SD_EEES6_PiJS6_EEE10hipError_tPvRmT3_T4_T5_T6_T7_T9_mT8_P12ihipStream_tbDpT10_ENKUlT_T0_E_clISt17integral_constantIbLb0EES1B_EEDaS16_S17_EUlS16_E_NS1_11comp_targetILNS1_3genE9ELNS1_11target_archE1100ELNS1_3gpuE3ELNS1_3repE0EEENS1_30default_config_static_selectorELNS0_4arch9wavefront6targetE0EEEvT1_
                                        ; -- End function
	.set _ZN7rocprim17ROCPRIM_400000_NS6detail17trampoline_kernelINS0_14default_configENS1_25partition_config_selectorILNS1_17partition_subalgoE5ElNS0_10empty_typeEbEEZZNS1_14partition_implILS5_5ELb0ES3_mN6hipcub16HIPCUB_304000_NS21CountingInputIteratorIllEEPS6_NSA_22TransformInputIteratorIbN2at6native12_GLOBAL__N_19NonZeroOpIsEEPKslEENS0_5tupleIJPlS6_EEENSN_IJSD_SD_EEES6_PiJS6_EEE10hipError_tPvRmT3_T4_T5_T6_T7_T9_mT8_P12ihipStream_tbDpT10_ENKUlT_T0_E_clISt17integral_constantIbLb0EES1B_EEDaS16_S17_EUlS16_E_NS1_11comp_targetILNS1_3genE9ELNS1_11target_archE1100ELNS1_3gpuE3ELNS1_3repE0EEENS1_30default_config_static_selectorELNS0_4arch9wavefront6targetE0EEEvT1_.num_vgpr, 0
	.set _ZN7rocprim17ROCPRIM_400000_NS6detail17trampoline_kernelINS0_14default_configENS1_25partition_config_selectorILNS1_17partition_subalgoE5ElNS0_10empty_typeEbEEZZNS1_14partition_implILS5_5ELb0ES3_mN6hipcub16HIPCUB_304000_NS21CountingInputIteratorIllEEPS6_NSA_22TransformInputIteratorIbN2at6native12_GLOBAL__N_19NonZeroOpIsEEPKslEENS0_5tupleIJPlS6_EEENSN_IJSD_SD_EEES6_PiJS6_EEE10hipError_tPvRmT3_T4_T5_T6_T7_T9_mT8_P12ihipStream_tbDpT10_ENKUlT_T0_E_clISt17integral_constantIbLb0EES1B_EEDaS16_S17_EUlS16_E_NS1_11comp_targetILNS1_3genE9ELNS1_11target_archE1100ELNS1_3gpuE3ELNS1_3repE0EEENS1_30default_config_static_selectorELNS0_4arch9wavefront6targetE0EEEvT1_.num_agpr, 0
	.set _ZN7rocprim17ROCPRIM_400000_NS6detail17trampoline_kernelINS0_14default_configENS1_25partition_config_selectorILNS1_17partition_subalgoE5ElNS0_10empty_typeEbEEZZNS1_14partition_implILS5_5ELb0ES3_mN6hipcub16HIPCUB_304000_NS21CountingInputIteratorIllEEPS6_NSA_22TransformInputIteratorIbN2at6native12_GLOBAL__N_19NonZeroOpIsEEPKslEENS0_5tupleIJPlS6_EEENSN_IJSD_SD_EEES6_PiJS6_EEE10hipError_tPvRmT3_T4_T5_T6_T7_T9_mT8_P12ihipStream_tbDpT10_ENKUlT_T0_E_clISt17integral_constantIbLb0EES1B_EEDaS16_S17_EUlS16_E_NS1_11comp_targetILNS1_3genE9ELNS1_11target_archE1100ELNS1_3gpuE3ELNS1_3repE0EEENS1_30default_config_static_selectorELNS0_4arch9wavefront6targetE0EEEvT1_.numbered_sgpr, 0
	.set _ZN7rocprim17ROCPRIM_400000_NS6detail17trampoline_kernelINS0_14default_configENS1_25partition_config_selectorILNS1_17partition_subalgoE5ElNS0_10empty_typeEbEEZZNS1_14partition_implILS5_5ELb0ES3_mN6hipcub16HIPCUB_304000_NS21CountingInputIteratorIllEEPS6_NSA_22TransformInputIteratorIbN2at6native12_GLOBAL__N_19NonZeroOpIsEEPKslEENS0_5tupleIJPlS6_EEENSN_IJSD_SD_EEES6_PiJS6_EEE10hipError_tPvRmT3_T4_T5_T6_T7_T9_mT8_P12ihipStream_tbDpT10_ENKUlT_T0_E_clISt17integral_constantIbLb0EES1B_EEDaS16_S17_EUlS16_E_NS1_11comp_targetILNS1_3genE9ELNS1_11target_archE1100ELNS1_3gpuE3ELNS1_3repE0EEENS1_30default_config_static_selectorELNS0_4arch9wavefront6targetE0EEEvT1_.num_named_barrier, 0
	.set _ZN7rocprim17ROCPRIM_400000_NS6detail17trampoline_kernelINS0_14default_configENS1_25partition_config_selectorILNS1_17partition_subalgoE5ElNS0_10empty_typeEbEEZZNS1_14partition_implILS5_5ELb0ES3_mN6hipcub16HIPCUB_304000_NS21CountingInputIteratorIllEEPS6_NSA_22TransformInputIteratorIbN2at6native12_GLOBAL__N_19NonZeroOpIsEEPKslEENS0_5tupleIJPlS6_EEENSN_IJSD_SD_EEES6_PiJS6_EEE10hipError_tPvRmT3_T4_T5_T6_T7_T9_mT8_P12ihipStream_tbDpT10_ENKUlT_T0_E_clISt17integral_constantIbLb0EES1B_EEDaS16_S17_EUlS16_E_NS1_11comp_targetILNS1_3genE9ELNS1_11target_archE1100ELNS1_3gpuE3ELNS1_3repE0EEENS1_30default_config_static_selectorELNS0_4arch9wavefront6targetE0EEEvT1_.private_seg_size, 0
	.set _ZN7rocprim17ROCPRIM_400000_NS6detail17trampoline_kernelINS0_14default_configENS1_25partition_config_selectorILNS1_17partition_subalgoE5ElNS0_10empty_typeEbEEZZNS1_14partition_implILS5_5ELb0ES3_mN6hipcub16HIPCUB_304000_NS21CountingInputIteratorIllEEPS6_NSA_22TransformInputIteratorIbN2at6native12_GLOBAL__N_19NonZeroOpIsEEPKslEENS0_5tupleIJPlS6_EEENSN_IJSD_SD_EEES6_PiJS6_EEE10hipError_tPvRmT3_T4_T5_T6_T7_T9_mT8_P12ihipStream_tbDpT10_ENKUlT_T0_E_clISt17integral_constantIbLb0EES1B_EEDaS16_S17_EUlS16_E_NS1_11comp_targetILNS1_3genE9ELNS1_11target_archE1100ELNS1_3gpuE3ELNS1_3repE0EEENS1_30default_config_static_selectorELNS0_4arch9wavefront6targetE0EEEvT1_.uses_vcc, 0
	.set _ZN7rocprim17ROCPRIM_400000_NS6detail17trampoline_kernelINS0_14default_configENS1_25partition_config_selectorILNS1_17partition_subalgoE5ElNS0_10empty_typeEbEEZZNS1_14partition_implILS5_5ELb0ES3_mN6hipcub16HIPCUB_304000_NS21CountingInputIteratorIllEEPS6_NSA_22TransformInputIteratorIbN2at6native12_GLOBAL__N_19NonZeroOpIsEEPKslEENS0_5tupleIJPlS6_EEENSN_IJSD_SD_EEES6_PiJS6_EEE10hipError_tPvRmT3_T4_T5_T6_T7_T9_mT8_P12ihipStream_tbDpT10_ENKUlT_T0_E_clISt17integral_constantIbLb0EES1B_EEDaS16_S17_EUlS16_E_NS1_11comp_targetILNS1_3genE9ELNS1_11target_archE1100ELNS1_3gpuE3ELNS1_3repE0EEENS1_30default_config_static_selectorELNS0_4arch9wavefront6targetE0EEEvT1_.uses_flat_scratch, 0
	.set _ZN7rocprim17ROCPRIM_400000_NS6detail17trampoline_kernelINS0_14default_configENS1_25partition_config_selectorILNS1_17partition_subalgoE5ElNS0_10empty_typeEbEEZZNS1_14partition_implILS5_5ELb0ES3_mN6hipcub16HIPCUB_304000_NS21CountingInputIteratorIllEEPS6_NSA_22TransformInputIteratorIbN2at6native12_GLOBAL__N_19NonZeroOpIsEEPKslEENS0_5tupleIJPlS6_EEENSN_IJSD_SD_EEES6_PiJS6_EEE10hipError_tPvRmT3_T4_T5_T6_T7_T9_mT8_P12ihipStream_tbDpT10_ENKUlT_T0_E_clISt17integral_constantIbLb0EES1B_EEDaS16_S17_EUlS16_E_NS1_11comp_targetILNS1_3genE9ELNS1_11target_archE1100ELNS1_3gpuE3ELNS1_3repE0EEENS1_30default_config_static_selectorELNS0_4arch9wavefront6targetE0EEEvT1_.has_dyn_sized_stack, 0
	.set _ZN7rocprim17ROCPRIM_400000_NS6detail17trampoline_kernelINS0_14default_configENS1_25partition_config_selectorILNS1_17partition_subalgoE5ElNS0_10empty_typeEbEEZZNS1_14partition_implILS5_5ELb0ES3_mN6hipcub16HIPCUB_304000_NS21CountingInputIteratorIllEEPS6_NSA_22TransformInputIteratorIbN2at6native12_GLOBAL__N_19NonZeroOpIsEEPKslEENS0_5tupleIJPlS6_EEENSN_IJSD_SD_EEES6_PiJS6_EEE10hipError_tPvRmT3_T4_T5_T6_T7_T9_mT8_P12ihipStream_tbDpT10_ENKUlT_T0_E_clISt17integral_constantIbLb0EES1B_EEDaS16_S17_EUlS16_E_NS1_11comp_targetILNS1_3genE9ELNS1_11target_archE1100ELNS1_3gpuE3ELNS1_3repE0EEENS1_30default_config_static_selectorELNS0_4arch9wavefront6targetE0EEEvT1_.has_recursion, 0
	.set _ZN7rocprim17ROCPRIM_400000_NS6detail17trampoline_kernelINS0_14default_configENS1_25partition_config_selectorILNS1_17partition_subalgoE5ElNS0_10empty_typeEbEEZZNS1_14partition_implILS5_5ELb0ES3_mN6hipcub16HIPCUB_304000_NS21CountingInputIteratorIllEEPS6_NSA_22TransformInputIteratorIbN2at6native12_GLOBAL__N_19NonZeroOpIsEEPKslEENS0_5tupleIJPlS6_EEENSN_IJSD_SD_EEES6_PiJS6_EEE10hipError_tPvRmT3_T4_T5_T6_T7_T9_mT8_P12ihipStream_tbDpT10_ENKUlT_T0_E_clISt17integral_constantIbLb0EES1B_EEDaS16_S17_EUlS16_E_NS1_11comp_targetILNS1_3genE9ELNS1_11target_archE1100ELNS1_3gpuE3ELNS1_3repE0EEENS1_30default_config_static_selectorELNS0_4arch9wavefront6targetE0EEEvT1_.has_indirect_call, 0
	.section	.AMDGPU.csdata,"",@progbits
; Kernel info:
; codeLenInByte = 0
; TotalNumSgprs: 0
; NumVgprs: 0
; ScratchSize: 0
; MemoryBound: 0
; FloatMode: 240
; IeeeMode: 1
; LDSByteSize: 0 bytes/workgroup (compile time only)
; SGPRBlocks: 0
; VGPRBlocks: 0
; NumSGPRsForWavesPerEU: 1
; NumVGPRsForWavesPerEU: 1
; Occupancy: 16
; WaveLimiterHint : 0
; COMPUTE_PGM_RSRC2:SCRATCH_EN: 0
; COMPUTE_PGM_RSRC2:USER_SGPR: 2
; COMPUTE_PGM_RSRC2:TRAP_HANDLER: 0
; COMPUTE_PGM_RSRC2:TGID_X_EN: 1
; COMPUTE_PGM_RSRC2:TGID_Y_EN: 0
; COMPUTE_PGM_RSRC2:TGID_Z_EN: 0
; COMPUTE_PGM_RSRC2:TIDIG_COMP_CNT: 0
	.section	.text._ZN7rocprim17ROCPRIM_400000_NS6detail17trampoline_kernelINS0_14default_configENS1_25partition_config_selectorILNS1_17partition_subalgoE5ElNS0_10empty_typeEbEEZZNS1_14partition_implILS5_5ELb0ES3_mN6hipcub16HIPCUB_304000_NS21CountingInputIteratorIllEEPS6_NSA_22TransformInputIteratorIbN2at6native12_GLOBAL__N_19NonZeroOpIsEEPKslEENS0_5tupleIJPlS6_EEENSN_IJSD_SD_EEES6_PiJS6_EEE10hipError_tPvRmT3_T4_T5_T6_T7_T9_mT8_P12ihipStream_tbDpT10_ENKUlT_T0_E_clISt17integral_constantIbLb0EES1B_EEDaS16_S17_EUlS16_E_NS1_11comp_targetILNS1_3genE8ELNS1_11target_archE1030ELNS1_3gpuE2ELNS1_3repE0EEENS1_30default_config_static_selectorELNS0_4arch9wavefront6targetE0EEEvT1_,"axG",@progbits,_ZN7rocprim17ROCPRIM_400000_NS6detail17trampoline_kernelINS0_14default_configENS1_25partition_config_selectorILNS1_17partition_subalgoE5ElNS0_10empty_typeEbEEZZNS1_14partition_implILS5_5ELb0ES3_mN6hipcub16HIPCUB_304000_NS21CountingInputIteratorIllEEPS6_NSA_22TransformInputIteratorIbN2at6native12_GLOBAL__N_19NonZeroOpIsEEPKslEENS0_5tupleIJPlS6_EEENSN_IJSD_SD_EEES6_PiJS6_EEE10hipError_tPvRmT3_T4_T5_T6_T7_T9_mT8_P12ihipStream_tbDpT10_ENKUlT_T0_E_clISt17integral_constantIbLb0EES1B_EEDaS16_S17_EUlS16_E_NS1_11comp_targetILNS1_3genE8ELNS1_11target_archE1030ELNS1_3gpuE2ELNS1_3repE0EEENS1_30default_config_static_selectorELNS0_4arch9wavefront6targetE0EEEvT1_,comdat
	.globl	_ZN7rocprim17ROCPRIM_400000_NS6detail17trampoline_kernelINS0_14default_configENS1_25partition_config_selectorILNS1_17partition_subalgoE5ElNS0_10empty_typeEbEEZZNS1_14partition_implILS5_5ELb0ES3_mN6hipcub16HIPCUB_304000_NS21CountingInputIteratorIllEEPS6_NSA_22TransformInputIteratorIbN2at6native12_GLOBAL__N_19NonZeroOpIsEEPKslEENS0_5tupleIJPlS6_EEENSN_IJSD_SD_EEES6_PiJS6_EEE10hipError_tPvRmT3_T4_T5_T6_T7_T9_mT8_P12ihipStream_tbDpT10_ENKUlT_T0_E_clISt17integral_constantIbLb0EES1B_EEDaS16_S17_EUlS16_E_NS1_11comp_targetILNS1_3genE8ELNS1_11target_archE1030ELNS1_3gpuE2ELNS1_3repE0EEENS1_30default_config_static_selectorELNS0_4arch9wavefront6targetE0EEEvT1_ ; -- Begin function _ZN7rocprim17ROCPRIM_400000_NS6detail17trampoline_kernelINS0_14default_configENS1_25partition_config_selectorILNS1_17partition_subalgoE5ElNS0_10empty_typeEbEEZZNS1_14partition_implILS5_5ELb0ES3_mN6hipcub16HIPCUB_304000_NS21CountingInputIteratorIllEEPS6_NSA_22TransformInputIteratorIbN2at6native12_GLOBAL__N_19NonZeroOpIsEEPKslEENS0_5tupleIJPlS6_EEENSN_IJSD_SD_EEES6_PiJS6_EEE10hipError_tPvRmT3_T4_T5_T6_T7_T9_mT8_P12ihipStream_tbDpT10_ENKUlT_T0_E_clISt17integral_constantIbLb0EES1B_EEDaS16_S17_EUlS16_E_NS1_11comp_targetILNS1_3genE8ELNS1_11target_archE1030ELNS1_3gpuE2ELNS1_3repE0EEENS1_30default_config_static_selectorELNS0_4arch9wavefront6targetE0EEEvT1_
	.p2align	8
	.type	_ZN7rocprim17ROCPRIM_400000_NS6detail17trampoline_kernelINS0_14default_configENS1_25partition_config_selectorILNS1_17partition_subalgoE5ElNS0_10empty_typeEbEEZZNS1_14partition_implILS5_5ELb0ES3_mN6hipcub16HIPCUB_304000_NS21CountingInputIteratorIllEEPS6_NSA_22TransformInputIteratorIbN2at6native12_GLOBAL__N_19NonZeroOpIsEEPKslEENS0_5tupleIJPlS6_EEENSN_IJSD_SD_EEES6_PiJS6_EEE10hipError_tPvRmT3_T4_T5_T6_T7_T9_mT8_P12ihipStream_tbDpT10_ENKUlT_T0_E_clISt17integral_constantIbLb0EES1B_EEDaS16_S17_EUlS16_E_NS1_11comp_targetILNS1_3genE8ELNS1_11target_archE1030ELNS1_3gpuE2ELNS1_3repE0EEENS1_30default_config_static_selectorELNS0_4arch9wavefront6targetE0EEEvT1_,@function
_ZN7rocprim17ROCPRIM_400000_NS6detail17trampoline_kernelINS0_14default_configENS1_25partition_config_selectorILNS1_17partition_subalgoE5ElNS0_10empty_typeEbEEZZNS1_14partition_implILS5_5ELb0ES3_mN6hipcub16HIPCUB_304000_NS21CountingInputIteratorIllEEPS6_NSA_22TransformInputIteratorIbN2at6native12_GLOBAL__N_19NonZeroOpIsEEPKslEENS0_5tupleIJPlS6_EEENSN_IJSD_SD_EEES6_PiJS6_EEE10hipError_tPvRmT3_T4_T5_T6_T7_T9_mT8_P12ihipStream_tbDpT10_ENKUlT_T0_E_clISt17integral_constantIbLb0EES1B_EEDaS16_S17_EUlS16_E_NS1_11comp_targetILNS1_3genE8ELNS1_11target_archE1030ELNS1_3gpuE2ELNS1_3repE0EEENS1_30default_config_static_selectorELNS0_4arch9wavefront6targetE0EEEvT1_: ; @_ZN7rocprim17ROCPRIM_400000_NS6detail17trampoline_kernelINS0_14default_configENS1_25partition_config_selectorILNS1_17partition_subalgoE5ElNS0_10empty_typeEbEEZZNS1_14partition_implILS5_5ELb0ES3_mN6hipcub16HIPCUB_304000_NS21CountingInputIteratorIllEEPS6_NSA_22TransformInputIteratorIbN2at6native12_GLOBAL__N_19NonZeroOpIsEEPKslEENS0_5tupleIJPlS6_EEENSN_IJSD_SD_EEES6_PiJS6_EEE10hipError_tPvRmT3_T4_T5_T6_T7_T9_mT8_P12ihipStream_tbDpT10_ENKUlT_T0_E_clISt17integral_constantIbLb0EES1B_EEDaS16_S17_EUlS16_E_NS1_11comp_targetILNS1_3genE8ELNS1_11target_archE1030ELNS1_3gpuE2ELNS1_3repE0EEENS1_30default_config_static_selectorELNS0_4arch9wavefront6targetE0EEEvT1_
; %bb.0:
	.section	.rodata,"a",@progbits
	.p2align	6, 0x0
	.amdhsa_kernel _ZN7rocprim17ROCPRIM_400000_NS6detail17trampoline_kernelINS0_14default_configENS1_25partition_config_selectorILNS1_17partition_subalgoE5ElNS0_10empty_typeEbEEZZNS1_14partition_implILS5_5ELb0ES3_mN6hipcub16HIPCUB_304000_NS21CountingInputIteratorIllEEPS6_NSA_22TransformInputIteratorIbN2at6native12_GLOBAL__N_19NonZeroOpIsEEPKslEENS0_5tupleIJPlS6_EEENSN_IJSD_SD_EEES6_PiJS6_EEE10hipError_tPvRmT3_T4_T5_T6_T7_T9_mT8_P12ihipStream_tbDpT10_ENKUlT_T0_E_clISt17integral_constantIbLb0EES1B_EEDaS16_S17_EUlS16_E_NS1_11comp_targetILNS1_3genE8ELNS1_11target_archE1030ELNS1_3gpuE2ELNS1_3repE0EEENS1_30default_config_static_selectorELNS0_4arch9wavefront6targetE0EEEvT1_
		.amdhsa_group_segment_fixed_size 0
		.amdhsa_private_segment_fixed_size 0
		.amdhsa_kernarg_size 120
		.amdhsa_user_sgpr_count 2
		.amdhsa_user_sgpr_dispatch_ptr 0
		.amdhsa_user_sgpr_queue_ptr 0
		.amdhsa_user_sgpr_kernarg_segment_ptr 1
		.amdhsa_user_sgpr_dispatch_id 0
		.amdhsa_user_sgpr_private_segment_size 0
		.amdhsa_wavefront_size32 1
		.amdhsa_uses_dynamic_stack 0
		.amdhsa_enable_private_segment 0
		.amdhsa_system_sgpr_workgroup_id_x 1
		.amdhsa_system_sgpr_workgroup_id_y 0
		.amdhsa_system_sgpr_workgroup_id_z 0
		.amdhsa_system_sgpr_workgroup_info 0
		.amdhsa_system_vgpr_workitem_id 0
		.amdhsa_next_free_vgpr 1
		.amdhsa_next_free_sgpr 1
		.amdhsa_reserve_vcc 0
		.amdhsa_float_round_mode_32 0
		.amdhsa_float_round_mode_16_64 0
		.amdhsa_float_denorm_mode_32 3
		.amdhsa_float_denorm_mode_16_64 3
		.amdhsa_fp16_overflow 0
		.amdhsa_workgroup_processor_mode 1
		.amdhsa_memory_ordered 1
		.amdhsa_forward_progress 1
		.amdhsa_inst_pref_size 0
		.amdhsa_round_robin_scheduling 0
		.amdhsa_exception_fp_ieee_invalid_op 0
		.amdhsa_exception_fp_denorm_src 0
		.amdhsa_exception_fp_ieee_div_zero 0
		.amdhsa_exception_fp_ieee_overflow 0
		.amdhsa_exception_fp_ieee_underflow 0
		.amdhsa_exception_fp_ieee_inexact 0
		.amdhsa_exception_int_div_zero 0
	.end_amdhsa_kernel
	.section	.text._ZN7rocprim17ROCPRIM_400000_NS6detail17trampoline_kernelINS0_14default_configENS1_25partition_config_selectorILNS1_17partition_subalgoE5ElNS0_10empty_typeEbEEZZNS1_14partition_implILS5_5ELb0ES3_mN6hipcub16HIPCUB_304000_NS21CountingInputIteratorIllEEPS6_NSA_22TransformInputIteratorIbN2at6native12_GLOBAL__N_19NonZeroOpIsEEPKslEENS0_5tupleIJPlS6_EEENSN_IJSD_SD_EEES6_PiJS6_EEE10hipError_tPvRmT3_T4_T5_T6_T7_T9_mT8_P12ihipStream_tbDpT10_ENKUlT_T0_E_clISt17integral_constantIbLb0EES1B_EEDaS16_S17_EUlS16_E_NS1_11comp_targetILNS1_3genE8ELNS1_11target_archE1030ELNS1_3gpuE2ELNS1_3repE0EEENS1_30default_config_static_selectorELNS0_4arch9wavefront6targetE0EEEvT1_,"axG",@progbits,_ZN7rocprim17ROCPRIM_400000_NS6detail17trampoline_kernelINS0_14default_configENS1_25partition_config_selectorILNS1_17partition_subalgoE5ElNS0_10empty_typeEbEEZZNS1_14partition_implILS5_5ELb0ES3_mN6hipcub16HIPCUB_304000_NS21CountingInputIteratorIllEEPS6_NSA_22TransformInputIteratorIbN2at6native12_GLOBAL__N_19NonZeroOpIsEEPKslEENS0_5tupleIJPlS6_EEENSN_IJSD_SD_EEES6_PiJS6_EEE10hipError_tPvRmT3_T4_T5_T6_T7_T9_mT8_P12ihipStream_tbDpT10_ENKUlT_T0_E_clISt17integral_constantIbLb0EES1B_EEDaS16_S17_EUlS16_E_NS1_11comp_targetILNS1_3genE8ELNS1_11target_archE1030ELNS1_3gpuE2ELNS1_3repE0EEENS1_30default_config_static_selectorELNS0_4arch9wavefront6targetE0EEEvT1_,comdat
.Lfunc_end329:
	.size	_ZN7rocprim17ROCPRIM_400000_NS6detail17trampoline_kernelINS0_14default_configENS1_25partition_config_selectorILNS1_17partition_subalgoE5ElNS0_10empty_typeEbEEZZNS1_14partition_implILS5_5ELb0ES3_mN6hipcub16HIPCUB_304000_NS21CountingInputIteratorIllEEPS6_NSA_22TransformInputIteratorIbN2at6native12_GLOBAL__N_19NonZeroOpIsEEPKslEENS0_5tupleIJPlS6_EEENSN_IJSD_SD_EEES6_PiJS6_EEE10hipError_tPvRmT3_T4_T5_T6_T7_T9_mT8_P12ihipStream_tbDpT10_ENKUlT_T0_E_clISt17integral_constantIbLb0EES1B_EEDaS16_S17_EUlS16_E_NS1_11comp_targetILNS1_3genE8ELNS1_11target_archE1030ELNS1_3gpuE2ELNS1_3repE0EEENS1_30default_config_static_selectorELNS0_4arch9wavefront6targetE0EEEvT1_, .Lfunc_end329-_ZN7rocprim17ROCPRIM_400000_NS6detail17trampoline_kernelINS0_14default_configENS1_25partition_config_selectorILNS1_17partition_subalgoE5ElNS0_10empty_typeEbEEZZNS1_14partition_implILS5_5ELb0ES3_mN6hipcub16HIPCUB_304000_NS21CountingInputIteratorIllEEPS6_NSA_22TransformInputIteratorIbN2at6native12_GLOBAL__N_19NonZeroOpIsEEPKslEENS0_5tupleIJPlS6_EEENSN_IJSD_SD_EEES6_PiJS6_EEE10hipError_tPvRmT3_T4_T5_T6_T7_T9_mT8_P12ihipStream_tbDpT10_ENKUlT_T0_E_clISt17integral_constantIbLb0EES1B_EEDaS16_S17_EUlS16_E_NS1_11comp_targetILNS1_3genE8ELNS1_11target_archE1030ELNS1_3gpuE2ELNS1_3repE0EEENS1_30default_config_static_selectorELNS0_4arch9wavefront6targetE0EEEvT1_
                                        ; -- End function
	.set _ZN7rocprim17ROCPRIM_400000_NS6detail17trampoline_kernelINS0_14default_configENS1_25partition_config_selectorILNS1_17partition_subalgoE5ElNS0_10empty_typeEbEEZZNS1_14partition_implILS5_5ELb0ES3_mN6hipcub16HIPCUB_304000_NS21CountingInputIteratorIllEEPS6_NSA_22TransformInputIteratorIbN2at6native12_GLOBAL__N_19NonZeroOpIsEEPKslEENS0_5tupleIJPlS6_EEENSN_IJSD_SD_EEES6_PiJS6_EEE10hipError_tPvRmT3_T4_T5_T6_T7_T9_mT8_P12ihipStream_tbDpT10_ENKUlT_T0_E_clISt17integral_constantIbLb0EES1B_EEDaS16_S17_EUlS16_E_NS1_11comp_targetILNS1_3genE8ELNS1_11target_archE1030ELNS1_3gpuE2ELNS1_3repE0EEENS1_30default_config_static_selectorELNS0_4arch9wavefront6targetE0EEEvT1_.num_vgpr, 0
	.set _ZN7rocprim17ROCPRIM_400000_NS6detail17trampoline_kernelINS0_14default_configENS1_25partition_config_selectorILNS1_17partition_subalgoE5ElNS0_10empty_typeEbEEZZNS1_14partition_implILS5_5ELb0ES3_mN6hipcub16HIPCUB_304000_NS21CountingInputIteratorIllEEPS6_NSA_22TransformInputIteratorIbN2at6native12_GLOBAL__N_19NonZeroOpIsEEPKslEENS0_5tupleIJPlS6_EEENSN_IJSD_SD_EEES6_PiJS6_EEE10hipError_tPvRmT3_T4_T5_T6_T7_T9_mT8_P12ihipStream_tbDpT10_ENKUlT_T0_E_clISt17integral_constantIbLb0EES1B_EEDaS16_S17_EUlS16_E_NS1_11comp_targetILNS1_3genE8ELNS1_11target_archE1030ELNS1_3gpuE2ELNS1_3repE0EEENS1_30default_config_static_selectorELNS0_4arch9wavefront6targetE0EEEvT1_.num_agpr, 0
	.set _ZN7rocprim17ROCPRIM_400000_NS6detail17trampoline_kernelINS0_14default_configENS1_25partition_config_selectorILNS1_17partition_subalgoE5ElNS0_10empty_typeEbEEZZNS1_14partition_implILS5_5ELb0ES3_mN6hipcub16HIPCUB_304000_NS21CountingInputIteratorIllEEPS6_NSA_22TransformInputIteratorIbN2at6native12_GLOBAL__N_19NonZeroOpIsEEPKslEENS0_5tupleIJPlS6_EEENSN_IJSD_SD_EEES6_PiJS6_EEE10hipError_tPvRmT3_T4_T5_T6_T7_T9_mT8_P12ihipStream_tbDpT10_ENKUlT_T0_E_clISt17integral_constantIbLb0EES1B_EEDaS16_S17_EUlS16_E_NS1_11comp_targetILNS1_3genE8ELNS1_11target_archE1030ELNS1_3gpuE2ELNS1_3repE0EEENS1_30default_config_static_selectorELNS0_4arch9wavefront6targetE0EEEvT1_.numbered_sgpr, 0
	.set _ZN7rocprim17ROCPRIM_400000_NS6detail17trampoline_kernelINS0_14default_configENS1_25partition_config_selectorILNS1_17partition_subalgoE5ElNS0_10empty_typeEbEEZZNS1_14partition_implILS5_5ELb0ES3_mN6hipcub16HIPCUB_304000_NS21CountingInputIteratorIllEEPS6_NSA_22TransformInputIteratorIbN2at6native12_GLOBAL__N_19NonZeroOpIsEEPKslEENS0_5tupleIJPlS6_EEENSN_IJSD_SD_EEES6_PiJS6_EEE10hipError_tPvRmT3_T4_T5_T6_T7_T9_mT8_P12ihipStream_tbDpT10_ENKUlT_T0_E_clISt17integral_constantIbLb0EES1B_EEDaS16_S17_EUlS16_E_NS1_11comp_targetILNS1_3genE8ELNS1_11target_archE1030ELNS1_3gpuE2ELNS1_3repE0EEENS1_30default_config_static_selectorELNS0_4arch9wavefront6targetE0EEEvT1_.num_named_barrier, 0
	.set _ZN7rocprim17ROCPRIM_400000_NS6detail17trampoline_kernelINS0_14default_configENS1_25partition_config_selectorILNS1_17partition_subalgoE5ElNS0_10empty_typeEbEEZZNS1_14partition_implILS5_5ELb0ES3_mN6hipcub16HIPCUB_304000_NS21CountingInputIteratorIllEEPS6_NSA_22TransformInputIteratorIbN2at6native12_GLOBAL__N_19NonZeroOpIsEEPKslEENS0_5tupleIJPlS6_EEENSN_IJSD_SD_EEES6_PiJS6_EEE10hipError_tPvRmT3_T4_T5_T6_T7_T9_mT8_P12ihipStream_tbDpT10_ENKUlT_T0_E_clISt17integral_constantIbLb0EES1B_EEDaS16_S17_EUlS16_E_NS1_11comp_targetILNS1_3genE8ELNS1_11target_archE1030ELNS1_3gpuE2ELNS1_3repE0EEENS1_30default_config_static_selectorELNS0_4arch9wavefront6targetE0EEEvT1_.private_seg_size, 0
	.set _ZN7rocprim17ROCPRIM_400000_NS6detail17trampoline_kernelINS0_14default_configENS1_25partition_config_selectorILNS1_17partition_subalgoE5ElNS0_10empty_typeEbEEZZNS1_14partition_implILS5_5ELb0ES3_mN6hipcub16HIPCUB_304000_NS21CountingInputIteratorIllEEPS6_NSA_22TransformInputIteratorIbN2at6native12_GLOBAL__N_19NonZeroOpIsEEPKslEENS0_5tupleIJPlS6_EEENSN_IJSD_SD_EEES6_PiJS6_EEE10hipError_tPvRmT3_T4_T5_T6_T7_T9_mT8_P12ihipStream_tbDpT10_ENKUlT_T0_E_clISt17integral_constantIbLb0EES1B_EEDaS16_S17_EUlS16_E_NS1_11comp_targetILNS1_3genE8ELNS1_11target_archE1030ELNS1_3gpuE2ELNS1_3repE0EEENS1_30default_config_static_selectorELNS0_4arch9wavefront6targetE0EEEvT1_.uses_vcc, 0
	.set _ZN7rocprim17ROCPRIM_400000_NS6detail17trampoline_kernelINS0_14default_configENS1_25partition_config_selectorILNS1_17partition_subalgoE5ElNS0_10empty_typeEbEEZZNS1_14partition_implILS5_5ELb0ES3_mN6hipcub16HIPCUB_304000_NS21CountingInputIteratorIllEEPS6_NSA_22TransformInputIteratorIbN2at6native12_GLOBAL__N_19NonZeroOpIsEEPKslEENS0_5tupleIJPlS6_EEENSN_IJSD_SD_EEES6_PiJS6_EEE10hipError_tPvRmT3_T4_T5_T6_T7_T9_mT8_P12ihipStream_tbDpT10_ENKUlT_T0_E_clISt17integral_constantIbLb0EES1B_EEDaS16_S17_EUlS16_E_NS1_11comp_targetILNS1_3genE8ELNS1_11target_archE1030ELNS1_3gpuE2ELNS1_3repE0EEENS1_30default_config_static_selectorELNS0_4arch9wavefront6targetE0EEEvT1_.uses_flat_scratch, 0
	.set _ZN7rocprim17ROCPRIM_400000_NS6detail17trampoline_kernelINS0_14default_configENS1_25partition_config_selectorILNS1_17partition_subalgoE5ElNS0_10empty_typeEbEEZZNS1_14partition_implILS5_5ELb0ES3_mN6hipcub16HIPCUB_304000_NS21CountingInputIteratorIllEEPS6_NSA_22TransformInputIteratorIbN2at6native12_GLOBAL__N_19NonZeroOpIsEEPKslEENS0_5tupleIJPlS6_EEENSN_IJSD_SD_EEES6_PiJS6_EEE10hipError_tPvRmT3_T4_T5_T6_T7_T9_mT8_P12ihipStream_tbDpT10_ENKUlT_T0_E_clISt17integral_constantIbLb0EES1B_EEDaS16_S17_EUlS16_E_NS1_11comp_targetILNS1_3genE8ELNS1_11target_archE1030ELNS1_3gpuE2ELNS1_3repE0EEENS1_30default_config_static_selectorELNS0_4arch9wavefront6targetE0EEEvT1_.has_dyn_sized_stack, 0
	.set _ZN7rocprim17ROCPRIM_400000_NS6detail17trampoline_kernelINS0_14default_configENS1_25partition_config_selectorILNS1_17partition_subalgoE5ElNS0_10empty_typeEbEEZZNS1_14partition_implILS5_5ELb0ES3_mN6hipcub16HIPCUB_304000_NS21CountingInputIteratorIllEEPS6_NSA_22TransformInputIteratorIbN2at6native12_GLOBAL__N_19NonZeroOpIsEEPKslEENS0_5tupleIJPlS6_EEENSN_IJSD_SD_EEES6_PiJS6_EEE10hipError_tPvRmT3_T4_T5_T6_T7_T9_mT8_P12ihipStream_tbDpT10_ENKUlT_T0_E_clISt17integral_constantIbLb0EES1B_EEDaS16_S17_EUlS16_E_NS1_11comp_targetILNS1_3genE8ELNS1_11target_archE1030ELNS1_3gpuE2ELNS1_3repE0EEENS1_30default_config_static_selectorELNS0_4arch9wavefront6targetE0EEEvT1_.has_recursion, 0
	.set _ZN7rocprim17ROCPRIM_400000_NS6detail17trampoline_kernelINS0_14default_configENS1_25partition_config_selectorILNS1_17partition_subalgoE5ElNS0_10empty_typeEbEEZZNS1_14partition_implILS5_5ELb0ES3_mN6hipcub16HIPCUB_304000_NS21CountingInputIteratorIllEEPS6_NSA_22TransformInputIteratorIbN2at6native12_GLOBAL__N_19NonZeroOpIsEEPKslEENS0_5tupleIJPlS6_EEENSN_IJSD_SD_EEES6_PiJS6_EEE10hipError_tPvRmT3_T4_T5_T6_T7_T9_mT8_P12ihipStream_tbDpT10_ENKUlT_T0_E_clISt17integral_constantIbLb0EES1B_EEDaS16_S17_EUlS16_E_NS1_11comp_targetILNS1_3genE8ELNS1_11target_archE1030ELNS1_3gpuE2ELNS1_3repE0EEENS1_30default_config_static_selectorELNS0_4arch9wavefront6targetE0EEEvT1_.has_indirect_call, 0
	.section	.AMDGPU.csdata,"",@progbits
; Kernel info:
; codeLenInByte = 0
; TotalNumSgprs: 0
; NumVgprs: 0
; ScratchSize: 0
; MemoryBound: 0
; FloatMode: 240
; IeeeMode: 1
; LDSByteSize: 0 bytes/workgroup (compile time only)
; SGPRBlocks: 0
; VGPRBlocks: 0
; NumSGPRsForWavesPerEU: 1
; NumVGPRsForWavesPerEU: 1
; Occupancy: 16
; WaveLimiterHint : 0
; COMPUTE_PGM_RSRC2:SCRATCH_EN: 0
; COMPUTE_PGM_RSRC2:USER_SGPR: 2
; COMPUTE_PGM_RSRC2:TRAP_HANDLER: 0
; COMPUTE_PGM_RSRC2:TGID_X_EN: 1
; COMPUTE_PGM_RSRC2:TGID_Y_EN: 0
; COMPUTE_PGM_RSRC2:TGID_Z_EN: 0
; COMPUTE_PGM_RSRC2:TIDIG_COMP_CNT: 0
	.section	.text._ZN7rocprim17ROCPRIM_400000_NS6detail17trampoline_kernelINS0_14default_configENS1_25partition_config_selectorILNS1_17partition_subalgoE5ElNS0_10empty_typeEbEEZZNS1_14partition_implILS5_5ELb0ES3_mN6hipcub16HIPCUB_304000_NS21CountingInputIteratorIllEEPS6_NSA_22TransformInputIteratorIbN2at6native12_GLOBAL__N_19NonZeroOpIsEEPKslEENS0_5tupleIJPlS6_EEENSN_IJSD_SD_EEES6_PiJS6_EEE10hipError_tPvRmT3_T4_T5_T6_T7_T9_mT8_P12ihipStream_tbDpT10_ENKUlT_T0_E_clISt17integral_constantIbLb1EES1B_EEDaS16_S17_EUlS16_E_NS1_11comp_targetILNS1_3genE0ELNS1_11target_archE4294967295ELNS1_3gpuE0ELNS1_3repE0EEENS1_30default_config_static_selectorELNS0_4arch9wavefront6targetE0EEEvT1_,"axG",@progbits,_ZN7rocprim17ROCPRIM_400000_NS6detail17trampoline_kernelINS0_14default_configENS1_25partition_config_selectorILNS1_17partition_subalgoE5ElNS0_10empty_typeEbEEZZNS1_14partition_implILS5_5ELb0ES3_mN6hipcub16HIPCUB_304000_NS21CountingInputIteratorIllEEPS6_NSA_22TransformInputIteratorIbN2at6native12_GLOBAL__N_19NonZeroOpIsEEPKslEENS0_5tupleIJPlS6_EEENSN_IJSD_SD_EEES6_PiJS6_EEE10hipError_tPvRmT3_T4_T5_T6_T7_T9_mT8_P12ihipStream_tbDpT10_ENKUlT_T0_E_clISt17integral_constantIbLb1EES1B_EEDaS16_S17_EUlS16_E_NS1_11comp_targetILNS1_3genE0ELNS1_11target_archE4294967295ELNS1_3gpuE0ELNS1_3repE0EEENS1_30default_config_static_selectorELNS0_4arch9wavefront6targetE0EEEvT1_,comdat
	.globl	_ZN7rocprim17ROCPRIM_400000_NS6detail17trampoline_kernelINS0_14default_configENS1_25partition_config_selectorILNS1_17partition_subalgoE5ElNS0_10empty_typeEbEEZZNS1_14partition_implILS5_5ELb0ES3_mN6hipcub16HIPCUB_304000_NS21CountingInputIteratorIllEEPS6_NSA_22TransformInputIteratorIbN2at6native12_GLOBAL__N_19NonZeroOpIsEEPKslEENS0_5tupleIJPlS6_EEENSN_IJSD_SD_EEES6_PiJS6_EEE10hipError_tPvRmT3_T4_T5_T6_T7_T9_mT8_P12ihipStream_tbDpT10_ENKUlT_T0_E_clISt17integral_constantIbLb1EES1B_EEDaS16_S17_EUlS16_E_NS1_11comp_targetILNS1_3genE0ELNS1_11target_archE4294967295ELNS1_3gpuE0ELNS1_3repE0EEENS1_30default_config_static_selectorELNS0_4arch9wavefront6targetE0EEEvT1_ ; -- Begin function _ZN7rocprim17ROCPRIM_400000_NS6detail17trampoline_kernelINS0_14default_configENS1_25partition_config_selectorILNS1_17partition_subalgoE5ElNS0_10empty_typeEbEEZZNS1_14partition_implILS5_5ELb0ES3_mN6hipcub16HIPCUB_304000_NS21CountingInputIteratorIllEEPS6_NSA_22TransformInputIteratorIbN2at6native12_GLOBAL__N_19NonZeroOpIsEEPKslEENS0_5tupleIJPlS6_EEENSN_IJSD_SD_EEES6_PiJS6_EEE10hipError_tPvRmT3_T4_T5_T6_T7_T9_mT8_P12ihipStream_tbDpT10_ENKUlT_T0_E_clISt17integral_constantIbLb1EES1B_EEDaS16_S17_EUlS16_E_NS1_11comp_targetILNS1_3genE0ELNS1_11target_archE4294967295ELNS1_3gpuE0ELNS1_3repE0EEENS1_30default_config_static_selectorELNS0_4arch9wavefront6targetE0EEEvT1_
	.p2align	8
	.type	_ZN7rocprim17ROCPRIM_400000_NS6detail17trampoline_kernelINS0_14default_configENS1_25partition_config_selectorILNS1_17partition_subalgoE5ElNS0_10empty_typeEbEEZZNS1_14partition_implILS5_5ELb0ES3_mN6hipcub16HIPCUB_304000_NS21CountingInputIteratorIllEEPS6_NSA_22TransformInputIteratorIbN2at6native12_GLOBAL__N_19NonZeroOpIsEEPKslEENS0_5tupleIJPlS6_EEENSN_IJSD_SD_EEES6_PiJS6_EEE10hipError_tPvRmT3_T4_T5_T6_T7_T9_mT8_P12ihipStream_tbDpT10_ENKUlT_T0_E_clISt17integral_constantIbLb1EES1B_EEDaS16_S17_EUlS16_E_NS1_11comp_targetILNS1_3genE0ELNS1_11target_archE4294967295ELNS1_3gpuE0ELNS1_3repE0EEENS1_30default_config_static_selectorELNS0_4arch9wavefront6targetE0EEEvT1_,@function
_ZN7rocprim17ROCPRIM_400000_NS6detail17trampoline_kernelINS0_14default_configENS1_25partition_config_selectorILNS1_17partition_subalgoE5ElNS0_10empty_typeEbEEZZNS1_14partition_implILS5_5ELb0ES3_mN6hipcub16HIPCUB_304000_NS21CountingInputIteratorIllEEPS6_NSA_22TransformInputIteratorIbN2at6native12_GLOBAL__N_19NonZeroOpIsEEPKslEENS0_5tupleIJPlS6_EEENSN_IJSD_SD_EEES6_PiJS6_EEE10hipError_tPvRmT3_T4_T5_T6_T7_T9_mT8_P12ihipStream_tbDpT10_ENKUlT_T0_E_clISt17integral_constantIbLb1EES1B_EEDaS16_S17_EUlS16_E_NS1_11comp_targetILNS1_3genE0ELNS1_11target_archE4294967295ELNS1_3gpuE0ELNS1_3repE0EEENS1_30default_config_static_selectorELNS0_4arch9wavefront6targetE0EEEvT1_: ; @_ZN7rocprim17ROCPRIM_400000_NS6detail17trampoline_kernelINS0_14default_configENS1_25partition_config_selectorILNS1_17partition_subalgoE5ElNS0_10empty_typeEbEEZZNS1_14partition_implILS5_5ELb0ES3_mN6hipcub16HIPCUB_304000_NS21CountingInputIteratorIllEEPS6_NSA_22TransformInputIteratorIbN2at6native12_GLOBAL__N_19NonZeroOpIsEEPKslEENS0_5tupleIJPlS6_EEENSN_IJSD_SD_EEES6_PiJS6_EEE10hipError_tPvRmT3_T4_T5_T6_T7_T9_mT8_P12ihipStream_tbDpT10_ENKUlT_T0_E_clISt17integral_constantIbLb1EES1B_EEDaS16_S17_EUlS16_E_NS1_11comp_targetILNS1_3genE0ELNS1_11target_archE4294967295ELNS1_3gpuE0ELNS1_3repE0EEENS1_30default_config_static_selectorELNS0_4arch9wavefront6targetE0EEEvT1_
; %bb.0:
	.section	.rodata,"a",@progbits
	.p2align	6, 0x0
	.amdhsa_kernel _ZN7rocprim17ROCPRIM_400000_NS6detail17trampoline_kernelINS0_14default_configENS1_25partition_config_selectorILNS1_17partition_subalgoE5ElNS0_10empty_typeEbEEZZNS1_14partition_implILS5_5ELb0ES3_mN6hipcub16HIPCUB_304000_NS21CountingInputIteratorIllEEPS6_NSA_22TransformInputIteratorIbN2at6native12_GLOBAL__N_19NonZeroOpIsEEPKslEENS0_5tupleIJPlS6_EEENSN_IJSD_SD_EEES6_PiJS6_EEE10hipError_tPvRmT3_T4_T5_T6_T7_T9_mT8_P12ihipStream_tbDpT10_ENKUlT_T0_E_clISt17integral_constantIbLb1EES1B_EEDaS16_S17_EUlS16_E_NS1_11comp_targetILNS1_3genE0ELNS1_11target_archE4294967295ELNS1_3gpuE0ELNS1_3repE0EEENS1_30default_config_static_selectorELNS0_4arch9wavefront6targetE0EEEvT1_
		.amdhsa_group_segment_fixed_size 0
		.amdhsa_private_segment_fixed_size 0
		.amdhsa_kernarg_size 136
		.amdhsa_user_sgpr_count 2
		.amdhsa_user_sgpr_dispatch_ptr 0
		.amdhsa_user_sgpr_queue_ptr 0
		.amdhsa_user_sgpr_kernarg_segment_ptr 1
		.amdhsa_user_sgpr_dispatch_id 0
		.amdhsa_user_sgpr_private_segment_size 0
		.amdhsa_wavefront_size32 1
		.amdhsa_uses_dynamic_stack 0
		.amdhsa_enable_private_segment 0
		.amdhsa_system_sgpr_workgroup_id_x 1
		.amdhsa_system_sgpr_workgroup_id_y 0
		.amdhsa_system_sgpr_workgroup_id_z 0
		.amdhsa_system_sgpr_workgroup_info 0
		.amdhsa_system_vgpr_workitem_id 0
		.amdhsa_next_free_vgpr 1
		.amdhsa_next_free_sgpr 1
		.amdhsa_reserve_vcc 0
		.amdhsa_float_round_mode_32 0
		.amdhsa_float_round_mode_16_64 0
		.amdhsa_float_denorm_mode_32 3
		.amdhsa_float_denorm_mode_16_64 3
		.amdhsa_fp16_overflow 0
		.amdhsa_workgroup_processor_mode 1
		.amdhsa_memory_ordered 1
		.amdhsa_forward_progress 1
		.amdhsa_inst_pref_size 0
		.amdhsa_round_robin_scheduling 0
		.amdhsa_exception_fp_ieee_invalid_op 0
		.amdhsa_exception_fp_denorm_src 0
		.amdhsa_exception_fp_ieee_div_zero 0
		.amdhsa_exception_fp_ieee_overflow 0
		.amdhsa_exception_fp_ieee_underflow 0
		.amdhsa_exception_fp_ieee_inexact 0
		.amdhsa_exception_int_div_zero 0
	.end_amdhsa_kernel
	.section	.text._ZN7rocprim17ROCPRIM_400000_NS6detail17trampoline_kernelINS0_14default_configENS1_25partition_config_selectorILNS1_17partition_subalgoE5ElNS0_10empty_typeEbEEZZNS1_14partition_implILS5_5ELb0ES3_mN6hipcub16HIPCUB_304000_NS21CountingInputIteratorIllEEPS6_NSA_22TransformInputIteratorIbN2at6native12_GLOBAL__N_19NonZeroOpIsEEPKslEENS0_5tupleIJPlS6_EEENSN_IJSD_SD_EEES6_PiJS6_EEE10hipError_tPvRmT3_T4_T5_T6_T7_T9_mT8_P12ihipStream_tbDpT10_ENKUlT_T0_E_clISt17integral_constantIbLb1EES1B_EEDaS16_S17_EUlS16_E_NS1_11comp_targetILNS1_3genE0ELNS1_11target_archE4294967295ELNS1_3gpuE0ELNS1_3repE0EEENS1_30default_config_static_selectorELNS0_4arch9wavefront6targetE0EEEvT1_,"axG",@progbits,_ZN7rocprim17ROCPRIM_400000_NS6detail17trampoline_kernelINS0_14default_configENS1_25partition_config_selectorILNS1_17partition_subalgoE5ElNS0_10empty_typeEbEEZZNS1_14partition_implILS5_5ELb0ES3_mN6hipcub16HIPCUB_304000_NS21CountingInputIteratorIllEEPS6_NSA_22TransformInputIteratorIbN2at6native12_GLOBAL__N_19NonZeroOpIsEEPKslEENS0_5tupleIJPlS6_EEENSN_IJSD_SD_EEES6_PiJS6_EEE10hipError_tPvRmT3_T4_T5_T6_T7_T9_mT8_P12ihipStream_tbDpT10_ENKUlT_T0_E_clISt17integral_constantIbLb1EES1B_EEDaS16_S17_EUlS16_E_NS1_11comp_targetILNS1_3genE0ELNS1_11target_archE4294967295ELNS1_3gpuE0ELNS1_3repE0EEENS1_30default_config_static_selectorELNS0_4arch9wavefront6targetE0EEEvT1_,comdat
.Lfunc_end330:
	.size	_ZN7rocprim17ROCPRIM_400000_NS6detail17trampoline_kernelINS0_14default_configENS1_25partition_config_selectorILNS1_17partition_subalgoE5ElNS0_10empty_typeEbEEZZNS1_14partition_implILS5_5ELb0ES3_mN6hipcub16HIPCUB_304000_NS21CountingInputIteratorIllEEPS6_NSA_22TransformInputIteratorIbN2at6native12_GLOBAL__N_19NonZeroOpIsEEPKslEENS0_5tupleIJPlS6_EEENSN_IJSD_SD_EEES6_PiJS6_EEE10hipError_tPvRmT3_T4_T5_T6_T7_T9_mT8_P12ihipStream_tbDpT10_ENKUlT_T0_E_clISt17integral_constantIbLb1EES1B_EEDaS16_S17_EUlS16_E_NS1_11comp_targetILNS1_3genE0ELNS1_11target_archE4294967295ELNS1_3gpuE0ELNS1_3repE0EEENS1_30default_config_static_selectorELNS0_4arch9wavefront6targetE0EEEvT1_, .Lfunc_end330-_ZN7rocprim17ROCPRIM_400000_NS6detail17trampoline_kernelINS0_14default_configENS1_25partition_config_selectorILNS1_17partition_subalgoE5ElNS0_10empty_typeEbEEZZNS1_14partition_implILS5_5ELb0ES3_mN6hipcub16HIPCUB_304000_NS21CountingInputIteratorIllEEPS6_NSA_22TransformInputIteratorIbN2at6native12_GLOBAL__N_19NonZeroOpIsEEPKslEENS0_5tupleIJPlS6_EEENSN_IJSD_SD_EEES6_PiJS6_EEE10hipError_tPvRmT3_T4_T5_T6_T7_T9_mT8_P12ihipStream_tbDpT10_ENKUlT_T0_E_clISt17integral_constantIbLb1EES1B_EEDaS16_S17_EUlS16_E_NS1_11comp_targetILNS1_3genE0ELNS1_11target_archE4294967295ELNS1_3gpuE0ELNS1_3repE0EEENS1_30default_config_static_selectorELNS0_4arch9wavefront6targetE0EEEvT1_
                                        ; -- End function
	.set _ZN7rocprim17ROCPRIM_400000_NS6detail17trampoline_kernelINS0_14default_configENS1_25partition_config_selectorILNS1_17partition_subalgoE5ElNS0_10empty_typeEbEEZZNS1_14partition_implILS5_5ELb0ES3_mN6hipcub16HIPCUB_304000_NS21CountingInputIteratorIllEEPS6_NSA_22TransformInputIteratorIbN2at6native12_GLOBAL__N_19NonZeroOpIsEEPKslEENS0_5tupleIJPlS6_EEENSN_IJSD_SD_EEES6_PiJS6_EEE10hipError_tPvRmT3_T4_T5_T6_T7_T9_mT8_P12ihipStream_tbDpT10_ENKUlT_T0_E_clISt17integral_constantIbLb1EES1B_EEDaS16_S17_EUlS16_E_NS1_11comp_targetILNS1_3genE0ELNS1_11target_archE4294967295ELNS1_3gpuE0ELNS1_3repE0EEENS1_30default_config_static_selectorELNS0_4arch9wavefront6targetE0EEEvT1_.num_vgpr, 0
	.set _ZN7rocprim17ROCPRIM_400000_NS6detail17trampoline_kernelINS0_14default_configENS1_25partition_config_selectorILNS1_17partition_subalgoE5ElNS0_10empty_typeEbEEZZNS1_14partition_implILS5_5ELb0ES3_mN6hipcub16HIPCUB_304000_NS21CountingInputIteratorIllEEPS6_NSA_22TransformInputIteratorIbN2at6native12_GLOBAL__N_19NonZeroOpIsEEPKslEENS0_5tupleIJPlS6_EEENSN_IJSD_SD_EEES6_PiJS6_EEE10hipError_tPvRmT3_T4_T5_T6_T7_T9_mT8_P12ihipStream_tbDpT10_ENKUlT_T0_E_clISt17integral_constantIbLb1EES1B_EEDaS16_S17_EUlS16_E_NS1_11comp_targetILNS1_3genE0ELNS1_11target_archE4294967295ELNS1_3gpuE0ELNS1_3repE0EEENS1_30default_config_static_selectorELNS0_4arch9wavefront6targetE0EEEvT1_.num_agpr, 0
	.set _ZN7rocprim17ROCPRIM_400000_NS6detail17trampoline_kernelINS0_14default_configENS1_25partition_config_selectorILNS1_17partition_subalgoE5ElNS0_10empty_typeEbEEZZNS1_14partition_implILS5_5ELb0ES3_mN6hipcub16HIPCUB_304000_NS21CountingInputIteratorIllEEPS6_NSA_22TransformInputIteratorIbN2at6native12_GLOBAL__N_19NonZeroOpIsEEPKslEENS0_5tupleIJPlS6_EEENSN_IJSD_SD_EEES6_PiJS6_EEE10hipError_tPvRmT3_T4_T5_T6_T7_T9_mT8_P12ihipStream_tbDpT10_ENKUlT_T0_E_clISt17integral_constantIbLb1EES1B_EEDaS16_S17_EUlS16_E_NS1_11comp_targetILNS1_3genE0ELNS1_11target_archE4294967295ELNS1_3gpuE0ELNS1_3repE0EEENS1_30default_config_static_selectorELNS0_4arch9wavefront6targetE0EEEvT1_.numbered_sgpr, 0
	.set _ZN7rocprim17ROCPRIM_400000_NS6detail17trampoline_kernelINS0_14default_configENS1_25partition_config_selectorILNS1_17partition_subalgoE5ElNS0_10empty_typeEbEEZZNS1_14partition_implILS5_5ELb0ES3_mN6hipcub16HIPCUB_304000_NS21CountingInputIteratorIllEEPS6_NSA_22TransformInputIteratorIbN2at6native12_GLOBAL__N_19NonZeroOpIsEEPKslEENS0_5tupleIJPlS6_EEENSN_IJSD_SD_EEES6_PiJS6_EEE10hipError_tPvRmT3_T4_T5_T6_T7_T9_mT8_P12ihipStream_tbDpT10_ENKUlT_T0_E_clISt17integral_constantIbLb1EES1B_EEDaS16_S17_EUlS16_E_NS1_11comp_targetILNS1_3genE0ELNS1_11target_archE4294967295ELNS1_3gpuE0ELNS1_3repE0EEENS1_30default_config_static_selectorELNS0_4arch9wavefront6targetE0EEEvT1_.num_named_barrier, 0
	.set _ZN7rocprim17ROCPRIM_400000_NS6detail17trampoline_kernelINS0_14default_configENS1_25partition_config_selectorILNS1_17partition_subalgoE5ElNS0_10empty_typeEbEEZZNS1_14partition_implILS5_5ELb0ES3_mN6hipcub16HIPCUB_304000_NS21CountingInputIteratorIllEEPS6_NSA_22TransformInputIteratorIbN2at6native12_GLOBAL__N_19NonZeroOpIsEEPKslEENS0_5tupleIJPlS6_EEENSN_IJSD_SD_EEES6_PiJS6_EEE10hipError_tPvRmT3_T4_T5_T6_T7_T9_mT8_P12ihipStream_tbDpT10_ENKUlT_T0_E_clISt17integral_constantIbLb1EES1B_EEDaS16_S17_EUlS16_E_NS1_11comp_targetILNS1_3genE0ELNS1_11target_archE4294967295ELNS1_3gpuE0ELNS1_3repE0EEENS1_30default_config_static_selectorELNS0_4arch9wavefront6targetE0EEEvT1_.private_seg_size, 0
	.set _ZN7rocprim17ROCPRIM_400000_NS6detail17trampoline_kernelINS0_14default_configENS1_25partition_config_selectorILNS1_17partition_subalgoE5ElNS0_10empty_typeEbEEZZNS1_14partition_implILS5_5ELb0ES3_mN6hipcub16HIPCUB_304000_NS21CountingInputIteratorIllEEPS6_NSA_22TransformInputIteratorIbN2at6native12_GLOBAL__N_19NonZeroOpIsEEPKslEENS0_5tupleIJPlS6_EEENSN_IJSD_SD_EEES6_PiJS6_EEE10hipError_tPvRmT3_T4_T5_T6_T7_T9_mT8_P12ihipStream_tbDpT10_ENKUlT_T0_E_clISt17integral_constantIbLb1EES1B_EEDaS16_S17_EUlS16_E_NS1_11comp_targetILNS1_3genE0ELNS1_11target_archE4294967295ELNS1_3gpuE0ELNS1_3repE0EEENS1_30default_config_static_selectorELNS0_4arch9wavefront6targetE0EEEvT1_.uses_vcc, 0
	.set _ZN7rocprim17ROCPRIM_400000_NS6detail17trampoline_kernelINS0_14default_configENS1_25partition_config_selectorILNS1_17partition_subalgoE5ElNS0_10empty_typeEbEEZZNS1_14partition_implILS5_5ELb0ES3_mN6hipcub16HIPCUB_304000_NS21CountingInputIteratorIllEEPS6_NSA_22TransformInputIteratorIbN2at6native12_GLOBAL__N_19NonZeroOpIsEEPKslEENS0_5tupleIJPlS6_EEENSN_IJSD_SD_EEES6_PiJS6_EEE10hipError_tPvRmT3_T4_T5_T6_T7_T9_mT8_P12ihipStream_tbDpT10_ENKUlT_T0_E_clISt17integral_constantIbLb1EES1B_EEDaS16_S17_EUlS16_E_NS1_11comp_targetILNS1_3genE0ELNS1_11target_archE4294967295ELNS1_3gpuE0ELNS1_3repE0EEENS1_30default_config_static_selectorELNS0_4arch9wavefront6targetE0EEEvT1_.uses_flat_scratch, 0
	.set _ZN7rocprim17ROCPRIM_400000_NS6detail17trampoline_kernelINS0_14default_configENS1_25partition_config_selectorILNS1_17partition_subalgoE5ElNS0_10empty_typeEbEEZZNS1_14partition_implILS5_5ELb0ES3_mN6hipcub16HIPCUB_304000_NS21CountingInputIteratorIllEEPS6_NSA_22TransformInputIteratorIbN2at6native12_GLOBAL__N_19NonZeroOpIsEEPKslEENS0_5tupleIJPlS6_EEENSN_IJSD_SD_EEES6_PiJS6_EEE10hipError_tPvRmT3_T4_T5_T6_T7_T9_mT8_P12ihipStream_tbDpT10_ENKUlT_T0_E_clISt17integral_constantIbLb1EES1B_EEDaS16_S17_EUlS16_E_NS1_11comp_targetILNS1_3genE0ELNS1_11target_archE4294967295ELNS1_3gpuE0ELNS1_3repE0EEENS1_30default_config_static_selectorELNS0_4arch9wavefront6targetE0EEEvT1_.has_dyn_sized_stack, 0
	.set _ZN7rocprim17ROCPRIM_400000_NS6detail17trampoline_kernelINS0_14default_configENS1_25partition_config_selectorILNS1_17partition_subalgoE5ElNS0_10empty_typeEbEEZZNS1_14partition_implILS5_5ELb0ES3_mN6hipcub16HIPCUB_304000_NS21CountingInputIteratorIllEEPS6_NSA_22TransformInputIteratorIbN2at6native12_GLOBAL__N_19NonZeroOpIsEEPKslEENS0_5tupleIJPlS6_EEENSN_IJSD_SD_EEES6_PiJS6_EEE10hipError_tPvRmT3_T4_T5_T6_T7_T9_mT8_P12ihipStream_tbDpT10_ENKUlT_T0_E_clISt17integral_constantIbLb1EES1B_EEDaS16_S17_EUlS16_E_NS1_11comp_targetILNS1_3genE0ELNS1_11target_archE4294967295ELNS1_3gpuE0ELNS1_3repE0EEENS1_30default_config_static_selectorELNS0_4arch9wavefront6targetE0EEEvT1_.has_recursion, 0
	.set _ZN7rocprim17ROCPRIM_400000_NS6detail17trampoline_kernelINS0_14default_configENS1_25partition_config_selectorILNS1_17partition_subalgoE5ElNS0_10empty_typeEbEEZZNS1_14partition_implILS5_5ELb0ES3_mN6hipcub16HIPCUB_304000_NS21CountingInputIteratorIllEEPS6_NSA_22TransformInputIteratorIbN2at6native12_GLOBAL__N_19NonZeroOpIsEEPKslEENS0_5tupleIJPlS6_EEENSN_IJSD_SD_EEES6_PiJS6_EEE10hipError_tPvRmT3_T4_T5_T6_T7_T9_mT8_P12ihipStream_tbDpT10_ENKUlT_T0_E_clISt17integral_constantIbLb1EES1B_EEDaS16_S17_EUlS16_E_NS1_11comp_targetILNS1_3genE0ELNS1_11target_archE4294967295ELNS1_3gpuE0ELNS1_3repE0EEENS1_30default_config_static_selectorELNS0_4arch9wavefront6targetE0EEEvT1_.has_indirect_call, 0
	.section	.AMDGPU.csdata,"",@progbits
; Kernel info:
; codeLenInByte = 0
; TotalNumSgprs: 0
; NumVgprs: 0
; ScratchSize: 0
; MemoryBound: 0
; FloatMode: 240
; IeeeMode: 1
; LDSByteSize: 0 bytes/workgroup (compile time only)
; SGPRBlocks: 0
; VGPRBlocks: 0
; NumSGPRsForWavesPerEU: 1
; NumVGPRsForWavesPerEU: 1
; Occupancy: 16
; WaveLimiterHint : 0
; COMPUTE_PGM_RSRC2:SCRATCH_EN: 0
; COMPUTE_PGM_RSRC2:USER_SGPR: 2
; COMPUTE_PGM_RSRC2:TRAP_HANDLER: 0
; COMPUTE_PGM_RSRC2:TGID_X_EN: 1
; COMPUTE_PGM_RSRC2:TGID_Y_EN: 0
; COMPUTE_PGM_RSRC2:TGID_Z_EN: 0
; COMPUTE_PGM_RSRC2:TIDIG_COMP_CNT: 0
	.section	.text._ZN7rocprim17ROCPRIM_400000_NS6detail17trampoline_kernelINS0_14default_configENS1_25partition_config_selectorILNS1_17partition_subalgoE5ElNS0_10empty_typeEbEEZZNS1_14partition_implILS5_5ELb0ES3_mN6hipcub16HIPCUB_304000_NS21CountingInputIteratorIllEEPS6_NSA_22TransformInputIteratorIbN2at6native12_GLOBAL__N_19NonZeroOpIsEEPKslEENS0_5tupleIJPlS6_EEENSN_IJSD_SD_EEES6_PiJS6_EEE10hipError_tPvRmT3_T4_T5_T6_T7_T9_mT8_P12ihipStream_tbDpT10_ENKUlT_T0_E_clISt17integral_constantIbLb1EES1B_EEDaS16_S17_EUlS16_E_NS1_11comp_targetILNS1_3genE5ELNS1_11target_archE942ELNS1_3gpuE9ELNS1_3repE0EEENS1_30default_config_static_selectorELNS0_4arch9wavefront6targetE0EEEvT1_,"axG",@progbits,_ZN7rocprim17ROCPRIM_400000_NS6detail17trampoline_kernelINS0_14default_configENS1_25partition_config_selectorILNS1_17partition_subalgoE5ElNS0_10empty_typeEbEEZZNS1_14partition_implILS5_5ELb0ES3_mN6hipcub16HIPCUB_304000_NS21CountingInputIteratorIllEEPS6_NSA_22TransformInputIteratorIbN2at6native12_GLOBAL__N_19NonZeroOpIsEEPKslEENS0_5tupleIJPlS6_EEENSN_IJSD_SD_EEES6_PiJS6_EEE10hipError_tPvRmT3_T4_T5_T6_T7_T9_mT8_P12ihipStream_tbDpT10_ENKUlT_T0_E_clISt17integral_constantIbLb1EES1B_EEDaS16_S17_EUlS16_E_NS1_11comp_targetILNS1_3genE5ELNS1_11target_archE942ELNS1_3gpuE9ELNS1_3repE0EEENS1_30default_config_static_selectorELNS0_4arch9wavefront6targetE0EEEvT1_,comdat
	.globl	_ZN7rocprim17ROCPRIM_400000_NS6detail17trampoline_kernelINS0_14default_configENS1_25partition_config_selectorILNS1_17partition_subalgoE5ElNS0_10empty_typeEbEEZZNS1_14partition_implILS5_5ELb0ES3_mN6hipcub16HIPCUB_304000_NS21CountingInputIteratorIllEEPS6_NSA_22TransformInputIteratorIbN2at6native12_GLOBAL__N_19NonZeroOpIsEEPKslEENS0_5tupleIJPlS6_EEENSN_IJSD_SD_EEES6_PiJS6_EEE10hipError_tPvRmT3_T4_T5_T6_T7_T9_mT8_P12ihipStream_tbDpT10_ENKUlT_T0_E_clISt17integral_constantIbLb1EES1B_EEDaS16_S17_EUlS16_E_NS1_11comp_targetILNS1_3genE5ELNS1_11target_archE942ELNS1_3gpuE9ELNS1_3repE0EEENS1_30default_config_static_selectorELNS0_4arch9wavefront6targetE0EEEvT1_ ; -- Begin function _ZN7rocprim17ROCPRIM_400000_NS6detail17trampoline_kernelINS0_14default_configENS1_25partition_config_selectorILNS1_17partition_subalgoE5ElNS0_10empty_typeEbEEZZNS1_14partition_implILS5_5ELb0ES3_mN6hipcub16HIPCUB_304000_NS21CountingInputIteratorIllEEPS6_NSA_22TransformInputIteratorIbN2at6native12_GLOBAL__N_19NonZeroOpIsEEPKslEENS0_5tupleIJPlS6_EEENSN_IJSD_SD_EEES6_PiJS6_EEE10hipError_tPvRmT3_T4_T5_T6_T7_T9_mT8_P12ihipStream_tbDpT10_ENKUlT_T0_E_clISt17integral_constantIbLb1EES1B_EEDaS16_S17_EUlS16_E_NS1_11comp_targetILNS1_3genE5ELNS1_11target_archE942ELNS1_3gpuE9ELNS1_3repE0EEENS1_30default_config_static_selectorELNS0_4arch9wavefront6targetE0EEEvT1_
	.p2align	8
	.type	_ZN7rocprim17ROCPRIM_400000_NS6detail17trampoline_kernelINS0_14default_configENS1_25partition_config_selectorILNS1_17partition_subalgoE5ElNS0_10empty_typeEbEEZZNS1_14partition_implILS5_5ELb0ES3_mN6hipcub16HIPCUB_304000_NS21CountingInputIteratorIllEEPS6_NSA_22TransformInputIteratorIbN2at6native12_GLOBAL__N_19NonZeroOpIsEEPKslEENS0_5tupleIJPlS6_EEENSN_IJSD_SD_EEES6_PiJS6_EEE10hipError_tPvRmT3_T4_T5_T6_T7_T9_mT8_P12ihipStream_tbDpT10_ENKUlT_T0_E_clISt17integral_constantIbLb1EES1B_EEDaS16_S17_EUlS16_E_NS1_11comp_targetILNS1_3genE5ELNS1_11target_archE942ELNS1_3gpuE9ELNS1_3repE0EEENS1_30default_config_static_selectorELNS0_4arch9wavefront6targetE0EEEvT1_,@function
_ZN7rocprim17ROCPRIM_400000_NS6detail17trampoline_kernelINS0_14default_configENS1_25partition_config_selectorILNS1_17partition_subalgoE5ElNS0_10empty_typeEbEEZZNS1_14partition_implILS5_5ELb0ES3_mN6hipcub16HIPCUB_304000_NS21CountingInputIteratorIllEEPS6_NSA_22TransformInputIteratorIbN2at6native12_GLOBAL__N_19NonZeroOpIsEEPKslEENS0_5tupleIJPlS6_EEENSN_IJSD_SD_EEES6_PiJS6_EEE10hipError_tPvRmT3_T4_T5_T6_T7_T9_mT8_P12ihipStream_tbDpT10_ENKUlT_T0_E_clISt17integral_constantIbLb1EES1B_EEDaS16_S17_EUlS16_E_NS1_11comp_targetILNS1_3genE5ELNS1_11target_archE942ELNS1_3gpuE9ELNS1_3repE0EEENS1_30default_config_static_selectorELNS0_4arch9wavefront6targetE0EEEvT1_: ; @_ZN7rocprim17ROCPRIM_400000_NS6detail17trampoline_kernelINS0_14default_configENS1_25partition_config_selectorILNS1_17partition_subalgoE5ElNS0_10empty_typeEbEEZZNS1_14partition_implILS5_5ELb0ES3_mN6hipcub16HIPCUB_304000_NS21CountingInputIteratorIllEEPS6_NSA_22TransformInputIteratorIbN2at6native12_GLOBAL__N_19NonZeroOpIsEEPKslEENS0_5tupleIJPlS6_EEENSN_IJSD_SD_EEES6_PiJS6_EEE10hipError_tPvRmT3_T4_T5_T6_T7_T9_mT8_P12ihipStream_tbDpT10_ENKUlT_T0_E_clISt17integral_constantIbLb1EES1B_EEDaS16_S17_EUlS16_E_NS1_11comp_targetILNS1_3genE5ELNS1_11target_archE942ELNS1_3gpuE9ELNS1_3repE0EEENS1_30default_config_static_selectorELNS0_4arch9wavefront6targetE0EEEvT1_
; %bb.0:
	.section	.rodata,"a",@progbits
	.p2align	6, 0x0
	.amdhsa_kernel _ZN7rocprim17ROCPRIM_400000_NS6detail17trampoline_kernelINS0_14default_configENS1_25partition_config_selectorILNS1_17partition_subalgoE5ElNS0_10empty_typeEbEEZZNS1_14partition_implILS5_5ELb0ES3_mN6hipcub16HIPCUB_304000_NS21CountingInputIteratorIllEEPS6_NSA_22TransformInputIteratorIbN2at6native12_GLOBAL__N_19NonZeroOpIsEEPKslEENS0_5tupleIJPlS6_EEENSN_IJSD_SD_EEES6_PiJS6_EEE10hipError_tPvRmT3_T4_T5_T6_T7_T9_mT8_P12ihipStream_tbDpT10_ENKUlT_T0_E_clISt17integral_constantIbLb1EES1B_EEDaS16_S17_EUlS16_E_NS1_11comp_targetILNS1_3genE5ELNS1_11target_archE942ELNS1_3gpuE9ELNS1_3repE0EEENS1_30default_config_static_selectorELNS0_4arch9wavefront6targetE0EEEvT1_
		.amdhsa_group_segment_fixed_size 0
		.amdhsa_private_segment_fixed_size 0
		.amdhsa_kernarg_size 136
		.amdhsa_user_sgpr_count 2
		.amdhsa_user_sgpr_dispatch_ptr 0
		.amdhsa_user_sgpr_queue_ptr 0
		.amdhsa_user_sgpr_kernarg_segment_ptr 1
		.amdhsa_user_sgpr_dispatch_id 0
		.amdhsa_user_sgpr_private_segment_size 0
		.amdhsa_wavefront_size32 1
		.amdhsa_uses_dynamic_stack 0
		.amdhsa_enable_private_segment 0
		.amdhsa_system_sgpr_workgroup_id_x 1
		.amdhsa_system_sgpr_workgroup_id_y 0
		.amdhsa_system_sgpr_workgroup_id_z 0
		.amdhsa_system_sgpr_workgroup_info 0
		.amdhsa_system_vgpr_workitem_id 0
		.amdhsa_next_free_vgpr 1
		.amdhsa_next_free_sgpr 1
		.amdhsa_reserve_vcc 0
		.amdhsa_float_round_mode_32 0
		.amdhsa_float_round_mode_16_64 0
		.amdhsa_float_denorm_mode_32 3
		.amdhsa_float_denorm_mode_16_64 3
		.amdhsa_fp16_overflow 0
		.amdhsa_workgroup_processor_mode 1
		.amdhsa_memory_ordered 1
		.amdhsa_forward_progress 1
		.amdhsa_inst_pref_size 0
		.amdhsa_round_robin_scheduling 0
		.amdhsa_exception_fp_ieee_invalid_op 0
		.amdhsa_exception_fp_denorm_src 0
		.amdhsa_exception_fp_ieee_div_zero 0
		.amdhsa_exception_fp_ieee_overflow 0
		.amdhsa_exception_fp_ieee_underflow 0
		.amdhsa_exception_fp_ieee_inexact 0
		.amdhsa_exception_int_div_zero 0
	.end_amdhsa_kernel
	.section	.text._ZN7rocprim17ROCPRIM_400000_NS6detail17trampoline_kernelINS0_14default_configENS1_25partition_config_selectorILNS1_17partition_subalgoE5ElNS0_10empty_typeEbEEZZNS1_14partition_implILS5_5ELb0ES3_mN6hipcub16HIPCUB_304000_NS21CountingInputIteratorIllEEPS6_NSA_22TransformInputIteratorIbN2at6native12_GLOBAL__N_19NonZeroOpIsEEPKslEENS0_5tupleIJPlS6_EEENSN_IJSD_SD_EEES6_PiJS6_EEE10hipError_tPvRmT3_T4_T5_T6_T7_T9_mT8_P12ihipStream_tbDpT10_ENKUlT_T0_E_clISt17integral_constantIbLb1EES1B_EEDaS16_S17_EUlS16_E_NS1_11comp_targetILNS1_3genE5ELNS1_11target_archE942ELNS1_3gpuE9ELNS1_3repE0EEENS1_30default_config_static_selectorELNS0_4arch9wavefront6targetE0EEEvT1_,"axG",@progbits,_ZN7rocprim17ROCPRIM_400000_NS6detail17trampoline_kernelINS0_14default_configENS1_25partition_config_selectorILNS1_17partition_subalgoE5ElNS0_10empty_typeEbEEZZNS1_14partition_implILS5_5ELb0ES3_mN6hipcub16HIPCUB_304000_NS21CountingInputIteratorIllEEPS6_NSA_22TransformInputIteratorIbN2at6native12_GLOBAL__N_19NonZeroOpIsEEPKslEENS0_5tupleIJPlS6_EEENSN_IJSD_SD_EEES6_PiJS6_EEE10hipError_tPvRmT3_T4_T5_T6_T7_T9_mT8_P12ihipStream_tbDpT10_ENKUlT_T0_E_clISt17integral_constantIbLb1EES1B_EEDaS16_S17_EUlS16_E_NS1_11comp_targetILNS1_3genE5ELNS1_11target_archE942ELNS1_3gpuE9ELNS1_3repE0EEENS1_30default_config_static_selectorELNS0_4arch9wavefront6targetE0EEEvT1_,comdat
.Lfunc_end331:
	.size	_ZN7rocprim17ROCPRIM_400000_NS6detail17trampoline_kernelINS0_14default_configENS1_25partition_config_selectorILNS1_17partition_subalgoE5ElNS0_10empty_typeEbEEZZNS1_14partition_implILS5_5ELb0ES3_mN6hipcub16HIPCUB_304000_NS21CountingInputIteratorIllEEPS6_NSA_22TransformInputIteratorIbN2at6native12_GLOBAL__N_19NonZeroOpIsEEPKslEENS0_5tupleIJPlS6_EEENSN_IJSD_SD_EEES6_PiJS6_EEE10hipError_tPvRmT3_T4_T5_T6_T7_T9_mT8_P12ihipStream_tbDpT10_ENKUlT_T0_E_clISt17integral_constantIbLb1EES1B_EEDaS16_S17_EUlS16_E_NS1_11comp_targetILNS1_3genE5ELNS1_11target_archE942ELNS1_3gpuE9ELNS1_3repE0EEENS1_30default_config_static_selectorELNS0_4arch9wavefront6targetE0EEEvT1_, .Lfunc_end331-_ZN7rocprim17ROCPRIM_400000_NS6detail17trampoline_kernelINS0_14default_configENS1_25partition_config_selectorILNS1_17partition_subalgoE5ElNS0_10empty_typeEbEEZZNS1_14partition_implILS5_5ELb0ES3_mN6hipcub16HIPCUB_304000_NS21CountingInputIteratorIllEEPS6_NSA_22TransformInputIteratorIbN2at6native12_GLOBAL__N_19NonZeroOpIsEEPKslEENS0_5tupleIJPlS6_EEENSN_IJSD_SD_EEES6_PiJS6_EEE10hipError_tPvRmT3_T4_T5_T6_T7_T9_mT8_P12ihipStream_tbDpT10_ENKUlT_T0_E_clISt17integral_constantIbLb1EES1B_EEDaS16_S17_EUlS16_E_NS1_11comp_targetILNS1_3genE5ELNS1_11target_archE942ELNS1_3gpuE9ELNS1_3repE0EEENS1_30default_config_static_selectorELNS0_4arch9wavefront6targetE0EEEvT1_
                                        ; -- End function
	.set _ZN7rocprim17ROCPRIM_400000_NS6detail17trampoline_kernelINS0_14default_configENS1_25partition_config_selectorILNS1_17partition_subalgoE5ElNS0_10empty_typeEbEEZZNS1_14partition_implILS5_5ELb0ES3_mN6hipcub16HIPCUB_304000_NS21CountingInputIteratorIllEEPS6_NSA_22TransformInputIteratorIbN2at6native12_GLOBAL__N_19NonZeroOpIsEEPKslEENS0_5tupleIJPlS6_EEENSN_IJSD_SD_EEES6_PiJS6_EEE10hipError_tPvRmT3_T4_T5_T6_T7_T9_mT8_P12ihipStream_tbDpT10_ENKUlT_T0_E_clISt17integral_constantIbLb1EES1B_EEDaS16_S17_EUlS16_E_NS1_11comp_targetILNS1_3genE5ELNS1_11target_archE942ELNS1_3gpuE9ELNS1_3repE0EEENS1_30default_config_static_selectorELNS0_4arch9wavefront6targetE0EEEvT1_.num_vgpr, 0
	.set _ZN7rocprim17ROCPRIM_400000_NS6detail17trampoline_kernelINS0_14default_configENS1_25partition_config_selectorILNS1_17partition_subalgoE5ElNS0_10empty_typeEbEEZZNS1_14partition_implILS5_5ELb0ES3_mN6hipcub16HIPCUB_304000_NS21CountingInputIteratorIllEEPS6_NSA_22TransformInputIteratorIbN2at6native12_GLOBAL__N_19NonZeroOpIsEEPKslEENS0_5tupleIJPlS6_EEENSN_IJSD_SD_EEES6_PiJS6_EEE10hipError_tPvRmT3_T4_T5_T6_T7_T9_mT8_P12ihipStream_tbDpT10_ENKUlT_T0_E_clISt17integral_constantIbLb1EES1B_EEDaS16_S17_EUlS16_E_NS1_11comp_targetILNS1_3genE5ELNS1_11target_archE942ELNS1_3gpuE9ELNS1_3repE0EEENS1_30default_config_static_selectorELNS0_4arch9wavefront6targetE0EEEvT1_.num_agpr, 0
	.set _ZN7rocprim17ROCPRIM_400000_NS6detail17trampoline_kernelINS0_14default_configENS1_25partition_config_selectorILNS1_17partition_subalgoE5ElNS0_10empty_typeEbEEZZNS1_14partition_implILS5_5ELb0ES3_mN6hipcub16HIPCUB_304000_NS21CountingInputIteratorIllEEPS6_NSA_22TransformInputIteratorIbN2at6native12_GLOBAL__N_19NonZeroOpIsEEPKslEENS0_5tupleIJPlS6_EEENSN_IJSD_SD_EEES6_PiJS6_EEE10hipError_tPvRmT3_T4_T5_T6_T7_T9_mT8_P12ihipStream_tbDpT10_ENKUlT_T0_E_clISt17integral_constantIbLb1EES1B_EEDaS16_S17_EUlS16_E_NS1_11comp_targetILNS1_3genE5ELNS1_11target_archE942ELNS1_3gpuE9ELNS1_3repE0EEENS1_30default_config_static_selectorELNS0_4arch9wavefront6targetE0EEEvT1_.numbered_sgpr, 0
	.set _ZN7rocprim17ROCPRIM_400000_NS6detail17trampoline_kernelINS0_14default_configENS1_25partition_config_selectorILNS1_17partition_subalgoE5ElNS0_10empty_typeEbEEZZNS1_14partition_implILS5_5ELb0ES3_mN6hipcub16HIPCUB_304000_NS21CountingInputIteratorIllEEPS6_NSA_22TransformInputIteratorIbN2at6native12_GLOBAL__N_19NonZeroOpIsEEPKslEENS0_5tupleIJPlS6_EEENSN_IJSD_SD_EEES6_PiJS6_EEE10hipError_tPvRmT3_T4_T5_T6_T7_T9_mT8_P12ihipStream_tbDpT10_ENKUlT_T0_E_clISt17integral_constantIbLb1EES1B_EEDaS16_S17_EUlS16_E_NS1_11comp_targetILNS1_3genE5ELNS1_11target_archE942ELNS1_3gpuE9ELNS1_3repE0EEENS1_30default_config_static_selectorELNS0_4arch9wavefront6targetE0EEEvT1_.num_named_barrier, 0
	.set _ZN7rocprim17ROCPRIM_400000_NS6detail17trampoline_kernelINS0_14default_configENS1_25partition_config_selectorILNS1_17partition_subalgoE5ElNS0_10empty_typeEbEEZZNS1_14partition_implILS5_5ELb0ES3_mN6hipcub16HIPCUB_304000_NS21CountingInputIteratorIllEEPS6_NSA_22TransformInputIteratorIbN2at6native12_GLOBAL__N_19NonZeroOpIsEEPKslEENS0_5tupleIJPlS6_EEENSN_IJSD_SD_EEES6_PiJS6_EEE10hipError_tPvRmT3_T4_T5_T6_T7_T9_mT8_P12ihipStream_tbDpT10_ENKUlT_T0_E_clISt17integral_constantIbLb1EES1B_EEDaS16_S17_EUlS16_E_NS1_11comp_targetILNS1_3genE5ELNS1_11target_archE942ELNS1_3gpuE9ELNS1_3repE0EEENS1_30default_config_static_selectorELNS0_4arch9wavefront6targetE0EEEvT1_.private_seg_size, 0
	.set _ZN7rocprim17ROCPRIM_400000_NS6detail17trampoline_kernelINS0_14default_configENS1_25partition_config_selectorILNS1_17partition_subalgoE5ElNS0_10empty_typeEbEEZZNS1_14partition_implILS5_5ELb0ES3_mN6hipcub16HIPCUB_304000_NS21CountingInputIteratorIllEEPS6_NSA_22TransformInputIteratorIbN2at6native12_GLOBAL__N_19NonZeroOpIsEEPKslEENS0_5tupleIJPlS6_EEENSN_IJSD_SD_EEES6_PiJS6_EEE10hipError_tPvRmT3_T4_T5_T6_T7_T9_mT8_P12ihipStream_tbDpT10_ENKUlT_T0_E_clISt17integral_constantIbLb1EES1B_EEDaS16_S17_EUlS16_E_NS1_11comp_targetILNS1_3genE5ELNS1_11target_archE942ELNS1_3gpuE9ELNS1_3repE0EEENS1_30default_config_static_selectorELNS0_4arch9wavefront6targetE0EEEvT1_.uses_vcc, 0
	.set _ZN7rocprim17ROCPRIM_400000_NS6detail17trampoline_kernelINS0_14default_configENS1_25partition_config_selectorILNS1_17partition_subalgoE5ElNS0_10empty_typeEbEEZZNS1_14partition_implILS5_5ELb0ES3_mN6hipcub16HIPCUB_304000_NS21CountingInputIteratorIllEEPS6_NSA_22TransformInputIteratorIbN2at6native12_GLOBAL__N_19NonZeroOpIsEEPKslEENS0_5tupleIJPlS6_EEENSN_IJSD_SD_EEES6_PiJS6_EEE10hipError_tPvRmT3_T4_T5_T6_T7_T9_mT8_P12ihipStream_tbDpT10_ENKUlT_T0_E_clISt17integral_constantIbLb1EES1B_EEDaS16_S17_EUlS16_E_NS1_11comp_targetILNS1_3genE5ELNS1_11target_archE942ELNS1_3gpuE9ELNS1_3repE0EEENS1_30default_config_static_selectorELNS0_4arch9wavefront6targetE0EEEvT1_.uses_flat_scratch, 0
	.set _ZN7rocprim17ROCPRIM_400000_NS6detail17trampoline_kernelINS0_14default_configENS1_25partition_config_selectorILNS1_17partition_subalgoE5ElNS0_10empty_typeEbEEZZNS1_14partition_implILS5_5ELb0ES3_mN6hipcub16HIPCUB_304000_NS21CountingInputIteratorIllEEPS6_NSA_22TransformInputIteratorIbN2at6native12_GLOBAL__N_19NonZeroOpIsEEPKslEENS0_5tupleIJPlS6_EEENSN_IJSD_SD_EEES6_PiJS6_EEE10hipError_tPvRmT3_T4_T5_T6_T7_T9_mT8_P12ihipStream_tbDpT10_ENKUlT_T0_E_clISt17integral_constantIbLb1EES1B_EEDaS16_S17_EUlS16_E_NS1_11comp_targetILNS1_3genE5ELNS1_11target_archE942ELNS1_3gpuE9ELNS1_3repE0EEENS1_30default_config_static_selectorELNS0_4arch9wavefront6targetE0EEEvT1_.has_dyn_sized_stack, 0
	.set _ZN7rocprim17ROCPRIM_400000_NS6detail17trampoline_kernelINS0_14default_configENS1_25partition_config_selectorILNS1_17partition_subalgoE5ElNS0_10empty_typeEbEEZZNS1_14partition_implILS5_5ELb0ES3_mN6hipcub16HIPCUB_304000_NS21CountingInputIteratorIllEEPS6_NSA_22TransformInputIteratorIbN2at6native12_GLOBAL__N_19NonZeroOpIsEEPKslEENS0_5tupleIJPlS6_EEENSN_IJSD_SD_EEES6_PiJS6_EEE10hipError_tPvRmT3_T4_T5_T6_T7_T9_mT8_P12ihipStream_tbDpT10_ENKUlT_T0_E_clISt17integral_constantIbLb1EES1B_EEDaS16_S17_EUlS16_E_NS1_11comp_targetILNS1_3genE5ELNS1_11target_archE942ELNS1_3gpuE9ELNS1_3repE0EEENS1_30default_config_static_selectorELNS0_4arch9wavefront6targetE0EEEvT1_.has_recursion, 0
	.set _ZN7rocprim17ROCPRIM_400000_NS6detail17trampoline_kernelINS0_14default_configENS1_25partition_config_selectorILNS1_17partition_subalgoE5ElNS0_10empty_typeEbEEZZNS1_14partition_implILS5_5ELb0ES3_mN6hipcub16HIPCUB_304000_NS21CountingInputIteratorIllEEPS6_NSA_22TransformInputIteratorIbN2at6native12_GLOBAL__N_19NonZeroOpIsEEPKslEENS0_5tupleIJPlS6_EEENSN_IJSD_SD_EEES6_PiJS6_EEE10hipError_tPvRmT3_T4_T5_T6_T7_T9_mT8_P12ihipStream_tbDpT10_ENKUlT_T0_E_clISt17integral_constantIbLb1EES1B_EEDaS16_S17_EUlS16_E_NS1_11comp_targetILNS1_3genE5ELNS1_11target_archE942ELNS1_3gpuE9ELNS1_3repE0EEENS1_30default_config_static_selectorELNS0_4arch9wavefront6targetE0EEEvT1_.has_indirect_call, 0
	.section	.AMDGPU.csdata,"",@progbits
; Kernel info:
; codeLenInByte = 0
; TotalNumSgprs: 0
; NumVgprs: 0
; ScratchSize: 0
; MemoryBound: 0
; FloatMode: 240
; IeeeMode: 1
; LDSByteSize: 0 bytes/workgroup (compile time only)
; SGPRBlocks: 0
; VGPRBlocks: 0
; NumSGPRsForWavesPerEU: 1
; NumVGPRsForWavesPerEU: 1
; Occupancy: 16
; WaveLimiterHint : 0
; COMPUTE_PGM_RSRC2:SCRATCH_EN: 0
; COMPUTE_PGM_RSRC2:USER_SGPR: 2
; COMPUTE_PGM_RSRC2:TRAP_HANDLER: 0
; COMPUTE_PGM_RSRC2:TGID_X_EN: 1
; COMPUTE_PGM_RSRC2:TGID_Y_EN: 0
; COMPUTE_PGM_RSRC2:TGID_Z_EN: 0
; COMPUTE_PGM_RSRC2:TIDIG_COMP_CNT: 0
	.section	.text._ZN7rocprim17ROCPRIM_400000_NS6detail17trampoline_kernelINS0_14default_configENS1_25partition_config_selectorILNS1_17partition_subalgoE5ElNS0_10empty_typeEbEEZZNS1_14partition_implILS5_5ELb0ES3_mN6hipcub16HIPCUB_304000_NS21CountingInputIteratorIllEEPS6_NSA_22TransformInputIteratorIbN2at6native12_GLOBAL__N_19NonZeroOpIsEEPKslEENS0_5tupleIJPlS6_EEENSN_IJSD_SD_EEES6_PiJS6_EEE10hipError_tPvRmT3_T4_T5_T6_T7_T9_mT8_P12ihipStream_tbDpT10_ENKUlT_T0_E_clISt17integral_constantIbLb1EES1B_EEDaS16_S17_EUlS16_E_NS1_11comp_targetILNS1_3genE4ELNS1_11target_archE910ELNS1_3gpuE8ELNS1_3repE0EEENS1_30default_config_static_selectorELNS0_4arch9wavefront6targetE0EEEvT1_,"axG",@progbits,_ZN7rocprim17ROCPRIM_400000_NS6detail17trampoline_kernelINS0_14default_configENS1_25partition_config_selectorILNS1_17partition_subalgoE5ElNS0_10empty_typeEbEEZZNS1_14partition_implILS5_5ELb0ES3_mN6hipcub16HIPCUB_304000_NS21CountingInputIteratorIllEEPS6_NSA_22TransformInputIteratorIbN2at6native12_GLOBAL__N_19NonZeroOpIsEEPKslEENS0_5tupleIJPlS6_EEENSN_IJSD_SD_EEES6_PiJS6_EEE10hipError_tPvRmT3_T4_T5_T6_T7_T9_mT8_P12ihipStream_tbDpT10_ENKUlT_T0_E_clISt17integral_constantIbLb1EES1B_EEDaS16_S17_EUlS16_E_NS1_11comp_targetILNS1_3genE4ELNS1_11target_archE910ELNS1_3gpuE8ELNS1_3repE0EEENS1_30default_config_static_selectorELNS0_4arch9wavefront6targetE0EEEvT1_,comdat
	.globl	_ZN7rocprim17ROCPRIM_400000_NS6detail17trampoline_kernelINS0_14default_configENS1_25partition_config_selectorILNS1_17partition_subalgoE5ElNS0_10empty_typeEbEEZZNS1_14partition_implILS5_5ELb0ES3_mN6hipcub16HIPCUB_304000_NS21CountingInputIteratorIllEEPS6_NSA_22TransformInputIteratorIbN2at6native12_GLOBAL__N_19NonZeroOpIsEEPKslEENS0_5tupleIJPlS6_EEENSN_IJSD_SD_EEES6_PiJS6_EEE10hipError_tPvRmT3_T4_T5_T6_T7_T9_mT8_P12ihipStream_tbDpT10_ENKUlT_T0_E_clISt17integral_constantIbLb1EES1B_EEDaS16_S17_EUlS16_E_NS1_11comp_targetILNS1_3genE4ELNS1_11target_archE910ELNS1_3gpuE8ELNS1_3repE0EEENS1_30default_config_static_selectorELNS0_4arch9wavefront6targetE0EEEvT1_ ; -- Begin function _ZN7rocprim17ROCPRIM_400000_NS6detail17trampoline_kernelINS0_14default_configENS1_25partition_config_selectorILNS1_17partition_subalgoE5ElNS0_10empty_typeEbEEZZNS1_14partition_implILS5_5ELb0ES3_mN6hipcub16HIPCUB_304000_NS21CountingInputIteratorIllEEPS6_NSA_22TransformInputIteratorIbN2at6native12_GLOBAL__N_19NonZeroOpIsEEPKslEENS0_5tupleIJPlS6_EEENSN_IJSD_SD_EEES6_PiJS6_EEE10hipError_tPvRmT3_T4_T5_T6_T7_T9_mT8_P12ihipStream_tbDpT10_ENKUlT_T0_E_clISt17integral_constantIbLb1EES1B_EEDaS16_S17_EUlS16_E_NS1_11comp_targetILNS1_3genE4ELNS1_11target_archE910ELNS1_3gpuE8ELNS1_3repE0EEENS1_30default_config_static_selectorELNS0_4arch9wavefront6targetE0EEEvT1_
	.p2align	8
	.type	_ZN7rocprim17ROCPRIM_400000_NS6detail17trampoline_kernelINS0_14default_configENS1_25partition_config_selectorILNS1_17partition_subalgoE5ElNS0_10empty_typeEbEEZZNS1_14partition_implILS5_5ELb0ES3_mN6hipcub16HIPCUB_304000_NS21CountingInputIteratorIllEEPS6_NSA_22TransformInputIteratorIbN2at6native12_GLOBAL__N_19NonZeroOpIsEEPKslEENS0_5tupleIJPlS6_EEENSN_IJSD_SD_EEES6_PiJS6_EEE10hipError_tPvRmT3_T4_T5_T6_T7_T9_mT8_P12ihipStream_tbDpT10_ENKUlT_T0_E_clISt17integral_constantIbLb1EES1B_EEDaS16_S17_EUlS16_E_NS1_11comp_targetILNS1_3genE4ELNS1_11target_archE910ELNS1_3gpuE8ELNS1_3repE0EEENS1_30default_config_static_selectorELNS0_4arch9wavefront6targetE0EEEvT1_,@function
_ZN7rocprim17ROCPRIM_400000_NS6detail17trampoline_kernelINS0_14default_configENS1_25partition_config_selectorILNS1_17partition_subalgoE5ElNS0_10empty_typeEbEEZZNS1_14partition_implILS5_5ELb0ES3_mN6hipcub16HIPCUB_304000_NS21CountingInputIteratorIllEEPS6_NSA_22TransformInputIteratorIbN2at6native12_GLOBAL__N_19NonZeroOpIsEEPKslEENS0_5tupleIJPlS6_EEENSN_IJSD_SD_EEES6_PiJS6_EEE10hipError_tPvRmT3_T4_T5_T6_T7_T9_mT8_P12ihipStream_tbDpT10_ENKUlT_T0_E_clISt17integral_constantIbLb1EES1B_EEDaS16_S17_EUlS16_E_NS1_11comp_targetILNS1_3genE4ELNS1_11target_archE910ELNS1_3gpuE8ELNS1_3repE0EEENS1_30default_config_static_selectorELNS0_4arch9wavefront6targetE0EEEvT1_: ; @_ZN7rocprim17ROCPRIM_400000_NS6detail17trampoline_kernelINS0_14default_configENS1_25partition_config_selectorILNS1_17partition_subalgoE5ElNS0_10empty_typeEbEEZZNS1_14partition_implILS5_5ELb0ES3_mN6hipcub16HIPCUB_304000_NS21CountingInputIteratorIllEEPS6_NSA_22TransformInputIteratorIbN2at6native12_GLOBAL__N_19NonZeroOpIsEEPKslEENS0_5tupleIJPlS6_EEENSN_IJSD_SD_EEES6_PiJS6_EEE10hipError_tPvRmT3_T4_T5_T6_T7_T9_mT8_P12ihipStream_tbDpT10_ENKUlT_T0_E_clISt17integral_constantIbLb1EES1B_EEDaS16_S17_EUlS16_E_NS1_11comp_targetILNS1_3genE4ELNS1_11target_archE910ELNS1_3gpuE8ELNS1_3repE0EEENS1_30default_config_static_selectorELNS0_4arch9wavefront6targetE0EEEvT1_
; %bb.0:
	.section	.rodata,"a",@progbits
	.p2align	6, 0x0
	.amdhsa_kernel _ZN7rocprim17ROCPRIM_400000_NS6detail17trampoline_kernelINS0_14default_configENS1_25partition_config_selectorILNS1_17partition_subalgoE5ElNS0_10empty_typeEbEEZZNS1_14partition_implILS5_5ELb0ES3_mN6hipcub16HIPCUB_304000_NS21CountingInputIteratorIllEEPS6_NSA_22TransformInputIteratorIbN2at6native12_GLOBAL__N_19NonZeroOpIsEEPKslEENS0_5tupleIJPlS6_EEENSN_IJSD_SD_EEES6_PiJS6_EEE10hipError_tPvRmT3_T4_T5_T6_T7_T9_mT8_P12ihipStream_tbDpT10_ENKUlT_T0_E_clISt17integral_constantIbLb1EES1B_EEDaS16_S17_EUlS16_E_NS1_11comp_targetILNS1_3genE4ELNS1_11target_archE910ELNS1_3gpuE8ELNS1_3repE0EEENS1_30default_config_static_selectorELNS0_4arch9wavefront6targetE0EEEvT1_
		.amdhsa_group_segment_fixed_size 0
		.amdhsa_private_segment_fixed_size 0
		.amdhsa_kernarg_size 136
		.amdhsa_user_sgpr_count 2
		.amdhsa_user_sgpr_dispatch_ptr 0
		.amdhsa_user_sgpr_queue_ptr 0
		.amdhsa_user_sgpr_kernarg_segment_ptr 1
		.amdhsa_user_sgpr_dispatch_id 0
		.amdhsa_user_sgpr_private_segment_size 0
		.amdhsa_wavefront_size32 1
		.amdhsa_uses_dynamic_stack 0
		.amdhsa_enable_private_segment 0
		.amdhsa_system_sgpr_workgroup_id_x 1
		.amdhsa_system_sgpr_workgroup_id_y 0
		.amdhsa_system_sgpr_workgroup_id_z 0
		.amdhsa_system_sgpr_workgroup_info 0
		.amdhsa_system_vgpr_workitem_id 0
		.amdhsa_next_free_vgpr 1
		.amdhsa_next_free_sgpr 1
		.amdhsa_reserve_vcc 0
		.amdhsa_float_round_mode_32 0
		.amdhsa_float_round_mode_16_64 0
		.amdhsa_float_denorm_mode_32 3
		.amdhsa_float_denorm_mode_16_64 3
		.amdhsa_fp16_overflow 0
		.amdhsa_workgroup_processor_mode 1
		.amdhsa_memory_ordered 1
		.amdhsa_forward_progress 1
		.amdhsa_inst_pref_size 0
		.amdhsa_round_robin_scheduling 0
		.amdhsa_exception_fp_ieee_invalid_op 0
		.amdhsa_exception_fp_denorm_src 0
		.amdhsa_exception_fp_ieee_div_zero 0
		.amdhsa_exception_fp_ieee_overflow 0
		.amdhsa_exception_fp_ieee_underflow 0
		.amdhsa_exception_fp_ieee_inexact 0
		.amdhsa_exception_int_div_zero 0
	.end_amdhsa_kernel
	.section	.text._ZN7rocprim17ROCPRIM_400000_NS6detail17trampoline_kernelINS0_14default_configENS1_25partition_config_selectorILNS1_17partition_subalgoE5ElNS0_10empty_typeEbEEZZNS1_14partition_implILS5_5ELb0ES3_mN6hipcub16HIPCUB_304000_NS21CountingInputIteratorIllEEPS6_NSA_22TransformInputIteratorIbN2at6native12_GLOBAL__N_19NonZeroOpIsEEPKslEENS0_5tupleIJPlS6_EEENSN_IJSD_SD_EEES6_PiJS6_EEE10hipError_tPvRmT3_T4_T5_T6_T7_T9_mT8_P12ihipStream_tbDpT10_ENKUlT_T0_E_clISt17integral_constantIbLb1EES1B_EEDaS16_S17_EUlS16_E_NS1_11comp_targetILNS1_3genE4ELNS1_11target_archE910ELNS1_3gpuE8ELNS1_3repE0EEENS1_30default_config_static_selectorELNS0_4arch9wavefront6targetE0EEEvT1_,"axG",@progbits,_ZN7rocprim17ROCPRIM_400000_NS6detail17trampoline_kernelINS0_14default_configENS1_25partition_config_selectorILNS1_17partition_subalgoE5ElNS0_10empty_typeEbEEZZNS1_14partition_implILS5_5ELb0ES3_mN6hipcub16HIPCUB_304000_NS21CountingInputIteratorIllEEPS6_NSA_22TransformInputIteratorIbN2at6native12_GLOBAL__N_19NonZeroOpIsEEPKslEENS0_5tupleIJPlS6_EEENSN_IJSD_SD_EEES6_PiJS6_EEE10hipError_tPvRmT3_T4_T5_T6_T7_T9_mT8_P12ihipStream_tbDpT10_ENKUlT_T0_E_clISt17integral_constantIbLb1EES1B_EEDaS16_S17_EUlS16_E_NS1_11comp_targetILNS1_3genE4ELNS1_11target_archE910ELNS1_3gpuE8ELNS1_3repE0EEENS1_30default_config_static_selectorELNS0_4arch9wavefront6targetE0EEEvT1_,comdat
.Lfunc_end332:
	.size	_ZN7rocprim17ROCPRIM_400000_NS6detail17trampoline_kernelINS0_14default_configENS1_25partition_config_selectorILNS1_17partition_subalgoE5ElNS0_10empty_typeEbEEZZNS1_14partition_implILS5_5ELb0ES3_mN6hipcub16HIPCUB_304000_NS21CountingInputIteratorIllEEPS6_NSA_22TransformInputIteratorIbN2at6native12_GLOBAL__N_19NonZeroOpIsEEPKslEENS0_5tupleIJPlS6_EEENSN_IJSD_SD_EEES6_PiJS6_EEE10hipError_tPvRmT3_T4_T5_T6_T7_T9_mT8_P12ihipStream_tbDpT10_ENKUlT_T0_E_clISt17integral_constantIbLb1EES1B_EEDaS16_S17_EUlS16_E_NS1_11comp_targetILNS1_3genE4ELNS1_11target_archE910ELNS1_3gpuE8ELNS1_3repE0EEENS1_30default_config_static_selectorELNS0_4arch9wavefront6targetE0EEEvT1_, .Lfunc_end332-_ZN7rocprim17ROCPRIM_400000_NS6detail17trampoline_kernelINS0_14default_configENS1_25partition_config_selectorILNS1_17partition_subalgoE5ElNS0_10empty_typeEbEEZZNS1_14partition_implILS5_5ELb0ES3_mN6hipcub16HIPCUB_304000_NS21CountingInputIteratorIllEEPS6_NSA_22TransformInputIteratorIbN2at6native12_GLOBAL__N_19NonZeroOpIsEEPKslEENS0_5tupleIJPlS6_EEENSN_IJSD_SD_EEES6_PiJS6_EEE10hipError_tPvRmT3_T4_T5_T6_T7_T9_mT8_P12ihipStream_tbDpT10_ENKUlT_T0_E_clISt17integral_constantIbLb1EES1B_EEDaS16_S17_EUlS16_E_NS1_11comp_targetILNS1_3genE4ELNS1_11target_archE910ELNS1_3gpuE8ELNS1_3repE0EEENS1_30default_config_static_selectorELNS0_4arch9wavefront6targetE0EEEvT1_
                                        ; -- End function
	.set _ZN7rocprim17ROCPRIM_400000_NS6detail17trampoline_kernelINS0_14default_configENS1_25partition_config_selectorILNS1_17partition_subalgoE5ElNS0_10empty_typeEbEEZZNS1_14partition_implILS5_5ELb0ES3_mN6hipcub16HIPCUB_304000_NS21CountingInputIteratorIllEEPS6_NSA_22TransformInputIteratorIbN2at6native12_GLOBAL__N_19NonZeroOpIsEEPKslEENS0_5tupleIJPlS6_EEENSN_IJSD_SD_EEES6_PiJS6_EEE10hipError_tPvRmT3_T4_T5_T6_T7_T9_mT8_P12ihipStream_tbDpT10_ENKUlT_T0_E_clISt17integral_constantIbLb1EES1B_EEDaS16_S17_EUlS16_E_NS1_11comp_targetILNS1_3genE4ELNS1_11target_archE910ELNS1_3gpuE8ELNS1_3repE0EEENS1_30default_config_static_selectorELNS0_4arch9wavefront6targetE0EEEvT1_.num_vgpr, 0
	.set _ZN7rocprim17ROCPRIM_400000_NS6detail17trampoline_kernelINS0_14default_configENS1_25partition_config_selectorILNS1_17partition_subalgoE5ElNS0_10empty_typeEbEEZZNS1_14partition_implILS5_5ELb0ES3_mN6hipcub16HIPCUB_304000_NS21CountingInputIteratorIllEEPS6_NSA_22TransformInputIteratorIbN2at6native12_GLOBAL__N_19NonZeroOpIsEEPKslEENS0_5tupleIJPlS6_EEENSN_IJSD_SD_EEES6_PiJS6_EEE10hipError_tPvRmT3_T4_T5_T6_T7_T9_mT8_P12ihipStream_tbDpT10_ENKUlT_T0_E_clISt17integral_constantIbLb1EES1B_EEDaS16_S17_EUlS16_E_NS1_11comp_targetILNS1_3genE4ELNS1_11target_archE910ELNS1_3gpuE8ELNS1_3repE0EEENS1_30default_config_static_selectorELNS0_4arch9wavefront6targetE0EEEvT1_.num_agpr, 0
	.set _ZN7rocprim17ROCPRIM_400000_NS6detail17trampoline_kernelINS0_14default_configENS1_25partition_config_selectorILNS1_17partition_subalgoE5ElNS0_10empty_typeEbEEZZNS1_14partition_implILS5_5ELb0ES3_mN6hipcub16HIPCUB_304000_NS21CountingInputIteratorIllEEPS6_NSA_22TransformInputIteratorIbN2at6native12_GLOBAL__N_19NonZeroOpIsEEPKslEENS0_5tupleIJPlS6_EEENSN_IJSD_SD_EEES6_PiJS6_EEE10hipError_tPvRmT3_T4_T5_T6_T7_T9_mT8_P12ihipStream_tbDpT10_ENKUlT_T0_E_clISt17integral_constantIbLb1EES1B_EEDaS16_S17_EUlS16_E_NS1_11comp_targetILNS1_3genE4ELNS1_11target_archE910ELNS1_3gpuE8ELNS1_3repE0EEENS1_30default_config_static_selectorELNS0_4arch9wavefront6targetE0EEEvT1_.numbered_sgpr, 0
	.set _ZN7rocprim17ROCPRIM_400000_NS6detail17trampoline_kernelINS0_14default_configENS1_25partition_config_selectorILNS1_17partition_subalgoE5ElNS0_10empty_typeEbEEZZNS1_14partition_implILS5_5ELb0ES3_mN6hipcub16HIPCUB_304000_NS21CountingInputIteratorIllEEPS6_NSA_22TransformInputIteratorIbN2at6native12_GLOBAL__N_19NonZeroOpIsEEPKslEENS0_5tupleIJPlS6_EEENSN_IJSD_SD_EEES6_PiJS6_EEE10hipError_tPvRmT3_T4_T5_T6_T7_T9_mT8_P12ihipStream_tbDpT10_ENKUlT_T0_E_clISt17integral_constantIbLb1EES1B_EEDaS16_S17_EUlS16_E_NS1_11comp_targetILNS1_3genE4ELNS1_11target_archE910ELNS1_3gpuE8ELNS1_3repE0EEENS1_30default_config_static_selectorELNS0_4arch9wavefront6targetE0EEEvT1_.num_named_barrier, 0
	.set _ZN7rocprim17ROCPRIM_400000_NS6detail17trampoline_kernelINS0_14default_configENS1_25partition_config_selectorILNS1_17partition_subalgoE5ElNS0_10empty_typeEbEEZZNS1_14partition_implILS5_5ELb0ES3_mN6hipcub16HIPCUB_304000_NS21CountingInputIteratorIllEEPS6_NSA_22TransformInputIteratorIbN2at6native12_GLOBAL__N_19NonZeroOpIsEEPKslEENS0_5tupleIJPlS6_EEENSN_IJSD_SD_EEES6_PiJS6_EEE10hipError_tPvRmT3_T4_T5_T6_T7_T9_mT8_P12ihipStream_tbDpT10_ENKUlT_T0_E_clISt17integral_constantIbLb1EES1B_EEDaS16_S17_EUlS16_E_NS1_11comp_targetILNS1_3genE4ELNS1_11target_archE910ELNS1_3gpuE8ELNS1_3repE0EEENS1_30default_config_static_selectorELNS0_4arch9wavefront6targetE0EEEvT1_.private_seg_size, 0
	.set _ZN7rocprim17ROCPRIM_400000_NS6detail17trampoline_kernelINS0_14default_configENS1_25partition_config_selectorILNS1_17partition_subalgoE5ElNS0_10empty_typeEbEEZZNS1_14partition_implILS5_5ELb0ES3_mN6hipcub16HIPCUB_304000_NS21CountingInputIteratorIllEEPS6_NSA_22TransformInputIteratorIbN2at6native12_GLOBAL__N_19NonZeroOpIsEEPKslEENS0_5tupleIJPlS6_EEENSN_IJSD_SD_EEES6_PiJS6_EEE10hipError_tPvRmT3_T4_T5_T6_T7_T9_mT8_P12ihipStream_tbDpT10_ENKUlT_T0_E_clISt17integral_constantIbLb1EES1B_EEDaS16_S17_EUlS16_E_NS1_11comp_targetILNS1_3genE4ELNS1_11target_archE910ELNS1_3gpuE8ELNS1_3repE0EEENS1_30default_config_static_selectorELNS0_4arch9wavefront6targetE0EEEvT1_.uses_vcc, 0
	.set _ZN7rocprim17ROCPRIM_400000_NS6detail17trampoline_kernelINS0_14default_configENS1_25partition_config_selectorILNS1_17partition_subalgoE5ElNS0_10empty_typeEbEEZZNS1_14partition_implILS5_5ELb0ES3_mN6hipcub16HIPCUB_304000_NS21CountingInputIteratorIllEEPS6_NSA_22TransformInputIteratorIbN2at6native12_GLOBAL__N_19NonZeroOpIsEEPKslEENS0_5tupleIJPlS6_EEENSN_IJSD_SD_EEES6_PiJS6_EEE10hipError_tPvRmT3_T4_T5_T6_T7_T9_mT8_P12ihipStream_tbDpT10_ENKUlT_T0_E_clISt17integral_constantIbLb1EES1B_EEDaS16_S17_EUlS16_E_NS1_11comp_targetILNS1_3genE4ELNS1_11target_archE910ELNS1_3gpuE8ELNS1_3repE0EEENS1_30default_config_static_selectorELNS0_4arch9wavefront6targetE0EEEvT1_.uses_flat_scratch, 0
	.set _ZN7rocprim17ROCPRIM_400000_NS6detail17trampoline_kernelINS0_14default_configENS1_25partition_config_selectorILNS1_17partition_subalgoE5ElNS0_10empty_typeEbEEZZNS1_14partition_implILS5_5ELb0ES3_mN6hipcub16HIPCUB_304000_NS21CountingInputIteratorIllEEPS6_NSA_22TransformInputIteratorIbN2at6native12_GLOBAL__N_19NonZeroOpIsEEPKslEENS0_5tupleIJPlS6_EEENSN_IJSD_SD_EEES6_PiJS6_EEE10hipError_tPvRmT3_T4_T5_T6_T7_T9_mT8_P12ihipStream_tbDpT10_ENKUlT_T0_E_clISt17integral_constantIbLb1EES1B_EEDaS16_S17_EUlS16_E_NS1_11comp_targetILNS1_3genE4ELNS1_11target_archE910ELNS1_3gpuE8ELNS1_3repE0EEENS1_30default_config_static_selectorELNS0_4arch9wavefront6targetE0EEEvT1_.has_dyn_sized_stack, 0
	.set _ZN7rocprim17ROCPRIM_400000_NS6detail17trampoline_kernelINS0_14default_configENS1_25partition_config_selectorILNS1_17partition_subalgoE5ElNS0_10empty_typeEbEEZZNS1_14partition_implILS5_5ELb0ES3_mN6hipcub16HIPCUB_304000_NS21CountingInputIteratorIllEEPS6_NSA_22TransformInputIteratorIbN2at6native12_GLOBAL__N_19NonZeroOpIsEEPKslEENS0_5tupleIJPlS6_EEENSN_IJSD_SD_EEES6_PiJS6_EEE10hipError_tPvRmT3_T4_T5_T6_T7_T9_mT8_P12ihipStream_tbDpT10_ENKUlT_T0_E_clISt17integral_constantIbLb1EES1B_EEDaS16_S17_EUlS16_E_NS1_11comp_targetILNS1_3genE4ELNS1_11target_archE910ELNS1_3gpuE8ELNS1_3repE0EEENS1_30default_config_static_selectorELNS0_4arch9wavefront6targetE0EEEvT1_.has_recursion, 0
	.set _ZN7rocprim17ROCPRIM_400000_NS6detail17trampoline_kernelINS0_14default_configENS1_25partition_config_selectorILNS1_17partition_subalgoE5ElNS0_10empty_typeEbEEZZNS1_14partition_implILS5_5ELb0ES3_mN6hipcub16HIPCUB_304000_NS21CountingInputIteratorIllEEPS6_NSA_22TransformInputIteratorIbN2at6native12_GLOBAL__N_19NonZeroOpIsEEPKslEENS0_5tupleIJPlS6_EEENSN_IJSD_SD_EEES6_PiJS6_EEE10hipError_tPvRmT3_T4_T5_T6_T7_T9_mT8_P12ihipStream_tbDpT10_ENKUlT_T0_E_clISt17integral_constantIbLb1EES1B_EEDaS16_S17_EUlS16_E_NS1_11comp_targetILNS1_3genE4ELNS1_11target_archE910ELNS1_3gpuE8ELNS1_3repE0EEENS1_30default_config_static_selectorELNS0_4arch9wavefront6targetE0EEEvT1_.has_indirect_call, 0
	.section	.AMDGPU.csdata,"",@progbits
; Kernel info:
; codeLenInByte = 0
; TotalNumSgprs: 0
; NumVgprs: 0
; ScratchSize: 0
; MemoryBound: 0
; FloatMode: 240
; IeeeMode: 1
; LDSByteSize: 0 bytes/workgroup (compile time only)
; SGPRBlocks: 0
; VGPRBlocks: 0
; NumSGPRsForWavesPerEU: 1
; NumVGPRsForWavesPerEU: 1
; Occupancy: 16
; WaveLimiterHint : 0
; COMPUTE_PGM_RSRC2:SCRATCH_EN: 0
; COMPUTE_PGM_RSRC2:USER_SGPR: 2
; COMPUTE_PGM_RSRC2:TRAP_HANDLER: 0
; COMPUTE_PGM_RSRC2:TGID_X_EN: 1
; COMPUTE_PGM_RSRC2:TGID_Y_EN: 0
; COMPUTE_PGM_RSRC2:TGID_Z_EN: 0
; COMPUTE_PGM_RSRC2:TIDIG_COMP_CNT: 0
	.section	.text._ZN7rocprim17ROCPRIM_400000_NS6detail17trampoline_kernelINS0_14default_configENS1_25partition_config_selectorILNS1_17partition_subalgoE5ElNS0_10empty_typeEbEEZZNS1_14partition_implILS5_5ELb0ES3_mN6hipcub16HIPCUB_304000_NS21CountingInputIteratorIllEEPS6_NSA_22TransformInputIteratorIbN2at6native12_GLOBAL__N_19NonZeroOpIsEEPKslEENS0_5tupleIJPlS6_EEENSN_IJSD_SD_EEES6_PiJS6_EEE10hipError_tPvRmT3_T4_T5_T6_T7_T9_mT8_P12ihipStream_tbDpT10_ENKUlT_T0_E_clISt17integral_constantIbLb1EES1B_EEDaS16_S17_EUlS16_E_NS1_11comp_targetILNS1_3genE3ELNS1_11target_archE908ELNS1_3gpuE7ELNS1_3repE0EEENS1_30default_config_static_selectorELNS0_4arch9wavefront6targetE0EEEvT1_,"axG",@progbits,_ZN7rocprim17ROCPRIM_400000_NS6detail17trampoline_kernelINS0_14default_configENS1_25partition_config_selectorILNS1_17partition_subalgoE5ElNS0_10empty_typeEbEEZZNS1_14partition_implILS5_5ELb0ES3_mN6hipcub16HIPCUB_304000_NS21CountingInputIteratorIllEEPS6_NSA_22TransformInputIteratorIbN2at6native12_GLOBAL__N_19NonZeroOpIsEEPKslEENS0_5tupleIJPlS6_EEENSN_IJSD_SD_EEES6_PiJS6_EEE10hipError_tPvRmT3_T4_T5_T6_T7_T9_mT8_P12ihipStream_tbDpT10_ENKUlT_T0_E_clISt17integral_constantIbLb1EES1B_EEDaS16_S17_EUlS16_E_NS1_11comp_targetILNS1_3genE3ELNS1_11target_archE908ELNS1_3gpuE7ELNS1_3repE0EEENS1_30default_config_static_selectorELNS0_4arch9wavefront6targetE0EEEvT1_,comdat
	.globl	_ZN7rocprim17ROCPRIM_400000_NS6detail17trampoline_kernelINS0_14default_configENS1_25partition_config_selectorILNS1_17partition_subalgoE5ElNS0_10empty_typeEbEEZZNS1_14partition_implILS5_5ELb0ES3_mN6hipcub16HIPCUB_304000_NS21CountingInputIteratorIllEEPS6_NSA_22TransformInputIteratorIbN2at6native12_GLOBAL__N_19NonZeroOpIsEEPKslEENS0_5tupleIJPlS6_EEENSN_IJSD_SD_EEES6_PiJS6_EEE10hipError_tPvRmT3_T4_T5_T6_T7_T9_mT8_P12ihipStream_tbDpT10_ENKUlT_T0_E_clISt17integral_constantIbLb1EES1B_EEDaS16_S17_EUlS16_E_NS1_11comp_targetILNS1_3genE3ELNS1_11target_archE908ELNS1_3gpuE7ELNS1_3repE0EEENS1_30default_config_static_selectorELNS0_4arch9wavefront6targetE0EEEvT1_ ; -- Begin function _ZN7rocprim17ROCPRIM_400000_NS6detail17trampoline_kernelINS0_14default_configENS1_25partition_config_selectorILNS1_17partition_subalgoE5ElNS0_10empty_typeEbEEZZNS1_14partition_implILS5_5ELb0ES3_mN6hipcub16HIPCUB_304000_NS21CountingInputIteratorIllEEPS6_NSA_22TransformInputIteratorIbN2at6native12_GLOBAL__N_19NonZeroOpIsEEPKslEENS0_5tupleIJPlS6_EEENSN_IJSD_SD_EEES6_PiJS6_EEE10hipError_tPvRmT3_T4_T5_T6_T7_T9_mT8_P12ihipStream_tbDpT10_ENKUlT_T0_E_clISt17integral_constantIbLb1EES1B_EEDaS16_S17_EUlS16_E_NS1_11comp_targetILNS1_3genE3ELNS1_11target_archE908ELNS1_3gpuE7ELNS1_3repE0EEENS1_30default_config_static_selectorELNS0_4arch9wavefront6targetE0EEEvT1_
	.p2align	8
	.type	_ZN7rocprim17ROCPRIM_400000_NS6detail17trampoline_kernelINS0_14default_configENS1_25partition_config_selectorILNS1_17partition_subalgoE5ElNS0_10empty_typeEbEEZZNS1_14partition_implILS5_5ELb0ES3_mN6hipcub16HIPCUB_304000_NS21CountingInputIteratorIllEEPS6_NSA_22TransformInputIteratorIbN2at6native12_GLOBAL__N_19NonZeroOpIsEEPKslEENS0_5tupleIJPlS6_EEENSN_IJSD_SD_EEES6_PiJS6_EEE10hipError_tPvRmT3_T4_T5_T6_T7_T9_mT8_P12ihipStream_tbDpT10_ENKUlT_T0_E_clISt17integral_constantIbLb1EES1B_EEDaS16_S17_EUlS16_E_NS1_11comp_targetILNS1_3genE3ELNS1_11target_archE908ELNS1_3gpuE7ELNS1_3repE0EEENS1_30default_config_static_selectorELNS0_4arch9wavefront6targetE0EEEvT1_,@function
_ZN7rocprim17ROCPRIM_400000_NS6detail17trampoline_kernelINS0_14default_configENS1_25partition_config_selectorILNS1_17partition_subalgoE5ElNS0_10empty_typeEbEEZZNS1_14partition_implILS5_5ELb0ES3_mN6hipcub16HIPCUB_304000_NS21CountingInputIteratorIllEEPS6_NSA_22TransformInputIteratorIbN2at6native12_GLOBAL__N_19NonZeroOpIsEEPKslEENS0_5tupleIJPlS6_EEENSN_IJSD_SD_EEES6_PiJS6_EEE10hipError_tPvRmT3_T4_T5_T6_T7_T9_mT8_P12ihipStream_tbDpT10_ENKUlT_T0_E_clISt17integral_constantIbLb1EES1B_EEDaS16_S17_EUlS16_E_NS1_11comp_targetILNS1_3genE3ELNS1_11target_archE908ELNS1_3gpuE7ELNS1_3repE0EEENS1_30default_config_static_selectorELNS0_4arch9wavefront6targetE0EEEvT1_: ; @_ZN7rocprim17ROCPRIM_400000_NS6detail17trampoline_kernelINS0_14default_configENS1_25partition_config_selectorILNS1_17partition_subalgoE5ElNS0_10empty_typeEbEEZZNS1_14partition_implILS5_5ELb0ES3_mN6hipcub16HIPCUB_304000_NS21CountingInputIteratorIllEEPS6_NSA_22TransformInputIteratorIbN2at6native12_GLOBAL__N_19NonZeroOpIsEEPKslEENS0_5tupleIJPlS6_EEENSN_IJSD_SD_EEES6_PiJS6_EEE10hipError_tPvRmT3_T4_T5_T6_T7_T9_mT8_P12ihipStream_tbDpT10_ENKUlT_T0_E_clISt17integral_constantIbLb1EES1B_EEDaS16_S17_EUlS16_E_NS1_11comp_targetILNS1_3genE3ELNS1_11target_archE908ELNS1_3gpuE7ELNS1_3repE0EEENS1_30default_config_static_selectorELNS0_4arch9wavefront6targetE0EEEvT1_
; %bb.0:
	.section	.rodata,"a",@progbits
	.p2align	6, 0x0
	.amdhsa_kernel _ZN7rocprim17ROCPRIM_400000_NS6detail17trampoline_kernelINS0_14default_configENS1_25partition_config_selectorILNS1_17partition_subalgoE5ElNS0_10empty_typeEbEEZZNS1_14partition_implILS5_5ELb0ES3_mN6hipcub16HIPCUB_304000_NS21CountingInputIteratorIllEEPS6_NSA_22TransformInputIteratorIbN2at6native12_GLOBAL__N_19NonZeroOpIsEEPKslEENS0_5tupleIJPlS6_EEENSN_IJSD_SD_EEES6_PiJS6_EEE10hipError_tPvRmT3_T4_T5_T6_T7_T9_mT8_P12ihipStream_tbDpT10_ENKUlT_T0_E_clISt17integral_constantIbLb1EES1B_EEDaS16_S17_EUlS16_E_NS1_11comp_targetILNS1_3genE3ELNS1_11target_archE908ELNS1_3gpuE7ELNS1_3repE0EEENS1_30default_config_static_selectorELNS0_4arch9wavefront6targetE0EEEvT1_
		.amdhsa_group_segment_fixed_size 0
		.amdhsa_private_segment_fixed_size 0
		.amdhsa_kernarg_size 136
		.amdhsa_user_sgpr_count 2
		.amdhsa_user_sgpr_dispatch_ptr 0
		.amdhsa_user_sgpr_queue_ptr 0
		.amdhsa_user_sgpr_kernarg_segment_ptr 1
		.amdhsa_user_sgpr_dispatch_id 0
		.amdhsa_user_sgpr_private_segment_size 0
		.amdhsa_wavefront_size32 1
		.amdhsa_uses_dynamic_stack 0
		.amdhsa_enable_private_segment 0
		.amdhsa_system_sgpr_workgroup_id_x 1
		.amdhsa_system_sgpr_workgroup_id_y 0
		.amdhsa_system_sgpr_workgroup_id_z 0
		.amdhsa_system_sgpr_workgroup_info 0
		.amdhsa_system_vgpr_workitem_id 0
		.amdhsa_next_free_vgpr 1
		.amdhsa_next_free_sgpr 1
		.amdhsa_reserve_vcc 0
		.amdhsa_float_round_mode_32 0
		.amdhsa_float_round_mode_16_64 0
		.amdhsa_float_denorm_mode_32 3
		.amdhsa_float_denorm_mode_16_64 3
		.amdhsa_fp16_overflow 0
		.amdhsa_workgroup_processor_mode 1
		.amdhsa_memory_ordered 1
		.amdhsa_forward_progress 1
		.amdhsa_inst_pref_size 0
		.amdhsa_round_robin_scheduling 0
		.amdhsa_exception_fp_ieee_invalid_op 0
		.amdhsa_exception_fp_denorm_src 0
		.amdhsa_exception_fp_ieee_div_zero 0
		.amdhsa_exception_fp_ieee_overflow 0
		.amdhsa_exception_fp_ieee_underflow 0
		.amdhsa_exception_fp_ieee_inexact 0
		.amdhsa_exception_int_div_zero 0
	.end_amdhsa_kernel
	.section	.text._ZN7rocprim17ROCPRIM_400000_NS6detail17trampoline_kernelINS0_14default_configENS1_25partition_config_selectorILNS1_17partition_subalgoE5ElNS0_10empty_typeEbEEZZNS1_14partition_implILS5_5ELb0ES3_mN6hipcub16HIPCUB_304000_NS21CountingInputIteratorIllEEPS6_NSA_22TransformInputIteratorIbN2at6native12_GLOBAL__N_19NonZeroOpIsEEPKslEENS0_5tupleIJPlS6_EEENSN_IJSD_SD_EEES6_PiJS6_EEE10hipError_tPvRmT3_T4_T5_T6_T7_T9_mT8_P12ihipStream_tbDpT10_ENKUlT_T0_E_clISt17integral_constantIbLb1EES1B_EEDaS16_S17_EUlS16_E_NS1_11comp_targetILNS1_3genE3ELNS1_11target_archE908ELNS1_3gpuE7ELNS1_3repE0EEENS1_30default_config_static_selectorELNS0_4arch9wavefront6targetE0EEEvT1_,"axG",@progbits,_ZN7rocprim17ROCPRIM_400000_NS6detail17trampoline_kernelINS0_14default_configENS1_25partition_config_selectorILNS1_17partition_subalgoE5ElNS0_10empty_typeEbEEZZNS1_14partition_implILS5_5ELb0ES3_mN6hipcub16HIPCUB_304000_NS21CountingInputIteratorIllEEPS6_NSA_22TransformInputIteratorIbN2at6native12_GLOBAL__N_19NonZeroOpIsEEPKslEENS0_5tupleIJPlS6_EEENSN_IJSD_SD_EEES6_PiJS6_EEE10hipError_tPvRmT3_T4_T5_T6_T7_T9_mT8_P12ihipStream_tbDpT10_ENKUlT_T0_E_clISt17integral_constantIbLb1EES1B_EEDaS16_S17_EUlS16_E_NS1_11comp_targetILNS1_3genE3ELNS1_11target_archE908ELNS1_3gpuE7ELNS1_3repE0EEENS1_30default_config_static_selectorELNS0_4arch9wavefront6targetE0EEEvT1_,comdat
.Lfunc_end333:
	.size	_ZN7rocprim17ROCPRIM_400000_NS6detail17trampoline_kernelINS0_14default_configENS1_25partition_config_selectorILNS1_17partition_subalgoE5ElNS0_10empty_typeEbEEZZNS1_14partition_implILS5_5ELb0ES3_mN6hipcub16HIPCUB_304000_NS21CountingInputIteratorIllEEPS6_NSA_22TransformInputIteratorIbN2at6native12_GLOBAL__N_19NonZeroOpIsEEPKslEENS0_5tupleIJPlS6_EEENSN_IJSD_SD_EEES6_PiJS6_EEE10hipError_tPvRmT3_T4_T5_T6_T7_T9_mT8_P12ihipStream_tbDpT10_ENKUlT_T0_E_clISt17integral_constantIbLb1EES1B_EEDaS16_S17_EUlS16_E_NS1_11comp_targetILNS1_3genE3ELNS1_11target_archE908ELNS1_3gpuE7ELNS1_3repE0EEENS1_30default_config_static_selectorELNS0_4arch9wavefront6targetE0EEEvT1_, .Lfunc_end333-_ZN7rocprim17ROCPRIM_400000_NS6detail17trampoline_kernelINS0_14default_configENS1_25partition_config_selectorILNS1_17partition_subalgoE5ElNS0_10empty_typeEbEEZZNS1_14partition_implILS5_5ELb0ES3_mN6hipcub16HIPCUB_304000_NS21CountingInputIteratorIllEEPS6_NSA_22TransformInputIteratorIbN2at6native12_GLOBAL__N_19NonZeroOpIsEEPKslEENS0_5tupleIJPlS6_EEENSN_IJSD_SD_EEES6_PiJS6_EEE10hipError_tPvRmT3_T4_T5_T6_T7_T9_mT8_P12ihipStream_tbDpT10_ENKUlT_T0_E_clISt17integral_constantIbLb1EES1B_EEDaS16_S17_EUlS16_E_NS1_11comp_targetILNS1_3genE3ELNS1_11target_archE908ELNS1_3gpuE7ELNS1_3repE0EEENS1_30default_config_static_selectorELNS0_4arch9wavefront6targetE0EEEvT1_
                                        ; -- End function
	.set _ZN7rocprim17ROCPRIM_400000_NS6detail17trampoline_kernelINS0_14default_configENS1_25partition_config_selectorILNS1_17partition_subalgoE5ElNS0_10empty_typeEbEEZZNS1_14partition_implILS5_5ELb0ES3_mN6hipcub16HIPCUB_304000_NS21CountingInputIteratorIllEEPS6_NSA_22TransformInputIteratorIbN2at6native12_GLOBAL__N_19NonZeroOpIsEEPKslEENS0_5tupleIJPlS6_EEENSN_IJSD_SD_EEES6_PiJS6_EEE10hipError_tPvRmT3_T4_T5_T6_T7_T9_mT8_P12ihipStream_tbDpT10_ENKUlT_T0_E_clISt17integral_constantIbLb1EES1B_EEDaS16_S17_EUlS16_E_NS1_11comp_targetILNS1_3genE3ELNS1_11target_archE908ELNS1_3gpuE7ELNS1_3repE0EEENS1_30default_config_static_selectorELNS0_4arch9wavefront6targetE0EEEvT1_.num_vgpr, 0
	.set _ZN7rocprim17ROCPRIM_400000_NS6detail17trampoline_kernelINS0_14default_configENS1_25partition_config_selectorILNS1_17partition_subalgoE5ElNS0_10empty_typeEbEEZZNS1_14partition_implILS5_5ELb0ES3_mN6hipcub16HIPCUB_304000_NS21CountingInputIteratorIllEEPS6_NSA_22TransformInputIteratorIbN2at6native12_GLOBAL__N_19NonZeroOpIsEEPKslEENS0_5tupleIJPlS6_EEENSN_IJSD_SD_EEES6_PiJS6_EEE10hipError_tPvRmT3_T4_T5_T6_T7_T9_mT8_P12ihipStream_tbDpT10_ENKUlT_T0_E_clISt17integral_constantIbLb1EES1B_EEDaS16_S17_EUlS16_E_NS1_11comp_targetILNS1_3genE3ELNS1_11target_archE908ELNS1_3gpuE7ELNS1_3repE0EEENS1_30default_config_static_selectorELNS0_4arch9wavefront6targetE0EEEvT1_.num_agpr, 0
	.set _ZN7rocprim17ROCPRIM_400000_NS6detail17trampoline_kernelINS0_14default_configENS1_25partition_config_selectorILNS1_17partition_subalgoE5ElNS0_10empty_typeEbEEZZNS1_14partition_implILS5_5ELb0ES3_mN6hipcub16HIPCUB_304000_NS21CountingInputIteratorIllEEPS6_NSA_22TransformInputIteratorIbN2at6native12_GLOBAL__N_19NonZeroOpIsEEPKslEENS0_5tupleIJPlS6_EEENSN_IJSD_SD_EEES6_PiJS6_EEE10hipError_tPvRmT3_T4_T5_T6_T7_T9_mT8_P12ihipStream_tbDpT10_ENKUlT_T0_E_clISt17integral_constantIbLb1EES1B_EEDaS16_S17_EUlS16_E_NS1_11comp_targetILNS1_3genE3ELNS1_11target_archE908ELNS1_3gpuE7ELNS1_3repE0EEENS1_30default_config_static_selectorELNS0_4arch9wavefront6targetE0EEEvT1_.numbered_sgpr, 0
	.set _ZN7rocprim17ROCPRIM_400000_NS6detail17trampoline_kernelINS0_14default_configENS1_25partition_config_selectorILNS1_17partition_subalgoE5ElNS0_10empty_typeEbEEZZNS1_14partition_implILS5_5ELb0ES3_mN6hipcub16HIPCUB_304000_NS21CountingInputIteratorIllEEPS6_NSA_22TransformInputIteratorIbN2at6native12_GLOBAL__N_19NonZeroOpIsEEPKslEENS0_5tupleIJPlS6_EEENSN_IJSD_SD_EEES6_PiJS6_EEE10hipError_tPvRmT3_T4_T5_T6_T7_T9_mT8_P12ihipStream_tbDpT10_ENKUlT_T0_E_clISt17integral_constantIbLb1EES1B_EEDaS16_S17_EUlS16_E_NS1_11comp_targetILNS1_3genE3ELNS1_11target_archE908ELNS1_3gpuE7ELNS1_3repE0EEENS1_30default_config_static_selectorELNS0_4arch9wavefront6targetE0EEEvT1_.num_named_barrier, 0
	.set _ZN7rocprim17ROCPRIM_400000_NS6detail17trampoline_kernelINS0_14default_configENS1_25partition_config_selectorILNS1_17partition_subalgoE5ElNS0_10empty_typeEbEEZZNS1_14partition_implILS5_5ELb0ES3_mN6hipcub16HIPCUB_304000_NS21CountingInputIteratorIllEEPS6_NSA_22TransformInputIteratorIbN2at6native12_GLOBAL__N_19NonZeroOpIsEEPKslEENS0_5tupleIJPlS6_EEENSN_IJSD_SD_EEES6_PiJS6_EEE10hipError_tPvRmT3_T4_T5_T6_T7_T9_mT8_P12ihipStream_tbDpT10_ENKUlT_T0_E_clISt17integral_constantIbLb1EES1B_EEDaS16_S17_EUlS16_E_NS1_11comp_targetILNS1_3genE3ELNS1_11target_archE908ELNS1_3gpuE7ELNS1_3repE0EEENS1_30default_config_static_selectorELNS0_4arch9wavefront6targetE0EEEvT1_.private_seg_size, 0
	.set _ZN7rocprim17ROCPRIM_400000_NS6detail17trampoline_kernelINS0_14default_configENS1_25partition_config_selectorILNS1_17partition_subalgoE5ElNS0_10empty_typeEbEEZZNS1_14partition_implILS5_5ELb0ES3_mN6hipcub16HIPCUB_304000_NS21CountingInputIteratorIllEEPS6_NSA_22TransformInputIteratorIbN2at6native12_GLOBAL__N_19NonZeroOpIsEEPKslEENS0_5tupleIJPlS6_EEENSN_IJSD_SD_EEES6_PiJS6_EEE10hipError_tPvRmT3_T4_T5_T6_T7_T9_mT8_P12ihipStream_tbDpT10_ENKUlT_T0_E_clISt17integral_constantIbLb1EES1B_EEDaS16_S17_EUlS16_E_NS1_11comp_targetILNS1_3genE3ELNS1_11target_archE908ELNS1_3gpuE7ELNS1_3repE0EEENS1_30default_config_static_selectorELNS0_4arch9wavefront6targetE0EEEvT1_.uses_vcc, 0
	.set _ZN7rocprim17ROCPRIM_400000_NS6detail17trampoline_kernelINS0_14default_configENS1_25partition_config_selectorILNS1_17partition_subalgoE5ElNS0_10empty_typeEbEEZZNS1_14partition_implILS5_5ELb0ES3_mN6hipcub16HIPCUB_304000_NS21CountingInputIteratorIllEEPS6_NSA_22TransformInputIteratorIbN2at6native12_GLOBAL__N_19NonZeroOpIsEEPKslEENS0_5tupleIJPlS6_EEENSN_IJSD_SD_EEES6_PiJS6_EEE10hipError_tPvRmT3_T4_T5_T6_T7_T9_mT8_P12ihipStream_tbDpT10_ENKUlT_T0_E_clISt17integral_constantIbLb1EES1B_EEDaS16_S17_EUlS16_E_NS1_11comp_targetILNS1_3genE3ELNS1_11target_archE908ELNS1_3gpuE7ELNS1_3repE0EEENS1_30default_config_static_selectorELNS0_4arch9wavefront6targetE0EEEvT1_.uses_flat_scratch, 0
	.set _ZN7rocprim17ROCPRIM_400000_NS6detail17trampoline_kernelINS0_14default_configENS1_25partition_config_selectorILNS1_17partition_subalgoE5ElNS0_10empty_typeEbEEZZNS1_14partition_implILS5_5ELb0ES3_mN6hipcub16HIPCUB_304000_NS21CountingInputIteratorIllEEPS6_NSA_22TransformInputIteratorIbN2at6native12_GLOBAL__N_19NonZeroOpIsEEPKslEENS0_5tupleIJPlS6_EEENSN_IJSD_SD_EEES6_PiJS6_EEE10hipError_tPvRmT3_T4_T5_T6_T7_T9_mT8_P12ihipStream_tbDpT10_ENKUlT_T0_E_clISt17integral_constantIbLb1EES1B_EEDaS16_S17_EUlS16_E_NS1_11comp_targetILNS1_3genE3ELNS1_11target_archE908ELNS1_3gpuE7ELNS1_3repE0EEENS1_30default_config_static_selectorELNS0_4arch9wavefront6targetE0EEEvT1_.has_dyn_sized_stack, 0
	.set _ZN7rocprim17ROCPRIM_400000_NS6detail17trampoline_kernelINS0_14default_configENS1_25partition_config_selectorILNS1_17partition_subalgoE5ElNS0_10empty_typeEbEEZZNS1_14partition_implILS5_5ELb0ES3_mN6hipcub16HIPCUB_304000_NS21CountingInputIteratorIllEEPS6_NSA_22TransformInputIteratorIbN2at6native12_GLOBAL__N_19NonZeroOpIsEEPKslEENS0_5tupleIJPlS6_EEENSN_IJSD_SD_EEES6_PiJS6_EEE10hipError_tPvRmT3_T4_T5_T6_T7_T9_mT8_P12ihipStream_tbDpT10_ENKUlT_T0_E_clISt17integral_constantIbLb1EES1B_EEDaS16_S17_EUlS16_E_NS1_11comp_targetILNS1_3genE3ELNS1_11target_archE908ELNS1_3gpuE7ELNS1_3repE0EEENS1_30default_config_static_selectorELNS0_4arch9wavefront6targetE0EEEvT1_.has_recursion, 0
	.set _ZN7rocprim17ROCPRIM_400000_NS6detail17trampoline_kernelINS0_14default_configENS1_25partition_config_selectorILNS1_17partition_subalgoE5ElNS0_10empty_typeEbEEZZNS1_14partition_implILS5_5ELb0ES3_mN6hipcub16HIPCUB_304000_NS21CountingInputIteratorIllEEPS6_NSA_22TransformInputIteratorIbN2at6native12_GLOBAL__N_19NonZeroOpIsEEPKslEENS0_5tupleIJPlS6_EEENSN_IJSD_SD_EEES6_PiJS6_EEE10hipError_tPvRmT3_T4_T5_T6_T7_T9_mT8_P12ihipStream_tbDpT10_ENKUlT_T0_E_clISt17integral_constantIbLb1EES1B_EEDaS16_S17_EUlS16_E_NS1_11comp_targetILNS1_3genE3ELNS1_11target_archE908ELNS1_3gpuE7ELNS1_3repE0EEENS1_30default_config_static_selectorELNS0_4arch9wavefront6targetE0EEEvT1_.has_indirect_call, 0
	.section	.AMDGPU.csdata,"",@progbits
; Kernel info:
; codeLenInByte = 0
; TotalNumSgprs: 0
; NumVgprs: 0
; ScratchSize: 0
; MemoryBound: 0
; FloatMode: 240
; IeeeMode: 1
; LDSByteSize: 0 bytes/workgroup (compile time only)
; SGPRBlocks: 0
; VGPRBlocks: 0
; NumSGPRsForWavesPerEU: 1
; NumVGPRsForWavesPerEU: 1
; Occupancy: 16
; WaveLimiterHint : 0
; COMPUTE_PGM_RSRC2:SCRATCH_EN: 0
; COMPUTE_PGM_RSRC2:USER_SGPR: 2
; COMPUTE_PGM_RSRC2:TRAP_HANDLER: 0
; COMPUTE_PGM_RSRC2:TGID_X_EN: 1
; COMPUTE_PGM_RSRC2:TGID_Y_EN: 0
; COMPUTE_PGM_RSRC2:TGID_Z_EN: 0
; COMPUTE_PGM_RSRC2:TIDIG_COMP_CNT: 0
	.section	.text._ZN7rocprim17ROCPRIM_400000_NS6detail17trampoline_kernelINS0_14default_configENS1_25partition_config_selectorILNS1_17partition_subalgoE5ElNS0_10empty_typeEbEEZZNS1_14partition_implILS5_5ELb0ES3_mN6hipcub16HIPCUB_304000_NS21CountingInputIteratorIllEEPS6_NSA_22TransformInputIteratorIbN2at6native12_GLOBAL__N_19NonZeroOpIsEEPKslEENS0_5tupleIJPlS6_EEENSN_IJSD_SD_EEES6_PiJS6_EEE10hipError_tPvRmT3_T4_T5_T6_T7_T9_mT8_P12ihipStream_tbDpT10_ENKUlT_T0_E_clISt17integral_constantIbLb1EES1B_EEDaS16_S17_EUlS16_E_NS1_11comp_targetILNS1_3genE2ELNS1_11target_archE906ELNS1_3gpuE6ELNS1_3repE0EEENS1_30default_config_static_selectorELNS0_4arch9wavefront6targetE0EEEvT1_,"axG",@progbits,_ZN7rocprim17ROCPRIM_400000_NS6detail17trampoline_kernelINS0_14default_configENS1_25partition_config_selectorILNS1_17partition_subalgoE5ElNS0_10empty_typeEbEEZZNS1_14partition_implILS5_5ELb0ES3_mN6hipcub16HIPCUB_304000_NS21CountingInputIteratorIllEEPS6_NSA_22TransformInputIteratorIbN2at6native12_GLOBAL__N_19NonZeroOpIsEEPKslEENS0_5tupleIJPlS6_EEENSN_IJSD_SD_EEES6_PiJS6_EEE10hipError_tPvRmT3_T4_T5_T6_T7_T9_mT8_P12ihipStream_tbDpT10_ENKUlT_T0_E_clISt17integral_constantIbLb1EES1B_EEDaS16_S17_EUlS16_E_NS1_11comp_targetILNS1_3genE2ELNS1_11target_archE906ELNS1_3gpuE6ELNS1_3repE0EEENS1_30default_config_static_selectorELNS0_4arch9wavefront6targetE0EEEvT1_,comdat
	.globl	_ZN7rocprim17ROCPRIM_400000_NS6detail17trampoline_kernelINS0_14default_configENS1_25partition_config_selectorILNS1_17partition_subalgoE5ElNS0_10empty_typeEbEEZZNS1_14partition_implILS5_5ELb0ES3_mN6hipcub16HIPCUB_304000_NS21CountingInputIteratorIllEEPS6_NSA_22TransformInputIteratorIbN2at6native12_GLOBAL__N_19NonZeroOpIsEEPKslEENS0_5tupleIJPlS6_EEENSN_IJSD_SD_EEES6_PiJS6_EEE10hipError_tPvRmT3_T4_T5_T6_T7_T9_mT8_P12ihipStream_tbDpT10_ENKUlT_T0_E_clISt17integral_constantIbLb1EES1B_EEDaS16_S17_EUlS16_E_NS1_11comp_targetILNS1_3genE2ELNS1_11target_archE906ELNS1_3gpuE6ELNS1_3repE0EEENS1_30default_config_static_selectorELNS0_4arch9wavefront6targetE0EEEvT1_ ; -- Begin function _ZN7rocprim17ROCPRIM_400000_NS6detail17trampoline_kernelINS0_14default_configENS1_25partition_config_selectorILNS1_17partition_subalgoE5ElNS0_10empty_typeEbEEZZNS1_14partition_implILS5_5ELb0ES3_mN6hipcub16HIPCUB_304000_NS21CountingInputIteratorIllEEPS6_NSA_22TransformInputIteratorIbN2at6native12_GLOBAL__N_19NonZeroOpIsEEPKslEENS0_5tupleIJPlS6_EEENSN_IJSD_SD_EEES6_PiJS6_EEE10hipError_tPvRmT3_T4_T5_T6_T7_T9_mT8_P12ihipStream_tbDpT10_ENKUlT_T0_E_clISt17integral_constantIbLb1EES1B_EEDaS16_S17_EUlS16_E_NS1_11comp_targetILNS1_3genE2ELNS1_11target_archE906ELNS1_3gpuE6ELNS1_3repE0EEENS1_30default_config_static_selectorELNS0_4arch9wavefront6targetE0EEEvT1_
	.p2align	8
	.type	_ZN7rocprim17ROCPRIM_400000_NS6detail17trampoline_kernelINS0_14default_configENS1_25partition_config_selectorILNS1_17partition_subalgoE5ElNS0_10empty_typeEbEEZZNS1_14partition_implILS5_5ELb0ES3_mN6hipcub16HIPCUB_304000_NS21CountingInputIteratorIllEEPS6_NSA_22TransformInputIteratorIbN2at6native12_GLOBAL__N_19NonZeroOpIsEEPKslEENS0_5tupleIJPlS6_EEENSN_IJSD_SD_EEES6_PiJS6_EEE10hipError_tPvRmT3_T4_T5_T6_T7_T9_mT8_P12ihipStream_tbDpT10_ENKUlT_T0_E_clISt17integral_constantIbLb1EES1B_EEDaS16_S17_EUlS16_E_NS1_11comp_targetILNS1_3genE2ELNS1_11target_archE906ELNS1_3gpuE6ELNS1_3repE0EEENS1_30default_config_static_selectorELNS0_4arch9wavefront6targetE0EEEvT1_,@function
_ZN7rocprim17ROCPRIM_400000_NS6detail17trampoline_kernelINS0_14default_configENS1_25partition_config_selectorILNS1_17partition_subalgoE5ElNS0_10empty_typeEbEEZZNS1_14partition_implILS5_5ELb0ES3_mN6hipcub16HIPCUB_304000_NS21CountingInputIteratorIllEEPS6_NSA_22TransformInputIteratorIbN2at6native12_GLOBAL__N_19NonZeroOpIsEEPKslEENS0_5tupleIJPlS6_EEENSN_IJSD_SD_EEES6_PiJS6_EEE10hipError_tPvRmT3_T4_T5_T6_T7_T9_mT8_P12ihipStream_tbDpT10_ENKUlT_T0_E_clISt17integral_constantIbLb1EES1B_EEDaS16_S17_EUlS16_E_NS1_11comp_targetILNS1_3genE2ELNS1_11target_archE906ELNS1_3gpuE6ELNS1_3repE0EEENS1_30default_config_static_selectorELNS0_4arch9wavefront6targetE0EEEvT1_: ; @_ZN7rocprim17ROCPRIM_400000_NS6detail17trampoline_kernelINS0_14default_configENS1_25partition_config_selectorILNS1_17partition_subalgoE5ElNS0_10empty_typeEbEEZZNS1_14partition_implILS5_5ELb0ES3_mN6hipcub16HIPCUB_304000_NS21CountingInputIteratorIllEEPS6_NSA_22TransformInputIteratorIbN2at6native12_GLOBAL__N_19NonZeroOpIsEEPKslEENS0_5tupleIJPlS6_EEENSN_IJSD_SD_EEES6_PiJS6_EEE10hipError_tPvRmT3_T4_T5_T6_T7_T9_mT8_P12ihipStream_tbDpT10_ENKUlT_T0_E_clISt17integral_constantIbLb1EES1B_EEDaS16_S17_EUlS16_E_NS1_11comp_targetILNS1_3genE2ELNS1_11target_archE906ELNS1_3gpuE6ELNS1_3repE0EEENS1_30default_config_static_selectorELNS0_4arch9wavefront6targetE0EEEvT1_
; %bb.0:
	.section	.rodata,"a",@progbits
	.p2align	6, 0x0
	.amdhsa_kernel _ZN7rocprim17ROCPRIM_400000_NS6detail17trampoline_kernelINS0_14default_configENS1_25partition_config_selectorILNS1_17partition_subalgoE5ElNS0_10empty_typeEbEEZZNS1_14partition_implILS5_5ELb0ES3_mN6hipcub16HIPCUB_304000_NS21CountingInputIteratorIllEEPS6_NSA_22TransformInputIteratorIbN2at6native12_GLOBAL__N_19NonZeroOpIsEEPKslEENS0_5tupleIJPlS6_EEENSN_IJSD_SD_EEES6_PiJS6_EEE10hipError_tPvRmT3_T4_T5_T6_T7_T9_mT8_P12ihipStream_tbDpT10_ENKUlT_T0_E_clISt17integral_constantIbLb1EES1B_EEDaS16_S17_EUlS16_E_NS1_11comp_targetILNS1_3genE2ELNS1_11target_archE906ELNS1_3gpuE6ELNS1_3repE0EEENS1_30default_config_static_selectorELNS0_4arch9wavefront6targetE0EEEvT1_
		.amdhsa_group_segment_fixed_size 0
		.amdhsa_private_segment_fixed_size 0
		.amdhsa_kernarg_size 136
		.amdhsa_user_sgpr_count 2
		.amdhsa_user_sgpr_dispatch_ptr 0
		.amdhsa_user_sgpr_queue_ptr 0
		.amdhsa_user_sgpr_kernarg_segment_ptr 1
		.amdhsa_user_sgpr_dispatch_id 0
		.amdhsa_user_sgpr_private_segment_size 0
		.amdhsa_wavefront_size32 1
		.amdhsa_uses_dynamic_stack 0
		.amdhsa_enable_private_segment 0
		.amdhsa_system_sgpr_workgroup_id_x 1
		.amdhsa_system_sgpr_workgroup_id_y 0
		.amdhsa_system_sgpr_workgroup_id_z 0
		.amdhsa_system_sgpr_workgroup_info 0
		.amdhsa_system_vgpr_workitem_id 0
		.amdhsa_next_free_vgpr 1
		.amdhsa_next_free_sgpr 1
		.amdhsa_reserve_vcc 0
		.amdhsa_float_round_mode_32 0
		.amdhsa_float_round_mode_16_64 0
		.amdhsa_float_denorm_mode_32 3
		.amdhsa_float_denorm_mode_16_64 3
		.amdhsa_fp16_overflow 0
		.amdhsa_workgroup_processor_mode 1
		.amdhsa_memory_ordered 1
		.amdhsa_forward_progress 1
		.amdhsa_inst_pref_size 0
		.amdhsa_round_robin_scheduling 0
		.amdhsa_exception_fp_ieee_invalid_op 0
		.amdhsa_exception_fp_denorm_src 0
		.amdhsa_exception_fp_ieee_div_zero 0
		.amdhsa_exception_fp_ieee_overflow 0
		.amdhsa_exception_fp_ieee_underflow 0
		.amdhsa_exception_fp_ieee_inexact 0
		.amdhsa_exception_int_div_zero 0
	.end_amdhsa_kernel
	.section	.text._ZN7rocprim17ROCPRIM_400000_NS6detail17trampoline_kernelINS0_14default_configENS1_25partition_config_selectorILNS1_17partition_subalgoE5ElNS0_10empty_typeEbEEZZNS1_14partition_implILS5_5ELb0ES3_mN6hipcub16HIPCUB_304000_NS21CountingInputIteratorIllEEPS6_NSA_22TransformInputIteratorIbN2at6native12_GLOBAL__N_19NonZeroOpIsEEPKslEENS0_5tupleIJPlS6_EEENSN_IJSD_SD_EEES6_PiJS6_EEE10hipError_tPvRmT3_T4_T5_T6_T7_T9_mT8_P12ihipStream_tbDpT10_ENKUlT_T0_E_clISt17integral_constantIbLb1EES1B_EEDaS16_S17_EUlS16_E_NS1_11comp_targetILNS1_3genE2ELNS1_11target_archE906ELNS1_3gpuE6ELNS1_3repE0EEENS1_30default_config_static_selectorELNS0_4arch9wavefront6targetE0EEEvT1_,"axG",@progbits,_ZN7rocprim17ROCPRIM_400000_NS6detail17trampoline_kernelINS0_14default_configENS1_25partition_config_selectorILNS1_17partition_subalgoE5ElNS0_10empty_typeEbEEZZNS1_14partition_implILS5_5ELb0ES3_mN6hipcub16HIPCUB_304000_NS21CountingInputIteratorIllEEPS6_NSA_22TransformInputIteratorIbN2at6native12_GLOBAL__N_19NonZeroOpIsEEPKslEENS0_5tupleIJPlS6_EEENSN_IJSD_SD_EEES6_PiJS6_EEE10hipError_tPvRmT3_T4_T5_T6_T7_T9_mT8_P12ihipStream_tbDpT10_ENKUlT_T0_E_clISt17integral_constantIbLb1EES1B_EEDaS16_S17_EUlS16_E_NS1_11comp_targetILNS1_3genE2ELNS1_11target_archE906ELNS1_3gpuE6ELNS1_3repE0EEENS1_30default_config_static_selectorELNS0_4arch9wavefront6targetE0EEEvT1_,comdat
.Lfunc_end334:
	.size	_ZN7rocprim17ROCPRIM_400000_NS6detail17trampoline_kernelINS0_14default_configENS1_25partition_config_selectorILNS1_17partition_subalgoE5ElNS0_10empty_typeEbEEZZNS1_14partition_implILS5_5ELb0ES3_mN6hipcub16HIPCUB_304000_NS21CountingInputIteratorIllEEPS6_NSA_22TransformInputIteratorIbN2at6native12_GLOBAL__N_19NonZeroOpIsEEPKslEENS0_5tupleIJPlS6_EEENSN_IJSD_SD_EEES6_PiJS6_EEE10hipError_tPvRmT3_T4_T5_T6_T7_T9_mT8_P12ihipStream_tbDpT10_ENKUlT_T0_E_clISt17integral_constantIbLb1EES1B_EEDaS16_S17_EUlS16_E_NS1_11comp_targetILNS1_3genE2ELNS1_11target_archE906ELNS1_3gpuE6ELNS1_3repE0EEENS1_30default_config_static_selectorELNS0_4arch9wavefront6targetE0EEEvT1_, .Lfunc_end334-_ZN7rocprim17ROCPRIM_400000_NS6detail17trampoline_kernelINS0_14default_configENS1_25partition_config_selectorILNS1_17partition_subalgoE5ElNS0_10empty_typeEbEEZZNS1_14partition_implILS5_5ELb0ES3_mN6hipcub16HIPCUB_304000_NS21CountingInputIteratorIllEEPS6_NSA_22TransformInputIteratorIbN2at6native12_GLOBAL__N_19NonZeroOpIsEEPKslEENS0_5tupleIJPlS6_EEENSN_IJSD_SD_EEES6_PiJS6_EEE10hipError_tPvRmT3_T4_T5_T6_T7_T9_mT8_P12ihipStream_tbDpT10_ENKUlT_T0_E_clISt17integral_constantIbLb1EES1B_EEDaS16_S17_EUlS16_E_NS1_11comp_targetILNS1_3genE2ELNS1_11target_archE906ELNS1_3gpuE6ELNS1_3repE0EEENS1_30default_config_static_selectorELNS0_4arch9wavefront6targetE0EEEvT1_
                                        ; -- End function
	.set _ZN7rocprim17ROCPRIM_400000_NS6detail17trampoline_kernelINS0_14default_configENS1_25partition_config_selectorILNS1_17partition_subalgoE5ElNS0_10empty_typeEbEEZZNS1_14partition_implILS5_5ELb0ES3_mN6hipcub16HIPCUB_304000_NS21CountingInputIteratorIllEEPS6_NSA_22TransformInputIteratorIbN2at6native12_GLOBAL__N_19NonZeroOpIsEEPKslEENS0_5tupleIJPlS6_EEENSN_IJSD_SD_EEES6_PiJS6_EEE10hipError_tPvRmT3_T4_T5_T6_T7_T9_mT8_P12ihipStream_tbDpT10_ENKUlT_T0_E_clISt17integral_constantIbLb1EES1B_EEDaS16_S17_EUlS16_E_NS1_11comp_targetILNS1_3genE2ELNS1_11target_archE906ELNS1_3gpuE6ELNS1_3repE0EEENS1_30default_config_static_selectorELNS0_4arch9wavefront6targetE0EEEvT1_.num_vgpr, 0
	.set _ZN7rocprim17ROCPRIM_400000_NS6detail17trampoline_kernelINS0_14default_configENS1_25partition_config_selectorILNS1_17partition_subalgoE5ElNS0_10empty_typeEbEEZZNS1_14partition_implILS5_5ELb0ES3_mN6hipcub16HIPCUB_304000_NS21CountingInputIteratorIllEEPS6_NSA_22TransformInputIteratorIbN2at6native12_GLOBAL__N_19NonZeroOpIsEEPKslEENS0_5tupleIJPlS6_EEENSN_IJSD_SD_EEES6_PiJS6_EEE10hipError_tPvRmT3_T4_T5_T6_T7_T9_mT8_P12ihipStream_tbDpT10_ENKUlT_T0_E_clISt17integral_constantIbLb1EES1B_EEDaS16_S17_EUlS16_E_NS1_11comp_targetILNS1_3genE2ELNS1_11target_archE906ELNS1_3gpuE6ELNS1_3repE0EEENS1_30default_config_static_selectorELNS0_4arch9wavefront6targetE0EEEvT1_.num_agpr, 0
	.set _ZN7rocprim17ROCPRIM_400000_NS6detail17trampoline_kernelINS0_14default_configENS1_25partition_config_selectorILNS1_17partition_subalgoE5ElNS0_10empty_typeEbEEZZNS1_14partition_implILS5_5ELb0ES3_mN6hipcub16HIPCUB_304000_NS21CountingInputIteratorIllEEPS6_NSA_22TransformInputIteratorIbN2at6native12_GLOBAL__N_19NonZeroOpIsEEPKslEENS0_5tupleIJPlS6_EEENSN_IJSD_SD_EEES6_PiJS6_EEE10hipError_tPvRmT3_T4_T5_T6_T7_T9_mT8_P12ihipStream_tbDpT10_ENKUlT_T0_E_clISt17integral_constantIbLb1EES1B_EEDaS16_S17_EUlS16_E_NS1_11comp_targetILNS1_3genE2ELNS1_11target_archE906ELNS1_3gpuE6ELNS1_3repE0EEENS1_30default_config_static_selectorELNS0_4arch9wavefront6targetE0EEEvT1_.numbered_sgpr, 0
	.set _ZN7rocprim17ROCPRIM_400000_NS6detail17trampoline_kernelINS0_14default_configENS1_25partition_config_selectorILNS1_17partition_subalgoE5ElNS0_10empty_typeEbEEZZNS1_14partition_implILS5_5ELb0ES3_mN6hipcub16HIPCUB_304000_NS21CountingInputIteratorIllEEPS6_NSA_22TransformInputIteratorIbN2at6native12_GLOBAL__N_19NonZeroOpIsEEPKslEENS0_5tupleIJPlS6_EEENSN_IJSD_SD_EEES6_PiJS6_EEE10hipError_tPvRmT3_T4_T5_T6_T7_T9_mT8_P12ihipStream_tbDpT10_ENKUlT_T0_E_clISt17integral_constantIbLb1EES1B_EEDaS16_S17_EUlS16_E_NS1_11comp_targetILNS1_3genE2ELNS1_11target_archE906ELNS1_3gpuE6ELNS1_3repE0EEENS1_30default_config_static_selectorELNS0_4arch9wavefront6targetE0EEEvT1_.num_named_barrier, 0
	.set _ZN7rocprim17ROCPRIM_400000_NS6detail17trampoline_kernelINS0_14default_configENS1_25partition_config_selectorILNS1_17partition_subalgoE5ElNS0_10empty_typeEbEEZZNS1_14partition_implILS5_5ELb0ES3_mN6hipcub16HIPCUB_304000_NS21CountingInputIteratorIllEEPS6_NSA_22TransformInputIteratorIbN2at6native12_GLOBAL__N_19NonZeroOpIsEEPKslEENS0_5tupleIJPlS6_EEENSN_IJSD_SD_EEES6_PiJS6_EEE10hipError_tPvRmT3_T4_T5_T6_T7_T9_mT8_P12ihipStream_tbDpT10_ENKUlT_T0_E_clISt17integral_constantIbLb1EES1B_EEDaS16_S17_EUlS16_E_NS1_11comp_targetILNS1_3genE2ELNS1_11target_archE906ELNS1_3gpuE6ELNS1_3repE0EEENS1_30default_config_static_selectorELNS0_4arch9wavefront6targetE0EEEvT1_.private_seg_size, 0
	.set _ZN7rocprim17ROCPRIM_400000_NS6detail17trampoline_kernelINS0_14default_configENS1_25partition_config_selectorILNS1_17partition_subalgoE5ElNS0_10empty_typeEbEEZZNS1_14partition_implILS5_5ELb0ES3_mN6hipcub16HIPCUB_304000_NS21CountingInputIteratorIllEEPS6_NSA_22TransformInputIteratorIbN2at6native12_GLOBAL__N_19NonZeroOpIsEEPKslEENS0_5tupleIJPlS6_EEENSN_IJSD_SD_EEES6_PiJS6_EEE10hipError_tPvRmT3_T4_T5_T6_T7_T9_mT8_P12ihipStream_tbDpT10_ENKUlT_T0_E_clISt17integral_constantIbLb1EES1B_EEDaS16_S17_EUlS16_E_NS1_11comp_targetILNS1_3genE2ELNS1_11target_archE906ELNS1_3gpuE6ELNS1_3repE0EEENS1_30default_config_static_selectorELNS0_4arch9wavefront6targetE0EEEvT1_.uses_vcc, 0
	.set _ZN7rocprim17ROCPRIM_400000_NS6detail17trampoline_kernelINS0_14default_configENS1_25partition_config_selectorILNS1_17partition_subalgoE5ElNS0_10empty_typeEbEEZZNS1_14partition_implILS5_5ELb0ES3_mN6hipcub16HIPCUB_304000_NS21CountingInputIteratorIllEEPS6_NSA_22TransformInputIteratorIbN2at6native12_GLOBAL__N_19NonZeroOpIsEEPKslEENS0_5tupleIJPlS6_EEENSN_IJSD_SD_EEES6_PiJS6_EEE10hipError_tPvRmT3_T4_T5_T6_T7_T9_mT8_P12ihipStream_tbDpT10_ENKUlT_T0_E_clISt17integral_constantIbLb1EES1B_EEDaS16_S17_EUlS16_E_NS1_11comp_targetILNS1_3genE2ELNS1_11target_archE906ELNS1_3gpuE6ELNS1_3repE0EEENS1_30default_config_static_selectorELNS0_4arch9wavefront6targetE0EEEvT1_.uses_flat_scratch, 0
	.set _ZN7rocprim17ROCPRIM_400000_NS6detail17trampoline_kernelINS0_14default_configENS1_25partition_config_selectorILNS1_17partition_subalgoE5ElNS0_10empty_typeEbEEZZNS1_14partition_implILS5_5ELb0ES3_mN6hipcub16HIPCUB_304000_NS21CountingInputIteratorIllEEPS6_NSA_22TransformInputIteratorIbN2at6native12_GLOBAL__N_19NonZeroOpIsEEPKslEENS0_5tupleIJPlS6_EEENSN_IJSD_SD_EEES6_PiJS6_EEE10hipError_tPvRmT3_T4_T5_T6_T7_T9_mT8_P12ihipStream_tbDpT10_ENKUlT_T0_E_clISt17integral_constantIbLb1EES1B_EEDaS16_S17_EUlS16_E_NS1_11comp_targetILNS1_3genE2ELNS1_11target_archE906ELNS1_3gpuE6ELNS1_3repE0EEENS1_30default_config_static_selectorELNS0_4arch9wavefront6targetE0EEEvT1_.has_dyn_sized_stack, 0
	.set _ZN7rocprim17ROCPRIM_400000_NS6detail17trampoline_kernelINS0_14default_configENS1_25partition_config_selectorILNS1_17partition_subalgoE5ElNS0_10empty_typeEbEEZZNS1_14partition_implILS5_5ELb0ES3_mN6hipcub16HIPCUB_304000_NS21CountingInputIteratorIllEEPS6_NSA_22TransformInputIteratorIbN2at6native12_GLOBAL__N_19NonZeroOpIsEEPKslEENS0_5tupleIJPlS6_EEENSN_IJSD_SD_EEES6_PiJS6_EEE10hipError_tPvRmT3_T4_T5_T6_T7_T9_mT8_P12ihipStream_tbDpT10_ENKUlT_T0_E_clISt17integral_constantIbLb1EES1B_EEDaS16_S17_EUlS16_E_NS1_11comp_targetILNS1_3genE2ELNS1_11target_archE906ELNS1_3gpuE6ELNS1_3repE0EEENS1_30default_config_static_selectorELNS0_4arch9wavefront6targetE0EEEvT1_.has_recursion, 0
	.set _ZN7rocprim17ROCPRIM_400000_NS6detail17trampoline_kernelINS0_14default_configENS1_25partition_config_selectorILNS1_17partition_subalgoE5ElNS0_10empty_typeEbEEZZNS1_14partition_implILS5_5ELb0ES3_mN6hipcub16HIPCUB_304000_NS21CountingInputIteratorIllEEPS6_NSA_22TransformInputIteratorIbN2at6native12_GLOBAL__N_19NonZeroOpIsEEPKslEENS0_5tupleIJPlS6_EEENSN_IJSD_SD_EEES6_PiJS6_EEE10hipError_tPvRmT3_T4_T5_T6_T7_T9_mT8_P12ihipStream_tbDpT10_ENKUlT_T0_E_clISt17integral_constantIbLb1EES1B_EEDaS16_S17_EUlS16_E_NS1_11comp_targetILNS1_3genE2ELNS1_11target_archE906ELNS1_3gpuE6ELNS1_3repE0EEENS1_30default_config_static_selectorELNS0_4arch9wavefront6targetE0EEEvT1_.has_indirect_call, 0
	.section	.AMDGPU.csdata,"",@progbits
; Kernel info:
; codeLenInByte = 0
; TotalNumSgprs: 0
; NumVgprs: 0
; ScratchSize: 0
; MemoryBound: 0
; FloatMode: 240
; IeeeMode: 1
; LDSByteSize: 0 bytes/workgroup (compile time only)
; SGPRBlocks: 0
; VGPRBlocks: 0
; NumSGPRsForWavesPerEU: 1
; NumVGPRsForWavesPerEU: 1
; Occupancy: 16
; WaveLimiterHint : 0
; COMPUTE_PGM_RSRC2:SCRATCH_EN: 0
; COMPUTE_PGM_RSRC2:USER_SGPR: 2
; COMPUTE_PGM_RSRC2:TRAP_HANDLER: 0
; COMPUTE_PGM_RSRC2:TGID_X_EN: 1
; COMPUTE_PGM_RSRC2:TGID_Y_EN: 0
; COMPUTE_PGM_RSRC2:TGID_Z_EN: 0
; COMPUTE_PGM_RSRC2:TIDIG_COMP_CNT: 0
	.section	.text._ZN7rocprim17ROCPRIM_400000_NS6detail17trampoline_kernelINS0_14default_configENS1_25partition_config_selectorILNS1_17partition_subalgoE5ElNS0_10empty_typeEbEEZZNS1_14partition_implILS5_5ELb0ES3_mN6hipcub16HIPCUB_304000_NS21CountingInputIteratorIllEEPS6_NSA_22TransformInputIteratorIbN2at6native12_GLOBAL__N_19NonZeroOpIsEEPKslEENS0_5tupleIJPlS6_EEENSN_IJSD_SD_EEES6_PiJS6_EEE10hipError_tPvRmT3_T4_T5_T6_T7_T9_mT8_P12ihipStream_tbDpT10_ENKUlT_T0_E_clISt17integral_constantIbLb1EES1B_EEDaS16_S17_EUlS16_E_NS1_11comp_targetILNS1_3genE10ELNS1_11target_archE1200ELNS1_3gpuE4ELNS1_3repE0EEENS1_30default_config_static_selectorELNS0_4arch9wavefront6targetE0EEEvT1_,"axG",@progbits,_ZN7rocprim17ROCPRIM_400000_NS6detail17trampoline_kernelINS0_14default_configENS1_25partition_config_selectorILNS1_17partition_subalgoE5ElNS0_10empty_typeEbEEZZNS1_14partition_implILS5_5ELb0ES3_mN6hipcub16HIPCUB_304000_NS21CountingInputIteratorIllEEPS6_NSA_22TransformInputIteratorIbN2at6native12_GLOBAL__N_19NonZeroOpIsEEPKslEENS0_5tupleIJPlS6_EEENSN_IJSD_SD_EEES6_PiJS6_EEE10hipError_tPvRmT3_T4_T5_T6_T7_T9_mT8_P12ihipStream_tbDpT10_ENKUlT_T0_E_clISt17integral_constantIbLb1EES1B_EEDaS16_S17_EUlS16_E_NS1_11comp_targetILNS1_3genE10ELNS1_11target_archE1200ELNS1_3gpuE4ELNS1_3repE0EEENS1_30default_config_static_selectorELNS0_4arch9wavefront6targetE0EEEvT1_,comdat
	.globl	_ZN7rocprim17ROCPRIM_400000_NS6detail17trampoline_kernelINS0_14default_configENS1_25partition_config_selectorILNS1_17partition_subalgoE5ElNS0_10empty_typeEbEEZZNS1_14partition_implILS5_5ELb0ES3_mN6hipcub16HIPCUB_304000_NS21CountingInputIteratorIllEEPS6_NSA_22TransformInputIteratorIbN2at6native12_GLOBAL__N_19NonZeroOpIsEEPKslEENS0_5tupleIJPlS6_EEENSN_IJSD_SD_EEES6_PiJS6_EEE10hipError_tPvRmT3_T4_T5_T6_T7_T9_mT8_P12ihipStream_tbDpT10_ENKUlT_T0_E_clISt17integral_constantIbLb1EES1B_EEDaS16_S17_EUlS16_E_NS1_11comp_targetILNS1_3genE10ELNS1_11target_archE1200ELNS1_3gpuE4ELNS1_3repE0EEENS1_30default_config_static_selectorELNS0_4arch9wavefront6targetE0EEEvT1_ ; -- Begin function _ZN7rocprim17ROCPRIM_400000_NS6detail17trampoline_kernelINS0_14default_configENS1_25partition_config_selectorILNS1_17partition_subalgoE5ElNS0_10empty_typeEbEEZZNS1_14partition_implILS5_5ELb0ES3_mN6hipcub16HIPCUB_304000_NS21CountingInputIteratorIllEEPS6_NSA_22TransformInputIteratorIbN2at6native12_GLOBAL__N_19NonZeroOpIsEEPKslEENS0_5tupleIJPlS6_EEENSN_IJSD_SD_EEES6_PiJS6_EEE10hipError_tPvRmT3_T4_T5_T6_T7_T9_mT8_P12ihipStream_tbDpT10_ENKUlT_T0_E_clISt17integral_constantIbLb1EES1B_EEDaS16_S17_EUlS16_E_NS1_11comp_targetILNS1_3genE10ELNS1_11target_archE1200ELNS1_3gpuE4ELNS1_3repE0EEENS1_30default_config_static_selectorELNS0_4arch9wavefront6targetE0EEEvT1_
	.p2align	8
	.type	_ZN7rocprim17ROCPRIM_400000_NS6detail17trampoline_kernelINS0_14default_configENS1_25partition_config_selectorILNS1_17partition_subalgoE5ElNS0_10empty_typeEbEEZZNS1_14partition_implILS5_5ELb0ES3_mN6hipcub16HIPCUB_304000_NS21CountingInputIteratorIllEEPS6_NSA_22TransformInputIteratorIbN2at6native12_GLOBAL__N_19NonZeroOpIsEEPKslEENS0_5tupleIJPlS6_EEENSN_IJSD_SD_EEES6_PiJS6_EEE10hipError_tPvRmT3_T4_T5_T6_T7_T9_mT8_P12ihipStream_tbDpT10_ENKUlT_T0_E_clISt17integral_constantIbLb1EES1B_EEDaS16_S17_EUlS16_E_NS1_11comp_targetILNS1_3genE10ELNS1_11target_archE1200ELNS1_3gpuE4ELNS1_3repE0EEENS1_30default_config_static_selectorELNS0_4arch9wavefront6targetE0EEEvT1_,@function
_ZN7rocprim17ROCPRIM_400000_NS6detail17trampoline_kernelINS0_14default_configENS1_25partition_config_selectorILNS1_17partition_subalgoE5ElNS0_10empty_typeEbEEZZNS1_14partition_implILS5_5ELb0ES3_mN6hipcub16HIPCUB_304000_NS21CountingInputIteratorIllEEPS6_NSA_22TransformInputIteratorIbN2at6native12_GLOBAL__N_19NonZeroOpIsEEPKslEENS0_5tupleIJPlS6_EEENSN_IJSD_SD_EEES6_PiJS6_EEE10hipError_tPvRmT3_T4_T5_T6_T7_T9_mT8_P12ihipStream_tbDpT10_ENKUlT_T0_E_clISt17integral_constantIbLb1EES1B_EEDaS16_S17_EUlS16_E_NS1_11comp_targetILNS1_3genE10ELNS1_11target_archE1200ELNS1_3gpuE4ELNS1_3repE0EEENS1_30default_config_static_selectorELNS0_4arch9wavefront6targetE0EEEvT1_: ; @_ZN7rocprim17ROCPRIM_400000_NS6detail17trampoline_kernelINS0_14default_configENS1_25partition_config_selectorILNS1_17partition_subalgoE5ElNS0_10empty_typeEbEEZZNS1_14partition_implILS5_5ELb0ES3_mN6hipcub16HIPCUB_304000_NS21CountingInputIteratorIllEEPS6_NSA_22TransformInputIteratorIbN2at6native12_GLOBAL__N_19NonZeroOpIsEEPKslEENS0_5tupleIJPlS6_EEENSN_IJSD_SD_EEES6_PiJS6_EEE10hipError_tPvRmT3_T4_T5_T6_T7_T9_mT8_P12ihipStream_tbDpT10_ENKUlT_T0_E_clISt17integral_constantIbLb1EES1B_EEDaS16_S17_EUlS16_E_NS1_11comp_targetILNS1_3genE10ELNS1_11target_archE1200ELNS1_3gpuE4ELNS1_3repE0EEENS1_30default_config_static_selectorELNS0_4arch9wavefront6targetE0EEEvT1_
; %bb.0:
	s_endpgm
	.section	.rodata,"a",@progbits
	.p2align	6, 0x0
	.amdhsa_kernel _ZN7rocprim17ROCPRIM_400000_NS6detail17trampoline_kernelINS0_14default_configENS1_25partition_config_selectorILNS1_17partition_subalgoE5ElNS0_10empty_typeEbEEZZNS1_14partition_implILS5_5ELb0ES3_mN6hipcub16HIPCUB_304000_NS21CountingInputIteratorIllEEPS6_NSA_22TransformInputIteratorIbN2at6native12_GLOBAL__N_19NonZeroOpIsEEPKslEENS0_5tupleIJPlS6_EEENSN_IJSD_SD_EEES6_PiJS6_EEE10hipError_tPvRmT3_T4_T5_T6_T7_T9_mT8_P12ihipStream_tbDpT10_ENKUlT_T0_E_clISt17integral_constantIbLb1EES1B_EEDaS16_S17_EUlS16_E_NS1_11comp_targetILNS1_3genE10ELNS1_11target_archE1200ELNS1_3gpuE4ELNS1_3repE0EEENS1_30default_config_static_selectorELNS0_4arch9wavefront6targetE0EEEvT1_
		.amdhsa_group_segment_fixed_size 0
		.amdhsa_private_segment_fixed_size 0
		.amdhsa_kernarg_size 136
		.amdhsa_user_sgpr_count 2
		.amdhsa_user_sgpr_dispatch_ptr 0
		.amdhsa_user_sgpr_queue_ptr 0
		.amdhsa_user_sgpr_kernarg_segment_ptr 1
		.amdhsa_user_sgpr_dispatch_id 0
		.amdhsa_user_sgpr_private_segment_size 0
		.amdhsa_wavefront_size32 1
		.amdhsa_uses_dynamic_stack 0
		.amdhsa_enable_private_segment 0
		.amdhsa_system_sgpr_workgroup_id_x 1
		.amdhsa_system_sgpr_workgroup_id_y 0
		.amdhsa_system_sgpr_workgroup_id_z 0
		.amdhsa_system_sgpr_workgroup_info 0
		.amdhsa_system_vgpr_workitem_id 0
		.amdhsa_next_free_vgpr 1
		.amdhsa_next_free_sgpr 1
		.amdhsa_reserve_vcc 0
		.amdhsa_float_round_mode_32 0
		.amdhsa_float_round_mode_16_64 0
		.amdhsa_float_denorm_mode_32 3
		.amdhsa_float_denorm_mode_16_64 3
		.amdhsa_fp16_overflow 0
		.amdhsa_workgroup_processor_mode 1
		.amdhsa_memory_ordered 1
		.amdhsa_forward_progress 1
		.amdhsa_inst_pref_size 1
		.amdhsa_round_robin_scheduling 0
		.amdhsa_exception_fp_ieee_invalid_op 0
		.amdhsa_exception_fp_denorm_src 0
		.amdhsa_exception_fp_ieee_div_zero 0
		.amdhsa_exception_fp_ieee_overflow 0
		.amdhsa_exception_fp_ieee_underflow 0
		.amdhsa_exception_fp_ieee_inexact 0
		.amdhsa_exception_int_div_zero 0
	.end_amdhsa_kernel
	.section	.text._ZN7rocprim17ROCPRIM_400000_NS6detail17trampoline_kernelINS0_14default_configENS1_25partition_config_selectorILNS1_17partition_subalgoE5ElNS0_10empty_typeEbEEZZNS1_14partition_implILS5_5ELb0ES3_mN6hipcub16HIPCUB_304000_NS21CountingInputIteratorIllEEPS6_NSA_22TransformInputIteratorIbN2at6native12_GLOBAL__N_19NonZeroOpIsEEPKslEENS0_5tupleIJPlS6_EEENSN_IJSD_SD_EEES6_PiJS6_EEE10hipError_tPvRmT3_T4_T5_T6_T7_T9_mT8_P12ihipStream_tbDpT10_ENKUlT_T0_E_clISt17integral_constantIbLb1EES1B_EEDaS16_S17_EUlS16_E_NS1_11comp_targetILNS1_3genE10ELNS1_11target_archE1200ELNS1_3gpuE4ELNS1_3repE0EEENS1_30default_config_static_selectorELNS0_4arch9wavefront6targetE0EEEvT1_,"axG",@progbits,_ZN7rocprim17ROCPRIM_400000_NS6detail17trampoline_kernelINS0_14default_configENS1_25partition_config_selectorILNS1_17partition_subalgoE5ElNS0_10empty_typeEbEEZZNS1_14partition_implILS5_5ELb0ES3_mN6hipcub16HIPCUB_304000_NS21CountingInputIteratorIllEEPS6_NSA_22TransformInputIteratorIbN2at6native12_GLOBAL__N_19NonZeroOpIsEEPKslEENS0_5tupleIJPlS6_EEENSN_IJSD_SD_EEES6_PiJS6_EEE10hipError_tPvRmT3_T4_T5_T6_T7_T9_mT8_P12ihipStream_tbDpT10_ENKUlT_T0_E_clISt17integral_constantIbLb1EES1B_EEDaS16_S17_EUlS16_E_NS1_11comp_targetILNS1_3genE10ELNS1_11target_archE1200ELNS1_3gpuE4ELNS1_3repE0EEENS1_30default_config_static_selectorELNS0_4arch9wavefront6targetE0EEEvT1_,comdat
.Lfunc_end335:
	.size	_ZN7rocprim17ROCPRIM_400000_NS6detail17trampoline_kernelINS0_14default_configENS1_25partition_config_selectorILNS1_17partition_subalgoE5ElNS0_10empty_typeEbEEZZNS1_14partition_implILS5_5ELb0ES3_mN6hipcub16HIPCUB_304000_NS21CountingInputIteratorIllEEPS6_NSA_22TransformInputIteratorIbN2at6native12_GLOBAL__N_19NonZeroOpIsEEPKslEENS0_5tupleIJPlS6_EEENSN_IJSD_SD_EEES6_PiJS6_EEE10hipError_tPvRmT3_T4_T5_T6_T7_T9_mT8_P12ihipStream_tbDpT10_ENKUlT_T0_E_clISt17integral_constantIbLb1EES1B_EEDaS16_S17_EUlS16_E_NS1_11comp_targetILNS1_3genE10ELNS1_11target_archE1200ELNS1_3gpuE4ELNS1_3repE0EEENS1_30default_config_static_selectorELNS0_4arch9wavefront6targetE0EEEvT1_, .Lfunc_end335-_ZN7rocprim17ROCPRIM_400000_NS6detail17trampoline_kernelINS0_14default_configENS1_25partition_config_selectorILNS1_17partition_subalgoE5ElNS0_10empty_typeEbEEZZNS1_14partition_implILS5_5ELb0ES3_mN6hipcub16HIPCUB_304000_NS21CountingInputIteratorIllEEPS6_NSA_22TransformInputIteratorIbN2at6native12_GLOBAL__N_19NonZeroOpIsEEPKslEENS0_5tupleIJPlS6_EEENSN_IJSD_SD_EEES6_PiJS6_EEE10hipError_tPvRmT3_T4_T5_T6_T7_T9_mT8_P12ihipStream_tbDpT10_ENKUlT_T0_E_clISt17integral_constantIbLb1EES1B_EEDaS16_S17_EUlS16_E_NS1_11comp_targetILNS1_3genE10ELNS1_11target_archE1200ELNS1_3gpuE4ELNS1_3repE0EEENS1_30default_config_static_selectorELNS0_4arch9wavefront6targetE0EEEvT1_
                                        ; -- End function
	.set _ZN7rocprim17ROCPRIM_400000_NS6detail17trampoline_kernelINS0_14default_configENS1_25partition_config_selectorILNS1_17partition_subalgoE5ElNS0_10empty_typeEbEEZZNS1_14partition_implILS5_5ELb0ES3_mN6hipcub16HIPCUB_304000_NS21CountingInputIteratorIllEEPS6_NSA_22TransformInputIteratorIbN2at6native12_GLOBAL__N_19NonZeroOpIsEEPKslEENS0_5tupleIJPlS6_EEENSN_IJSD_SD_EEES6_PiJS6_EEE10hipError_tPvRmT3_T4_T5_T6_T7_T9_mT8_P12ihipStream_tbDpT10_ENKUlT_T0_E_clISt17integral_constantIbLb1EES1B_EEDaS16_S17_EUlS16_E_NS1_11comp_targetILNS1_3genE10ELNS1_11target_archE1200ELNS1_3gpuE4ELNS1_3repE0EEENS1_30default_config_static_selectorELNS0_4arch9wavefront6targetE0EEEvT1_.num_vgpr, 0
	.set _ZN7rocprim17ROCPRIM_400000_NS6detail17trampoline_kernelINS0_14default_configENS1_25partition_config_selectorILNS1_17partition_subalgoE5ElNS0_10empty_typeEbEEZZNS1_14partition_implILS5_5ELb0ES3_mN6hipcub16HIPCUB_304000_NS21CountingInputIteratorIllEEPS6_NSA_22TransformInputIteratorIbN2at6native12_GLOBAL__N_19NonZeroOpIsEEPKslEENS0_5tupleIJPlS6_EEENSN_IJSD_SD_EEES6_PiJS6_EEE10hipError_tPvRmT3_T4_T5_T6_T7_T9_mT8_P12ihipStream_tbDpT10_ENKUlT_T0_E_clISt17integral_constantIbLb1EES1B_EEDaS16_S17_EUlS16_E_NS1_11comp_targetILNS1_3genE10ELNS1_11target_archE1200ELNS1_3gpuE4ELNS1_3repE0EEENS1_30default_config_static_selectorELNS0_4arch9wavefront6targetE0EEEvT1_.num_agpr, 0
	.set _ZN7rocprim17ROCPRIM_400000_NS6detail17trampoline_kernelINS0_14default_configENS1_25partition_config_selectorILNS1_17partition_subalgoE5ElNS0_10empty_typeEbEEZZNS1_14partition_implILS5_5ELb0ES3_mN6hipcub16HIPCUB_304000_NS21CountingInputIteratorIllEEPS6_NSA_22TransformInputIteratorIbN2at6native12_GLOBAL__N_19NonZeroOpIsEEPKslEENS0_5tupleIJPlS6_EEENSN_IJSD_SD_EEES6_PiJS6_EEE10hipError_tPvRmT3_T4_T5_T6_T7_T9_mT8_P12ihipStream_tbDpT10_ENKUlT_T0_E_clISt17integral_constantIbLb1EES1B_EEDaS16_S17_EUlS16_E_NS1_11comp_targetILNS1_3genE10ELNS1_11target_archE1200ELNS1_3gpuE4ELNS1_3repE0EEENS1_30default_config_static_selectorELNS0_4arch9wavefront6targetE0EEEvT1_.numbered_sgpr, 0
	.set _ZN7rocprim17ROCPRIM_400000_NS6detail17trampoline_kernelINS0_14default_configENS1_25partition_config_selectorILNS1_17partition_subalgoE5ElNS0_10empty_typeEbEEZZNS1_14partition_implILS5_5ELb0ES3_mN6hipcub16HIPCUB_304000_NS21CountingInputIteratorIllEEPS6_NSA_22TransformInputIteratorIbN2at6native12_GLOBAL__N_19NonZeroOpIsEEPKslEENS0_5tupleIJPlS6_EEENSN_IJSD_SD_EEES6_PiJS6_EEE10hipError_tPvRmT3_T4_T5_T6_T7_T9_mT8_P12ihipStream_tbDpT10_ENKUlT_T0_E_clISt17integral_constantIbLb1EES1B_EEDaS16_S17_EUlS16_E_NS1_11comp_targetILNS1_3genE10ELNS1_11target_archE1200ELNS1_3gpuE4ELNS1_3repE0EEENS1_30default_config_static_selectorELNS0_4arch9wavefront6targetE0EEEvT1_.num_named_barrier, 0
	.set _ZN7rocprim17ROCPRIM_400000_NS6detail17trampoline_kernelINS0_14default_configENS1_25partition_config_selectorILNS1_17partition_subalgoE5ElNS0_10empty_typeEbEEZZNS1_14partition_implILS5_5ELb0ES3_mN6hipcub16HIPCUB_304000_NS21CountingInputIteratorIllEEPS6_NSA_22TransformInputIteratorIbN2at6native12_GLOBAL__N_19NonZeroOpIsEEPKslEENS0_5tupleIJPlS6_EEENSN_IJSD_SD_EEES6_PiJS6_EEE10hipError_tPvRmT3_T4_T5_T6_T7_T9_mT8_P12ihipStream_tbDpT10_ENKUlT_T0_E_clISt17integral_constantIbLb1EES1B_EEDaS16_S17_EUlS16_E_NS1_11comp_targetILNS1_3genE10ELNS1_11target_archE1200ELNS1_3gpuE4ELNS1_3repE0EEENS1_30default_config_static_selectorELNS0_4arch9wavefront6targetE0EEEvT1_.private_seg_size, 0
	.set _ZN7rocprim17ROCPRIM_400000_NS6detail17trampoline_kernelINS0_14default_configENS1_25partition_config_selectorILNS1_17partition_subalgoE5ElNS0_10empty_typeEbEEZZNS1_14partition_implILS5_5ELb0ES3_mN6hipcub16HIPCUB_304000_NS21CountingInputIteratorIllEEPS6_NSA_22TransformInputIteratorIbN2at6native12_GLOBAL__N_19NonZeroOpIsEEPKslEENS0_5tupleIJPlS6_EEENSN_IJSD_SD_EEES6_PiJS6_EEE10hipError_tPvRmT3_T4_T5_T6_T7_T9_mT8_P12ihipStream_tbDpT10_ENKUlT_T0_E_clISt17integral_constantIbLb1EES1B_EEDaS16_S17_EUlS16_E_NS1_11comp_targetILNS1_3genE10ELNS1_11target_archE1200ELNS1_3gpuE4ELNS1_3repE0EEENS1_30default_config_static_selectorELNS0_4arch9wavefront6targetE0EEEvT1_.uses_vcc, 0
	.set _ZN7rocprim17ROCPRIM_400000_NS6detail17trampoline_kernelINS0_14default_configENS1_25partition_config_selectorILNS1_17partition_subalgoE5ElNS0_10empty_typeEbEEZZNS1_14partition_implILS5_5ELb0ES3_mN6hipcub16HIPCUB_304000_NS21CountingInputIteratorIllEEPS6_NSA_22TransformInputIteratorIbN2at6native12_GLOBAL__N_19NonZeroOpIsEEPKslEENS0_5tupleIJPlS6_EEENSN_IJSD_SD_EEES6_PiJS6_EEE10hipError_tPvRmT3_T4_T5_T6_T7_T9_mT8_P12ihipStream_tbDpT10_ENKUlT_T0_E_clISt17integral_constantIbLb1EES1B_EEDaS16_S17_EUlS16_E_NS1_11comp_targetILNS1_3genE10ELNS1_11target_archE1200ELNS1_3gpuE4ELNS1_3repE0EEENS1_30default_config_static_selectorELNS0_4arch9wavefront6targetE0EEEvT1_.uses_flat_scratch, 0
	.set _ZN7rocprim17ROCPRIM_400000_NS6detail17trampoline_kernelINS0_14default_configENS1_25partition_config_selectorILNS1_17partition_subalgoE5ElNS0_10empty_typeEbEEZZNS1_14partition_implILS5_5ELb0ES3_mN6hipcub16HIPCUB_304000_NS21CountingInputIteratorIllEEPS6_NSA_22TransformInputIteratorIbN2at6native12_GLOBAL__N_19NonZeroOpIsEEPKslEENS0_5tupleIJPlS6_EEENSN_IJSD_SD_EEES6_PiJS6_EEE10hipError_tPvRmT3_T4_T5_T6_T7_T9_mT8_P12ihipStream_tbDpT10_ENKUlT_T0_E_clISt17integral_constantIbLb1EES1B_EEDaS16_S17_EUlS16_E_NS1_11comp_targetILNS1_3genE10ELNS1_11target_archE1200ELNS1_3gpuE4ELNS1_3repE0EEENS1_30default_config_static_selectorELNS0_4arch9wavefront6targetE0EEEvT1_.has_dyn_sized_stack, 0
	.set _ZN7rocprim17ROCPRIM_400000_NS6detail17trampoline_kernelINS0_14default_configENS1_25partition_config_selectorILNS1_17partition_subalgoE5ElNS0_10empty_typeEbEEZZNS1_14partition_implILS5_5ELb0ES3_mN6hipcub16HIPCUB_304000_NS21CountingInputIteratorIllEEPS6_NSA_22TransformInputIteratorIbN2at6native12_GLOBAL__N_19NonZeroOpIsEEPKslEENS0_5tupleIJPlS6_EEENSN_IJSD_SD_EEES6_PiJS6_EEE10hipError_tPvRmT3_T4_T5_T6_T7_T9_mT8_P12ihipStream_tbDpT10_ENKUlT_T0_E_clISt17integral_constantIbLb1EES1B_EEDaS16_S17_EUlS16_E_NS1_11comp_targetILNS1_3genE10ELNS1_11target_archE1200ELNS1_3gpuE4ELNS1_3repE0EEENS1_30default_config_static_selectorELNS0_4arch9wavefront6targetE0EEEvT1_.has_recursion, 0
	.set _ZN7rocprim17ROCPRIM_400000_NS6detail17trampoline_kernelINS0_14default_configENS1_25partition_config_selectorILNS1_17partition_subalgoE5ElNS0_10empty_typeEbEEZZNS1_14partition_implILS5_5ELb0ES3_mN6hipcub16HIPCUB_304000_NS21CountingInputIteratorIllEEPS6_NSA_22TransformInputIteratorIbN2at6native12_GLOBAL__N_19NonZeroOpIsEEPKslEENS0_5tupleIJPlS6_EEENSN_IJSD_SD_EEES6_PiJS6_EEE10hipError_tPvRmT3_T4_T5_T6_T7_T9_mT8_P12ihipStream_tbDpT10_ENKUlT_T0_E_clISt17integral_constantIbLb1EES1B_EEDaS16_S17_EUlS16_E_NS1_11comp_targetILNS1_3genE10ELNS1_11target_archE1200ELNS1_3gpuE4ELNS1_3repE0EEENS1_30default_config_static_selectorELNS0_4arch9wavefront6targetE0EEEvT1_.has_indirect_call, 0
	.section	.AMDGPU.csdata,"",@progbits
; Kernel info:
; codeLenInByte = 4
; TotalNumSgprs: 0
; NumVgprs: 0
; ScratchSize: 0
; MemoryBound: 0
; FloatMode: 240
; IeeeMode: 1
; LDSByteSize: 0 bytes/workgroup (compile time only)
; SGPRBlocks: 0
; VGPRBlocks: 0
; NumSGPRsForWavesPerEU: 1
; NumVGPRsForWavesPerEU: 1
; Occupancy: 16
; WaveLimiterHint : 0
; COMPUTE_PGM_RSRC2:SCRATCH_EN: 0
; COMPUTE_PGM_RSRC2:USER_SGPR: 2
; COMPUTE_PGM_RSRC2:TRAP_HANDLER: 0
; COMPUTE_PGM_RSRC2:TGID_X_EN: 1
; COMPUTE_PGM_RSRC2:TGID_Y_EN: 0
; COMPUTE_PGM_RSRC2:TGID_Z_EN: 0
; COMPUTE_PGM_RSRC2:TIDIG_COMP_CNT: 0
	.section	.text._ZN7rocprim17ROCPRIM_400000_NS6detail17trampoline_kernelINS0_14default_configENS1_25partition_config_selectorILNS1_17partition_subalgoE5ElNS0_10empty_typeEbEEZZNS1_14partition_implILS5_5ELb0ES3_mN6hipcub16HIPCUB_304000_NS21CountingInputIteratorIllEEPS6_NSA_22TransformInputIteratorIbN2at6native12_GLOBAL__N_19NonZeroOpIsEEPKslEENS0_5tupleIJPlS6_EEENSN_IJSD_SD_EEES6_PiJS6_EEE10hipError_tPvRmT3_T4_T5_T6_T7_T9_mT8_P12ihipStream_tbDpT10_ENKUlT_T0_E_clISt17integral_constantIbLb1EES1B_EEDaS16_S17_EUlS16_E_NS1_11comp_targetILNS1_3genE9ELNS1_11target_archE1100ELNS1_3gpuE3ELNS1_3repE0EEENS1_30default_config_static_selectorELNS0_4arch9wavefront6targetE0EEEvT1_,"axG",@progbits,_ZN7rocprim17ROCPRIM_400000_NS6detail17trampoline_kernelINS0_14default_configENS1_25partition_config_selectorILNS1_17partition_subalgoE5ElNS0_10empty_typeEbEEZZNS1_14partition_implILS5_5ELb0ES3_mN6hipcub16HIPCUB_304000_NS21CountingInputIteratorIllEEPS6_NSA_22TransformInputIteratorIbN2at6native12_GLOBAL__N_19NonZeroOpIsEEPKslEENS0_5tupleIJPlS6_EEENSN_IJSD_SD_EEES6_PiJS6_EEE10hipError_tPvRmT3_T4_T5_T6_T7_T9_mT8_P12ihipStream_tbDpT10_ENKUlT_T0_E_clISt17integral_constantIbLb1EES1B_EEDaS16_S17_EUlS16_E_NS1_11comp_targetILNS1_3genE9ELNS1_11target_archE1100ELNS1_3gpuE3ELNS1_3repE0EEENS1_30default_config_static_selectorELNS0_4arch9wavefront6targetE0EEEvT1_,comdat
	.globl	_ZN7rocprim17ROCPRIM_400000_NS6detail17trampoline_kernelINS0_14default_configENS1_25partition_config_selectorILNS1_17partition_subalgoE5ElNS0_10empty_typeEbEEZZNS1_14partition_implILS5_5ELb0ES3_mN6hipcub16HIPCUB_304000_NS21CountingInputIteratorIllEEPS6_NSA_22TransformInputIteratorIbN2at6native12_GLOBAL__N_19NonZeroOpIsEEPKslEENS0_5tupleIJPlS6_EEENSN_IJSD_SD_EEES6_PiJS6_EEE10hipError_tPvRmT3_T4_T5_T6_T7_T9_mT8_P12ihipStream_tbDpT10_ENKUlT_T0_E_clISt17integral_constantIbLb1EES1B_EEDaS16_S17_EUlS16_E_NS1_11comp_targetILNS1_3genE9ELNS1_11target_archE1100ELNS1_3gpuE3ELNS1_3repE0EEENS1_30default_config_static_selectorELNS0_4arch9wavefront6targetE0EEEvT1_ ; -- Begin function _ZN7rocprim17ROCPRIM_400000_NS6detail17trampoline_kernelINS0_14default_configENS1_25partition_config_selectorILNS1_17partition_subalgoE5ElNS0_10empty_typeEbEEZZNS1_14partition_implILS5_5ELb0ES3_mN6hipcub16HIPCUB_304000_NS21CountingInputIteratorIllEEPS6_NSA_22TransformInputIteratorIbN2at6native12_GLOBAL__N_19NonZeroOpIsEEPKslEENS0_5tupleIJPlS6_EEENSN_IJSD_SD_EEES6_PiJS6_EEE10hipError_tPvRmT3_T4_T5_T6_T7_T9_mT8_P12ihipStream_tbDpT10_ENKUlT_T0_E_clISt17integral_constantIbLb1EES1B_EEDaS16_S17_EUlS16_E_NS1_11comp_targetILNS1_3genE9ELNS1_11target_archE1100ELNS1_3gpuE3ELNS1_3repE0EEENS1_30default_config_static_selectorELNS0_4arch9wavefront6targetE0EEEvT1_
	.p2align	8
	.type	_ZN7rocprim17ROCPRIM_400000_NS6detail17trampoline_kernelINS0_14default_configENS1_25partition_config_selectorILNS1_17partition_subalgoE5ElNS0_10empty_typeEbEEZZNS1_14partition_implILS5_5ELb0ES3_mN6hipcub16HIPCUB_304000_NS21CountingInputIteratorIllEEPS6_NSA_22TransformInputIteratorIbN2at6native12_GLOBAL__N_19NonZeroOpIsEEPKslEENS0_5tupleIJPlS6_EEENSN_IJSD_SD_EEES6_PiJS6_EEE10hipError_tPvRmT3_T4_T5_T6_T7_T9_mT8_P12ihipStream_tbDpT10_ENKUlT_T0_E_clISt17integral_constantIbLb1EES1B_EEDaS16_S17_EUlS16_E_NS1_11comp_targetILNS1_3genE9ELNS1_11target_archE1100ELNS1_3gpuE3ELNS1_3repE0EEENS1_30default_config_static_selectorELNS0_4arch9wavefront6targetE0EEEvT1_,@function
_ZN7rocprim17ROCPRIM_400000_NS6detail17trampoline_kernelINS0_14default_configENS1_25partition_config_selectorILNS1_17partition_subalgoE5ElNS0_10empty_typeEbEEZZNS1_14partition_implILS5_5ELb0ES3_mN6hipcub16HIPCUB_304000_NS21CountingInputIteratorIllEEPS6_NSA_22TransformInputIteratorIbN2at6native12_GLOBAL__N_19NonZeroOpIsEEPKslEENS0_5tupleIJPlS6_EEENSN_IJSD_SD_EEES6_PiJS6_EEE10hipError_tPvRmT3_T4_T5_T6_T7_T9_mT8_P12ihipStream_tbDpT10_ENKUlT_T0_E_clISt17integral_constantIbLb1EES1B_EEDaS16_S17_EUlS16_E_NS1_11comp_targetILNS1_3genE9ELNS1_11target_archE1100ELNS1_3gpuE3ELNS1_3repE0EEENS1_30default_config_static_selectorELNS0_4arch9wavefront6targetE0EEEvT1_: ; @_ZN7rocprim17ROCPRIM_400000_NS6detail17trampoline_kernelINS0_14default_configENS1_25partition_config_selectorILNS1_17partition_subalgoE5ElNS0_10empty_typeEbEEZZNS1_14partition_implILS5_5ELb0ES3_mN6hipcub16HIPCUB_304000_NS21CountingInputIteratorIllEEPS6_NSA_22TransformInputIteratorIbN2at6native12_GLOBAL__N_19NonZeroOpIsEEPKslEENS0_5tupleIJPlS6_EEENSN_IJSD_SD_EEES6_PiJS6_EEE10hipError_tPvRmT3_T4_T5_T6_T7_T9_mT8_P12ihipStream_tbDpT10_ENKUlT_T0_E_clISt17integral_constantIbLb1EES1B_EEDaS16_S17_EUlS16_E_NS1_11comp_targetILNS1_3genE9ELNS1_11target_archE1100ELNS1_3gpuE3ELNS1_3repE0EEENS1_30default_config_static_selectorELNS0_4arch9wavefront6targetE0EEEvT1_
; %bb.0:
	.section	.rodata,"a",@progbits
	.p2align	6, 0x0
	.amdhsa_kernel _ZN7rocprim17ROCPRIM_400000_NS6detail17trampoline_kernelINS0_14default_configENS1_25partition_config_selectorILNS1_17partition_subalgoE5ElNS0_10empty_typeEbEEZZNS1_14partition_implILS5_5ELb0ES3_mN6hipcub16HIPCUB_304000_NS21CountingInputIteratorIllEEPS6_NSA_22TransformInputIteratorIbN2at6native12_GLOBAL__N_19NonZeroOpIsEEPKslEENS0_5tupleIJPlS6_EEENSN_IJSD_SD_EEES6_PiJS6_EEE10hipError_tPvRmT3_T4_T5_T6_T7_T9_mT8_P12ihipStream_tbDpT10_ENKUlT_T0_E_clISt17integral_constantIbLb1EES1B_EEDaS16_S17_EUlS16_E_NS1_11comp_targetILNS1_3genE9ELNS1_11target_archE1100ELNS1_3gpuE3ELNS1_3repE0EEENS1_30default_config_static_selectorELNS0_4arch9wavefront6targetE0EEEvT1_
		.amdhsa_group_segment_fixed_size 0
		.amdhsa_private_segment_fixed_size 0
		.amdhsa_kernarg_size 136
		.amdhsa_user_sgpr_count 2
		.amdhsa_user_sgpr_dispatch_ptr 0
		.amdhsa_user_sgpr_queue_ptr 0
		.amdhsa_user_sgpr_kernarg_segment_ptr 1
		.amdhsa_user_sgpr_dispatch_id 0
		.amdhsa_user_sgpr_private_segment_size 0
		.amdhsa_wavefront_size32 1
		.amdhsa_uses_dynamic_stack 0
		.amdhsa_enable_private_segment 0
		.amdhsa_system_sgpr_workgroup_id_x 1
		.amdhsa_system_sgpr_workgroup_id_y 0
		.amdhsa_system_sgpr_workgroup_id_z 0
		.amdhsa_system_sgpr_workgroup_info 0
		.amdhsa_system_vgpr_workitem_id 0
		.amdhsa_next_free_vgpr 1
		.amdhsa_next_free_sgpr 1
		.amdhsa_reserve_vcc 0
		.amdhsa_float_round_mode_32 0
		.amdhsa_float_round_mode_16_64 0
		.amdhsa_float_denorm_mode_32 3
		.amdhsa_float_denorm_mode_16_64 3
		.amdhsa_fp16_overflow 0
		.amdhsa_workgroup_processor_mode 1
		.amdhsa_memory_ordered 1
		.amdhsa_forward_progress 1
		.amdhsa_inst_pref_size 0
		.amdhsa_round_robin_scheduling 0
		.amdhsa_exception_fp_ieee_invalid_op 0
		.amdhsa_exception_fp_denorm_src 0
		.amdhsa_exception_fp_ieee_div_zero 0
		.amdhsa_exception_fp_ieee_overflow 0
		.amdhsa_exception_fp_ieee_underflow 0
		.amdhsa_exception_fp_ieee_inexact 0
		.amdhsa_exception_int_div_zero 0
	.end_amdhsa_kernel
	.section	.text._ZN7rocprim17ROCPRIM_400000_NS6detail17trampoline_kernelINS0_14default_configENS1_25partition_config_selectorILNS1_17partition_subalgoE5ElNS0_10empty_typeEbEEZZNS1_14partition_implILS5_5ELb0ES3_mN6hipcub16HIPCUB_304000_NS21CountingInputIteratorIllEEPS6_NSA_22TransformInputIteratorIbN2at6native12_GLOBAL__N_19NonZeroOpIsEEPKslEENS0_5tupleIJPlS6_EEENSN_IJSD_SD_EEES6_PiJS6_EEE10hipError_tPvRmT3_T4_T5_T6_T7_T9_mT8_P12ihipStream_tbDpT10_ENKUlT_T0_E_clISt17integral_constantIbLb1EES1B_EEDaS16_S17_EUlS16_E_NS1_11comp_targetILNS1_3genE9ELNS1_11target_archE1100ELNS1_3gpuE3ELNS1_3repE0EEENS1_30default_config_static_selectorELNS0_4arch9wavefront6targetE0EEEvT1_,"axG",@progbits,_ZN7rocprim17ROCPRIM_400000_NS6detail17trampoline_kernelINS0_14default_configENS1_25partition_config_selectorILNS1_17partition_subalgoE5ElNS0_10empty_typeEbEEZZNS1_14partition_implILS5_5ELb0ES3_mN6hipcub16HIPCUB_304000_NS21CountingInputIteratorIllEEPS6_NSA_22TransformInputIteratorIbN2at6native12_GLOBAL__N_19NonZeroOpIsEEPKslEENS0_5tupleIJPlS6_EEENSN_IJSD_SD_EEES6_PiJS6_EEE10hipError_tPvRmT3_T4_T5_T6_T7_T9_mT8_P12ihipStream_tbDpT10_ENKUlT_T0_E_clISt17integral_constantIbLb1EES1B_EEDaS16_S17_EUlS16_E_NS1_11comp_targetILNS1_3genE9ELNS1_11target_archE1100ELNS1_3gpuE3ELNS1_3repE0EEENS1_30default_config_static_selectorELNS0_4arch9wavefront6targetE0EEEvT1_,comdat
.Lfunc_end336:
	.size	_ZN7rocprim17ROCPRIM_400000_NS6detail17trampoline_kernelINS0_14default_configENS1_25partition_config_selectorILNS1_17partition_subalgoE5ElNS0_10empty_typeEbEEZZNS1_14partition_implILS5_5ELb0ES3_mN6hipcub16HIPCUB_304000_NS21CountingInputIteratorIllEEPS6_NSA_22TransformInputIteratorIbN2at6native12_GLOBAL__N_19NonZeroOpIsEEPKslEENS0_5tupleIJPlS6_EEENSN_IJSD_SD_EEES6_PiJS6_EEE10hipError_tPvRmT3_T4_T5_T6_T7_T9_mT8_P12ihipStream_tbDpT10_ENKUlT_T0_E_clISt17integral_constantIbLb1EES1B_EEDaS16_S17_EUlS16_E_NS1_11comp_targetILNS1_3genE9ELNS1_11target_archE1100ELNS1_3gpuE3ELNS1_3repE0EEENS1_30default_config_static_selectorELNS0_4arch9wavefront6targetE0EEEvT1_, .Lfunc_end336-_ZN7rocprim17ROCPRIM_400000_NS6detail17trampoline_kernelINS0_14default_configENS1_25partition_config_selectorILNS1_17partition_subalgoE5ElNS0_10empty_typeEbEEZZNS1_14partition_implILS5_5ELb0ES3_mN6hipcub16HIPCUB_304000_NS21CountingInputIteratorIllEEPS6_NSA_22TransformInputIteratorIbN2at6native12_GLOBAL__N_19NonZeroOpIsEEPKslEENS0_5tupleIJPlS6_EEENSN_IJSD_SD_EEES6_PiJS6_EEE10hipError_tPvRmT3_T4_T5_T6_T7_T9_mT8_P12ihipStream_tbDpT10_ENKUlT_T0_E_clISt17integral_constantIbLb1EES1B_EEDaS16_S17_EUlS16_E_NS1_11comp_targetILNS1_3genE9ELNS1_11target_archE1100ELNS1_3gpuE3ELNS1_3repE0EEENS1_30default_config_static_selectorELNS0_4arch9wavefront6targetE0EEEvT1_
                                        ; -- End function
	.set _ZN7rocprim17ROCPRIM_400000_NS6detail17trampoline_kernelINS0_14default_configENS1_25partition_config_selectorILNS1_17partition_subalgoE5ElNS0_10empty_typeEbEEZZNS1_14partition_implILS5_5ELb0ES3_mN6hipcub16HIPCUB_304000_NS21CountingInputIteratorIllEEPS6_NSA_22TransformInputIteratorIbN2at6native12_GLOBAL__N_19NonZeroOpIsEEPKslEENS0_5tupleIJPlS6_EEENSN_IJSD_SD_EEES6_PiJS6_EEE10hipError_tPvRmT3_T4_T5_T6_T7_T9_mT8_P12ihipStream_tbDpT10_ENKUlT_T0_E_clISt17integral_constantIbLb1EES1B_EEDaS16_S17_EUlS16_E_NS1_11comp_targetILNS1_3genE9ELNS1_11target_archE1100ELNS1_3gpuE3ELNS1_3repE0EEENS1_30default_config_static_selectorELNS0_4arch9wavefront6targetE0EEEvT1_.num_vgpr, 0
	.set _ZN7rocprim17ROCPRIM_400000_NS6detail17trampoline_kernelINS0_14default_configENS1_25partition_config_selectorILNS1_17partition_subalgoE5ElNS0_10empty_typeEbEEZZNS1_14partition_implILS5_5ELb0ES3_mN6hipcub16HIPCUB_304000_NS21CountingInputIteratorIllEEPS6_NSA_22TransformInputIteratorIbN2at6native12_GLOBAL__N_19NonZeroOpIsEEPKslEENS0_5tupleIJPlS6_EEENSN_IJSD_SD_EEES6_PiJS6_EEE10hipError_tPvRmT3_T4_T5_T6_T7_T9_mT8_P12ihipStream_tbDpT10_ENKUlT_T0_E_clISt17integral_constantIbLb1EES1B_EEDaS16_S17_EUlS16_E_NS1_11comp_targetILNS1_3genE9ELNS1_11target_archE1100ELNS1_3gpuE3ELNS1_3repE0EEENS1_30default_config_static_selectorELNS0_4arch9wavefront6targetE0EEEvT1_.num_agpr, 0
	.set _ZN7rocprim17ROCPRIM_400000_NS6detail17trampoline_kernelINS0_14default_configENS1_25partition_config_selectorILNS1_17partition_subalgoE5ElNS0_10empty_typeEbEEZZNS1_14partition_implILS5_5ELb0ES3_mN6hipcub16HIPCUB_304000_NS21CountingInputIteratorIllEEPS6_NSA_22TransformInputIteratorIbN2at6native12_GLOBAL__N_19NonZeroOpIsEEPKslEENS0_5tupleIJPlS6_EEENSN_IJSD_SD_EEES6_PiJS6_EEE10hipError_tPvRmT3_T4_T5_T6_T7_T9_mT8_P12ihipStream_tbDpT10_ENKUlT_T0_E_clISt17integral_constantIbLb1EES1B_EEDaS16_S17_EUlS16_E_NS1_11comp_targetILNS1_3genE9ELNS1_11target_archE1100ELNS1_3gpuE3ELNS1_3repE0EEENS1_30default_config_static_selectorELNS0_4arch9wavefront6targetE0EEEvT1_.numbered_sgpr, 0
	.set _ZN7rocprim17ROCPRIM_400000_NS6detail17trampoline_kernelINS0_14default_configENS1_25partition_config_selectorILNS1_17partition_subalgoE5ElNS0_10empty_typeEbEEZZNS1_14partition_implILS5_5ELb0ES3_mN6hipcub16HIPCUB_304000_NS21CountingInputIteratorIllEEPS6_NSA_22TransformInputIteratorIbN2at6native12_GLOBAL__N_19NonZeroOpIsEEPKslEENS0_5tupleIJPlS6_EEENSN_IJSD_SD_EEES6_PiJS6_EEE10hipError_tPvRmT3_T4_T5_T6_T7_T9_mT8_P12ihipStream_tbDpT10_ENKUlT_T0_E_clISt17integral_constantIbLb1EES1B_EEDaS16_S17_EUlS16_E_NS1_11comp_targetILNS1_3genE9ELNS1_11target_archE1100ELNS1_3gpuE3ELNS1_3repE0EEENS1_30default_config_static_selectorELNS0_4arch9wavefront6targetE0EEEvT1_.num_named_barrier, 0
	.set _ZN7rocprim17ROCPRIM_400000_NS6detail17trampoline_kernelINS0_14default_configENS1_25partition_config_selectorILNS1_17partition_subalgoE5ElNS0_10empty_typeEbEEZZNS1_14partition_implILS5_5ELb0ES3_mN6hipcub16HIPCUB_304000_NS21CountingInputIteratorIllEEPS6_NSA_22TransformInputIteratorIbN2at6native12_GLOBAL__N_19NonZeroOpIsEEPKslEENS0_5tupleIJPlS6_EEENSN_IJSD_SD_EEES6_PiJS6_EEE10hipError_tPvRmT3_T4_T5_T6_T7_T9_mT8_P12ihipStream_tbDpT10_ENKUlT_T0_E_clISt17integral_constantIbLb1EES1B_EEDaS16_S17_EUlS16_E_NS1_11comp_targetILNS1_3genE9ELNS1_11target_archE1100ELNS1_3gpuE3ELNS1_3repE0EEENS1_30default_config_static_selectorELNS0_4arch9wavefront6targetE0EEEvT1_.private_seg_size, 0
	.set _ZN7rocprim17ROCPRIM_400000_NS6detail17trampoline_kernelINS0_14default_configENS1_25partition_config_selectorILNS1_17partition_subalgoE5ElNS0_10empty_typeEbEEZZNS1_14partition_implILS5_5ELb0ES3_mN6hipcub16HIPCUB_304000_NS21CountingInputIteratorIllEEPS6_NSA_22TransformInputIteratorIbN2at6native12_GLOBAL__N_19NonZeroOpIsEEPKslEENS0_5tupleIJPlS6_EEENSN_IJSD_SD_EEES6_PiJS6_EEE10hipError_tPvRmT3_T4_T5_T6_T7_T9_mT8_P12ihipStream_tbDpT10_ENKUlT_T0_E_clISt17integral_constantIbLb1EES1B_EEDaS16_S17_EUlS16_E_NS1_11comp_targetILNS1_3genE9ELNS1_11target_archE1100ELNS1_3gpuE3ELNS1_3repE0EEENS1_30default_config_static_selectorELNS0_4arch9wavefront6targetE0EEEvT1_.uses_vcc, 0
	.set _ZN7rocprim17ROCPRIM_400000_NS6detail17trampoline_kernelINS0_14default_configENS1_25partition_config_selectorILNS1_17partition_subalgoE5ElNS0_10empty_typeEbEEZZNS1_14partition_implILS5_5ELb0ES3_mN6hipcub16HIPCUB_304000_NS21CountingInputIteratorIllEEPS6_NSA_22TransformInputIteratorIbN2at6native12_GLOBAL__N_19NonZeroOpIsEEPKslEENS0_5tupleIJPlS6_EEENSN_IJSD_SD_EEES6_PiJS6_EEE10hipError_tPvRmT3_T4_T5_T6_T7_T9_mT8_P12ihipStream_tbDpT10_ENKUlT_T0_E_clISt17integral_constantIbLb1EES1B_EEDaS16_S17_EUlS16_E_NS1_11comp_targetILNS1_3genE9ELNS1_11target_archE1100ELNS1_3gpuE3ELNS1_3repE0EEENS1_30default_config_static_selectorELNS0_4arch9wavefront6targetE0EEEvT1_.uses_flat_scratch, 0
	.set _ZN7rocprim17ROCPRIM_400000_NS6detail17trampoline_kernelINS0_14default_configENS1_25partition_config_selectorILNS1_17partition_subalgoE5ElNS0_10empty_typeEbEEZZNS1_14partition_implILS5_5ELb0ES3_mN6hipcub16HIPCUB_304000_NS21CountingInputIteratorIllEEPS6_NSA_22TransformInputIteratorIbN2at6native12_GLOBAL__N_19NonZeroOpIsEEPKslEENS0_5tupleIJPlS6_EEENSN_IJSD_SD_EEES6_PiJS6_EEE10hipError_tPvRmT3_T4_T5_T6_T7_T9_mT8_P12ihipStream_tbDpT10_ENKUlT_T0_E_clISt17integral_constantIbLb1EES1B_EEDaS16_S17_EUlS16_E_NS1_11comp_targetILNS1_3genE9ELNS1_11target_archE1100ELNS1_3gpuE3ELNS1_3repE0EEENS1_30default_config_static_selectorELNS0_4arch9wavefront6targetE0EEEvT1_.has_dyn_sized_stack, 0
	.set _ZN7rocprim17ROCPRIM_400000_NS6detail17trampoline_kernelINS0_14default_configENS1_25partition_config_selectorILNS1_17partition_subalgoE5ElNS0_10empty_typeEbEEZZNS1_14partition_implILS5_5ELb0ES3_mN6hipcub16HIPCUB_304000_NS21CountingInputIteratorIllEEPS6_NSA_22TransformInputIteratorIbN2at6native12_GLOBAL__N_19NonZeroOpIsEEPKslEENS0_5tupleIJPlS6_EEENSN_IJSD_SD_EEES6_PiJS6_EEE10hipError_tPvRmT3_T4_T5_T6_T7_T9_mT8_P12ihipStream_tbDpT10_ENKUlT_T0_E_clISt17integral_constantIbLb1EES1B_EEDaS16_S17_EUlS16_E_NS1_11comp_targetILNS1_3genE9ELNS1_11target_archE1100ELNS1_3gpuE3ELNS1_3repE0EEENS1_30default_config_static_selectorELNS0_4arch9wavefront6targetE0EEEvT1_.has_recursion, 0
	.set _ZN7rocprim17ROCPRIM_400000_NS6detail17trampoline_kernelINS0_14default_configENS1_25partition_config_selectorILNS1_17partition_subalgoE5ElNS0_10empty_typeEbEEZZNS1_14partition_implILS5_5ELb0ES3_mN6hipcub16HIPCUB_304000_NS21CountingInputIteratorIllEEPS6_NSA_22TransformInputIteratorIbN2at6native12_GLOBAL__N_19NonZeroOpIsEEPKslEENS0_5tupleIJPlS6_EEENSN_IJSD_SD_EEES6_PiJS6_EEE10hipError_tPvRmT3_T4_T5_T6_T7_T9_mT8_P12ihipStream_tbDpT10_ENKUlT_T0_E_clISt17integral_constantIbLb1EES1B_EEDaS16_S17_EUlS16_E_NS1_11comp_targetILNS1_3genE9ELNS1_11target_archE1100ELNS1_3gpuE3ELNS1_3repE0EEENS1_30default_config_static_selectorELNS0_4arch9wavefront6targetE0EEEvT1_.has_indirect_call, 0
	.section	.AMDGPU.csdata,"",@progbits
; Kernel info:
; codeLenInByte = 0
; TotalNumSgprs: 0
; NumVgprs: 0
; ScratchSize: 0
; MemoryBound: 0
; FloatMode: 240
; IeeeMode: 1
; LDSByteSize: 0 bytes/workgroup (compile time only)
; SGPRBlocks: 0
; VGPRBlocks: 0
; NumSGPRsForWavesPerEU: 1
; NumVGPRsForWavesPerEU: 1
; Occupancy: 16
; WaveLimiterHint : 0
; COMPUTE_PGM_RSRC2:SCRATCH_EN: 0
; COMPUTE_PGM_RSRC2:USER_SGPR: 2
; COMPUTE_PGM_RSRC2:TRAP_HANDLER: 0
; COMPUTE_PGM_RSRC2:TGID_X_EN: 1
; COMPUTE_PGM_RSRC2:TGID_Y_EN: 0
; COMPUTE_PGM_RSRC2:TGID_Z_EN: 0
; COMPUTE_PGM_RSRC2:TIDIG_COMP_CNT: 0
	.section	.text._ZN7rocprim17ROCPRIM_400000_NS6detail17trampoline_kernelINS0_14default_configENS1_25partition_config_selectorILNS1_17partition_subalgoE5ElNS0_10empty_typeEbEEZZNS1_14partition_implILS5_5ELb0ES3_mN6hipcub16HIPCUB_304000_NS21CountingInputIteratorIllEEPS6_NSA_22TransformInputIteratorIbN2at6native12_GLOBAL__N_19NonZeroOpIsEEPKslEENS0_5tupleIJPlS6_EEENSN_IJSD_SD_EEES6_PiJS6_EEE10hipError_tPvRmT3_T4_T5_T6_T7_T9_mT8_P12ihipStream_tbDpT10_ENKUlT_T0_E_clISt17integral_constantIbLb1EES1B_EEDaS16_S17_EUlS16_E_NS1_11comp_targetILNS1_3genE8ELNS1_11target_archE1030ELNS1_3gpuE2ELNS1_3repE0EEENS1_30default_config_static_selectorELNS0_4arch9wavefront6targetE0EEEvT1_,"axG",@progbits,_ZN7rocprim17ROCPRIM_400000_NS6detail17trampoline_kernelINS0_14default_configENS1_25partition_config_selectorILNS1_17partition_subalgoE5ElNS0_10empty_typeEbEEZZNS1_14partition_implILS5_5ELb0ES3_mN6hipcub16HIPCUB_304000_NS21CountingInputIteratorIllEEPS6_NSA_22TransformInputIteratorIbN2at6native12_GLOBAL__N_19NonZeroOpIsEEPKslEENS0_5tupleIJPlS6_EEENSN_IJSD_SD_EEES6_PiJS6_EEE10hipError_tPvRmT3_T4_T5_T6_T7_T9_mT8_P12ihipStream_tbDpT10_ENKUlT_T0_E_clISt17integral_constantIbLb1EES1B_EEDaS16_S17_EUlS16_E_NS1_11comp_targetILNS1_3genE8ELNS1_11target_archE1030ELNS1_3gpuE2ELNS1_3repE0EEENS1_30default_config_static_selectorELNS0_4arch9wavefront6targetE0EEEvT1_,comdat
	.globl	_ZN7rocprim17ROCPRIM_400000_NS6detail17trampoline_kernelINS0_14default_configENS1_25partition_config_selectorILNS1_17partition_subalgoE5ElNS0_10empty_typeEbEEZZNS1_14partition_implILS5_5ELb0ES3_mN6hipcub16HIPCUB_304000_NS21CountingInputIteratorIllEEPS6_NSA_22TransformInputIteratorIbN2at6native12_GLOBAL__N_19NonZeroOpIsEEPKslEENS0_5tupleIJPlS6_EEENSN_IJSD_SD_EEES6_PiJS6_EEE10hipError_tPvRmT3_T4_T5_T6_T7_T9_mT8_P12ihipStream_tbDpT10_ENKUlT_T0_E_clISt17integral_constantIbLb1EES1B_EEDaS16_S17_EUlS16_E_NS1_11comp_targetILNS1_3genE8ELNS1_11target_archE1030ELNS1_3gpuE2ELNS1_3repE0EEENS1_30default_config_static_selectorELNS0_4arch9wavefront6targetE0EEEvT1_ ; -- Begin function _ZN7rocprim17ROCPRIM_400000_NS6detail17trampoline_kernelINS0_14default_configENS1_25partition_config_selectorILNS1_17partition_subalgoE5ElNS0_10empty_typeEbEEZZNS1_14partition_implILS5_5ELb0ES3_mN6hipcub16HIPCUB_304000_NS21CountingInputIteratorIllEEPS6_NSA_22TransformInputIteratorIbN2at6native12_GLOBAL__N_19NonZeroOpIsEEPKslEENS0_5tupleIJPlS6_EEENSN_IJSD_SD_EEES6_PiJS6_EEE10hipError_tPvRmT3_T4_T5_T6_T7_T9_mT8_P12ihipStream_tbDpT10_ENKUlT_T0_E_clISt17integral_constantIbLb1EES1B_EEDaS16_S17_EUlS16_E_NS1_11comp_targetILNS1_3genE8ELNS1_11target_archE1030ELNS1_3gpuE2ELNS1_3repE0EEENS1_30default_config_static_selectorELNS0_4arch9wavefront6targetE0EEEvT1_
	.p2align	8
	.type	_ZN7rocprim17ROCPRIM_400000_NS6detail17trampoline_kernelINS0_14default_configENS1_25partition_config_selectorILNS1_17partition_subalgoE5ElNS0_10empty_typeEbEEZZNS1_14partition_implILS5_5ELb0ES3_mN6hipcub16HIPCUB_304000_NS21CountingInputIteratorIllEEPS6_NSA_22TransformInputIteratorIbN2at6native12_GLOBAL__N_19NonZeroOpIsEEPKslEENS0_5tupleIJPlS6_EEENSN_IJSD_SD_EEES6_PiJS6_EEE10hipError_tPvRmT3_T4_T5_T6_T7_T9_mT8_P12ihipStream_tbDpT10_ENKUlT_T0_E_clISt17integral_constantIbLb1EES1B_EEDaS16_S17_EUlS16_E_NS1_11comp_targetILNS1_3genE8ELNS1_11target_archE1030ELNS1_3gpuE2ELNS1_3repE0EEENS1_30default_config_static_selectorELNS0_4arch9wavefront6targetE0EEEvT1_,@function
_ZN7rocprim17ROCPRIM_400000_NS6detail17trampoline_kernelINS0_14default_configENS1_25partition_config_selectorILNS1_17partition_subalgoE5ElNS0_10empty_typeEbEEZZNS1_14partition_implILS5_5ELb0ES3_mN6hipcub16HIPCUB_304000_NS21CountingInputIteratorIllEEPS6_NSA_22TransformInputIteratorIbN2at6native12_GLOBAL__N_19NonZeroOpIsEEPKslEENS0_5tupleIJPlS6_EEENSN_IJSD_SD_EEES6_PiJS6_EEE10hipError_tPvRmT3_T4_T5_T6_T7_T9_mT8_P12ihipStream_tbDpT10_ENKUlT_T0_E_clISt17integral_constantIbLb1EES1B_EEDaS16_S17_EUlS16_E_NS1_11comp_targetILNS1_3genE8ELNS1_11target_archE1030ELNS1_3gpuE2ELNS1_3repE0EEENS1_30default_config_static_selectorELNS0_4arch9wavefront6targetE0EEEvT1_: ; @_ZN7rocprim17ROCPRIM_400000_NS6detail17trampoline_kernelINS0_14default_configENS1_25partition_config_selectorILNS1_17partition_subalgoE5ElNS0_10empty_typeEbEEZZNS1_14partition_implILS5_5ELb0ES3_mN6hipcub16HIPCUB_304000_NS21CountingInputIteratorIllEEPS6_NSA_22TransformInputIteratorIbN2at6native12_GLOBAL__N_19NonZeroOpIsEEPKslEENS0_5tupleIJPlS6_EEENSN_IJSD_SD_EEES6_PiJS6_EEE10hipError_tPvRmT3_T4_T5_T6_T7_T9_mT8_P12ihipStream_tbDpT10_ENKUlT_T0_E_clISt17integral_constantIbLb1EES1B_EEDaS16_S17_EUlS16_E_NS1_11comp_targetILNS1_3genE8ELNS1_11target_archE1030ELNS1_3gpuE2ELNS1_3repE0EEENS1_30default_config_static_selectorELNS0_4arch9wavefront6targetE0EEEvT1_
; %bb.0:
	.section	.rodata,"a",@progbits
	.p2align	6, 0x0
	.amdhsa_kernel _ZN7rocprim17ROCPRIM_400000_NS6detail17trampoline_kernelINS0_14default_configENS1_25partition_config_selectorILNS1_17partition_subalgoE5ElNS0_10empty_typeEbEEZZNS1_14partition_implILS5_5ELb0ES3_mN6hipcub16HIPCUB_304000_NS21CountingInputIteratorIllEEPS6_NSA_22TransformInputIteratorIbN2at6native12_GLOBAL__N_19NonZeroOpIsEEPKslEENS0_5tupleIJPlS6_EEENSN_IJSD_SD_EEES6_PiJS6_EEE10hipError_tPvRmT3_T4_T5_T6_T7_T9_mT8_P12ihipStream_tbDpT10_ENKUlT_T0_E_clISt17integral_constantIbLb1EES1B_EEDaS16_S17_EUlS16_E_NS1_11comp_targetILNS1_3genE8ELNS1_11target_archE1030ELNS1_3gpuE2ELNS1_3repE0EEENS1_30default_config_static_selectorELNS0_4arch9wavefront6targetE0EEEvT1_
		.amdhsa_group_segment_fixed_size 0
		.amdhsa_private_segment_fixed_size 0
		.amdhsa_kernarg_size 136
		.amdhsa_user_sgpr_count 2
		.amdhsa_user_sgpr_dispatch_ptr 0
		.amdhsa_user_sgpr_queue_ptr 0
		.amdhsa_user_sgpr_kernarg_segment_ptr 1
		.amdhsa_user_sgpr_dispatch_id 0
		.amdhsa_user_sgpr_private_segment_size 0
		.amdhsa_wavefront_size32 1
		.amdhsa_uses_dynamic_stack 0
		.amdhsa_enable_private_segment 0
		.amdhsa_system_sgpr_workgroup_id_x 1
		.amdhsa_system_sgpr_workgroup_id_y 0
		.amdhsa_system_sgpr_workgroup_id_z 0
		.amdhsa_system_sgpr_workgroup_info 0
		.amdhsa_system_vgpr_workitem_id 0
		.amdhsa_next_free_vgpr 1
		.amdhsa_next_free_sgpr 1
		.amdhsa_reserve_vcc 0
		.amdhsa_float_round_mode_32 0
		.amdhsa_float_round_mode_16_64 0
		.amdhsa_float_denorm_mode_32 3
		.amdhsa_float_denorm_mode_16_64 3
		.amdhsa_fp16_overflow 0
		.amdhsa_workgroup_processor_mode 1
		.amdhsa_memory_ordered 1
		.amdhsa_forward_progress 1
		.amdhsa_inst_pref_size 0
		.amdhsa_round_robin_scheduling 0
		.amdhsa_exception_fp_ieee_invalid_op 0
		.amdhsa_exception_fp_denorm_src 0
		.amdhsa_exception_fp_ieee_div_zero 0
		.amdhsa_exception_fp_ieee_overflow 0
		.amdhsa_exception_fp_ieee_underflow 0
		.amdhsa_exception_fp_ieee_inexact 0
		.amdhsa_exception_int_div_zero 0
	.end_amdhsa_kernel
	.section	.text._ZN7rocprim17ROCPRIM_400000_NS6detail17trampoline_kernelINS0_14default_configENS1_25partition_config_selectorILNS1_17partition_subalgoE5ElNS0_10empty_typeEbEEZZNS1_14partition_implILS5_5ELb0ES3_mN6hipcub16HIPCUB_304000_NS21CountingInputIteratorIllEEPS6_NSA_22TransformInputIteratorIbN2at6native12_GLOBAL__N_19NonZeroOpIsEEPKslEENS0_5tupleIJPlS6_EEENSN_IJSD_SD_EEES6_PiJS6_EEE10hipError_tPvRmT3_T4_T5_T6_T7_T9_mT8_P12ihipStream_tbDpT10_ENKUlT_T0_E_clISt17integral_constantIbLb1EES1B_EEDaS16_S17_EUlS16_E_NS1_11comp_targetILNS1_3genE8ELNS1_11target_archE1030ELNS1_3gpuE2ELNS1_3repE0EEENS1_30default_config_static_selectorELNS0_4arch9wavefront6targetE0EEEvT1_,"axG",@progbits,_ZN7rocprim17ROCPRIM_400000_NS6detail17trampoline_kernelINS0_14default_configENS1_25partition_config_selectorILNS1_17partition_subalgoE5ElNS0_10empty_typeEbEEZZNS1_14partition_implILS5_5ELb0ES3_mN6hipcub16HIPCUB_304000_NS21CountingInputIteratorIllEEPS6_NSA_22TransformInputIteratorIbN2at6native12_GLOBAL__N_19NonZeroOpIsEEPKslEENS0_5tupleIJPlS6_EEENSN_IJSD_SD_EEES6_PiJS6_EEE10hipError_tPvRmT3_T4_T5_T6_T7_T9_mT8_P12ihipStream_tbDpT10_ENKUlT_T0_E_clISt17integral_constantIbLb1EES1B_EEDaS16_S17_EUlS16_E_NS1_11comp_targetILNS1_3genE8ELNS1_11target_archE1030ELNS1_3gpuE2ELNS1_3repE0EEENS1_30default_config_static_selectorELNS0_4arch9wavefront6targetE0EEEvT1_,comdat
.Lfunc_end337:
	.size	_ZN7rocprim17ROCPRIM_400000_NS6detail17trampoline_kernelINS0_14default_configENS1_25partition_config_selectorILNS1_17partition_subalgoE5ElNS0_10empty_typeEbEEZZNS1_14partition_implILS5_5ELb0ES3_mN6hipcub16HIPCUB_304000_NS21CountingInputIteratorIllEEPS6_NSA_22TransformInputIteratorIbN2at6native12_GLOBAL__N_19NonZeroOpIsEEPKslEENS0_5tupleIJPlS6_EEENSN_IJSD_SD_EEES6_PiJS6_EEE10hipError_tPvRmT3_T4_T5_T6_T7_T9_mT8_P12ihipStream_tbDpT10_ENKUlT_T0_E_clISt17integral_constantIbLb1EES1B_EEDaS16_S17_EUlS16_E_NS1_11comp_targetILNS1_3genE8ELNS1_11target_archE1030ELNS1_3gpuE2ELNS1_3repE0EEENS1_30default_config_static_selectorELNS0_4arch9wavefront6targetE0EEEvT1_, .Lfunc_end337-_ZN7rocprim17ROCPRIM_400000_NS6detail17trampoline_kernelINS0_14default_configENS1_25partition_config_selectorILNS1_17partition_subalgoE5ElNS0_10empty_typeEbEEZZNS1_14partition_implILS5_5ELb0ES3_mN6hipcub16HIPCUB_304000_NS21CountingInputIteratorIllEEPS6_NSA_22TransformInputIteratorIbN2at6native12_GLOBAL__N_19NonZeroOpIsEEPKslEENS0_5tupleIJPlS6_EEENSN_IJSD_SD_EEES6_PiJS6_EEE10hipError_tPvRmT3_T4_T5_T6_T7_T9_mT8_P12ihipStream_tbDpT10_ENKUlT_T0_E_clISt17integral_constantIbLb1EES1B_EEDaS16_S17_EUlS16_E_NS1_11comp_targetILNS1_3genE8ELNS1_11target_archE1030ELNS1_3gpuE2ELNS1_3repE0EEENS1_30default_config_static_selectorELNS0_4arch9wavefront6targetE0EEEvT1_
                                        ; -- End function
	.set _ZN7rocprim17ROCPRIM_400000_NS6detail17trampoline_kernelINS0_14default_configENS1_25partition_config_selectorILNS1_17partition_subalgoE5ElNS0_10empty_typeEbEEZZNS1_14partition_implILS5_5ELb0ES3_mN6hipcub16HIPCUB_304000_NS21CountingInputIteratorIllEEPS6_NSA_22TransformInputIteratorIbN2at6native12_GLOBAL__N_19NonZeroOpIsEEPKslEENS0_5tupleIJPlS6_EEENSN_IJSD_SD_EEES6_PiJS6_EEE10hipError_tPvRmT3_T4_T5_T6_T7_T9_mT8_P12ihipStream_tbDpT10_ENKUlT_T0_E_clISt17integral_constantIbLb1EES1B_EEDaS16_S17_EUlS16_E_NS1_11comp_targetILNS1_3genE8ELNS1_11target_archE1030ELNS1_3gpuE2ELNS1_3repE0EEENS1_30default_config_static_selectorELNS0_4arch9wavefront6targetE0EEEvT1_.num_vgpr, 0
	.set _ZN7rocprim17ROCPRIM_400000_NS6detail17trampoline_kernelINS0_14default_configENS1_25partition_config_selectorILNS1_17partition_subalgoE5ElNS0_10empty_typeEbEEZZNS1_14partition_implILS5_5ELb0ES3_mN6hipcub16HIPCUB_304000_NS21CountingInputIteratorIllEEPS6_NSA_22TransformInputIteratorIbN2at6native12_GLOBAL__N_19NonZeroOpIsEEPKslEENS0_5tupleIJPlS6_EEENSN_IJSD_SD_EEES6_PiJS6_EEE10hipError_tPvRmT3_T4_T5_T6_T7_T9_mT8_P12ihipStream_tbDpT10_ENKUlT_T0_E_clISt17integral_constantIbLb1EES1B_EEDaS16_S17_EUlS16_E_NS1_11comp_targetILNS1_3genE8ELNS1_11target_archE1030ELNS1_3gpuE2ELNS1_3repE0EEENS1_30default_config_static_selectorELNS0_4arch9wavefront6targetE0EEEvT1_.num_agpr, 0
	.set _ZN7rocprim17ROCPRIM_400000_NS6detail17trampoline_kernelINS0_14default_configENS1_25partition_config_selectorILNS1_17partition_subalgoE5ElNS0_10empty_typeEbEEZZNS1_14partition_implILS5_5ELb0ES3_mN6hipcub16HIPCUB_304000_NS21CountingInputIteratorIllEEPS6_NSA_22TransformInputIteratorIbN2at6native12_GLOBAL__N_19NonZeroOpIsEEPKslEENS0_5tupleIJPlS6_EEENSN_IJSD_SD_EEES6_PiJS6_EEE10hipError_tPvRmT3_T4_T5_T6_T7_T9_mT8_P12ihipStream_tbDpT10_ENKUlT_T0_E_clISt17integral_constantIbLb1EES1B_EEDaS16_S17_EUlS16_E_NS1_11comp_targetILNS1_3genE8ELNS1_11target_archE1030ELNS1_3gpuE2ELNS1_3repE0EEENS1_30default_config_static_selectorELNS0_4arch9wavefront6targetE0EEEvT1_.numbered_sgpr, 0
	.set _ZN7rocprim17ROCPRIM_400000_NS6detail17trampoline_kernelINS0_14default_configENS1_25partition_config_selectorILNS1_17partition_subalgoE5ElNS0_10empty_typeEbEEZZNS1_14partition_implILS5_5ELb0ES3_mN6hipcub16HIPCUB_304000_NS21CountingInputIteratorIllEEPS6_NSA_22TransformInputIteratorIbN2at6native12_GLOBAL__N_19NonZeroOpIsEEPKslEENS0_5tupleIJPlS6_EEENSN_IJSD_SD_EEES6_PiJS6_EEE10hipError_tPvRmT3_T4_T5_T6_T7_T9_mT8_P12ihipStream_tbDpT10_ENKUlT_T0_E_clISt17integral_constantIbLb1EES1B_EEDaS16_S17_EUlS16_E_NS1_11comp_targetILNS1_3genE8ELNS1_11target_archE1030ELNS1_3gpuE2ELNS1_3repE0EEENS1_30default_config_static_selectorELNS0_4arch9wavefront6targetE0EEEvT1_.num_named_barrier, 0
	.set _ZN7rocprim17ROCPRIM_400000_NS6detail17trampoline_kernelINS0_14default_configENS1_25partition_config_selectorILNS1_17partition_subalgoE5ElNS0_10empty_typeEbEEZZNS1_14partition_implILS5_5ELb0ES3_mN6hipcub16HIPCUB_304000_NS21CountingInputIteratorIllEEPS6_NSA_22TransformInputIteratorIbN2at6native12_GLOBAL__N_19NonZeroOpIsEEPKslEENS0_5tupleIJPlS6_EEENSN_IJSD_SD_EEES6_PiJS6_EEE10hipError_tPvRmT3_T4_T5_T6_T7_T9_mT8_P12ihipStream_tbDpT10_ENKUlT_T0_E_clISt17integral_constantIbLb1EES1B_EEDaS16_S17_EUlS16_E_NS1_11comp_targetILNS1_3genE8ELNS1_11target_archE1030ELNS1_3gpuE2ELNS1_3repE0EEENS1_30default_config_static_selectorELNS0_4arch9wavefront6targetE0EEEvT1_.private_seg_size, 0
	.set _ZN7rocprim17ROCPRIM_400000_NS6detail17trampoline_kernelINS0_14default_configENS1_25partition_config_selectorILNS1_17partition_subalgoE5ElNS0_10empty_typeEbEEZZNS1_14partition_implILS5_5ELb0ES3_mN6hipcub16HIPCUB_304000_NS21CountingInputIteratorIllEEPS6_NSA_22TransformInputIteratorIbN2at6native12_GLOBAL__N_19NonZeroOpIsEEPKslEENS0_5tupleIJPlS6_EEENSN_IJSD_SD_EEES6_PiJS6_EEE10hipError_tPvRmT3_T4_T5_T6_T7_T9_mT8_P12ihipStream_tbDpT10_ENKUlT_T0_E_clISt17integral_constantIbLb1EES1B_EEDaS16_S17_EUlS16_E_NS1_11comp_targetILNS1_3genE8ELNS1_11target_archE1030ELNS1_3gpuE2ELNS1_3repE0EEENS1_30default_config_static_selectorELNS0_4arch9wavefront6targetE0EEEvT1_.uses_vcc, 0
	.set _ZN7rocprim17ROCPRIM_400000_NS6detail17trampoline_kernelINS0_14default_configENS1_25partition_config_selectorILNS1_17partition_subalgoE5ElNS0_10empty_typeEbEEZZNS1_14partition_implILS5_5ELb0ES3_mN6hipcub16HIPCUB_304000_NS21CountingInputIteratorIllEEPS6_NSA_22TransformInputIteratorIbN2at6native12_GLOBAL__N_19NonZeroOpIsEEPKslEENS0_5tupleIJPlS6_EEENSN_IJSD_SD_EEES6_PiJS6_EEE10hipError_tPvRmT3_T4_T5_T6_T7_T9_mT8_P12ihipStream_tbDpT10_ENKUlT_T0_E_clISt17integral_constantIbLb1EES1B_EEDaS16_S17_EUlS16_E_NS1_11comp_targetILNS1_3genE8ELNS1_11target_archE1030ELNS1_3gpuE2ELNS1_3repE0EEENS1_30default_config_static_selectorELNS0_4arch9wavefront6targetE0EEEvT1_.uses_flat_scratch, 0
	.set _ZN7rocprim17ROCPRIM_400000_NS6detail17trampoline_kernelINS0_14default_configENS1_25partition_config_selectorILNS1_17partition_subalgoE5ElNS0_10empty_typeEbEEZZNS1_14partition_implILS5_5ELb0ES3_mN6hipcub16HIPCUB_304000_NS21CountingInputIteratorIllEEPS6_NSA_22TransformInputIteratorIbN2at6native12_GLOBAL__N_19NonZeroOpIsEEPKslEENS0_5tupleIJPlS6_EEENSN_IJSD_SD_EEES6_PiJS6_EEE10hipError_tPvRmT3_T4_T5_T6_T7_T9_mT8_P12ihipStream_tbDpT10_ENKUlT_T0_E_clISt17integral_constantIbLb1EES1B_EEDaS16_S17_EUlS16_E_NS1_11comp_targetILNS1_3genE8ELNS1_11target_archE1030ELNS1_3gpuE2ELNS1_3repE0EEENS1_30default_config_static_selectorELNS0_4arch9wavefront6targetE0EEEvT1_.has_dyn_sized_stack, 0
	.set _ZN7rocprim17ROCPRIM_400000_NS6detail17trampoline_kernelINS0_14default_configENS1_25partition_config_selectorILNS1_17partition_subalgoE5ElNS0_10empty_typeEbEEZZNS1_14partition_implILS5_5ELb0ES3_mN6hipcub16HIPCUB_304000_NS21CountingInputIteratorIllEEPS6_NSA_22TransformInputIteratorIbN2at6native12_GLOBAL__N_19NonZeroOpIsEEPKslEENS0_5tupleIJPlS6_EEENSN_IJSD_SD_EEES6_PiJS6_EEE10hipError_tPvRmT3_T4_T5_T6_T7_T9_mT8_P12ihipStream_tbDpT10_ENKUlT_T0_E_clISt17integral_constantIbLb1EES1B_EEDaS16_S17_EUlS16_E_NS1_11comp_targetILNS1_3genE8ELNS1_11target_archE1030ELNS1_3gpuE2ELNS1_3repE0EEENS1_30default_config_static_selectorELNS0_4arch9wavefront6targetE0EEEvT1_.has_recursion, 0
	.set _ZN7rocprim17ROCPRIM_400000_NS6detail17trampoline_kernelINS0_14default_configENS1_25partition_config_selectorILNS1_17partition_subalgoE5ElNS0_10empty_typeEbEEZZNS1_14partition_implILS5_5ELb0ES3_mN6hipcub16HIPCUB_304000_NS21CountingInputIteratorIllEEPS6_NSA_22TransformInputIteratorIbN2at6native12_GLOBAL__N_19NonZeroOpIsEEPKslEENS0_5tupleIJPlS6_EEENSN_IJSD_SD_EEES6_PiJS6_EEE10hipError_tPvRmT3_T4_T5_T6_T7_T9_mT8_P12ihipStream_tbDpT10_ENKUlT_T0_E_clISt17integral_constantIbLb1EES1B_EEDaS16_S17_EUlS16_E_NS1_11comp_targetILNS1_3genE8ELNS1_11target_archE1030ELNS1_3gpuE2ELNS1_3repE0EEENS1_30default_config_static_selectorELNS0_4arch9wavefront6targetE0EEEvT1_.has_indirect_call, 0
	.section	.AMDGPU.csdata,"",@progbits
; Kernel info:
; codeLenInByte = 0
; TotalNumSgprs: 0
; NumVgprs: 0
; ScratchSize: 0
; MemoryBound: 0
; FloatMode: 240
; IeeeMode: 1
; LDSByteSize: 0 bytes/workgroup (compile time only)
; SGPRBlocks: 0
; VGPRBlocks: 0
; NumSGPRsForWavesPerEU: 1
; NumVGPRsForWavesPerEU: 1
; Occupancy: 16
; WaveLimiterHint : 0
; COMPUTE_PGM_RSRC2:SCRATCH_EN: 0
; COMPUTE_PGM_RSRC2:USER_SGPR: 2
; COMPUTE_PGM_RSRC2:TRAP_HANDLER: 0
; COMPUTE_PGM_RSRC2:TGID_X_EN: 1
; COMPUTE_PGM_RSRC2:TGID_Y_EN: 0
; COMPUTE_PGM_RSRC2:TGID_Z_EN: 0
; COMPUTE_PGM_RSRC2:TIDIG_COMP_CNT: 0
	.section	.text._ZN7rocprim17ROCPRIM_400000_NS6detail17trampoline_kernelINS0_14default_configENS1_25partition_config_selectorILNS1_17partition_subalgoE5ElNS0_10empty_typeEbEEZZNS1_14partition_implILS5_5ELb0ES3_mN6hipcub16HIPCUB_304000_NS21CountingInputIteratorIllEEPS6_NSA_22TransformInputIteratorIbN2at6native12_GLOBAL__N_19NonZeroOpIsEEPKslEENS0_5tupleIJPlS6_EEENSN_IJSD_SD_EEES6_PiJS6_EEE10hipError_tPvRmT3_T4_T5_T6_T7_T9_mT8_P12ihipStream_tbDpT10_ENKUlT_T0_E_clISt17integral_constantIbLb1EES1A_IbLb0EEEEDaS16_S17_EUlS16_E_NS1_11comp_targetILNS1_3genE0ELNS1_11target_archE4294967295ELNS1_3gpuE0ELNS1_3repE0EEENS1_30default_config_static_selectorELNS0_4arch9wavefront6targetE0EEEvT1_,"axG",@progbits,_ZN7rocprim17ROCPRIM_400000_NS6detail17trampoline_kernelINS0_14default_configENS1_25partition_config_selectorILNS1_17partition_subalgoE5ElNS0_10empty_typeEbEEZZNS1_14partition_implILS5_5ELb0ES3_mN6hipcub16HIPCUB_304000_NS21CountingInputIteratorIllEEPS6_NSA_22TransformInputIteratorIbN2at6native12_GLOBAL__N_19NonZeroOpIsEEPKslEENS0_5tupleIJPlS6_EEENSN_IJSD_SD_EEES6_PiJS6_EEE10hipError_tPvRmT3_T4_T5_T6_T7_T9_mT8_P12ihipStream_tbDpT10_ENKUlT_T0_E_clISt17integral_constantIbLb1EES1A_IbLb0EEEEDaS16_S17_EUlS16_E_NS1_11comp_targetILNS1_3genE0ELNS1_11target_archE4294967295ELNS1_3gpuE0ELNS1_3repE0EEENS1_30default_config_static_selectorELNS0_4arch9wavefront6targetE0EEEvT1_,comdat
	.globl	_ZN7rocprim17ROCPRIM_400000_NS6detail17trampoline_kernelINS0_14default_configENS1_25partition_config_selectorILNS1_17partition_subalgoE5ElNS0_10empty_typeEbEEZZNS1_14partition_implILS5_5ELb0ES3_mN6hipcub16HIPCUB_304000_NS21CountingInputIteratorIllEEPS6_NSA_22TransformInputIteratorIbN2at6native12_GLOBAL__N_19NonZeroOpIsEEPKslEENS0_5tupleIJPlS6_EEENSN_IJSD_SD_EEES6_PiJS6_EEE10hipError_tPvRmT3_T4_T5_T6_T7_T9_mT8_P12ihipStream_tbDpT10_ENKUlT_T0_E_clISt17integral_constantIbLb1EES1A_IbLb0EEEEDaS16_S17_EUlS16_E_NS1_11comp_targetILNS1_3genE0ELNS1_11target_archE4294967295ELNS1_3gpuE0ELNS1_3repE0EEENS1_30default_config_static_selectorELNS0_4arch9wavefront6targetE0EEEvT1_ ; -- Begin function _ZN7rocprim17ROCPRIM_400000_NS6detail17trampoline_kernelINS0_14default_configENS1_25partition_config_selectorILNS1_17partition_subalgoE5ElNS0_10empty_typeEbEEZZNS1_14partition_implILS5_5ELb0ES3_mN6hipcub16HIPCUB_304000_NS21CountingInputIteratorIllEEPS6_NSA_22TransformInputIteratorIbN2at6native12_GLOBAL__N_19NonZeroOpIsEEPKslEENS0_5tupleIJPlS6_EEENSN_IJSD_SD_EEES6_PiJS6_EEE10hipError_tPvRmT3_T4_T5_T6_T7_T9_mT8_P12ihipStream_tbDpT10_ENKUlT_T0_E_clISt17integral_constantIbLb1EES1A_IbLb0EEEEDaS16_S17_EUlS16_E_NS1_11comp_targetILNS1_3genE0ELNS1_11target_archE4294967295ELNS1_3gpuE0ELNS1_3repE0EEENS1_30default_config_static_selectorELNS0_4arch9wavefront6targetE0EEEvT1_
	.p2align	8
	.type	_ZN7rocprim17ROCPRIM_400000_NS6detail17trampoline_kernelINS0_14default_configENS1_25partition_config_selectorILNS1_17partition_subalgoE5ElNS0_10empty_typeEbEEZZNS1_14partition_implILS5_5ELb0ES3_mN6hipcub16HIPCUB_304000_NS21CountingInputIteratorIllEEPS6_NSA_22TransformInputIteratorIbN2at6native12_GLOBAL__N_19NonZeroOpIsEEPKslEENS0_5tupleIJPlS6_EEENSN_IJSD_SD_EEES6_PiJS6_EEE10hipError_tPvRmT3_T4_T5_T6_T7_T9_mT8_P12ihipStream_tbDpT10_ENKUlT_T0_E_clISt17integral_constantIbLb1EES1A_IbLb0EEEEDaS16_S17_EUlS16_E_NS1_11comp_targetILNS1_3genE0ELNS1_11target_archE4294967295ELNS1_3gpuE0ELNS1_3repE0EEENS1_30default_config_static_selectorELNS0_4arch9wavefront6targetE0EEEvT1_,@function
_ZN7rocprim17ROCPRIM_400000_NS6detail17trampoline_kernelINS0_14default_configENS1_25partition_config_selectorILNS1_17partition_subalgoE5ElNS0_10empty_typeEbEEZZNS1_14partition_implILS5_5ELb0ES3_mN6hipcub16HIPCUB_304000_NS21CountingInputIteratorIllEEPS6_NSA_22TransformInputIteratorIbN2at6native12_GLOBAL__N_19NonZeroOpIsEEPKslEENS0_5tupleIJPlS6_EEENSN_IJSD_SD_EEES6_PiJS6_EEE10hipError_tPvRmT3_T4_T5_T6_T7_T9_mT8_P12ihipStream_tbDpT10_ENKUlT_T0_E_clISt17integral_constantIbLb1EES1A_IbLb0EEEEDaS16_S17_EUlS16_E_NS1_11comp_targetILNS1_3genE0ELNS1_11target_archE4294967295ELNS1_3gpuE0ELNS1_3repE0EEENS1_30default_config_static_selectorELNS0_4arch9wavefront6targetE0EEEvT1_: ; @_ZN7rocprim17ROCPRIM_400000_NS6detail17trampoline_kernelINS0_14default_configENS1_25partition_config_selectorILNS1_17partition_subalgoE5ElNS0_10empty_typeEbEEZZNS1_14partition_implILS5_5ELb0ES3_mN6hipcub16HIPCUB_304000_NS21CountingInputIteratorIllEEPS6_NSA_22TransformInputIteratorIbN2at6native12_GLOBAL__N_19NonZeroOpIsEEPKslEENS0_5tupleIJPlS6_EEENSN_IJSD_SD_EEES6_PiJS6_EEE10hipError_tPvRmT3_T4_T5_T6_T7_T9_mT8_P12ihipStream_tbDpT10_ENKUlT_T0_E_clISt17integral_constantIbLb1EES1A_IbLb0EEEEDaS16_S17_EUlS16_E_NS1_11comp_targetILNS1_3genE0ELNS1_11target_archE4294967295ELNS1_3gpuE0ELNS1_3repE0EEENS1_30default_config_static_selectorELNS0_4arch9wavefront6targetE0EEEvT1_
; %bb.0:
	.section	.rodata,"a",@progbits
	.p2align	6, 0x0
	.amdhsa_kernel _ZN7rocprim17ROCPRIM_400000_NS6detail17trampoline_kernelINS0_14default_configENS1_25partition_config_selectorILNS1_17partition_subalgoE5ElNS0_10empty_typeEbEEZZNS1_14partition_implILS5_5ELb0ES3_mN6hipcub16HIPCUB_304000_NS21CountingInputIteratorIllEEPS6_NSA_22TransformInputIteratorIbN2at6native12_GLOBAL__N_19NonZeroOpIsEEPKslEENS0_5tupleIJPlS6_EEENSN_IJSD_SD_EEES6_PiJS6_EEE10hipError_tPvRmT3_T4_T5_T6_T7_T9_mT8_P12ihipStream_tbDpT10_ENKUlT_T0_E_clISt17integral_constantIbLb1EES1A_IbLb0EEEEDaS16_S17_EUlS16_E_NS1_11comp_targetILNS1_3genE0ELNS1_11target_archE4294967295ELNS1_3gpuE0ELNS1_3repE0EEENS1_30default_config_static_selectorELNS0_4arch9wavefront6targetE0EEEvT1_
		.amdhsa_group_segment_fixed_size 0
		.amdhsa_private_segment_fixed_size 0
		.amdhsa_kernarg_size 120
		.amdhsa_user_sgpr_count 2
		.amdhsa_user_sgpr_dispatch_ptr 0
		.amdhsa_user_sgpr_queue_ptr 0
		.amdhsa_user_sgpr_kernarg_segment_ptr 1
		.amdhsa_user_sgpr_dispatch_id 0
		.amdhsa_user_sgpr_private_segment_size 0
		.amdhsa_wavefront_size32 1
		.amdhsa_uses_dynamic_stack 0
		.amdhsa_enable_private_segment 0
		.amdhsa_system_sgpr_workgroup_id_x 1
		.amdhsa_system_sgpr_workgroup_id_y 0
		.amdhsa_system_sgpr_workgroup_id_z 0
		.amdhsa_system_sgpr_workgroup_info 0
		.amdhsa_system_vgpr_workitem_id 0
		.amdhsa_next_free_vgpr 1
		.amdhsa_next_free_sgpr 1
		.amdhsa_reserve_vcc 0
		.amdhsa_float_round_mode_32 0
		.amdhsa_float_round_mode_16_64 0
		.amdhsa_float_denorm_mode_32 3
		.amdhsa_float_denorm_mode_16_64 3
		.amdhsa_fp16_overflow 0
		.amdhsa_workgroup_processor_mode 1
		.amdhsa_memory_ordered 1
		.amdhsa_forward_progress 1
		.amdhsa_inst_pref_size 0
		.amdhsa_round_robin_scheduling 0
		.amdhsa_exception_fp_ieee_invalid_op 0
		.amdhsa_exception_fp_denorm_src 0
		.amdhsa_exception_fp_ieee_div_zero 0
		.amdhsa_exception_fp_ieee_overflow 0
		.amdhsa_exception_fp_ieee_underflow 0
		.amdhsa_exception_fp_ieee_inexact 0
		.amdhsa_exception_int_div_zero 0
	.end_amdhsa_kernel
	.section	.text._ZN7rocprim17ROCPRIM_400000_NS6detail17trampoline_kernelINS0_14default_configENS1_25partition_config_selectorILNS1_17partition_subalgoE5ElNS0_10empty_typeEbEEZZNS1_14partition_implILS5_5ELb0ES3_mN6hipcub16HIPCUB_304000_NS21CountingInputIteratorIllEEPS6_NSA_22TransformInputIteratorIbN2at6native12_GLOBAL__N_19NonZeroOpIsEEPKslEENS0_5tupleIJPlS6_EEENSN_IJSD_SD_EEES6_PiJS6_EEE10hipError_tPvRmT3_T4_T5_T6_T7_T9_mT8_P12ihipStream_tbDpT10_ENKUlT_T0_E_clISt17integral_constantIbLb1EES1A_IbLb0EEEEDaS16_S17_EUlS16_E_NS1_11comp_targetILNS1_3genE0ELNS1_11target_archE4294967295ELNS1_3gpuE0ELNS1_3repE0EEENS1_30default_config_static_selectorELNS0_4arch9wavefront6targetE0EEEvT1_,"axG",@progbits,_ZN7rocprim17ROCPRIM_400000_NS6detail17trampoline_kernelINS0_14default_configENS1_25partition_config_selectorILNS1_17partition_subalgoE5ElNS0_10empty_typeEbEEZZNS1_14partition_implILS5_5ELb0ES3_mN6hipcub16HIPCUB_304000_NS21CountingInputIteratorIllEEPS6_NSA_22TransformInputIteratorIbN2at6native12_GLOBAL__N_19NonZeroOpIsEEPKslEENS0_5tupleIJPlS6_EEENSN_IJSD_SD_EEES6_PiJS6_EEE10hipError_tPvRmT3_T4_T5_T6_T7_T9_mT8_P12ihipStream_tbDpT10_ENKUlT_T0_E_clISt17integral_constantIbLb1EES1A_IbLb0EEEEDaS16_S17_EUlS16_E_NS1_11comp_targetILNS1_3genE0ELNS1_11target_archE4294967295ELNS1_3gpuE0ELNS1_3repE0EEENS1_30default_config_static_selectorELNS0_4arch9wavefront6targetE0EEEvT1_,comdat
.Lfunc_end338:
	.size	_ZN7rocprim17ROCPRIM_400000_NS6detail17trampoline_kernelINS0_14default_configENS1_25partition_config_selectorILNS1_17partition_subalgoE5ElNS0_10empty_typeEbEEZZNS1_14partition_implILS5_5ELb0ES3_mN6hipcub16HIPCUB_304000_NS21CountingInputIteratorIllEEPS6_NSA_22TransformInputIteratorIbN2at6native12_GLOBAL__N_19NonZeroOpIsEEPKslEENS0_5tupleIJPlS6_EEENSN_IJSD_SD_EEES6_PiJS6_EEE10hipError_tPvRmT3_T4_T5_T6_T7_T9_mT8_P12ihipStream_tbDpT10_ENKUlT_T0_E_clISt17integral_constantIbLb1EES1A_IbLb0EEEEDaS16_S17_EUlS16_E_NS1_11comp_targetILNS1_3genE0ELNS1_11target_archE4294967295ELNS1_3gpuE0ELNS1_3repE0EEENS1_30default_config_static_selectorELNS0_4arch9wavefront6targetE0EEEvT1_, .Lfunc_end338-_ZN7rocprim17ROCPRIM_400000_NS6detail17trampoline_kernelINS0_14default_configENS1_25partition_config_selectorILNS1_17partition_subalgoE5ElNS0_10empty_typeEbEEZZNS1_14partition_implILS5_5ELb0ES3_mN6hipcub16HIPCUB_304000_NS21CountingInputIteratorIllEEPS6_NSA_22TransformInputIteratorIbN2at6native12_GLOBAL__N_19NonZeroOpIsEEPKslEENS0_5tupleIJPlS6_EEENSN_IJSD_SD_EEES6_PiJS6_EEE10hipError_tPvRmT3_T4_T5_T6_T7_T9_mT8_P12ihipStream_tbDpT10_ENKUlT_T0_E_clISt17integral_constantIbLb1EES1A_IbLb0EEEEDaS16_S17_EUlS16_E_NS1_11comp_targetILNS1_3genE0ELNS1_11target_archE4294967295ELNS1_3gpuE0ELNS1_3repE0EEENS1_30default_config_static_selectorELNS0_4arch9wavefront6targetE0EEEvT1_
                                        ; -- End function
	.set _ZN7rocprim17ROCPRIM_400000_NS6detail17trampoline_kernelINS0_14default_configENS1_25partition_config_selectorILNS1_17partition_subalgoE5ElNS0_10empty_typeEbEEZZNS1_14partition_implILS5_5ELb0ES3_mN6hipcub16HIPCUB_304000_NS21CountingInputIteratorIllEEPS6_NSA_22TransformInputIteratorIbN2at6native12_GLOBAL__N_19NonZeroOpIsEEPKslEENS0_5tupleIJPlS6_EEENSN_IJSD_SD_EEES6_PiJS6_EEE10hipError_tPvRmT3_T4_T5_T6_T7_T9_mT8_P12ihipStream_tbDpT10_ENKUlT_T0_E_clISt17integral_constantIbLb1EES1A_IbLb0EEEEDaS16_S17_EUlS16_E_NS1_11comp_targetILNS1_3genE0ELNS1_11target_archE4294967295ELNS1_3gpuE0ELNS1_3repE0EEENS1_30default_config_static_selectorELNS0_4arch9wavefront6targetE0EEEvT1_.num_vgpr, 0
	.set _ZN7rocprim17ROCPRIM_400000_NS6detail17trampoline_kernelINS0_14default_configENS1_25partition_config_selectorILNS1_17partition_subalgoE5ElNS0_10empty_typeEbEEZZNS1_14partition_implILS5_5ELb0ES3_mN6hipcub16HIPCUB_304000_NS21CountingInputIteratorIllEEPS6_NSA_22TransformInputIteratorIbN2at6native12_GLOBAL__N_19NonZeroOpIsEEPKslEENS0_5tupleIJPlS6_EEENSN_IJSD_SD_EEES6_PiJS6_EEE10hipError_tPvRmT3_T4_T5_T6_T7_T9_mT8_P12ihipStream_tbDpT10_ENKUlT_T0_E_clISt17integral_constantIbLb1EES1A_IbLb0EEEEDaS16_S17_EUlS16_E_NS1_11comp_targetILNS1_3genE0ELNS1_11target_archE4294967295ELNS1_3gpuE0ELNS1_3repE0EEENS1_30default_config_static_selectorELNS0_4arch9wavefront6targetE0EEEvT1_.num_agpr, 0
	.set _ZN7rocprim17ROCPRIM_400000_NS6detail17trampoline_kernelINS0_14default_configENS1_25partition_config_selectorILNS1_17partition_subalgoE5ElNS0_10empty_typeEbEEZZNS1_14partition_implILS5_5ELb0ES3_mN6hipcub16HIPCUB_304000_NS21CountingInputIteratorIllEEPS6_NSA_22TransformInputIteratorIbN2at6native12_GLOBAL__N_19NonZeroOpIsEEPKslEENS0_5tupleIJPlS6_EEENSN_IJSD_SD_EEES6_PiJS6_EEE10hipError_tPvRmT3_T4_T5_T6_T7_T9_mT8_P12ihipStream_tbDpT10_ENKUlT_T0_E_clISt17integral_constantIbLb1EES1A_IbLb0EEEEDaS16_S17_EUlS16_E_NS1_11comp_targetILNS1_3genE0ELNS1_11target_archE4294967295ELNS1_3gpuE0ELNS1_3repE0EEENS1_30default_config_static_selectorELNS0_4arch9wavefront6targetE0EEEvT1_.numbered_sgpr, 0
	.set _ZN7rocprim17ROCPRIM_400000_NS6detail17trampoline_kernelINS0_14default_configENS1_25partition_config_selectorILNS1_17partition_subalgoE5ElNS0_10empty_typeEbEEZZNS1_14partition_implILS5_5ELb0ES3_mN6hipcub16HIPCUB_304000_NS21CountingInputIteratorIllEEPS6_NSA_22TransformInputIteratorIbN2at6native12_GLOBAL__N_19NonZeroOpIsEEPKslEENS0_5tupleIJPlS6_EEENSN_IJSD_SD_EEES6_PiJS6_EEE10hipError_tPvRmT3_T4_T5_T6_T7_T9_mT8_P12ihipStream_tbDpT10_ENKUlT_T0_E_clISt17integral_constantIbLb1EES1A_IbLb0EEEEDaS16_S17_EUlS16_E_NS1_11comp_targetILNS1_3genE0ELNS1_11target_archE4294967295ELNS1_3gpuE0ELNS1_3repE0EEENS1_30default_config_static_selectorELNS0_4arch9wavefront6targetE0EEEvT1_.num_named_barrier, 0
	.set _ZN7rocprim17ROCPRIM_400000_NS6detail17trampoline_kernelINS0_14default_configENS1_25partition_config_selectorILNS1_17partition_subalgoE5ElNS0_10empty_typeEbEEZZNS1_14partition_implILS5_5ELb0ES3_mN6hipcub16HIPCUB_304000_NS21CountingInputIteratorIllEEPS6_NSA_22TransformInputIteratorIbN2at6native12_GLOBAL__N_19NonZeroOpIsEEPKslEENS0_5tupleIJPlS6_EEENSN_IJSD_SD_EEES6_PiJS6_EEE10hipError_tPvRmT3_T4_T5_T6_T7_T9_mT8_P12ihipStream_tbDpT10_ENKUlT_T0_E_clISt17integral_constantIbLb1EES1A_IbLb0EEEEDaS16_S17_EUlS16_E_NS1_11comp_targetILNS1_3genE0ELNS1_11target_archE4294967295ELNS1_3gpuE0ELNS1_3repE0EEENS1_30default_config_static_selectorELNS0_4arch9wavefront6targetE0EEEvT1_.private_seg_size, 0
	.set _ZN7rocprim17ROCPRIM_400000_NS6detail17trampoline_kernelINS0_14default_configENS1_25partition_config_selectorILNS1_17partition_subalgoE5ElNS0_10empty_typeEbEEZZNS1_14partition_implILS5_5ELb0ES3_mN6hipcub16HIPCUB_304000_NS21CountingInputIteratorIllEEPS6_NSA_22TransformInputIteratorIbN2at6native12_GLOBAL__N_19NonZeroOpIsEEPKslEENS0_5tupleIJPlS6_EEENSN_IJSD_SD_EEES6_PiJS6_EEE10hipError_tPvRmT3_T4_T5_T6_T7_T9_mT8_P12ihipStream_tbDpT10_ENKUlT_T0_E_clISt17integral_constantIbLb1EES1A_IbLb0EEEEDaS16_S17_EUlS16_E_NS1_11comp_targetILNS1_3genE0ELNS1_11target_archE4294967295ELNS1_3gpuE0ELNS1_3repE0EEENS1_30default_config_static_selectorELNS0_4arch9wavefront6targetE0EEEvT1_.uses_vcc, 0
	.set _ZN7rocprim17ROCPRIM_400000_NS6detail17trampoline_kernelINS0_14default_configENS1_25partition_config_selectorILNS1_17partition_subalgoE5ElNS0_10empty_typeEbEEZZNS1_14partition_implILS5_5ELb0ES3_mN6hipcub16HIPCUB_304000_NS21CountingInputIteratorIllEEPS6_NSA_22TransformInputIteratorIbN2at6native12_GLOBAL__N_19NonZeroOpIsEEPKslEENS0_5tupleIJPlS6_EEENSN_IJSD_SD_EEES6_PiJS6_EEE10hipError_tPvRmT3_T4_T5_T6_T7_T9_mT8_P12ihipStream_tbDpT10_ENKUlT_T0_E_clISt17integral_constantIbLb1EES1A_IbLb0EEEEDaS16_S17_EUlS16_E_NS1_11comp_targetILNS1_3genE0ELNS1_11target_archE4294967295ELNS1_3gpuE0ELNS1_3repE0EEENS1_30default_config_static_selectorELNS0_4arch9wavefront6targetE0EEEvT1_.uses_flat_scratch, 0
	.set _ZN7rocprim17ROCPRIM_400000_NS6detail17trampoline_kernelINS0_14default_configENS1_25partition_config_selectorILNS1_17partition_subalgoE5ElNS0_10empty_typeEbEEZZNS1_14partition_implILS5_5ELb0ES3_mN6hipcub16HIPCUB_304000_NS21CountingInputIteratorIllEEPS6_NSA_22TransformInputIteratorIbN2at6native12_GLOBAL__N_19NonZeroOpIsEEPKslEENS0_5tupleIJPlS6_EEENSN_IJSD_SD_EEES6_PiJS6_EEE10hipError_tPvRmT3_T4_T5_T6_T7_T9_mT8_P12ihipStream_tbDpT10_ENKUlT_T0_E_clISt17integral_constantIbLb1EES1A_IbLb0EEEEDaS16_S17_EUlS16_E_NS1_11comp_targetILNS1_3genE0ELNS1_11target_archE4294967295ELNS1_3gpuE0ELNS1_3repE0EEENS1_30default_config_static_selectorELNS0_4arch9wavefront6targetE0EEEvT1_.has_dyn_sized_stack, 0
	.set _ZN7rocprim17ROCPRIM_400000_NS6detail17trampoline_kernelINS0_14default_configENS1_25partition_config_selectorILNS1_17partition_subalgoE5ElNS0_10empty_typeEbEEZZNS1_14partition_implILS5_5ELb0ES3_mN6hipcub16HIPCUB_304000_NS21CountingInputIteratorIllEEPS6_NSA_22TransformInputIteratorIbN2at6native12_GLOBAL__N_19NonZeroOpIsEEPKslEENS0_5tupleIJPlS6_EEENSN_IJSD_SD_EEES6_PiJS6_EEE10hipError_tPvRmT3_T4_T5_T6_T7_T9_mT8_P12ihipStream_tbDpT10_ENKUlT_T0_E_clISt17integral_constantIbLb1EES1A_IbLb0EEEEDaS16_S17_EUlS16_E_NS1_11comp_targetILNS1_3genE0ELNS1_11target_archE4294967295ELNS1_3gpuE0ELNS1_3repE0EEENS1_30default_config_static_selectorELNS0_4arch9wavefront6targetE0EEEvT1_.has_recursion, 0
	.set _ZN7rocprim17ROCPRIM_400000_NS6detail17trampoline_kernelINS0_14default_configENS1_25partition_config_selectorILNS1_17partition_subalgoE5ElNS0_10empty_typeEbEEZZNS1_14partition_implILS5_5ELb0ES3_mN6hipcub16HIPCUB_304000_NS21CountingInputIteratorIllEEPS6_NSA_22TransformInputIteratorIbN2at6native12_GLOBAL__N_19NonZeroOpIsEEPKslEENS0_5tupleIJPlS6_EEENSN_IJSD_SD_EEES6_PiJS6_EEE10hipError_tPvRmT3_T4_T5_T6_T7_T9_mT8_P12ihipStream_tbDpT10_ENKUlT_T0_E_clISt17integral_constantIbLb1EES1A_IbLb0EEEEDaS16_S17_EUlS16_E_NS1_11comp_targetILNS1_3genE0ELNS1_11target_archE4294967295ELNS1_3gpuE0ELNS1_3repE0EEENS1_30default_config_static_selectorELNS0_4arch9wavefront6targetE0EEEvT1_.has_indirect_call, 0
	.section	.AMDGPU.csdata,"",@progbits
; Kernel info:
; codeLenInByte = 0
; TotalNumSgprs: 0
; NumVgprs: 0
; ScratchSize: 0
; MemoryBound: 0
; FloatMode: 240
; IeeeMode: 1
; LDSByteSize: 0 bytes/workgroup (compile time only)
; SGPRBlocks: 0
; VGPRBlocks: 0
; NumSGPRsForWavesPerEU: 1
; NumVGPRsForWavesPerEU: 1
; Occupancy: 16
; WaveLimiterHint : 0
; COMPUTE_PGM_RSRC2:SCRATCH_EN: 0
; COMPUTE_PGM_RSRC2:USER_SGPR: 2
; COMPUTE_PGM_RSRC2:TRAP_HANDLER: 0
; COMPUTE_PGM_RSRC2:TGID_X_EN: 1
; COMPUTE_PGM_RSRC2:TGID_Y_EN: 0
; COMPUTE_PGM_RSRC2:TGID_Z_EN: 0
; COMPUTE_PGM_RSRC2:TIDIG_COMP_CNT: 0
	.section	.text._ZN7rocprim17ROCPRIM_400000_NS6detail17trampoline_kernelINS0_14default_configENS1_25partition_config_selectorILNS1_17partition_subalgoE5ElNS0_10empty_typeEbEEZZNS1_14partition_implILS5_5ELb0ES3_mN6hipcub16HIPCUB_304000_NS21CountingInputIteratorIllEEPS6_NSA_22TransformInputIteratorIbN2at6native12_GLOBAL__N_19NonZeroOpIsEEPKslEENS0_5tupleIJPlS6_EEENSN_IJSD_SD_EEES6_PiJS6_EEE10hipError_tPvRmT3_T4_T5_T6_T7_T9_mT8_P12ihipStream_tbDpT10_ENKUlT_T0_E_clISt17integral_constantIbLb1EES1A_IbLb0EEEEDaS16_S17_EUlS16_E_NS1_11comp_targetILNS1_3genE5ELNS1_11target_archE942ELNS1_3gpuE9ELNS1_3repE0EEENS1_30default_config_static_selectorELNS0_4arch9wavefront6targetE0EEEvT1_,"axG",@progbits,_ZN7rocprim17ROCPRIM_400000_NS6detail17trampoline_kernelINS0_14default_configENS1_25partition_config_selectorILNS1_17partition_subalgoE5ElNS0_10empty_typeEbEEZZNS1_14partition_implILS5_5ELb0ES3_mN6hipcub16HIPCUB_304000_NS21CountingInputIteratorIllEEPS6_NSA_22TransformInputIteratorIbN2at6native12_GLOBAL__N_19NonZeroOpIsEEPKslEENS0_5tupleIJPlS6_EEENSN_IJSD_SD_EEES6_PiJS6_EEE10hipError_tPvRmT3_T4_T5_T6_T7_T9_mT8_P12ihipStream_tbDpT10_ENKUlT_T0_E_clISt17integral_constantIbLb1EES1A_IbLb0EEEEDaS16_S17_EUlS16_E_NS1_11comp_targetILNS1_3genE5ELNS1_11target_archE942ELNS1_3gpuE9ELNS1_3repE0EEENS1_30default_config_static_selectorELNS0_4arch9wavefront6targetE0EEEvT1_,comdat
	.globl	_ZN7rocprim17ROCPRIM_400000_NS6detail17trampoline_kernelINS0_14default_configENS1_25partition_config_selectorILNS1_17partition_subalgoE5ElNS0_10empty_typeEbEEZZNS1_14partition_implILS5_5ELb0ES3_mN6hipcub16HIPCUB_304000_NS21CountingInputIteratorIllEEPS6_NSA_22TransformInputIteratorIbN2at6native12_GLOBAL__N_19NonZeroOpIsEEPKslEENS0_5tupleIJPlS6_EEENSN_IJSD_SD_EEES6_PiJS6_EEE10hipError_tPvRmT3_T4_T5_T6_T7_T9_mT8_P12ihipStream_tbDpT10_ENKUlT_T0_E_clISt17integral_constantIbLb1EES1A_IbLb0EEEEDaS16_S17_EUlS16_E_NS1_11comp_targetILNS1_3genE5ELNS1_11target_archE942ELNS1_3gpuE9ELNS1_3repE0EEENS1_30default_config_static_selectorELNS0_4arch9wavefront6targetE0EEEvT1_ ; -- Begin function _ZN7rocprim17ROCPRIM_400000_NS6detail17trampoline_kernelINS0_14default_configENS1_25partition_config_selectorILNS1_17partition_subalgoE5ElNS0_10empty_typeEbEEZZNS1_14partition_implILS5_5ELb0ES3_mN6hipcub16HIPCUB_304000_NS21CountingInputIteratorIllEEPS6_NSA_22TransformInputIteratorIbN2at6native12_GLOBAL__N_19NonZeroOpIsEEPKslEENS0_5tupleIJPlS6_EEENSN_IJSD_SD_EEES6_PiJS6_EEE10hipError_tPvRmT3_T4_T5_T6_T7_T9_mT8_P12ihipStream_tbDpT10_ENKUlT_T0_E_clISt17integral_constantIbLb1EES1A_IbLb0EEEEDaS16_S17_EUlS16_E_NS1_11comp_targetILNS1_3genE5ELNS1_11target_archE942ELNS1_3gpuE9ELNS1_3repE0EEENS1_30default_config_static_selectorELNS0_4arch9wavefront6targetE0EEEvT1_
	.p2align	8
	.type	_ZN7rocprim17ROCPRIM_400000_NS6detail17trampoline_kernelINS0_14default_configENS1_25partition_config_selectorILNS1_17partition_subalgoE5ElNS0_10empty_typeEbEEZZNS1_14partition_implILS5_5ELb0ES3_mN6hipcub16HIPCUB_304000_NS21CountingInputIteratorIllEEPS6_NSA_22TransformInputIteratorIbN2at6native12_GLOBAL__N_19NonZeroOpIsEEPKslEENS0_5tupleIJPlS6_EEENSN_IJSD_SD_EEES6_PiJS6_EEE10hipError_tPvRmT3_T4_T5_T6_T7_T9_mT8_P12ihipStream_tbDpT10_ENKUlT_T0_E_clISt17integral_constantIbLb1EES1A_IbLb0EEEEDaS16_S17_EUlS16_E_NS1_11comp_targetILNS1_3genE5ELNS1_11target_archE942ELNS1_3gpuE9ELNS1_3repE0EEENS1_30default_config_static_selectorELNS0_4arch9wavefront6targetE0EEEvT1_,@function
_ZN7rocprim17ROCPRIM_400000_NS6detail17trampoline_kernelINS0_14default_configENS1_25partition_config_selectorILNS1_17partition_subalgoE5ElNS0_10empty_typeEbEEZZNS1_14partition_implILS5_5ELb0ES3_mN6hipcub16HIPCUB_304000_NS21CountingInputIteratorIllEEPS6_NSA_22TransformInputIteratorIbN2at6native12_GLOBAL__N_19NonZeroOpIsEEPKslEENS0_5tupleIJPlS6_EEENSN_IJSD_SD_EEES6_PiJS6_EEE10hipError_tPvRmT3_T4_T5_T6_T7_T9_mT8_P12ihipStream_tbDpT10_ENKUlT_T0_E_clISt17integral_constantIbLb1EES1A_IbLb0EEEEDaS16_S17_EUlS16_E_NS1_11comp_targetILNS1_3genE5ELNS1_11target_archE942ELNS1_3gpuE9ELNS1_3repE0EEENS1_30default_config_static_selectorELNS0_4arch9wavefront6targetE0EEEvT1_: ; @_ZN7rocprim17ROCPRIM_400000_NS6detail17trampoline_kernelINS0_14default_configENS1_25partition_config_selectorILNS1_17partition_subalgoE5ElNS0_10empty_typeEbEEZZNS1_14partition_implILS5_5ELb0ES3_mN6hipcub16HIPCUB_304000_NS21CountingInputIteratorIllEEPS6_NSA_22TransformInputIteratorIbN2at6native12_GLOBAL__N_19NonZeroOpIsEEPKslEENS0_5tupleIJPlS6_EEENSN_IJSD_SD_EEES6_PiJS6_EEE10hipError_tPvRmT3_T4_T5_T6_T7_T9_mT8_P12ihipStream_tbDpT10_ENKUlT_T0_E_clISt17integral_constantIbLb1EES1A_IbLb0EEEEDaS16_S17_EUlS16_E_NS1_11comp_targetILNS1_3genE5ELNS1_11target_archE942ELNS1_3gpuE9ELNS1_3repE0EEENS1_30default_config_static_selectorELNS0_4arch9wavefront6targetE0EEEvT1_
; %bb.0:
	.section	.rodata,"a",@progbits
	.p2align	6, 0x0
	.amdhsa_kernel _ZN7rocprim17ROCPRIM_400000_NS6detail17trampoline_kernelINS0_14default_configENS1_25partition_config_selectorILNS1_17partition_subalgoE5ElNS0_10empty_typeEbEEZZNS1_14partition_implILS5_5ELb0ES3_mN6hipcub16HIPCUB_304000_NS21CountingInputIteratorIllEEPS6_NSA_22TransformInputIteratorIbN2at6native12_GLOBAL__N_19NonZeroOpIsEEPKslEENS0_5tupleIJPlS6_EEENSN_IJSD_SD_EEES6_PiJS6_EEE10hipError_tPvRmT3_T4_T5_T6_T7_T9_mT8_P12ihipStream_tbDpT10_ENKUlT_T0_E_clISt17integral_constantIbLb1EES1A_IbLb0EEEEDaS16_S17_EUlS16_E_NS1_11comp_targetILNS1_3genE5ELNS1_11target_archE942ELNS1_3gpuE9ELNS1_3repE0EEENS1_30default_config_static_selectorELNS0_4arch9wavefront6targetE0EEEvT1_
		.amdhsa_group_segment_fixed_size 0
		.amdhsa_private_segment_fixed_size 0
		.amdhsa_kernarg_size 120
		.amdhsa_user_sgpr_count 2
		.amdhsa_user_sgpr_dispatch_ptr 0
		.amdhsa_user_sgpr_queue_ptr 0
		.amdhsa_user_sgpr_kernarg_segment_ptr 1
		.amdhsa_user_sgpr_dispatch_id 0
		.amdhsa_user_sgpr_private_segment_size 0
		.amdhsa_wavefront_size32 1
		.amdhsa_uses_dynamic_stack 0
		.amdhsa_enable_private_segment 0
		.amdhsa_system_sgpr_workgroup_id_x 1
		.amdhsa_system_sgpr_workgroup_id_y 0
		.amdhsa_system_sgpr_workgroup_id_z 0
		.amdhsa_system_sgpr_workgroup_info 0
		.amdhsa_system_vgpr_workitem_id 0
		.amdhsa_next_free_vgpr 1
		.amdhsa_next_free_sgpr 1
		.amdhsa_reserve_vcc 0
		.amdhsa_float_round_mode_32 0
		.amdhsa_float_round_mode_16_64 0
		.amdhsa_float_denorm_mode_32 3
		.amdhsa_float_denorm_mode_16_64 3
		.amdhsa_fp16_overflow 0
		.amdhsa_workgroup_processor_mode 1
		.amdhsa_memory_ordered 1
		.amdhsa_forward_progress 1
		.amdhsa_inst_pref_size 0
		.amdhsa_round_robin_scheduling 0
		.amdhsa_exception_fp_ieee_invalid_op 0
		.amdhsa_exception_fp_denorm_src 0
		.amdhsa_exception_fp_ieee_div_zero 0
		.amdhsa_exception_fp_ieee_overflow 0
		.amdhsa_exception_fp_ieee_underflow 0
		.amdhsa_exception_fp_ieee_inexact 0
		.amdhsa_exception_int_div_zero 0
	.end_amdhsa_kernel
	.section	.text._ZN7rocprim17ROCPRIM_400000_NS6detail17trampoline_kernelINS0_14default_configENS1_25partition_config_selectorILNS1_17partition_subalgoE5ElNS0_10empty_typeEbEEZZNS1_14partition_implILS5_5ELb0ES3_mN6hipcub16HIPCUB_304000_NS21CountingInputIteratorIllEEPS6_NSA_22TransformInputIteratorIbN2at6native12_GLOBAL__N_19NonZeroOpIsEEPKslEENS0_5tupleIJPlS6_EEENSN_IJSD_SD_EEES6_PiJS6_EEE10hipError_tPvRmT3_T4_T5_T6_T7_T9_mT8_P12ihipStream_tbDpT10_ENKUlT_T0_E_clISt17integral_constantIbLb1EES1A_IbLb0EEEEDaS16_S17_EUlS16_E_NS1_11comp_targetILNS1_3genE5ELNS1_11target_archE942ELNS1_3gpuE9ELNS1_3repE0EEENS1_30default_config_static_selectorELNS0_4arch9wavefront6targetE0EEEvT1_,"axG",@progbits,_ZN7rocprim17ROCPRIM_400000_NS6detail17trampoline_kernelINS0_14default_configENS1_25partition_config_selectorILNS1_17partition_subalgoE5ElNS0_10empty_typeEbEEZZNS1_14partition_implILS5_5ELb0ES3_mN6hipcub16HIPCUB_304000_NS21CountingInputIteratorIllEEPS6_NSA_22TransformInputIteratorIbN2at6native12_GLOBAL__N_19NonZeroOpIsEEPKslEENS0_5tupleIJPlS6_EEENSN_IJSD_SD_EEES6_PiJS6_EEE10hipError_tPvRmT3_T4_T5_T6_T7_T9_mT8_P12ihipStream_tbDpT10_ENKUlT_T0_E_clISt17integral_constantIbLb1EES1A_IbLb0EEEEDaS16_S17_EUlS16_E_NS1_11comp_targetILNS1_3genE5ELNS1_11target_archE942ELNS1_3gpuE9ELNS1_3repE0EEENS1_30default_config_static_selectorELNS0_4arch9wavefront6targetE0EEEvT1_,comdat
.Lfunc_end339:
	.size	_ZN7rocprim17ROCPRIM_400000_NS6detail17trampoline_kernelINS0_14default_configENS1_25partition_config_selectorILNS1_17partition_subalgoE5ElNS0_10empty_typeEbEEZZNS1_14partition_implILS5_5ELb0ES3_mN6hipcub16HIPCUB_304000_NS21CountingInputIteratorIllEEPS6_NSA_22TransformInputIteratorIbN2at6native12_GLOBAL__N_19NonZeroOpIsEEPKslEENS0_5tupleIJPlS6_EEENSN_IJSD_SD_EEES6_PiJS6_EEE10hipError_tPvRmT3_T4_T5_T6_T7_T9_mT8_P12ihipStream_tbDpT10_ENKUlT_T0_E_clISt17integral_constantIbLb1EES1A_IbLb0EEEEDaS16_S17_EUlS16_E_NS1_11comp_targetILNS1_3genE5ELNS1_11target_archE942ELNS1_3gpuE9ELNS1_3repE0EEENS1_30default_config_static_selectorELNS0_4arch9wavefront6targetE0EEEvT1_, .Lfunc_end339-_ZN7rocprim17ROCPRIM_400000_NS6detail17trampoline_kernelINS0_14default_configENS1_25partition_config_selectorILNS1_17partition_subalgoE5ElNS0_10empty_typeEbEEZZNS1_14partition_implILS5_5ELb0ES3_mN6hipcub16HIPCUB_304000_NS21CountingInputIteratorIllEEPS6_NSA_22TransformInputIteratorIbN2at6native12_GLOBAL__N_19NonZeroOpIsEEPKslEENS0_5tupleIJPlS6_EEENSN_IJSD_SD_EEES6_PiJS6_EEE10hipError_tPvRmT3_T4_T5_T6_T7_T9_mT8_P12ihipStream_tbDpT10_ENKUlT_T0_E_clISt17integral_constantIbLb1EES1A_IbLb0EEEEDaS16_S17_EUlS16_E_NS1_11comp_targetILNS1_3genE5ELNS1_11target_archE942ELNS1_3gpuE9ELNS1_3repE0EEENS1_30default_config_static_selectorELNS0_4arch9wavefront6targetE0EEEvT1_
                                        ; -- End function
	.set _ZN7rocprim17ROCPRIM_400000_NS6detail17trampoline_kernelINS0_14default_configENS1_25partition_config_selectorILNS1_17partition_subalgoE5ElNS0_10empty_typeEbEEZZNS1_14partition_implILS5_5ELb0ES3_mN6hipcub16HIPCUB_304000_NS21CountingInputIteratorIllEEPS6_NSA_22TransformInputIteratorIbN2at6native12_GLOBAL__N_19NonZeroOpIsEEPKslEENS0_5tupleIJPlS6_EEENSN_IJSD_SD_EEES6_PiJS6_EEE10hipError_tPvRmT3_T4_T5_T6_T7_T9_mT8_P12ihipStream_tbDpT10_ENKUlT_T0_E_clISt17integral_constantIbLb1EES1A_IbLb0EEEEDaS16_S17_EUlS16_E_NS1_11comp_targetILNS1_3genE5ELNS1_11target_archE942ELNS1_3gpuE9ELNS1_3repE0EEENS1_30default_config_static_selectorELNS0_4arch9wavefront6targetE0EEEvT1_.num_vgpr, 0
	.set _ZN7rocprim17ROCPRIM_400000_NS6detail17trampoline_kernelINS0_14default_configENS1_25partition_config_selectorILNS1_17partition_subalgoE5ElNS0_10empty_typeEbEEZZNS1_14partition_implILS5_5ELb0ES3_mN6hipcub16HIPCUB_304000_NS21CountingInputIteratorIllEEPS6_NSA_22TransformInputIteratorIbN2at6native12_GLOBAL__N_19NonZeroOpIsEEPKslEENS0_5tupleIJPlS6_EEENSN_IJSD_SD_EEES6_PiJS6_EEE10hipError_tPvRmT3_T4_T5_T6_T7_T9_mT8_P12ihipStream_tbDpT10_ENKUlT_T0_E_clISt17integral_constantIbLb1EES1A_IbLb0EEEEDaS16_S17_EUlS16_E_NS1_11comp_targetILNS1_3genE5ELNS1_11target_archE942ELNS1_3gpuE9ELNS1_3repE0EEENS1_30default_config_static_selectorELNS0_4arch9wavefront6targetE0EEEvT1_.num_agpr, 0
	.set _ZN7rocprim17ROCPRIM_400000_NS6detail17trampoline_kernelINS0_14default_configENS1_25partition_config_selectorILNS1_17partition_subalgoE5ElNS0_10empty_typeEbEEZZNS1_14partition_implILS5_5ELb0ES3_mN6hipcub16HIPCUB_304000_NS21CountingInputIteratorIllEEPS6_NSA_22TransformInputIteratorIbN2at6native12_GLOBAL__N_19NonZeroOpIsEEPKslEENS0_5tupleIJPlS6_EEENSN_IJSD_SD_EEES6_PiJS6_EEE10hipError_tPvRmT3_T4_T5_T6_T7_T9_mT8_P12ihipStream_tbDpT10_ENKUlT_T0_E_clISt17integral_constantIbLb1EES1A_IbLb0EEEEDaS16_S17_EUlS16_E_NS1_11comp_targetILNS1_3genE5ELNS1_11target_archE942ELNS1_3gpuE9ELNS1_3repE0EEENS1_30default_config_static_selectorELNS0_4arch9wavefront6targetE0EEEvT1_.numbered_sgpr, 0
	.set _ZN7rocprim17ROCPRIM_400000_NS6detail17trampoline_kernelINS0_14default_configENS1_25partition_config_selectorILNS1_17partition_subalgoE5ElNS0_10empty_typeEbEEZZNS1_14partition_implILS5_5ELb0ES3_mN6hipcub16HIPCUB_304000_NS21CountingInputIteratorIllEEPS6_NSA_22TransformInputIteratorIbN2at6native12_GLOBAL__N_19NonZeroOpIsEEPKslEENS0_5tupleIJPlS6_EEENSN_IJSD_SD_EEES6_PiJS6_EEE10hipError_tPvRmT3_T4_T5_T6_T7_T9_mT8_P12ihipStream_tbDpT10_ENKUlT_T0_E_clISt17integral_constantIbLb1EES1A_IbLb0EEEEDaS16_S17_EUlS16_E_NS1_11comp_targetILNS1_3genE5ELNS1_11target_archE942ELNS1_3gpuE9ELNS1_3repE0EEENS1_30default_config_static_selectorELNS0_4arch9wavefront6targetE0EEEvT1_.num_named_barrier, 0
	.set _ZN7rocprim17ROCPRIM_400000_NS6detail17trampoline_kernelINS0_14default_configENS1_25partition_config_selectorILNS1_17partition_subalgoE5ElNS0_10empty_typeEbEEZZNS1_14partition_implILS5_5ELb0ES3_mN6hipcub16HIPCUB_304000_NS21CountingInputIteratorIllEEPS6_NSA_22TransformInputIteratorIbN2at6native12_GLOBAL__N_19NonZeroOpIsEEPKslEENS0_5tupleIJPlS6_EEENSN_IJSD_SD_EEES6_PiJS6_EEE10hipError_tPvRmT3_T4_T5_T6_T7_T9_mT8_P12ihipStream_tbDpT10_ENKUlT_T0_E_clISt17integral_constantIbLb1EES1A_IbLb0EEEEDaS16_S17_EUlS16_E_NS1_11comp_targetILNS1_3genE5ELNS1_11target_archE942ELNS1_3gpuE9ELNS1_3repE0EEENS1_30default_config_static_selectorELNS0_4arch9wavefront6targetE0EEEvT1_.private_seg_size, 0
	.set _ZN7rocprim17ROCPRIM_400000_NS6detail17trampoline_kernelINS0_14default_configENS1_25partition_config_selectorILNS1_17partition_subalgoE5ElNS0_10empty_typeEbEEZZNS1_14partition_implILS5_5ELb0ES3_mN6hipcub16HIPCUB_304000_NS21CountingInputIteratorIllEEPS6_NSA_22TransformInputIteratorIbN2at6native12_GLOBAL__N_19NonZeroOpIsEEPKslEENS0_5tupleIJPlS6_EEENSN_IJSD_SD_EEES6_PiJS6_EEE10hipError_tPvRmT3_T4_T5_T6_T7_T9_mT8_P12ihipStream_tbDpT10_ENKUlT_T0_E_clISt17integral_constantIbLb1EES1A_IbLb0EEEEDaS16_S17_EUlS16_E_NS1_11comp_targetILNS1_3genE5ELNS1_11target_archE942ELNS1_3gpuE9ELNS1_3repE0EEENS1_30default_config_static_selectorELNS0_4arch9wavefront6targetE0EEEvT1_.uses_vcc, 0
	.set _ZN7rocprim17ROCPRIM_400000_NS6detail17trampoline_kernelINS0_14default_configENS1_25partition_config_selectorILNS1_17partition_subalgoE5ElNS0_10empty_typeEbEEZZNS1_14partition_implILS5_5ELb0ES3_mN6hipcub16HIPCUB_304000_NS21CountingInputIteratorIllEEPS6_NSA_22TransformInputIteratorIbN2at6native12_GLOBAL__N_19NonZeroOpIsEEPKslEENS0_5tupleIJPlS6_EEENSN_IJSD_SD_EEES6_PiJS6_EEE10hipError_tPvRmT3_T4_T5_T6_T7_T9_mT8_P12ihipStream_tbDpT10_ENKUlT_T0_E_clISt17integral_constantIbLb1EES1A_IbLb0EEEEDaS16_S17_EUlS16_E_NS1_11comp_targetILNS1_3genE5ELNS1_11target_archE942ELNS1_3gpuE9ELNS1_3repE0EEENS1_30default_config_static_selectorELNS0_4arch9wavefront6targetE0EEEvT1_.uses_flat_scratch, 0
	.set _ZN7rocprim17ROCPRIM_400000_NS6detail17trampoline_kernelINS0_14default_configENS1_25partition_config_selectorILNS1_17partition_subalgoE5ElNS0_10empty_typeEbEEZZNS1_14partition_implILS5_5ELb0ES3_mN6hipcub16HIPCUB_304000_NS21CountingInputIteratorIllEEPS6_NSA_22TransformInputIteratorIbN2at6native12_GLOBAL__N_19NonZeroOpIsEEPKslEENS0_5tupleIJPlS6_EEENSN_IJSD_SD_EEES6_PiJS6_EEE10hipError_tPvRmT3_T4_T5_T6_T7_T9_mT8_P12ihipStream_tbDpT10_ENKUlT_T0_E_clISt17integral_constantIbLb1EES1A_IbLb0EEEEDaS16_S17_EUlS16_E_NS1_11comp_targetILNS1_3genE5ELNS1_11target_archE942ELNS1_3gpuE9ELNS1_3repE0EEENS1_30default_config_static_selectorELNS0_4arch9wavefront6targetE0EEEvT1_.has_dyn_sized_stack, 0
	.set _ZN7rocprim17ROCPRIM_400000_NS6detail17trampoline_kernelINS0_14default_configENS1_25partition_config_selectorILNS1_17partition_subalgoE5ElNS0_10empty_typeEbEEZZNS1_14partition_implILS5_5ELb0ES3_mN6hipcub16HIPCUB_304000_NS21CountingInputIteratorIllEEPS6_NSA_22TransformInputIteratorIbN2at6native12_GLOBAL__N_19NonZeroOpIsEEPKslEENS0_5tupleIJPlS6_EEENSN_IJSD_SD_EEES6_PiJS6_EEE10hipError_tPvRmT3_T4_T5_T6_T7_T9_mT8_P12ihipStream_tbDpT10_ENKUlT_T0_E_clISt17integral_constantIbLb1EES1A_IbLb0EEEEDaS16_S17_EUlS16_E_NS1_11comp_targetILNS1_3genE5ELNS1_11target_archE942ELNS1_3gpuE9ELNS1_3repE0EEENS1_30default_config_static_selectorELNS0_4arch9wavefront6targetE0EEEvT1_.has_recursion, 0
	.set _ZN7rocprim17ROCPRIM_400000_NS6detail17trampoline_kernelINS0_14default_configENS1_25partition_config_selectorILNS1_17partition_subalgoE5ElNS0_10empty_typeEbEEZZNS1_14partition_implILS5_5ELb0ES3_mN6hipcub16HIPCUB_304000_NS21CountingInputIteratorIllEEPS6_NSA_22TransformInputIteratorIbN2at6native12_GLOBAL__N_19NonZeroOpIsEEPKslEENS0_5tupleIJPlS6_EEENSN_IJSD_SD_EEES6_PiJS6_EEE10hipError_tPvRmT3_T4_T5_T6_T7_T9_mT8_P12ihipStream_tbDpT10_ENKUlT_T0_E_clISt17integral_constantIbLb1EES1A_IbLb0EEEEDaS16_S17_EUlS16_E_NS1_11comp_targetILNS1_3genE5ELNS1_11target_archE942ELNS1_3gpuE9ELNS1_3repE0EEENS1_30default_config_static_selectorELNS0_4arch9wavefront6targetE0EEEvT1_.has_indirect_call, 0
	.section	.AMDGPU.csdata,"",@progbits
; Kernel info:
; codeLenInByte = 0
; TotalNumSgprs: 0
; NumVgprs: 0
; ScratchSize: 0
; MemoryBound: 0
; FloatMode: 240
; IeeeMode: 1
; LDSByteSize: 0 bytes/workgroup (compile time only)
; SGPRBlocks: 0
; VGPRBlocks: 0
; NumSGPRsForWavesPerEU: 1
; NumVGPRsForWavesPerEU: 1
; Occupancy: 16
; WaveLimiterHint : 0
; COMPUTE_PGM_RSRC2:SCRATCH_EN: 0
; COMPUTE_PGM_RSRC2:USER_SGPR: 2
; COMPUTE_PGM_RSRC2:TRAP_HANDLER: 0
; COMPUTE_PGM_RSRC2:TGID_X_EN: 1
; COMPUTE_PGM_RSRC2:TGID_Y_EN: 0
; COMPUTE_PGM_RSRC2:TGID_Z_EN: 0
; COMPUTE_PGM_RSRC2:TIDIG_COMP_CNT: 0
	.section	.text._ZN7rocprim17ROCPRIM_400000_NS6detail17trampoline_kernelINS0_14default_configENS1_25partition_config_selectorILNS1_17partition_subalgoE5ElNS0_10empty_typeEbEEZZNS1_14partition_implILS5_5ELb0ES3_mN6hipcub16HIPCUB_304000_NS21CountingInputIteratorIllEEPS6_NSA_22TransformInputIteratorIbN2at6native12_GLOBAL__N_19NonZeroOpIsEEPKslEENS0_5tupleIJPlS6_EEENSN_IJSD_SD_EEES6_PiJS6_EEE10hipError_tPvRmT3_T4_T5_T6_T7_T9_mT8_P12ihipStream_tbDpT10_ENKUlT_T0_E_clISt17integral_constantIbLb1EES1A_IbLb0EEEEDaS16_S17_EUlS16_E_NS1_11comp_targetILNS1_3genE4ELNS1_11target_archE910ELNS1_3gpuE8ELNS1_3repE0EEENS1_30default_config_static_selectorELNS0_4arch9wavefront6targetE0EEEvT1_,"axG",@progbits,_ZN7rocprim17ROCPRIM_400000_NS6detail17trampoline_kernelINS0_14default_configENS1_25partition_config_selectorILNS1_17partition_subalgoE5ElNS0_10empty_typeEbEEZZNS1_14partition_implILS5_5ELb0ES3_mN6hipcub16HIPCUB_304000_NS21CountingInputIteratorIllEEPS6_NSA_22TransformInputIteratorIbN2at6native12_GLOBAL__N_19NonZeroOpIsEEPKslEENS0_5tupleIJPlS6_EEENSN_IJSD_SD_EEES6_PiJS6_EEE10hipError_tPvRmT3_T4_T5_T6_T7_T9_mT8_P12ihipStream_tbDpT10_ENKUlT_T0_E_clISt17integral_constantIbLb1EES1A_IbLb0EEEEDaS16_S17_EUlS16_E_NS1_11comp_targetILNS1_3genE4ELNS1_11target_archE910ELNS1_3gpuE8ELNS1_3repE0EEENS1_30default_config_static_selectorELNS0_4arch9wavefront6targetE0EEEvT1_,comdat
	.globl	_ZN7rocprim17ROCPRIM_400000_NS6detail17trampoline_kernelINS0_14default_configENS1_25partition_config_selectorILNS1_17partition_subalgoE5ElNS0_10empty_typeEbEEZZNS1_14partition_implILS5_5ELb0ES3_mN6hipcub16HIPCUB_304000_NS21CountingInputIteratorIllEEPS6_NSA_22TransformInputIteratorIbN2at6native12_GLOBAL__N_19NonZeroOpIsEEPKslEENS0_5tupleIJPlS6_EEENSN_IJSD_SD_EEES6_PiJS6_EEE10hipError_tPvRmT3_T4_T5_T6_T7_T9_mT8_P12ihipStream_tbDpT10_ENKUlT_T0_E_clISt17integral_constantIbLb1EES1A_IbLb0EEEEDaS16_S17_EUlS16_E_NS1_11comp_targetILNS1_3genE4ELNS1_11target_archE910ELNS1_3gpuE8ELNS1_3repE0EEENS1_30default_config_static_selectorELNS0_4arch9wavefront6targetE0EEEvT1_ ; -- Begin function _ZN7rocprim17ROCPRIM_400000_NS6detail17trampoline_kernelINS0_14default_configENS1_25partition_config_selectorILNS1_17partition_subalgoE5ElNS0_10empty_typeEbEEZZNS1_14partition_implILS5_5ELb0ES3_mN6hipcub16HIPCUB_304000_NS21CountingInputIteratorIllEEPS6_NSA_22TransformInputIteratorIbN2at6native12_GLOBAL__N_19NonZeroOpIsEEPKslEENS0_5tupleIJPlS6_EEENSN_IJSD_SD_EEES6_PiJS6_EEE10hipError_tPvRmT3_T4_T5_T6_T7_T9_mT8_P12ihipStream_tbDpT10_ENKUlT_T0_E_clISt17integral_constantIbLb1EES1A_IbLb0EEEEDaS16_S17_EUlS16_E_NS1_11comp_targetILNS1_3genE4ELNS1_11target_archE910ELNS1_3gpuE8ELNS1_3repE0EEENS1_30default_config_static_selectorELNS0_4arch9wavefront6targetE0EEEvT1_
	.p2align	8
	.type	_ZN7rocprim17ROCPRIM_400000_NS6detail17trampoline_kernelINS0_14default_configENS1_25partition_config_selectorILNS1_17partition_subalgoE5ElNS0_10empty_typeEbEEZZNS1_14partition_implILS5_5ELb0ES3_mN6hipcub16HIPCUB_304000_NS21CountingInputIteratorIllEEPS6_NSA_22TransformInputIteratorIbN2at6native12_GLOBAL__N_19NonZeroOpIsEEPKslEENS0_5tupleIJPlS6_EEENSN_IJSD_SD_EEES6_PiJS6_EEE10hipError_tPvRmT3_T4_T5_T6_T7_T9_mT8_P12ihipStream_tbDpT10_ENKUlT_T0_E_clISt17integral_constantIbLb1EES1A_IbLb0EEEEDaS16_S17_EUlS16_E_NS1_11comp_targetILNS1_3genE4ELNS1_11target_archE910ELNS1_3gpuE8ELNS1_3repE0EEENS1_30default_config_static_selectorELNS0_4arch9wavefront6targetE0EEEvT1_,@function
_ZN7rocprim17ROCPRIM_400000_NS6detail17trampoline_kernelINS0_14default_configENS1_25partition_config_selectorILNS1_17partition_subalgoE5ElNS0_10empty_typeEbEEZZNS1_14partition_implILS5_5ELb0ES3_mN6hipcub16HIPCUB_304000_NS21CountingInputIteratorIllEEPS6_NSA_22TransformInputIteratorIbN2at6native12_GLOBAL__N_19NonZeroOpIsEEPKslEENS0_5tupleIJPlS6_EEENSN_IJSD_SD_EEES6_PiJS6_EEE10hipError_tPvRmT3_T4_T5_T6_T7_T9_mT8_P12ihipStream_tbDpT10_ENKUlT_T0_E_clISt17integral_constantIbLb1EES1A_IbLb0EEEEDaS16_S17_EUlS16_E_NS1_11comp_targetILNS1_3genE4ELNS1_11target_archE910ELNS1_3gpuE8ELNS1_3repE0EEENS1_30default_config_static_selectorELNS0_4arch9wavefront6targetE0EEEvT1_: ; @_ZN7rocprim17ROCPRIM_400000_NS6detail17trampoline_kernelINS0_14default_configENS1_25partition_config_selectorILNS1_17partition_subalgoE5ElNS0_10empty_typeEbEEZZNS1_14partition_implILS5_5ELb0ES3_mN6hipcub16HIPCUB_304000_NS21CountingInputIteratorIllEEPS6_NSA_22TransformInputIteratorIbN2at6native12_GLOBAL__N_19NonZeroOpIsEEPKslEENS0_5tupleIJPlS6_EEENSN_IJSD_SD_EEES6_PiJS6_EEE10hipError_tPvRmT3_T4_T5_T6_T7_T9_mT8_P12ihipStream_tbDpT10_ENKUlT_T0_E_clISt17integral_constantIbLb1EES1A_IbLb0EEEEDaS16_S17_EUlS16_E_NS1_11comp_targetILNS1_3genE4ELNS1_11target_archE910ELNS1_3gpuE8ELNS1_3repE0EEENS1_30default_config_static_selectorELNS0_4arch9wavefront6targetE0EEEvT1_
; %bb.0:
	.section	.rodata,"a",@progbits
	.p2align	6, 0x0
	.amdhsa_kernel _ZN7rocprim17ROCPRIM_400000_NS6detail17trampoline_kernelINS0_14default_configENS1_25partition_config_selectorILNS1_17partition_subalgoE5ElNS0_10empty_typeEbEEZZNS1_14partition_implILS5_5ELb0ES3_mN6hipcub16HIPCUB_304000_NS21CountingInputIteratorIllEEPS6_NSA_22TransformInputIteratorIbN2at6native12_GLOBAL__N_19NonZeroOpIsEEPKslEENS0_5tupleIJPlS6_EEENSN_IJSD_SD_EEES6_PiJS6_EEE10hipError_tPvRmT3_T4_T5_T6_T7_T9_mT8_P12ihipStream_tbDpT10_ENKUlT_T0_E_clISt17integral_constantIbLb1EES1A_IbLb0EEEEDaS16_S17_EUlS16_E_NS1_11comp_targetILNS1_3genE4ELNS1_11target_archE910ELNS1_3gpuE8ELNS1_3repE0EEENS1_30default_config_static_selectorELNS0_4arch9wavefront6targetE0EEEvT1_
		.amdhsa_group_segment_fixed_size 0
		.amdhsa_private_segment_fixed_size 0
		.amdhsa_kernarg_size 120
		.amdhsa_user_sgpr_count 2
		.amdhsa_user_sgpr_dispatch_ptr 0
		.amdhsa_user_sgpr_queue_ptr 0
		.amdhsa_user_sgpr_kernarg_segment_ptr 1
		.amdhsa_user_sgpr_dispatch_id 0
		.amdhsa_user_sgpr_private_segment_size 0
		.amdhsa_wavefront_size32 1
		.amdhsa_uses_dynamic_stack 0
		.amdhsa_enable_private_segment 0
		.amdhsa_system_sgpr_workgroup_id_x 1
		.amdhsa_system_sgpr_workgroup_id_y 0
		.amdhsa_system_sgpr_workgroup_id_z 0
		.amdhsa_system_sgpr_workgroup_info 0
		.amdhsa_system_vgpr_workitem_id 0
		.amdhsa_next_free_vgpr 1
		.amdhsa_next_free_sgpr 1
		.amdhsa_reserve_vcc 0
		.amdhsa_float_round_mode_32 0
		.amdhsa_float_round_mode_16_64 0
		.amdhsa_float_denorm_mode_32 3
		.amdhsa_float_denorm_mode_16_64 3
		.amdhsa_fp16_overflow 0
		.amdhsa_workgroup_processor_mode 1
		.amdhsa_memory_ordered 1
		.amdhsa_forward_progress 1
		.amdhsa_inst_pref_size 0
		.amdhsa_round_robin_scheduling 0
		.amdhsa_exception_fp_ieee_invalid_op 0
		.amdhsa_exception_fp_denorm_src 0
		.amdhsa_exception_fp_ieee_div_zero 0
		.amdhsa_exception_fp_ieee_overflow 0
		.amdhsa_exception_fp_ieee_underflow 0
		.amdhsa_exception_fp_ieee_inexact 0
		.amdhsa_exception_int_div_zero 0
	.end_amdhsa_kernel
	.section	.text._ZN7rocprim17ROCPRIM_400000_NS6detail17trampoline_kernelINS0_14default_configENS1_25partition_config_selectorILNS1_17partition_subalgoE5ElNS0_10empty_typeEbEEZZNS1_14partition_implILS5_5ELb0ES3_mN6hipcub16HIPCUB_304000_NS21CountingInputIteratorIllEEPS6_NSA_22TransformInputIteratorIbN2at6native12_GLOBAL__N_19NonZeroOpIsEEPKslEENS0_5tupleIJPlS6_EEENSN_IJSD_SD_EEES6_PiJS6_EEE10hipError_tPvRmT3_T4_T5_T6_T7_T9_mT8_P12ihipStream_tbDpT10_ENKUlT_T0_E_clISt17integral_constantIbLb1EES1A_IbLb0EEEEDaS16_S17_EUlS16_E_NS1_11comp_targetILNS1_3genE4ELNS1_11target_archE910ELNS1_3gpuE8ELNS1_3repE0EEENS1_30default_config_static_selectorELNS0_4arch9wavefront6targetE0EEEvT1_,"axG",@progbits,_ZN7rocprim17ROCPRIM_400000_NS6detail17trampoline_kernelINS0_14default_configENS1_25partition_config_selectorILNS1_17partition_subalgoE5ElNS0_10empty_typeEbEEZZNS1_14partition_implILS5_5ELb0ES3_mN6hipcub16HIPCUB_304000_NS21CountingInputIteratorIllEEPS6_NSA_22TransformInputIteratorIbN2at6native12_GLOBAL__N_19NonZeroOpIsEEPKslEENS0_5tupleIJPlS6_EEENSN_IJSD_SD_EEES6_PiJS6_EEE10hipError_tPvRmT3_T4_T5_T6_T7_T9_mT8_P12ihipStream_tbDpT10_ENKUlT_T0_E_clISt17integral_constantIbLb1EES1A_IbLb0EEEEDaS16_S17_EUlS16_E_NS1_11comp_targetILNS1_3genE4ELNS1_11target_archE910ELNS1_3gpuE8ELNS1_3repE0EEENS1_30default_config_static_selectorELNS0_4arch9wavefront6targetE0EEEvT1_,comdat
.Lfunc_end340:
	.size	_ZN7rocprim17ROCPRIM_400000_NS6detail17trampoline_kernelINS0_14default_configENS1_25partition_config_selectorILNS1_17partition_subalgoE5ElNS0_10empty_typeEbEEZZNS1_14partition_implILS5_5ELb0ES3_mN6hipcub16HIPCUB_304000_NS21CountingInputIteratorIllEEPS6_NSA_22TransformInputIteratorIbN2at6native12_GLOBAL__N_19NonZeroOpIsEEPKslEENS0_5tupleIJPlS6_EEENSN_IJSD_SD_EEES6_PiJS6_EEE10hipError_tPvRmT3_T4_T5_T6_T7_T9_mT8_P12ihipStream_tbDpT10_ENKUlT_T0_E_clISt17integral_constantIbLb1EES1A_IbLb0EEEEDaS16_S17_EUlS16_E_NS1_11comp_targetILNS1_3genE4ELNS1_11target_archE910ELNS1_3gpuE8ELNS1_3repE0EEENS1_30default_config_static_selectorELNS0_4arch9wavefront6targetE0EEEvT1_, .Lfunc_end340-_ZN7rocprim17ROCPRIM_400000_NS6detail17trampoline_kernelINS0_14default_configENS1_25partition_config_selectorILNS1_17partition_subalgoE5ElNS0_10empty_typeEbEEZZNS1_14partition_implILS5_5ELb0ES3_mN6hipcub16HIPCUB_304000_NS21CountingInputIteratorIllEEPS6_NSA_22TransformInputIteratorIbN2at6native12_GLOBAL__N_19NonZeroOpIsEEPKslEENS0_5tupleIJPlS6_EEENSN_IJSD_SD_EEES6_PiJS6_EEE10hipError_tPvRmT3_T4_T5_T6_T7_T9_mT8_P12ihipStream_tbDpT10_ENKUlT_T0_E_clISt17integral_constantIbLb1EES1A_IbLb0EEEEDaS16_S17_EUlS16_E_NS1_11comp_targetILNS1_3genE4ELNS1_11target_archE910ELNS1_3gpuE8ELNS1_3repE0EEENS1_30default_config_static_selectorELNS0_4arch9wavefront6targetE0EEEvT1_
                                        ; -- End function
	.set _ZN7rocprim17ROCPRIM_400000_NS6detail17trampoline_kernelINS0_14default_configENS1_25partition_config_selectorILNS1_17partition_subalgoE5ElNS0_10empty_typeEbEEZZNS1_14partition_implILS5_5ELb0ES3_mN6hipcub16HIPCUB_304000_NS21CountingInputIteratorIllEEPS6_NSA_22TransformInputIteratorIbN2at6native12_GLOBAL__N_19NonZeroOpIsEEPKslEENS0_5tupleIJPlS6_EEENSN_IJSD_SD_EEES6_PiJS6_EEE10hipError_tPvRmT3_T4_T5_T6_T7_T9_mT8_P12ihipStream_tbDpT10_ENKUlT_T0_E_clISt17integral_constantIbLb1EES1A_IbLb0EEEEDaS16_S17_EUlS16_E_NS1_11comp_targetILNS1_3genE4ELNS1_11target_archE910ELNS1_3gpuE8ELNS1_3repE0EEENS1_30default_config_static_selectorELNS0_4arch9wavefront6targetE0EEEvT1_.num_vgpr, 0
	.set _ZN7rocprim17ROCPRIM_400000_NS6detail17trampoline_kernelINS0_14default_configENS1_25partition_config_selectorILNS1_17partition_subalgoE5ElNS0_10empty_typeEbEEZZNS1_14partition_implILS5_5ELb0ES3_mN6hipcub16HIPCUB_304000_NS21CountingInputIteratorIllEEPS6_NSA_22TransformInputIteratorIbN2at6native12_GLOBAL__N_19NonZeroOpIsEEPKslEENS0_5tupleIJPlS6_EEENSN_IJSD_SD_EEES6_PiJS6_EEE10hipError_tPvRmT3_T4_T5_T6_T7_T9_mT8_P12ihipStream_tbDpT10_ENKUlT_T0_E_clISt17integral_constantIbLb1EES1A_IbLb0EEEEDaS16_S17_EUlS16_E_NS1_11comp_targetILNS1_3genE4ELNS1_11target_archE910ELNS1_3gpuE8ELNS1_3repE0EEENS1_30default_config_static_selectorELNS0_4arch9wavefront6targetE0EEEvT1_.num_agpr, 0
	.set _ZN7rocprim17ROCPRIM_400000_NS6detail17trampoline_kernelINS0_14default_configENS1_25partition_config_selectorILNS1_17partition_subalgoE5ElNS0_10empty_typeEbEEZZNS1_14partition_implILS5_5ELb0ES3_mN6hipcub16HIPCUB_304000_NS21CountingInputIteratorIllEEPS6_NSA_22TransformInputIteratorIbN2at6native12_GLOBAL__N_19NonZeroOpIsEEPKslEENS0_5tupleIJPlS6_EEENSN_IJSD_SD_EEES6_PiJS6_EEE10hipError_tPvRmT3_T4_T5_T6_T7_T9_mT8_P12ihipStream_tbDpT10_ENKUlT_T0_E_clISt17integral_constantIbLb1EES1A_IbLb0EEEEDaS16_S17_EUlS16_E_NS1_11comp_targetILNS1_3genE4ELNS1_11target_archE910ELNS1_3gpuE8ELNS1_3repE0EEENS1_30default_config_static_selectorELNS0_4arch9wavefront6targetE0EEEvT1_.numbered_sgpr, 0
	.set _ZN7rocprim17ROCPRIM_400000_NS6detail17trampoline_kernelINS0_14default_configENS1_25partition_config_selectorILNS1_17partition_subalgoE5ElNS0_10empty_typeEbEEZZNS1_14partition_implILS5_5ELb0ES3_mN6hipcub16HIPCUB_304000_NS21CountingInputIteratorIllEEPS6_NSA_22TransformInputIteratorIbN2at6native12_GLOBAL__N_19NonZeroOpIsEEPKslEENS0_5tupleIJPlS6_EEENSN_IJSD_SD_EEES6_PiJS6_EEE10hipError_tPvRmT3_T4_T5_T6_T7_T9_mT8_P12ihipStream_tbDpT10_ENKUlT_T0_E_clISt17integral_constantIbLb1EES1A_IbLb0EEEEDaS16_S17_EUlS16_E_NS1_11comp_targetILNS1_3genE4ELNS1_11target_archE910ELNS1_3gpuE8ELNS1_3repE0EEENS1_30default_config_static_selectorELNS0_4arch9wavefront6targetE0EEEvT1_.num_named_barrier, 0
	.set _ZN7rocprim17ROCPRIM_400000_NS6detail17trampoline_kernelINS0_14default_configENS1_25partition_config_selectorILNS1_17partition_subalgoE5ElNS0_10empty_typeEbEEZZNS1_14partition_implILS5_5ELb0ES3_mN6hipcub16HIPCUB_304000_NS21CountingInputIteratorIllEEPS6_NSA_22TransformInputIteratorIbN2at6native12_GLOBAL__N_19NonZeroOpIsEEPKslEENS0_5tupleIJPlS6_EEENSN_IJSD_SD_EEES6_PiJS6_EEE10hipError_tPvRmT3_T4_T5_T6_T7_T9_mT8_P12ihipStream_tbDpT10_ENKUlT_T0_E_clISt17integral_constantIbLb1EES1A_IbLb0EEEEDaS16_S17_EUlS16_E_NS1_11comp_targetILNS1_3genE4ELNS1_11target_archE910ELNS1_3gpuE8ELNS1_3repE0EEENS1_30default_config_static_selectorELNS0_4arch9wavefront6targetE0EEEvT1_.private_seg_size, 0
	.set _ZN7rocprim17ROCPRIM_400000_NS6detail17trampoline_kernelINS0_14default_configENS1_25partition_config_selectorILNS1_17partition_subalgoE5ElNS0_10empty_typeEbEEZZNS1_14partition_implILS5_5ELb0ES3_mN6hipcub16HIPCUB_304000_NS21CountingInputIteratorIllEEPS6_NSA_22TransformInputIteratorIbN2at6native12_GLOBAL__N_19NonZeroOpIsEEPKslEENS0_5tupleIJPlS6_EEENSN_IJSD_SD_EEES6_PiJS6_EEE10hipError_tPvRmT3_T4_T5_T6_T7_T9_mT8_P12ihipStream_tbDpT10_ENKUlT_T0_E_clISt17integral_constantIbLb1EES1A_IbLb0EEEEDaS16_S17_EUlS16_E_NS1_11comp_targetILNS1_3genE4ELNS1_11target_archE910ELNS1_3gpuE8ELNS1_3repE0EEENS1_30default_config_static_selectorELNS0_4arch9wavefront6targetE0EEEvT1_.uses_vcc, 0
	.set _ZN7rocprim17ROCPRIM_400000_NS6detail17trampoline_kernelINS0_14default_configENS1_25partition_config_selectorILNS1_17partition_subalgoE5ElNS0_10empty_typeEbEEZZNS1_14partition_implILS5_5ELb0ES3_mN6hipcub16HIPCUB_304000_NS21CountingInputIteratorIllEEPS6_NSA_22TransformInputIteratorIbN2at6native12_GLOBAL__N_19NonZeroOpIsEEPKslEENS0_5tupleIJPlS6_EEENSN_IJSD_SD_EEES6_PiJS6_EEE10hipError_tPvRmT3_T4_T5_T6_T7_T9_mT8_P12ihipStream_tbDpT10_ENKUlT_T0_E_clISt17integral_constantIbLb1EES1A_IbLb0EEEEDaS16_S17_EUlS16_E_NS1_11comp_targetILNS1_3genE4ELNS1_11target_archE910ELNS1_3gpuE8ELNS1_3repE0EEENS1_30default_config_static_selectorELNS0_4arch9wavefront6targetE0EEEvT1_.uses_flat_scratch, 0
	.set _ZN7rocprim17ROCPRIM_400000_NS6detail17trampoline_kernelINS0_14default_configENS1_25partition_config_selectorILNS1_17partition_subalgoE5ElNS0_10empty_typeEbEEZZNS1_14partition_implILS5_5ELb0ES3_mN6hipcub16HIPCUB_304000_NS21CountingInputIteratorIllEEPS6_NSA_22TransformInputIteratorIbN2at6native12_GLOBAL__N_19NonZeroOpIsEEPKslEENS0_5tupleIJPlS6_EEENSN_IJSD_SD_EEES6_PiJS6_EEE10hipError_tPvRmT3_T4_T5_T6_T7_T9_mT8_P12ihipStream_tbDpT10_ENKUlT_T0_E_clISt17integral_constantIbLb1EES1A_IbLb0EEEEDaS16_S17_EUlS16_E_NS1_11comp_targetILNS1_3genE4ELNS1_11target_archE910ELNS1_3gpuE8ELNS1_3repE0EEENS1_30default_config_static_selectorELNS0_4arch9wavefront6targetE0EEEvT1_.has_dyn_sized_stack, 0
	.set _ZN7rocprim17ROCPRIM_400000_NS6detail17trampoline_kernelINS0_14default_configENS1_25partition_config_selectorILNS1_17partition_subalgoE5ElNS0_10empty_typeEbEEZZNS1_14partition_implILS5_5ELb0ES3_mN6hipcub16HIPCUB_304000_NS21CountingInputIteratorIllEEPS6_NSA_22TransformInputIteratorIbN2at6native12_GLOBAL__N_19NonZeroOpIsEEPKslEENS0_5tupleIJPlS6_EEENSN_IJSD_SD_EEES6_PiJS6_EEE10hipError_tPvRmT3_T4_T5_T6_T7_T9_mT8_P12ihipStream_tbDpT10_ENKUlT_T0_E_clISt17integral_constantIbLb1EES1A_IbLb0EEEEDaS16_S17_EUlS16_E_NS1_11comp_targetILNS1_3genE4ELNS1_11target_archE910ELNS1_3gpuE8ELNS1_3repE0EEENS1_30default_config_static_selectorELNS0_4arch9wavefront6targetE0EEEvT1_.has_recursion, 0
	.set _ZN7rocprim17ROCPRIM_400000_NS6detail17trampoline_kernelINS0_14default_configENS1_25partition_config_selectorILNS1_17partition_subalgoE5ElNS0_10empty_typeEbEEZZNS1_14partition_implILS5_5ELb0ES3_mN6hipcub16HIPCUB_304000_NS21CountingInputIteratorIllEEPS6_NSA_22TransformInputIteratorIbN2at6native12_GLOBAL__N_19NonZeroOpIsEEPKslEENS0_5tupleIJPlS6_EEENSN_IJSD_SD_EEES6_PiJS6_EEE10hipError_tPvRmT3_T4_T5_T6_T7_T9_mT8_P12ihipStream_tbDpT10_ENKUlT_T0_E_clISt17integral_constantIbLb1EES1A_IbLb0EEEEDaS16_S17_EUlS16_E_NS1_11comp_targetILNS1_3genE4ELNS1_11target_archE910ELNS1_3gpuE8ELNS1_3repE0EEENS1_30default_config_static_selectorELNS0_4arch9wavefront6targetE0EEEvT1_.has_indirect_call, 0
	.section	.AMDGPU.csdata,"",@progbits
; Kernel info:
; codeLenInByte = 0
; TotalNumSgprs: 0
; NumVgprs: 0
; ScratchSize: 0
; MemoryBound: 0
; FloatMode: 240
; IeeeMode: 1
; LDSByteSize: 0 bytes/workgroup (compile time only)
; SGPRBlocks: 0
; VGPRBlocks: 0
; NumSGPRsForWavesPerEU: 1
; NumVGPRsForWavesPerEU: 1
; Occupancy: 16
; WaveLimiterHint : 0
; COMPUTE_PGM_RSRC2:SCRATCH_EN: 0
; COMPUTE_PGM_RSRC2:USER_SGPR: 2
; COMPUTE_PGM_RSRC2:TRAP_HANDLER: 0
; COMPUTE_PGM_RSRC2:TGID_X_EN: 1
; COMPUTE_PGM_RSRC2:TGID_Y_EN: 0
; COMPUTE_PGM_RSRC2:TGID_Z_EN: 0
; COMPUTE_PGM_RSRC2:TIDIG_COMP_CNT: 0
	.section	.text._ZN7rocprim17ROCPRIM_400000_NS6detail17trampoline_kernelINS0_14default_configENS1_25partition_config_selectorILNS1_17partition_subalgoE5ElNS0_10empty_typeEbEEZZNS1_14partition_implILS5_5ELb0ES3_mN6hipcub16HIPCUB_304000_NS21CountingInputIteratorIllEEPS6_NSA_22TransformInputIteratorIbN2at6native12_GLOBAL__N_19NonZeroOpIsEEPKslEENS0_5tupleIJPlS6_EEENSN_IJSD_SD_EEES6_PiJS6_EEE10hipError_tPvRmT3_T4_T5_T6_T7_T9_mT8_P12ihipStream_tbDpT10_ENKUlT_T0_E_clISt17integral_constantIbLb1EES1A_IbLb0EEEEDaS16_S17_EUlS16_E_NS1_11comp_targetILNS1_3genE3ELNS1_11target_archE908ELNS1_3gpuE7ELNS1_3repE0EEENS1_30default_config_static_selectorELNS0_4arch9wavefront6targetE0EEEvT1_,"axG",@progbits,_ZN7rocprim17ROCPRIM_400000_NS6detail17trampoline_kernelINS0_14default_configENS1_25partition_config_selectorILNS1_17partition_subalgoE5ElNS0_10empty_typeEbEEZZNS1_14partition_implILS5_5ELb0ES3_mN6hipcub16HIPCUB_304000_NS21CountingInputIteratorIllEEPS6_NSA_22TransformInputIteratorIbN2at6native12_GLOBAL__N_19NonZeroOpIsEEPKslEENS0_5tupleIJPlS6_EEENSN_IJSD_SD_EEES6_PiJS6_EEE10hipError_tPvRmT3_T4_T5_T6_T7_T9_mT8_P12ihipStream_tbDpT10_ENKUlT_T0_E_clISt17integral_constantIbLb1EES1A_IbLb0EEEEDaS16_S17_EUlS16_E_NS1_11comp_targetILNS1_3genE3ELNS1_11target_archE908ELNS1_3gpuE7ELNS1_3repE0EEENS1_30default_config_static_selectorELNS0_4arch9wavefront6targetE0EEEvT1_,comdat
	.globl	_ZN7rocprim17ROCPRIM_400000_NS6detail17trampoline_kernelINS0_14default_configENS1_25partition_config_selectorILNS1_17partition_subalgoE5ElNS0_10empty_typeEbEEZZNS1_14partition_implILS5_5ELb0ES3_mN6hipcub16HIPCUB_304000_NS21CountingInputIteratorIllEEPS6_NSA_22TransformInputIteratorIbN2at6native12_GLOBAL__N_19NonZeroOpIsEEPKslEENS0_5tupleIJPlS6_EEENSN_IJSD_SD_EEES6_PiJS6_EEE10hipError_tPvRmT3_T4_T5_T6_T7_T9_mT8_P12ihipStream_tbDpT10_ENKUlT_T0_E_clISt17integral_constantIbLb1EES1A_IbLb0EEEEDaS16_S17_EUlS16_E_NS1_11comp_targetILNS1_3genE3ELNS1_11target_archE908ELNS1_3gpuE7ELNS1_3repE0EEENS1_30default_config_static_selectorELNS0_4arch9wavefront6targetE0EEEvT1_ ; -- Begin function _ZN7rocprim17ROCPRIM_400000_NS6detail17trampoline_kernelINS0_14default_configENS1_25partition_config_selectorILNS1_17partition_subalgoE5ElNS0_10empty_typeEbEEZZNS1_14partition_implILS5_5ELb0ES3_mN6hipcub16HIPCUB_304000_NS21CountingInputIteratorIllEEPS6_NSA_22TransformInputIteratorIbN2at6native12_GLOBAL__N_19NonZeroOpIsEEPKslEENS0_5tupleIJPlS6_EEENSN_IJSD_SD_EEES6_PiJS6_EEE10hipError_tPvRmT3_T4_T5_T6_T7_T9_mT8_P12ihipStream_tbDpT10_ENKUlT_T0_E_clISt17integral_constantIbLb1EES1A_IbLb0EEEEDaS16_S17_EUlS16_E_NS1_11comp_targetILNS1_3genE3ELNS1_11target_archE908ELNS1_3gpuE7ELNS1_3repE0EEENS1_30default_config_static_selectorELNS0_4arch9wavefront6targetE0EEEvT1_
	.p2align	8
	.type	_ZN7rocprim17ROCPRIM_400000_NS6detail17trampoline_kernelINS0_14default_configENS1_25partition_config_selectorILNS1_17partition_subalgoE5ElNS0_10empty_typeEbEEZZNS1_14partition_implILS5_5ELb0ES3_mN6hipcub16HIPCUB_304000_NS21CountingInputIteratorIllEEPS6_NSA_22TransformInputIteratorIbN2at6native12_GLOBAL__N_19NonZeroOpIsEEPKslEENS0_5tupleIJPlS6_EEENSN_IJSD_SD_EEES6_PiJS6_EEE10hipError_tPvRmT3_T4_T5_T6_T7_T9_mT8_P12ihipStream_tbDpT10_ENKUlT_T0_E_clISt17integral_constantIbLb1EES1A_IbLb0EEEEDaS16_S17_EUlS16_E_NS1_11comp_targetILNS1_3genE3ELNS1_11target_archE908ELNS1_3gpuE7ELNS1_3repE0EEENS1_30default_config_static_selectorELNS0_4arch9wavefront6targetE0EEEvT1_,@function
_ZN7rocprim17ROCPRIM_400000_NS6detail17trampoline_kernelINS0_14default_configENS1_25partition_config_selectorILNS1_17partition_subalgoE5ElNS0_10empty_typeEbEEZZNS1_14partition_implILS5_5ELb0ES3_mN6hipcub16HIPCUB_304000_NS21CountingInputIteratorIllEEPS6_NSA_22TransformInputIteratorIbN2at6native12_GLOBAL__N_19NonZeroOpIsEEPKslEENS0_5tupleIJPlS6_EEENSN_IJSD_SD_EEES6_PiJS6_EEE10hipError_tPvRmT3_T4_T5_T6_T7_T9_mT8_P12ihipStream_tbDpT10_ENKUlT_T0_E_clISt17integral_constantIbLb1EES1A_IbLb0EEEEDaS16_S17_EUlS16_E_NS1_11comp_targetILNS1_3genE3ELNS1_11target_archE908ELNS1_3gpuE7ELNS1_3repE0EEENS1_30default_config_static_selectorELNS0_4arch9wavefront6targetE0EEEvT1_: ; @_ZN7rocprim17ROCPRIM_400000_NS6detail17trampoline_kernelINS0_14default_configENS1_25partition_config_selectorILNS1_17partition_subalgoE5ElNS0_10empty_typeEbEEZZNS1_14partition_implILS5_5ELb0ES3_mN6hipcub16HIPCUB_304000_NS21CountingInputIteratorIllEEPS6_NSA_22TransformInputIteratorIbN2at6native12_GLOBAL__N_19NonZeroOpIsEEPKslEENS0_5tupleIJPlS6_EEENSN_IJSD_SD_EEES6_PiJS6_EEE10hipError_tPvRmT3_T4_T5_T6_T7_T9_mT8_P12ihipStream_tbDpT10_ENKUlT_T0_E_clISt17integral_constantIbLb1EES1A_IbLb0EEEEDaS16_S17_EUlS16_E_NS1_11comp_targetILNS1_3genE3ELNS1_11target_archE908ELNS1_3gpuE7ELNS1_3repE0EEENS1_30default_config_static_selectorELNS0_4arch9wavefront6targetE0EEEvT1_
; %bb.0:
	.section	.rodata,"a",@progbits
	.p2align	6, 0x0
	.amdhsa_kernel _ZN7rocprim17ROCPRIM_400000_NS6detail17trampoline_kernelINS0_14default_configENS1_25partition_config_selectorILNS1_17partition_subalgoE5ElNS0_10empty_typeEbEEZZNS1_14partition_implILS5_5ELb0ES3_mN6hipcub16HIPCUB_304000_NS21CountingInputIteratorIllEEPS6_NSA_22TransformInputIteratorIbN2at6native12_GLOBAL__N_19NonZeroOpIsEEPKslEENS0_5tupleIJPlS6_EEENSN_IJSD_SD_EEES6_PiJS6_EEE10hipError_tPvRmT3_T4_T5_T6_T7_T9_mT8_P12ihipStream_tbDpT10_ENKUlT_T0_E_clISt17integral_constantIbLb1EES1A_IbLb0EEEEDaS16_S17_EUlS16_E_NS1_11comp_targetILNS1_3genE3ELNS1_11target_archE908ELNS1_3gpuE7ELNS1_3repE0EEENS1_30default_config_static_selectorELNS0_4arch9wavefront6targetE0EEEvT1_
		.amdhsa_group_segment_fixed_size 0
		.amdhsa_private_segment_fixed_size 0
		.amdhsa_kernarg_size 120
		.amdhsa_user_sgpr_count 2
		.amdhsa_user_sgpr_dispatch_ptr 0
		.amdhsa_user_sgpr_queue_ptr 0
		.amdhsa_user_sgpr_kernarg_segment_ptr 1
		.amdhsa_user_sgpr_dispatch_id 0
		.amdhsa_user_sgpr_private_segment_size 0
		.amdhsa_wavefront_size32 1
		.amdhsa_uses_dynamic_stack 0
		.amdhsa_enable_private_segment 0
		.amdhsa_system_sgpr_workgroup_id_x 1
		.amdhsa_system_sgpr_workgroup_id_y 0
		.amdhsa_system_sgpr_workgroup_id_z 0
		.amdhsa_system_sgpr_workgroup_info 0
		.amdhsa_system_vgpr_workitem_id 0
		.amdhsa_next_free_vgpr 1
		.amdhsa_next_free_sgpr 1
		.amdhsa_reserve_vcc 0
		.amdhsa_float_round_mode_32 0
		.amdhsa_float_round_mode_16_64 0
		.amdhsa_float_denorm_mode_32 3
		.amdhsa_float_denorm_mode_16_64 3
		.amdhsa_fp16_overflow 0
		.amdhsa_workgroup_processor_mode 1
		.amdhsa_memory_ordered 1
		.amdhsa_forward_progress 1
		.amdhsa_inst_pref_size 0
		.amdhsa_round_robin_scheduling 0
		.amdhsa_exception_fp_ieee_invalid_op 0
		.amdhsa_exception_fp_denorm_src 0
		.amdhsa_exception_fp_ieee_div_zero 0
		.amdhsa_exception_fp_ieee_overflow 0
		.amdhsa_exception_fp_ieee_underflow 0
		.amdhsa_exception_fp_ieee_inexact 0
		.amdhsa_exception_int_div_zero 0
	.end_amdhsa_kernel
	.section	.text._ZN7rocprim17ROCPRIM_400000_NS6detail17trampoline_kernelINS0_14default_configENS1_25partition_config_selectorILNS1_17partition_subalgoE5ElNS0_10empty_typeEbEEZZNS1_14partition_implILS5_5ELb0ES3_mN6hipcub16HIPCUB_304000_NS21CountingInputIteratorIllEEPS6_NSA_22TransformInputIteratorIbN2at6native12_GLOBAL__N_19NonZeroOpIsEEPKslEENS0_5tupleIJPlS6_EEENSN_IJSD_SD_EEES6_PiJS6_EEE10hipError_tPvRmT3_T4_T5_T6_T7_T9_mT8_P12ihipStream_tbDpT10_ENKUlT_T0_E_clISt17integral_constantIbLb1EES1A_IbLb0EEEEDaS16_S17_EUlS16_E_NS1_11comp_targetILNS1_3genE3ELNS1_11target_archE908ELNS1_3gpuE7ELNS1_3repE0EEENS1_30default_config_static_selectorELNS0_4arch9wavefront6targetE0EEEvT1_,"axG",@progbits,_ZN7rocprim17ROCPRIM_400000_NS6detail17trampoline_kernelINS0_14default_configENS1_25partition_config_selectorILNS1_17partition_subalgoE5ElNS0_10empty_typeEbEEZZNS1_14partition_implILS5_5ELb0ES3_mN6hipcub16HIPCUB_304000_NS21CountingInputIteratorIllEEPS6_NSA_22TransformInputIteratorIbN2at6native12_GLOBAL__N_19NonZeroOpIsEEPKslEENS0_5tupleIJPlS6_EEENSN_IJSD_SD_EEES6_PiJS6_EEE10hipError_tPvRmT3_T4_T5_T6_T7_T9_mT8_P12ihipStream_tbDpT10_ENKUlT_T0_E_clISt17integral_constantIbLb1EES1A_IbLb0EEEEDaS16_S17_EUlS16_E_NS1_11comp_targetILNS1_3genE3ELNS1_11target_archE908ELNS1_3gpuE7ELNS1_3repE0EEENS1_30default_config_static_selectorELNS0_4arch9wavefront6targetE0EEEvT1_,comdat
.Lfunc_end341:
	.size	_ZN7rocprim17ROCPRIM_400000_NS6detail17trampoline_kernelINS0_14default_configENS1_25partition_config_selectorILNS1_17partition_subalgoE5ElNS0_10empty_typeEbEEZZNS1_14partition_implILS5_5ELb0ES3_mN6hipcub16HIPCUB_304000_NS21CountingInputIteratorIllEEPS6_NSA_22TransformInputIteratorIbN2at6native12_GLOBAL__N_19NonZeroOpIsEEPKslEENS0_5tupleIJPlS6_EEENSN_IJSD_SD_EEES6_PiJS6_EEE10hipError_tPvRmT3_T4_T5_T6_T7_T9_mT8_P12ihipStream_tbDpT10_ENKUlT_T0_E_clISt17integral_constantIbLb1EES1A_IbLb0EEEEDaS16_S17_EUlS16_E_NS1_11comp_targetILNS1_3genE3ELNS1_11target_archE908ELNS1_3gpuE7ELNS1_3repE0EEENS1_30default_config_static_selectorELNS0_4arch9wavefront6targetE0EEEvT1_, .Lfunc_end341-_ZN7rocprim17ROCPRIM_400000_NS6detail17trampoline_kernelINS0_14default_configENS1_25partition_config_selectorILNS1_17partition_subalgoE5ElNS0_10empty_typeEbEEZZNS1_14partition_implILS5_5ELb0ES3_mN6hipcub16HIPCUB_304000_NS21CountingInputIteratorIllEEPS6_NSA_22TransformInputIteratorIbN2at6native12_GLOBAL__N_19NonZeroOpIsEEPKslEENS0_5tupleIJPlS6_EEENSN_IJSD_SD_EEES6_PiJS6_EEE10hipError_tPvRmT3_T4_T5_T6_T7_T9_mT8_P12ihipStream_tbDpT10_ENKUlT_T0_E_clISt17integral_constantIbLb1EES1A_IbLb0EEEEDaS16_S17_EUlS16_E_NS1_11comp_targetILNS1_3genE3ELNS1_11target_archE908ELNS1_3gpuE7ELNS1_3repE0EEENS1_30default_config_static_selectorELNS0_4arch9wavefront6targetE0EEEvT1_
                                        ; -- End function
	.set _ZN7rocprim17ROCPRIM_400000_NS6detail17trampoline_kernelINS0_14default_configENS1_25partition_config_selectorILNS1_17partition_subalgoE5ElNS0_10empty_typeEbEEZZNS1_14partition_implILS5_5ELb0ES3_mN6hipcub16HIPCUB_304000_NS21CountingInputIteratorIllEEPS6_NSA_22TransformInputIteratorIbN2at6native12_GLOBAL__N_19NonZeroOpIsEEPKslEENS0_5tupleIJPlS6_EEENSN_IJSD_SD_EEES6_PiJS6_EEE10hipError_tPvRmT3_T4_T5_T6_T7_T9_mT8_P12ihipStream_tbDpT10_ENKUlT_T0_E_clISt17integral_constantIbLb1EES1A_IbLb0EEEEDaS16_S17_EUlS16_E_NS1_11comp_targetILNS1_3genE3ELNS1_11target_archE908ELNS1_3gpuE7ELNS1_3repE0EEENS1_30default_config_static_selectorELNS0_4arch9wavefront6targetE0EEEvT1_.num_vgpr, 0
	.set _ZN7rocprim17ROCPRIM_400000_NS6detail17trampoline_kernelINS0_14default_configENS1_25partition_config_selectorILNS1_17partition_subalgoE5ElNS0_10empty_typeEbEEZZNS1_14partition_implILS5_5ELb0ES3_mN6hipcub16HIPCUB_304000_NS21CountingInputIteratorIllEEPS6_NSA_22TransformInputIteratorIbN2at6native12_GLOBAL__N_19NonZeroOpIsEEPKslEENS0_5tupleIJPlS6_EEENSN_IJSD_SD_EEES6_PiJS6_EEE10hipError_tPvRmT3_T4_T5_T6_T7_T9_mT8_P12ihipStream_tbDpT10_ENKUlT_T0_E_clISt17integral_constantIbLb1EES1A_IbLb0EEEEDaS16_S17_EUlS16_E_NS1_11comp_targetILNS1_3genE3ELNS1_11target_archE908ELNS1_3gpuE7ELNS1_3repE0EEENS1_30default_config_static_selectorELNS0_4arch9wavefront6targetE0EEEvT1_.num_agpr, 0
	.set _ZN7rocprim17ROCPRIM_400000_NS6detail17trampoline_kernelINS0_14default_configENS1_25partition_config_selectorILNS1_17partition_subalgoE5ElNS0_10empty_typeEbEEZZNS1_14partition_implILS5_5ELb0ES3_mN6hipcub16HIPCUB_304000_NS21CountingInputIteratorIllEEPS6_NSA_22TransformInputIteratorIbN2at6native12_GLOBAL__N_19NonZeroOpIsEEPKslEENS0_5tupleIJPlS6_EEENSN_IJSD_SD_EEES6_PiJS6_EEE10hipError_tPvRmT3_T4_T5_T6_T7_T9_mT8_P12ihipStream_tbDpT10_ENKUlT_T0_E_clISt17integral_constantIbLb1EES1A_IbLb0EEEEDaS16_S17_EUlS16_E_NS1_11comp_targetILNS1_3genE3ELNS1_11target_archE908ELNS1_3gpuE7ELNS1_3repE0EEENS1_30default_config_static_selectorELNS0_4arch9wavefront6targetE0EEEvT1_.numbered_sgpr, 0
	.set _ZN7rocprim17ROCPRIM_400000_NS6detail17trampoline_kernelINS0_14default_configENS1_25partition_config_selectorILNS1_17partition_subalgoE5ElNS0_10empty_typeEbEEZZNS1_14partition_implILS5_5ELb0ES3_mN6hipcub16HIPCUB_304000_NS21CountingInputIteratorIllEEPS6_NSA_22TransformInputIteratorIbN2at6native12_GLOBAL__N_19NonZeroOpIsEEPKslEENS0_5tupleIJPlS6_EEENSN_IJSD_SD_EEES6_PiJS6_EEE10hipError_tPvRmT3_T4_T5_T6_T7_T9_mT8_P12ihipStream_tbDpT10_ENKUlT_T0_E_clISt17integral_constantIbLb1EES1A_IbLb0EEEEDaS16_S17_EUlS16_E_NS1_11comp_targetILNS1_3genE3ELNS1_11target_archE908ELNS1_3gpuE7ELNS1_3repE0EEENS1_30default_config_static_selectorELNS0_4arch9wavefront6targetE0EEEvT1_.num_named_barrier, 0
	.set _ZN7rocprim17ROCPRIM_400000_NS6detail17trampoline_kernelINS0_14default_configENS1_25partition_config_selectorILNS1_17partition_subalgoE5ElNS0_10empty_typeEbEEZZNS1_14partition_implILS5_5ELb0ES3_mN6hipcub16HIPCUB_304000_NS21CountingInputIteratorIllEEPS6_NSA_22TransformInputIteratorIbN2at6native12_GLOBAL__N_19NonZeroOpIsEEPKslEENS0_5tupleIJPlS6_EEENSN_IJSD_SD_EEES6_PiJS6_EEE10hipError_tPvRmT3_T4_T5_T6_T7_T9_mT8_P12ihipStream_tbDpT10_ENKUlT_T0_E_clISt17integral_constantIbLb1EES1A_IbLb0EEEEDaS16_S17_EUlS16_E_NS1_11comp_targetILNS1_3genE3ELNS1_11target_archE908ELNS1_3gpuE7ELNS1_3repE0EEENS1_30default_config_static_selectorELNS0_4arch9wavefront6targetE0EEEvT1_.private_seg_size, 0
	.set _ZN7rocprim17ROCPRIM_400000_NS6detail17trampoline_kernelINS0_14default_configENS1_25partition_config_selectorILNS1_17partition_subalgoE5ElNS0_10empty_typeEbEEZZNS1_14partition_implILS5_5ELb0ES3_mN6hipcub16HIPCUB_304000_NS21CountingInputIteratorIllEEPS6_NSA_22TransformInputIteratorIbN2at6native12_GLOBAL__N_19NonZeroOpIsEEPKslEENS0_5tupleIJPlS6_EEENSN_IJSD_SD_EEES6_PiJS6_EEE10hipError_tPvRmT3_T4_T5_T6_T7_T9_mT8_P12ihipStream_tbDpT10_ENKUlT_T0_E_clISt17integral_constantIbLb1EES1A_IbLb0EEEEDaS16_S17_EUlS16_E_NS1_11comp_targetILNS1_3genE3ELNS1_11target_archE908ELNS1_3gpuE7ELNS1_3repE0EEENS1_30default_config_static_selectorELNS0_4arch9wavefront6targetE0EEEvT1_.uses_vcc, 0
	.set _ZN7rocprim17ROCPRIM_400000_NS6detail17trampoline_kernelINS0_14default_configENS1_25partition_config_selectorILNS1_17partition_subalgoE5ElNS0_10empty_typeEbEEZZNS1_14partition_implILS5_5ELb0ES3_mN6hipcub16HIPCUB_304000_NS21CountingInputIteratorIllEEPS6_NSA_22TransformInputIteratorIbN2at6native12_GLOBAL__N_19NonZeroOpIsEEPKslEENS0_5tupleIJPlS6_EEENSN_IJSD_SD_EEES6_PiJS6_EEE10hipError_tPvRmT3_T4_T5_T6_T7_T9_mT8_P12ihipStream_tbDpT10_ENKUlT_T0_E_clISt17integral_constantIbLb1EES1A_IbLb0EEEEDaS16_S17_EUlS16_E_NS1_11comp_targetILNS1_3genE3ELNS1_11target_archE908ELNS1_3gpuE7ELNS1_3repE0EEENS1_30default_config_static_selectorELNS0_4arch9wavefront6targetE0EEEvT1_.uses_flat_scratch, 0
	.set _ZN7rocprim17ROCPRIM_400000_NS6detail17trampoline_kernelINS0_14default_configENS1_25partition_config_selectorILNS1_17partition_subalgoE5ElNS0_10empty_typeEbEEZZNS1_14partition_implILS5_5ELb0ES3_mN6hipcub16HIPCUB_304000_NS21CountingInputIteratorIllEEPS6_NSA_22TransformInputIteratorIbN2at6native12_GLOBAL__N_19NonZeroOpIsEEPKslEENS0_5tupleIJPlS6_EEENSN_IJSD_SD_EEES6_PiJS6_EEE10hipError_tPvRmT3_T4_T5_T6_T7_T9_mT8_P12ihipStream_tbDpT10_ENKUlT_T0_E_clISt17integral_constantIbLb1EES1A_IbLb0EEEEDaS16_S17_EUlS16_E_NS1_11comp_targetILNS1_3genE3ELNS1_11target_archE908ELNS1_3gpuE7ELNS1_3repE0EEENS1_30default_config_static_selectorELNS0_4arch9wavefront6targetE0EEEvT1_.has_dyn_sized_stack, 0
	.set _ZN7rocprim17ROCPRIM_400000_NS6detail17trampoline_kernelINS0_14default_configENS1_25partition_config_selectorILNS1_17partition_subalgoE5ElNS0_10empty_typeEbEEZZNS1_14partition_implILS5_5ELb0ES3_mN6hipcub16HIPCUB_304000_NS21CountingInputIteratorIllEEPS6_NSA_22TransformInputIteratorIbN2at6native12_GLOBAL__N_19NonZeroOpIsEEPKslEENS0_5tupleIJPlS6_EEENSN_IJSD_SD_EEES6_PiJS6_EEE10hipError_tPvRmT3_T4_T5_T6_T7_T9_mT8_P12ihipStream_tbDpT10_ENKUlT_T0_E_clISt17integral_constantIbLb1EES1A_IbLb0EEEEDaS16_S17_EUlS16_E_NS1_11comp_targetILNS1_3genE3ELNS1_11target_archE908ELNS1_3gpuE7ELNS1_3repE0EEENS1_30default_config_static_selectorELNS0_4arch9wavefront6targetE0EEEvT1_.has_recursion, 0
	.set _ZN7rocprim17ROCPRIM_400000_NS6detail17trampoline_kernelINS0_14default_configENS1_25partition_config_selectorILNS1_17partition_subalgoE5ElNS0_10empty_typeEbEEZZNS1_14partition_implILS5_5ELb0ES3_mN6hipcub16HIPCUB_304000_NS21CountingInputIteratorIllEEPS6_NSA_22TransformInputIteratorIbN2at6native12_GLOBAL__N_19NonZeroOpIsEEPKslEENS0_5tupleIJPlS6_EEENSN_IJSD_SD_EEES6_PiJS6_EEE10hipError_tPvRmT3_T4_T5_T6_T7_T9_mT8_P12ihipStream_tbDpT10_ENKUlT_T0_E_clISt17integral_constantIbLb1EES1A_IbLb0EEEEDaS16_S17_EUlS16_E_NS1_11comp_targetILNS1_3genE3ELNS1_11target_archE908ELNS1_3gpuE7ELNS1_3repE0EEENS1_30default_config_static_selectorELNS0_4arch9wavefront6targetE0EEEvT1_.has_indirect_call, 0
	.section	.AMDGPU.csdata,"",@progbits
; Kernel info:
; codeLenInByte = 0
; TotalNumSgprs: 0
; NumVgprs: 0
; ScratchSize: 0
; MemoryBound: 0
; FloatMode: 240
; IeeeMode: 1
; LDSByteSize: 0 bytes/workgroup (compile time only)
; SGPRBlocks: 0
; VGPRBlocks: 0
; NumSGPRsForWavesPerEU: 1
; NumVGPRsForWavesPerEU: 1
; Occupancy: 16
; WaveLimiterHint : 0
; COMPUTE_PGM_RSRC2:SCRATCH_EN: 0
; COMPUTE_PGM_RSRC2:USER_SGPR: 2
; COMPUTE_PGM_RSRC2:TRAP_HANDLER: 0
; COMPUTE_PGM_RSRC2:TGID_X_EN: 1
; COMPUTE_PGM_RSRC2:TGID_Y_EN: 0
; COMPUTE_PGM_RSRC2:TGID_Z_EN: 0
; COMPUTE_PGM_RSRC2:TIDIG_COMP_CNT: 0
	.section	.text._ZN7rocprim17ROCPRIM_400000_NS6detail17trampoline_kernelINS0_14default_configENS1_25partition_config_selectorILNS1_17partition_subalgoE5ElNS0_10empty_typeEbEEZZNS1_14partition_implILS5_5ELb0ES3_mN6hipcub16HIPCUB_304000_NS21CountingInputIteratorIllEEPS6_NSA_22TransformInputIteratorIbN2at6native12_GLOBAL__N_19NonZeroOpIsEEPKslEENS0_5tupleIJPlS6_EEENSN_IJSD_SD_EEES6_PiJS6_EEE10hipError_tPvRmT3_T4_T5_T6_T7_T9_mT8_P12ihipStream_tbDpT10_ENKUlT_T0_E_clISt17integral_constantIbLb1EES1A_IbLb0EEEEDaS16_S17_EUlS16_E_NS1_11comp_targetILNS1_3genE2ELNS1_11target_archE906ELNS1_3gpuE6ELNS1_3repE0EEENS1_30default_config_static_selectorELNS0_4arch9wavefront6targetE0EEEvT1_,"axG",@progbits,_ZN7rocprim17ROCPRIM_400000_NS6detail17trampoline_kernelINS0_14default_configENS1_25partition_config_selectorILNS1_17partition_subalgoE5ElNS0_10empty_typeEbEEZZNS1_14partition_implILS5_5ELb0ES3_mN6hipcub16HIPCUB_304000_NS21CountingInputIteratorIllEEPS6_NSA_22TransformInputIteratorIbN2at6native12_GLOBAL__N_19NonZeroOpIsEEPKslEENS0_5tupleIJPlS6_EEENSN_IJSD_SD_EEES6_PiJS6_EEE10hipError_tPvRmT3_T4_T5_T6_T7_T9_mT8_P12ihipStream_tbDpT10_ENKUlT_T0_E_clISt17integral_constantIbLb1EES1A_IbLb0EEEEDaS16_S17_EUlS16_E_NS1_11comp_targetILNS1_3genE2ELNS1_11target_archE906ELNS1_3gpuE6ELNS1_3repE0EEENS1_30default_config_static_selectorELNS0_4arch9wavefront6targetE0EEEvT1_,comdat
	.globl	_ZN7rocprim17ROCPRIM_400000_NS6detail17trampoline_kernelINS0_14default_configENS1_25partition_config_selectorILNS1_17partition_subalgoE5ElNS0_10empty_typeEbEEZZNS1_14partition_implILS5_5ELb0ES3_mN6hipcub16HIPCUB_304000_NS21CountingInputIteratorIllEEPS6_NSA_22TransformInputIteratorIbN2at6native12_GLOBAL__N_19NonZeroOpIsEEPKslEENS0_5tupleIJPlS6_EEENSN_IJSD_SD_EEES6_PiJS6_EEE10hipError_tPvRmT3_T4_T5_T6_T7_T9_mT8_P12ihipStream_tbDpT10_ENKUlT_T0_E_clISt17integral_constantIbLb1EES1A_IbLb0EEEEDaS16_S17_EUlS16_E_NS1_11comp_targetILNS1_3genE2ELNS1_11target_archE906ELNS1_3gpuE6ELNS1_3repE0EEENS1_30default_config_static_selectorELNS0_4arch9wavefront6targetE0EEEvT1_ ; -- Begin function _ZN7rocprim17ROCPRIM_400000_NS6detail17trampoline_kernelINS0_14default_configENS1_25partition_config_selectorILNS1_17partition_subalgoE5ElNS0_10empty_typeEbEEZZNS1_14partition_implILS5_5ELb0ES3_mN6hipcub16HIPCUB_304000_NS21CountingInputIteratorIllEEPS6_NSA_22TransformInputIteratorIbN2at6native12_GLOBAL__N_19NonZeroOpIsEEPKslEENS0_5tupleIJPlS6_EEENSN_IJSD_SD_EEES6_PiJS6_EEE10hipError_tPvRmT3_T4_T5_T6_T7_T9_mT8_P12ihipStream_tbDpT10_ENKUlT_T0_E_clISt17integral_constantIbLb1EES1A_IbLb0EEEEDaS16_S17_EUlS16_E_NS1_11comp_targetILNS1_3genE2ELNS1_11target_archE906ELNS1_3gpuE6ELNS1_3repE0EEENS1_30default_config_static_selectorELNS0_4arch9wavefront6targetE0EEEvT1_
	.p2align	8
	.type	_ZN7rocprim17ROCPRIM_400000_NS6detail17trampoline_kernelINS0_14default_configENS1_25partition_config_selectorILNS1_17partition_subalgoE5ElNS0_10empty_typeEbEEZZNS1_14partition_implILS5_5ELb0ES3_mN6hipcub16HIPCUB_304000_NS21CountingInputIteratorIllEEPS6_NSA_22TransformInputIteratorIbN2at6native12_GLOBAL__N_19NonZeroOpIsEEPKslEENS0_5tupleIJPlS6_EEENSN_IJSD_SD_EEES6_PiJS6_EEE10hipError_tPvRmT3_T4_T5_T6_T7_T9_mT8_P12ihipStream_tbDpT10_ENKUlT_T0_E_clISt17integral_constantIbLb1EES1A_IbLb0EEEEDaS16_S17_EUlS16_E_NS1_11comp_targetILNS1_3genE2ELNS1_11target_archE906ELNS1_3gpuE6ELNS1_3repE0EEENS1_30default_config_static_selectorELNS0_4arch9wavefront6targetE0EEEvT1_,@function
_ZN7rocprim17ROCPRIM_400000_NS6detail17trampoline_kernelINS0_14default_configENS1_25partition_config_selectorILNS1_17partition_subalgoE5ElNS0_10empty_typeEbEEZZNS1_14partition_implILS5_5ELb0ES3_mN6hipcub16HIPCUB_304000_NS21CountingInputIteratorIllEEPS6_NSA_22TransformInputIteratorIbN2at6native12_GLOBAL__N_19NonZeroOpIsEEPKslEENS0_5tupleIJPlS6_EEENSN_IJSD_SD_EEES6_PiJS6_EEE10hipError_tPvRmT3_T4_T5_T6_T7_T9_mT8_P12ihipStream_tbDpT10_ENKUlT_T0_E_clISt17integral_constantIbLb1EES1A_IbLb0EEEEDaS16_S17_EUlS16_E_NS1_11comp_targetILNS1_3genE2ELNS1_11target_archE906ELNS1_3gpuE6ELNS1_3repE0EEENS1_30default_config_static_selectorELNS0_4arch9wavefront6targetE0EEEvT1_: ; @_ZN7rocprim17ROCPRIM_400000_NS6detail17trampoline_kernelINS0_14default_configENS1_25partition_config_selectorILNS1_17partition_subalgoE5ElNS0_10empty_typeEbEEZZNS1_14partition_implILS5_5ELb0ES3_mN6hipcub16HIPCUB_304000_NS21CountingInputIteratorIllEEPS6_NSA_22TransformInputIteratorIbN2at6native12_GLOBAL__N_19NonZeroOpIsEEPKslEENS0_5tupleIJPlS6_EEENSN_IJSD_SD_EEES6_PiJS6_EEE10hipError_tPvRmT3_T4_T5_T6_T7_T9_mT8_P12ihipStream_tbDpT10_ENKUlT_T0_E_clISt17integral_constantIbLb1EES1A_IbLb0EEEEDaS16_S17_EUlS16_E_NS1_11comp_targetILNS1_3genE2ELNS1_11target_archE906ELNS1_3gpuE6ELNS1_3repE0EEENS1_30default_config_static_selectorELNS0_4arch9wavefront6targetE0EEEvT1_
; %bb.0:
	.section	.rodata,"a",@progbits
	.p2align	6, 0x0
	.amdhsa_kernel _ZN7rocprim17ROCPRIM_400000_NS6detail17trampoline_kernelINS0_14default_configENS1_25partition_config_selectorILNS1_17partition_subalgoE5ElNS0_10empty_typeEbEEZZNS1_14partition_implILS5_5ELb0ES3_mN6hipcub16HIPCUB_304000_NS21CountingInputIteratorIllEEPS6_NSA_22TransformInputIteratorIbN2at6native12_GLOBAL__N_19NonZeroOpIsEEPKslEENS0_5tupleIJPlS6_EEENSN_IJSD_SD_EEES6_PiJS6_EEE10hipError_tPvRmT3_T4_T5_T6_T7_T9_mT8_P12ihipStream_tbDpT10_ENKUlT_T0_E_clISt17integral_constantIbLb1EES1A_IbLb0EEEEDaS16_S17_EUlS16_E_NS1_11comp_targetILNS1_3genE2ELNS1_11target_archE906ELNS1_3gpuE6ELNS1_3repE0EEENS1_30default_config_static_selectorELNS0_4arch9wavefront6targetE0EEEvT1_
		.amdhsa_group_segment_fixed_size 0
		.amdhsa_private_segment_fixed_size 0
		.amdhsa_kernarg_size 120
		.amdhsa_user_sgpr_count 2
		.amdhsa_user_sgpr_dispatch_ptr 0
		.amdhsa_user_sgpr_queue_ptr 0
		.amdhsa_user_sgpr_kernarg_segment_ptr 1
		.amdhsa_user_sgpr_dispatch_id 0
		.amdhsa_user_sgpr_private_segment_size 0
		.amdhsa_wavefront_size32 1
		.amdhsa_uses_dynamic_stack 0
		.amdhsa_enable_private_segment 0
		.amdhsa_system_sgpr_workgroup_id_x 1
		.amdhsa_system_sgpr_workgroup_id_y 0
		.amdhsa_system_sgpr_workgroup_id_z 0
		.amdhsa_system_sgpr_workgroup_info 0
		.amdhsa_system_vgpr_workitem_id 0
		.amdhsa_next_free_vgpr 1
		.amdhsa_next_free_sgpr 1
		.amdhsa_reserve_vcc 0
		.amdhsa_float_round_mode_32 0
		.amdhsa_float_round_mode_16_64 0
		.amdhsa_float_denorm_mode_32 3
		.amdhsa_float_denorm_mode_16_64 3
		.amdhsa_fp16_overflow 0
		.amdhsa_workgroup_processor_mode 1
		.amdhsa_memory_ordered 1
		.amdhsa_forward_progress 1
		.amdhsa_inst_pref_size 0
		.amdhsa_round_robin_scheduling 0
		.amdhsa_exception_fp_ieee_invalid_op 0
		.amdhsa_exception_fp_denorm_src 0
		.amdhsa_exception_fp_ieee_div_zero 0
		.amdhsa_exception_fp_ieee_overflow 0
		.amdhsa_exception_fp_ieee_underflow 0
		.amdhsa_exception_fp_ieee_inexact 0
		.amdhsa_exception_int_div_zero 0
	.end_amdhsa_kernel
	.section	.text._ZN7rocprim17ROCPRIM_400000_NS6detail17trampoline_kernelINS0_14default_configENS1_25partition_config_selectorILNS1_17partition_subalgoE5ElNS0_10empty_typeEbEEZZNS1_14partition_implILS5_5ELb0ES3_mN6hipcub16HIPCUB_304000_NS21CountingInputIteratorIllEEPS6_NSA_22TransformInputIteratorIbN2at6native12_GLOBAL__N_19NonZeroOpIsEEPKslEENS0_5tupleIJPlS6_EEENSN_IJSD_SD_EEES6_PiJS6_EEE10hipError_tPvRmT3_T4_T5_T6_T7_T9_mT8_P12ihipStream_tbDpT10_ENKUlT_T0_E_clISt17integral_constantIbLb1EES1A_IbLb0EEEEDaS16_S17_EUlS16_E_NS1_11comp_targetILNS1_3genE2ELNS1_11target_archE906ELNS1_3gpuE6ELNS1_3repE0EEENS1_30default_config_static_selectorELNS0_4arch9wavefront6targetE0EEEvT1_,"axG",@progbits,_ZN7rocprim17ROCPRIM_400000_NS6detail17trampoline_kernelINS0_14default_configENS1_25partition_config_selectorILNS1_17partition_subalgoE5ElNS0_10empty_typeEbEEZZNS1_14partition_implILS5_5ELb0ES3_mN6hipcub16HIPCUB_304000_NS21CountingInputIteratorIllEEPS6_NSA_22TransformInputIteratorIbN2at6native12_GLOBAL__N_19NonZeroOpIsEEPKslEENS0_5tupleIJPlS6_EEENSN_IJSD_SD_EEES6_PiJS6_EEE10hipError_tPvRmT3_T4_T5_T6_T7_T9_mT8_P12ihipStream_tbDpT10_ENKUlT_T0_E_clISt17integral_constantIbLb1EES1A_IbLb0EEEEDaS16_S17_EUlS16_E_NS1_11comp_targetILNS1_3genE2ELNS1_11target_archE906ELNS1_3gpuE6ELNS1_3repE0EEENS1_30default_config_static_selectorELNS0_4arch9wavefront6targetE0EEEvT1_,comdat
.Lfunc_end342:
	.size	_ZN7rocprim17ROCPRIM_400000_NS6detail17trampoline_kernelINS0_14default_configENS1_25partition_config_selectorILNS1_17partition_subalgoE5ElNS0_10empty_typeEbEEZZNS1_14partition_implILS5_5ELb0ES3_mN6hipcub16HIPCUB_304000_NS21CountingInputIteratorIllEEPS6_NSA_22TransformInputIteratorIbN2at6native12_GLOBAL__N_19NonZeroOpIsEEPKslEENS0_5tupleIJPlS6_EEENSN_IJSD_SD_EEES6_PiJS6_EEE10hipError_tPvRmT3_T4_T5_T6_T7_T9_mT8_P12ihipStream_tbDpT10_ENKUlT_T0_E_clISt17integral_constantIbLb1EES1A_IbLb0EEEEDaS16_S17_EUlS16_E_NS1_11comp_targetILNS1_3genE2ELNS1_11target_archE906ELNS1_3gpuE6ELNS1_3repE0EEENS1_30default_config_static_selectorELNS0_4arch9wavefront6targetE0EEEvT1_, .Lfunc_end342-_ZN7rocprim17ROCPRIM_400000_NS6detail17trampoline_kernelINS0_14default_configENS1_25partition_config_selectorILNS1_17partition_subalgoE5ElNS0_10empty_typeEbEEZZNS1_14partition_implILS5_5ELb0ES3_mN6hipcub16HIPCUB_304000_NS21CountingInputIteratorIllEEPS6_NSA_22TransformInputIteratorIbN2at6native12_GLOBAL__N_19NonZeroOpIsEEPKslEENS0_5tupleIJPlS6_EEENSN_IJSD_SD_EEES6_PiJS6_EEE10hipError_tPvRmT3_T4_T5_T6_T7_T9_mT8_P12ihipStream_tbDpT10_ENKUlT_T0_E_clISt17integral_constantIbLb1EES1A_IbLb0EEEEDaS16_S17_EUlS16_E_NS1_11comp_targetILNS1_3genE2ELNS1_11target_archE906ELNS1_3gpuE6ELNS1_3repE0EEENS1_30default_config_static_selectorELNS0_4arch9wavefront6targetE0EEEvT1_
                                        ; -- End function
	.set _ZN7rocprim17ROCPRIM_400000_NS6detail17trampoline_kernelINS0_14default_configENS1_25partition_config_selectorILNS1_17partition_subalgoE5ElNS0_10empty_typeEbEEZZNS1_14partition_implILS5_5ELb0ES3_mN6hipcub16HIPCUB_304000_NS21CountingInputIteratorIllEEPS6_NSA_22TransformInputIteratorIbN2at6native12_GLOBAL__N_19NonZeroOpIsEEPKslEENS0_5tupleIJPlS6_EEENSN_IJSD_SD_EEES6_PiJS6_EEE10hipError_tPvRmT3_T4_T5_T6_T7_T9_mT8_P12ihipStream_tbDpT10_ENKUlT_T0_E_clISt17integral_constantIbLb1EES1A_IbLb0EEEEDaS16_S17_EUlS16_E_NS1_11comp_targetILNS1_3genE2ELNS1_11target_archE906ELNS1_3gpuE6ELNS1_3repE0EEENS1_30default_config_static_selectorELNS0_4arch9wavefront6targetE0EEEvT1_.num_vgpr, 0
	.set _ZN7rocprim17ROCPRIM_400000_NS6detail17trampoline_kernelINS0_14default_configENS1_25partition_config_selectorILNS1_17partition_subalgoE5ElNS0_10empty_typeEbEEZZNS1_14partition_implILS5_5ELb0ES3_mN6hipcub16HIPCUB_304000_NS21CountingInputIteratorIllEEPS6_NSA_22TransformInputIteratorIbN2at6native12_GLOBAL__N_19NonZeroOpIsEEPKslEENS0_5tupleIJPlS6_EEENSN_IJSD_SD_EEES6_PiJS6_EEE10hipError_tPvRmT3_T4_T5_T6_T7_T9_mT8_P12ihipStream_tbDpT10_ENKUlT_T0_E_clISt17integral_constantIbLb1EES1A_IbLb0EEEEDaS16_S17_EUlS16_E_NS1_11comp_targetILNS1_3genE2ELNS1_11target_archE906ELNS1_3gpuE6ELNS1_3repE0EEENS1_30default_config_static_selectorELNS0_4arch9wavefront6targetE0EEEvT1_.num_agpr, 0
	.set _ZN7rocprim17ROCPRIM_400000_NS6detail17trampoline_kernelINS0_14default_configENS1_25partition_config_selectorILNS1_17partition_subalgoE5ElNS0_10empty_typeEbEEZZNS1_14partition_implILS5_5ELb0ES3_mN6hipcub16HIPCUB_304000_NS21CountingInputIteratorIllEEPS6_NSA_22TransformInputIteratorIbN2at6native12_GLOBAL__N_19NonZeroOpIsEEPKslEENS0_5tupleIJPlS6_EEENSN_IJSD_SD_EEES6_PiJS6_EEE10hipError_tPvRmT3_T4_T5_T6_T7_T9_mT8_P12ihipStream_tbDpT10_ENKUlT_T0_E_clISt17integral_constantIbLb1EES1A_IbLb0EEEEDaS16_S17_EUlS16_E_NS1_11comp_targetILNS1_3genE2ELNS1_11target_archE906ELNS1_3gpuE6ELNS1_3repE0EEENS1_30default_config_static_selectorELNS0_4arch9wavefront6targetE0EEEvT1_.numbered_sgpr, 0
	.set _ZN7rocprim17ROCPRIM_400000_NS6detail17trampoline_kernelINS0_14default_configENS1_25partition_config_selectorILNS1_17partition_subalgoE5ElNS0_10empty_typeEbEEZZNS1_14partition_implILS5_5ELb0ES3_mN6hipcub16HIPCUB_304000_NS21CountingInputIteratorIllEEPS6_NSA_22TransformInputIteratorIbN2at6native12_GLOBAL__N_19NonZeroOpIsEEPKslEENS0_5tupleIJPlS6_EEENSN_IJSD_SD_EEES6_PiJS6_EEE10hipError_tPvRmT3_T4_T5_T6_T7_T9_mT8_P12ihipStream_tbDpT10_ENKUlT_T0_E_clISt17integral_constantIbLb1EES1A_IbLb0EEEEDaS16_S17_EUlS16_E_NS1_11comp_targetILNS1_3genE2ELNS1_11target_archE906ELNS1_3gpuE6ELNS1_3repE0EEENS1_30default_config_static_selectorELNS0_4arch9wavefront6targetE0EEEvT1_.num_named_barrier, 0
	.set _ZN7rocprim17ROCPRIM_400000_NS6detail17trampoline_kernelINS0_14default_configENS1_25partition_config_selectorILNS1_17partition_subalgoE5ElNS0_10empty_typeEbEEZZNS1_14partition_implILS5_5ELb0ES3_mN6hipcub16HIPCUB_304000_NS21CountingInputIteratorIllEEPS6_NSA_22TransformInputIteratorIbN2at6native12_GLOBAL__N_19NonZeroOpIsEEPKslEENS0_5tupleIJPlS6_EEENSN_IJSD_SD_EEES6_PiJS6_EEE10hipError_tPvRmT3_T4_T5_T6_T7_T9_mT8_P12ihipStream_tbDpT10_ENKUlT_T0_E_clISt17integral_constantIbLb1EES1A_IbLb0EEEEDaS16_S17_EUlS16_E_NS1_11comp_targetILNS1_3genE2ELNS1_11target_archE906ELNS1_3gpuE6ELNS1_3repE0EEENS1_30default_config_static_selectorELNS0_4arch9wavefront6targetE0EEEvT1_.private_seg_size, 0
	.set _ZN7rocprim17ROCPRIM_400000_NS6detail17trampoline_kernelINS0_14default_configENS1_25partition_config_selectorILNS1_17partition_subalgoE5ElNS0_10empty_typeEbEEZZNS1_14partition_implILS5_5ELb0ES3_mN6hipcub16HIPCUB_304000_NS21CountingInputIteratorIllEEPS6_NSA_22TransformInputIteratorIbN2at6native12_GLOBAL__N_19NonZeroOpIsEEPKslEENS0_5tupleIJPlS6_EEENSN_IJSD_SD_EEES6_PiJS6_EEE10hipError_tPvRmT3_T4_T5_T6_T7_T9_mT8_P12ihipStream_tbDpT10_ENKUlT_T0_E_clISt17integral_constantIbLb1EES1A_IbLb0EEEEDaS16_S17_EUlS16_E_NS1_11comp_targetILNS1_3genE2ELNS1_11target_archE906ELNS1_3gpuE6ELNS1_3repE0EEENS1_30default_config_static_selectorELNS0_4arch9wavefront6targetE0EEEvT1_.uses_vcc, 0
	.set _ZN7rocprim17ROCPRIM_400000_NS6detail17trampoline_kernelINS0_14default_configENS1_25partition_config_selectorILNS1_17partition_subalgoE5ElNS0_10empty_typeEbEEZZNS1_14partition_implILS5_5ELb0ES3_mN6hipcub16HIPCUB_304000_NS21CountingInputIteratorIllEEPS6_NSA_22TransformInputIteratorIbN2at6native12_GLOBAL__N_19NonZeroOpIsEEPKslEENS0_5tupleIJPlS6_EEENSN_IJSD_SD_EEES6_PiJS6_EEE10hipError_tPvRmT3_T4_T5_T6_T7_T9_mT8_P12ihipStream_tbDpT10_ENKUlT_T0_E_clISt17integral_constantIbLb1EES1A_IbLb0EEEEDaS16_S17_EUlS16_E_NS1_11comp_targetILNS1_3genE2ELNS1_11target_archE906ELNS1_3gpuE6ELNS1_3repE0EEENS1_30default_config_static_selectorELNS0_4arch9wavefront6targetE0EEEvT1_.uses_flat_scratch, 0
	.set _ZN7rocprim17ROCPRIM_400000_NS6detail17trampoline_kernelINS0_14default_configENS1_25partition_config_selectorILNS1_17partition_subalgoE5ElNS0_10empty_typeEbEEZZNS1_14partition_implILS5_5ELb0ES3_mN6hipcub16HIPCUB_304000_NS21CountingInputIteratorIllEEPS6_NSA_22TransformInputIteratorIbN2at6native12_GLOBAL__N_19NonZeroOpIsEEPKslEENS0_5tupleIJPlS6_EEENSN_IJSD_SD_EEES6_PiJS6_EEE10hipError_tPvRmT3_T4_T5_T6_T7_T9_mT8_P12ihipStream_tbDpT10_ENKUlT_T0_E_clISt17integral_constantIbLb1EES1A_IbLb0EEEEDaS16_S17_EUlS16_E_NS1_11comp_targetILNS1_3genE2ELNS1_11target_archE906ELNS1_3gpuE6ELNS1_3repE0EEENS1_30default_config_static_selectorELNS0_4arch9wavefront6targetE0EEEvT1_.has_dyn_sized_stack, 0
	.set _ZN7rocprim17ROCPRIM_400000_NS6detail17trampoline_kernelINS0_14default_configENS1_25partition_config_selectorILNS1_17partition_subalgoE5ElNS0_10empty_typeEbEEZZNS1_14partition_implILS5_5ELb0ES3_mN6hipcub16HIPCUB_304000_NS21CountingInputIteratorIllEEPS6_NSA_22TransformInputIteratorIbN2at6native12_GLOBAL__N_19NonZeroOpIsEEPKslEENS0_5tupleIJPlS6_EEENSN_IJSD_SD_EEES6_PiJS6_EEE10hipError_tPvRmT3_T4_T5_T6_T7_T9_mT8_P12ihipStream_tbDpT10_ENKUlT_T0_E_clISt17integral_constantIbLb1EES1A_IbLb0EEEEDaS16_S17_EUlS16_E_NS1_11comp_targetILNS1_3genE2ELNS1_11target_archE906ELNS1_3gpuE6ELNS1_3repE0EEENS1_30default_config_static_selectorELNS0_4arch9wavefront6targetE0EEEvT1_.has_recursion, 0
	.set _ZN7rocprim17ROCPRIM_400000_NS6detail17trampoline_kernelINS0_14default_configENS1_25partition_config_selectorILNS1_17partition_subalgoE5ElNS0_10empty_typeEbEEZZNS1_14partition_implILS5_5ELb0ES3_mN6hipcub16HIPCUB_304000_NS21CountingInputIteratorIllEEPS6_NSA_22TransformInputIteratorIbN2at6native12_GLOBAL__N_19NonZeroOpIsEEPKslEENS0_5tupleIJPlS6_EEENSN_IJSD_SD_EEES6_PiJS6_EEE10hipError_tPvRmT3_T4_T5_T6_T7_T9_mT8_P12ihipStream_tbDpT10_ENKUlT_T0_E_clISt17integral_constantIbLb1EES1A_IbLb0EEEEDaS16_S17_EUlS16_E_NS1_11comp_targetILNS1_3genE2ELNS1_11target_archE906ELNS1_3gpuE6ELNS1_3repE0EEENS1_30default_config_static_selectorELNS0_4arch9wavefront6targetE0EEEvT1_.has_indirect_call, 0
	.section	.AMDGPU.csdata,"",@progbits
; Kernel info:
; codeLenInByte = 0
; TotalNumSgprs: 0
; NumVgprs: 0
; ScratchSize: 0
; MemoryBound: 0
; FloatMode: 240
; IeeeMode: 1
; LDSByteSize: 0 bytes/workgroup (compile time only)
; SGPRBlocks: 0
; VGPRBlocks: 0
; NumSGPRsForWavesPerEU: 1
; NumVGPRsForWavesPerEU: 1
; Occupancy: 16
; WaveLimiterHint : 0
; COMPUTE_PGM_RSRC2:SCRATCH_EN: 0
; COMPUTE_PGM_RSRC2:USER_SGPR: 2
; COMPUTE_PGM_RSRC2:TRAP_HANDLER: 0
; COMPUTE_PGM_RSRC2:TGID_X_EN: 1
; COMPUTE_PGM_RSRC2:TGID_Y_EN: 0
; COMPUTE_PGM_RSRC2:TGID_Z_EN: 0
; COMPUTE_PGM_RSRC2:TIDIG_COMP_CNT: 0
	.section	.text._ZN7rocprim17ROCPRIM_400000_NS6detail17trampoline_kernelINS0_14default_configENS1_25partition_config_selectorILNS1_17partition_subalgoE5ElNS0_10empty_typeEbEEZZNS1_14partition_implILS5_5ELb0ES3_mN6hipcub16HIPCUB_304000_NS21CountingInputIteratorIllEEPS6_NSA_22TransformInputIteratorIbN2at6native12_GLOBAL__N_19NonZeroOpIsEEPKslEENS0_5tupleIJPlS6_EEENSN_IJSD_SD_EEES6_PiJS6_EEE10hipError_tPvRmT3_T4_T5_T6_T7_T9_mT8_P12ihipStream_tbDpT10_ENKUlT_T0_E_clISt17integral_constantIbLb1EES1A_IbLb0EEEEDaS16_S17_EUlS16_E_NS1_11comp_targetILNS1_3genE10ELNS1_11target_archE1200ELNS1_3gpuE4ELNS1_3repE0EEENS1_30default_config_static_selectorELNS0_4arch9wavefront6targetE0EEEvT1_,"axG",@progbits,_ZN7rocprim17ROCPRIM_400000_NS6detail17trampoline_kernelINS0_14default_configENS1_25partition_config_selectorILNS1_17partition_subalgoE5ElNS0_10empty_typeEbEEZZNS1_14partition_implILS5_5ELb0ES3_mN6hipcub16HIPCUB_304000_NS21CountingInputIteratorIllEEPS6_NSA_22TransformInputIteratorIbN2at6native12_GLOBAL__N_19NonZeroOpIsEEPKslEENS0_5tupleIJPlS6_EEENSN_IJSD_SD_EEES6_PiJS6_EEE10hipError_tPvRmT3_T4_T5_T6_T7_T9_mT8_P12ihipStream_tbDpT10_ENKUlT_T0_E_clISt17integral_constantIbLb1EES1A_IbLb0EEEEDaS16_S17_EUlS16_E_NS1_11comp_targetILNS1_3genE10ELNS1_11target_archE1200ELNS1_3gpuE4ELNS1_3repE0EEENS1_30default_config_static_selectorELNS0_4arch9wavefront6targetE0EEEvT1_,comdat
	.globl	_ZN7rocprim17ROCPRIM_400000_NS6detail17trampoline_kernelINS0_14default_configENS1_25partition_config_selectorILNS1_17partition_subalgoE5ElNS0_10empty_typeEbEEZZNS1_14partition_implILS5_5ELb0ES3_mN6hipcub16HIPCUB_304000_NS21CountingInputIteratorIllEEPS6_NSA_22TransformInputIteratorIbN2at6native12_GLOBAL__N_19NonZeroOpIsEEPKslEENS0_5tupleIJPlS6_EEENSN_IJSD_SD_EEES6_PiJS6_EEE10hipError_tPvRmT3_T4_T5_T6_T7_T9_mT8_P12ihipStream_tbDpT10_ENKUlT_T0_E_clISt17integral_constantIbLb1EES1A_IbLb0EEEEDaS16_S17_EUlS16_E_NS1_11comp_targetILNS1_3genE10ELNS1_11target_archE1200ELNS1_3gpuE4ELNS1_3repE0EEENS1_30default_config_static_selectorELNS0_4arch9wavefront6targetE0EEEvT1_ ; -- Begin function _ZN7rocprim17ROCPRIM_400000_NS6detail17trampoline_kernelINS0_14default_configENS1_25partition_config_selectorILNS1_17partition_subalgoE5ElNS0_10empty_typeEbEEZZNS1_14partition_implILS5_5ELb0ES3_mN6hipcub16HIPCUB_304000_NS21CountingInputIteratorIllEEPS6_NSA_22TransformInputIteratorIbN2at6native12_GLOBAL__N_19NonZeroOpIsEEPKslEENS0_5tupleIJPlS6_EEENSN_IJSD_SD_EEES6_PiJS6_EEE10hipError_tPvRmT3_T4_T5_T6_T7_T9_mT8_P12ihipStream_tbDpT10_ENKUlT_T0_E_clISt17integral_constantIbLb1EES1A_IbLb0EEEEDaS16_S17_EUlS16_E_NS1_11comp_targetILNS1_3genE10ELNS1_11target_archE1200ELNS1_3gpuE4ELNS1_3repE0EEENS1_30default_config_static_selectorELNS0_4arch9wavefront6targetE0EEEvT1_
	.p2align	8
	.type	_ZN7rocprim17ROCPRIM_400000_NS6detail17trampoline_kernelINS0_14default_configENS1_25partition_config_selectorILNS1_17partition_subalgoE5ElNS0_10empty_typeEbEEZZNS1_14partition_implILS5_5ELb0ES3_mN6hipcub16HIPCUB_304000_NS21CountingInputIteratorIllEEPS6_NSA_22TransformInputIteratorIbN2at6native12_GLOBAL__N_19NonZeroOpIsEEPKslEENS0_5tupleIJPlS6_EEENSN_IJSD_SD_EEES6_PiJS6_EEE10hipError_tPvRmT3_T4_T5_T6_T7_T9_mT8_P12ihipStream_tbDpT10_ENKUlT_T0_E_clISt17integral_constantIbLb1EES1A_IbLb0EEEEDaS16_S17_EUlS16_E_NS1_11comp_targetILNS1_3genE10ELNS1_11target_archE1200ELNS1_3gpuE4ELNS1_3repE0EEENS1_30default_config_static_selectorELNS0_4arch9wavefront6targetE0EEEvT1_,@function
_ZN7rocprim17ROCPRIM_400000_NS6detail17trampoline_kernelINS0_14default_configENS1_25partition_config_selectorILNS1_17partition_subalgoE5ElNS0_10empty_typeEbEEZZNS1_14partition_implILS5_5ELb0ES3_mN6hipcub16HIPCUB_304000_NS21CountingInputIteratorIllEEPS6_NSA_22TransformInputIteratorIbN2at6native12_GLOBAL__N_19NonZeroOpIsEEPKslEENS0_5tupleIJPlS6_EEENSN_IJSD_SD_EEES6_PiJS6_EEE10hipError_tPvRmT3_T4_T5_T6_T7_T9_mT8_P12ihipStream_tbDpT10_ENKUlT_T0_E_clISt17integral_constantIbLb1EES1A_IbLb0EEEEDaS16_S17_EUlS16_E_NS1_11comp_targetILNS1_3genE10ELNS1_11target_archE1200ELNS1_3gpuE4ELNS1_3repE0EEENS1_30default_config_static_selectorELNS0_4arch9wavefront6targetE0EEEvT1_: ; @_ZN7rocprim17ROCPRIM_400000_NS6detail17trampoline_kernelINS0_14default_configENS1_25partition_config_selectorILNS1_17partition_subalgoE5ElNS0_10empty_typeEbEEZZNS1_14partition_implILS5_5ELb0ES3_mN6hipcub16HIPCUB_304000_NS21CountingInputIteratorIllEEPS6_NSA_22TransformInputIteratorIbN2at6native12_GLOBAL__N_19NonZeroOpIsEEPKslEENS0_5tupleIJPlS6_EEENSN_IJSD_SD_EEES6_PiJS6_EEE10hipError_tPvRmT3_T4_T5_T6_T7_T9_mT8_P12ihipStream_tbDpT10_ENKUlT_T0_E_clISt17integral_constantIbLb1EES1A_IbLb0EEEEDaS16_S17_EUlS16_E_NS1_11comp_targetILNS1_3genE10ELNS1_11target_archE1200ELNS1_3gpuE4ELNS1_3repE0EEENS1_30default_config_static_selectorELNS0_4arch9wavefront6targetE0EEEvT1_
; %bb.0:
	s_endpgm
	.section	.rodata,"a",@progbits
	.p2align	6, 0x0
	.amdhsa_kernel _ZN7rocprim17ROCPRIM_400000_NS6detail17trampoline_kernelINS0_14default_configENS1_25partition_config_selectorILNS1_17partition_subalgoE5ElNS0_10empty_typeEbEEZZNS1_14partition_implILS5_5ELb0ES3_mN6hipcub16HIPCUB_304000_NS21CountingInputIteratorIllEEPS6_NSA_22TransformInputIteratorIbN2at6native12_GLOBAL__N_19NonZeroOpIsEEPKslEENS0_5tupleIJPlS6_EEENSN_IJSD_SD_EEES6_PiJS6_EEE10hipError_tPvRmT3_T4_T5_T6_T7_T9_mT8_P12ihipStream_tbDpT10_ENKUlT_T0_E_clISt17integral_constantIbLb1EES1A_IbLb0EEEEDaS16_S17_EUlS16_E_NS1_11comp_targetILNS1_3genE10ELNS1_11target_archE1200ELNS1_3gpuE4ELNS1_3repE0EEENS1_30default_config_static_selectorELNS0_4arch9wavefront6targetE0EEEvT1_
		.amdhsa_group_segment_fixed_size 0
		.amdhsa_private_segment_fixed_size 0
		.amdhsa_kernarg_size 120
		.amdhsa_user_sgpr_count 2
		.amdhsa_user_sgpr_dispatch_ptr 0
		.amdhsa_user_sgpr_queue_ptr 0
		.amdhsa_user_sgpr_kernarg_segment_ptr 1
		.amdhsa_user_sgpr_dispatch_id 0
		.amdhsa_user_sgpr_private_segment_size 0
		.amdhsa_wavefront_size32 1
		.amdhsa_uses_dynamic_stack 0
		.amdhsa_enable_private_segment 0
		.amdhsa_system_sgpr_workgroup_id_x 1
		.amdhsa_system_sgpr_workgroup_id_y 0
		.amdhsa_system_sgpr_workgroup_id_z 0
		.amdhsa_system_sgpr_workgroup_info 0
		.amdhsa_system_vgpr_workitem_id 0
		.amdhsa_next_free_vgpr 1
		.amdhsa_next_free_sgpr 1
		.amdhsa_reserve_vcc 0
		.amdhsa_float_round_mode_32 0
		.amdhsa_float_round_mode_16_64 0
		.amdhsa_float_denorm_mode_32 3
		.amdhsa_float_denorm_mode_16_64 3
		.amdhsa_fp16_overflow 0
		.amdhsa_workgroup_processor_mode 1
		.amdhsa_memory_ordered 1
		.amdhsa_forward_progress 1
		.amdhsa_inst_pref_size 1
		.amdhsa_round_robin_scheduling 0
		.amdhsa_exception_fp_ieee_invalid_op 0
		.amdhsa_exception_fp_denorm_src 0
		.amdhsa_exception_fp_ieee_div_zero 0
		.amdhsa_exception_fp_ieee_overflow 0
		.amdhsa_exception_fp_ieee_underflow 0
		.amdhsa_exception_fp_ieee_inexact 0
		.amdhsa_exception_int_div_zero 0
	.end_amdhsa_kernel
	.section	.text._ZN7rocprim17ROCPRIM_400000_NS6detail17trampoline_kernelINS0_14default_configENS1_25partition_config_selectorILNS1_17partition_subalgoE5ElNS0_10empty_typeEbEEZZNS1_14partition_implILS5_5ELb0ES3_mN6hipcub16HIPCUB_304000_NS21CountingInputIteratorIllEEPS6_NSA_22TransformInputIteratorIbN2at6native12_GLOBAL__N_19NonZeroOpIsEEPKslEENS0_5tupleIJPlS6_EEENSN_IJSD_SD_EEES6_PiJS6_EEE10hipError_tPvRmT3_T4_T5_T6_T7_T9_mT8_P12ihipStream_tbDpT10_ENKUlT_T0_E_clISt17integral_constantIbLb1EES1A_IbLb0EEEEDaS16_S17_EUlS16_E_NS1_11comp_targetILNS1_3genE10ELNS1_11target_archE1200ELNS1_3gpuE4ELNS1_3repE0EEENS1_30default_config_static_selectorELNS0_4arch9wavefront6targetE0EEEvT1_,"axG",@progbits,_ZN7rocprim17ROCPRIM_400000_NS6detail17trampoline_kernelINS0_14default_configENS1_25partition_config_selectorILNS1_17partition_subalgoE5ElNS0_10empty_typeEbEEZZNS1_14partition_implILS5_5ELb0ES3_mN6hipcub16HIPCUB_304000_NS21CountingInputIteratorIllEEPS6_NSA_22TransformInputIteratorIbN2at6native12_GLOBAL__N_19NonZeroOpIsEEPKslEENS0_5tupleIJPlS6_EEENSN_IJSD_SD_EEES6_PiJS6_EEE10hipError_tPvRmT3_T4_T5_T6_T7_T9_mT8_P12ihipStream_tbDpT10_ENKUlT_T0_E_clISt17integral_constantIbLb1EES1A_IbLb0EEEEDaS16_S17_EUlS16_E_NS1_11comp_targetILNS1_3genE10ELNS1_11target_archE1200ELNS1_3gpuE4ELNS1_3repE0EEENS1_30default_config_static_selectorELNS0_4arch9wavefront6targetE0EEEvT1_,comdat
.Lfunc_end343:
	.size	_ZN7rocprim17ROCPRIM_400000_NS6detail17trampoline_kernelINS0_14default_configENS1_25partition_config_selectorILNS1_17partition_subalgoE5ElNS0_10empty_typeEbEEZZNS1_14partition_implILS5_5ELb0ES3_mN6hipcub16HIPCUB_304000_NS21CountingInputIteratorIllEEPS6_NSA_22TransformInputIteratorIbN2at6native12_GLOBAL__N_19NonZeroOpIsEEPKslEENS0_5tupleIJPlS6_EEENSN_IJSD_SD_EEES6_PiJS6_EEE10hipError_tPvRmT3_T4_T5_T6_T7_T9_mT8_P12ihipStream_tbDpT10_ENKUlT_T0_E_clISt17integral_constantIbLb1EES1A_IbLb0EEEEDaS16_S17_EUlS16_E_NS1_11comp_targetILNS1_3genE10ELNS1_11target_archE1200ELNS1_3gpuE4ELNS1_3repE0EEENS1_30default_config_static_selectorELNS0_4arch9wavefront6targetE0EEEvT1_, .Lfunc_end343-_ZN7rocprim17ROCPRIM_400000_NS6detail17trampoline_kernelINS0_14default_configENS1_25partition_config_selectorILNS1_17partition_subalgoE5ElNS0_10empty_typeEbEEZZNS1_14partition_implILS5_5ELb0ES3_mN6hipcub16HIPCUB_304000_NS21CountingInputIteratorIllEEPS6_NSA_22TransformInputIteratorIbN2at6native12_GLOBAL__N_19NonZeroOpIsEEPKslEENS0_5tupleIJPlS6_EEENSN_IJSD_SD_EEES6_PiJS6_EEE10hipError_tPvRmT3_T4_T5_T6_T7_T9_mT8_P12ihipStream_tbDpT10_ENKUlT_T0_E_clISt17integral_constantIbLb1EES1A_IbLb0EEEEDaS16_S17_EUlS16_E_NS1_11comp_targetILNS1_3genE10ELNS1_11target_archE1200ELNS1_3gpuE4ELNS1_3repE0EEENS1_30default_config_static_selectorELNS0_4arch9wavefront6targetE0EEEvT1_
                                        ; -- End function
	.set _ZN7rocprim17ROCPRIM_400000_NS6detail17trampoline_kernelINS0_14default_configENS1_25partition_config_selectorILNS1_17partition_subalgoE5ElNS0_10empty_typeEbEEZZNS1_14partition_implILS5_5ELb0ES3_mN6hipcub16HIPCUB_304000_NS21CountingInputIteratorIllEEPS6_NSA_22TransformInputIteratorIbN2at6native12_GLOBAL__N_19NonZeroOpIsEEPKslEENS0_5tupleIJPlS6_EEENSN_IJSD_SD_EEES6_PiJS6_EEE10hipError_tPvRmT3_T4_T5_T6_T7_T9_mT8_P12ihipStream_tbDpT10_ENKUlT_T0_E_clISt17integral_constantIbLb1EES1A_IbLb0EEEEDaS16_S17_EUlS16_E_NS1_11comp_targetILNS1_3genE10ELNS1_11target_archE1200ELNS1_3gpuE4ELNS1_3repE0EEENS1_30default_config_static_selectorELNS0_4arch9wavefront6targetE0EEEvT1_.num_vgpr, 0
	.set _ZN7rocprim17ROCPRIM_400000_NS6detail17trampoline_kernelINS0_14default_configENS1_25partition_config_selectorILNS1_17partition_subalgoE5ElNS0_10empty_typeEbEEZZNS1_14partition_implILS5_5ELb0ES3_mN6hipcub16HIPCUB_304000_NS21CountingInputIteratorIllEEPS6_NSA_22TransformInputIteratorIbN2at6native12_GLOBAL__N_19NonZeroOpIsEEPKslEENS0_5tupleIJPlS6_EEENSN_IJSD_SD_EEES6_PiJS6_EEE10hipError_tPvRmT3_T4_T5_T6_T7_T9_mT8_P12ihipStream_tbDpT10_ENKUlT_T0_E_clISt17integral_constantIbLb1EES1A_IbLb0EEEEDaS16_S17_EUlS16_E_NS1_11comp_targetILNS1_3genE10ELNS1_11target_archE1200ELNS1_3gpuE4ELNS1_3repE0EEENS1_30default_config_static_selectorELNS0_4arch9wavefront6targetE0EEEvT1_.num_agpr, 0
	.set _ZN7rocprim17ROCPRIM_400000_NS6detail17trampoline_kernelINS0_14default_configENS1_25partition_config_selectorILNS1_17partition_subalgoE5ElNS0_10empty_typeEbEEZZNS1_14partition_implILS5_5ELb0ES3_mN6hipcub16HIPCUB_304000_NS21CountingInputIteratorIllEEPS6_NSA_22TransformInputIteratorIbN2at6native12_GLOBAL__N_19NonZeroOpIsEEPKslEENS0_5tupleIJPlS6_EEENSN_IJSD_SD_EEES6_PiJS6_EEE10hipError_tPvRmT3_T4_T5_T6_T7_T9_mT8_P12ihipStream_tbDpT10_ENKUlT_T0_E_clISt17integral_constantIbLb1EES1A_IbLb0EEEEDaS16_S17_EUlS16_E_NS1_11comp_targetILNS1_3genE10ELNS1_11target_archE1200ELNS1_3gpuE4ELNS1_3repE0EEENS1_30default_config_static_selectorELNS0_4arch9wavefront6targetE0EEEvT1_.numbered_sgpr, 0
	.set _ZN7rocprim17ROCPRIM_400000_NS6detail17trampoline_kernelINS0_14default_configENS1_25partition_config_selectorILNS1_17partition_subalgoE5ElNS0_10empty_typeEbEEZZNS1_14partition_implILS5_5ELb0ES3_mN6hipcub16HIPCUB_304000_NS21CountingInputIteratorIllEEPS6_NSA_22TransformInputIteratorIbN2at6native12_GLOBAL__N_19NonZeroOpIsEEPKslEENS0_5tupleIJPlS6_EEENSN_IJSD_SD_EEES6_PiJS6_EEE10hipError_tPvRmT3_T4_T5_T6_T7_T9_mT8_P12ihipStream_tbDpT10_ENKUlT_T0_E_clISt17integral_constantIbLb1EES1A_IbLb0EEEEDaS16_S17_EUlS16_E_NS1_11comp_targetILNS1_3genE10ELNS1_11target_archE1200ELNS1_3gpuE4ELNS1_3repE0EEENS1_30default_config_static_selectorELNS0_4arch9wavefront6targetE0EEEvT1_.num_named_barrier, 0
	.set _ZN7rocprim17ROCPRIM_400000_NS6detail17trampoline_kernelINS0_14default_configENS1_25partition_config_selectorILNS1_17partition_subalgoE5ElNS0_10empty_typeEbEEZZNS1_14partition_implILS5_5ELb0ES3_mN6hipcub16HIPCUB_304000_NS21CountingInputIteratorIllEEPS6_NSA_22TransformInputIteratorIbN2at6native12_GLOBAL__N_19NonZeroOpIsEEPKslEENS0_5tupleIJPlS6_EEENSN_IJSD_SD_EEES6_PiJS6_EEE10hipError_tPvRmT3_T4_T5_T6_T7_T9_mT8_P12ihipStream_tbDpT10_ENKUlT_T0_E_clISt17integral_constantIbLb1EES1A_IbLb0EEEEDaS16_S17_EUlS16_E_NS1_11comp_targetILNS1_3genE10ELNS1_11target_archE1200ELNS1_3gpuE4ELNS1_3repE0EEENS1_30default_config_static_selectorELNS0_4arch9wavefront6targetE0EEEvT1_.private_seg_size, 0
	.set _ZN7rocprim17ROCPRIM_400000_NS6detail17trampoline_kernelINS0_14default_configENS1_25partition_config_selectorILNS1_17partition_subalgoE5ElNS0_10empty_typeEbEEZZNS1_14partition_implILS5_5ELb0ES3_mN6hipcub16HIPCUB_304000_NS21CountingInputIteratorIllEEPS6_NSA_22TransformInputIteratorIbN2at6native12_GLOBAL__N_19NonZeroOpIsEEPKslEENS0_5tupleIJPlS6_EEENSN_IJSD_SD_EEES6_PiJS6_EEE10hipError_tPvRmT3_T4_T5_T6_T7_T9_mT8_P12ihipStream_tbDpT10_ENKUlT_T0_E_clISt17integral_constantIbLb1EES1A_IbLb0EEEEDaS16_S17_EUlS16_E_NS1_11comp_targetILNS1_3genE10ELNS1_11target_archE1200ELNS1_3gpuE4ELNS1_3repE0EEENS1_30default_config_static_selectorELNS0_4arch9wavefront6targetE0EEEvT1_.uses_vcc, 0
	.set _ZN7rocprim17ROCPRIM_400000_NS6detail17trampoline_kernelINS0_14default_configENS1_25partition_config_selectorILNS1_17partition_subalgoE5ElNS0_10empty_typeEbEEZZNS1_14partition_implILS5_5ELb0ES3_mN6hipcub16HIPCUB_304000_NS21CountingInputIteratorIllEEPS6_NSA_22TransformInputIteratorIbN2at6native12_GLOBAL__N_19NonZeroOpIsEEPKslEENS0_5tupleIJPlS6_EEENSN_IJSD_SD_EEES6_PiJS6_EEE10hipError_tPvRmT3_T4_T5_T6_T7_T9_mT8_P12ihipStream_tbDpT10_ENKUlT_T0_E_clISt17integral_constantIbLb1EES1A_IbLb0EEEEDaS16_S17_EUlS16_E_NS1_11comp_targetILNS1_3genE10ELNS1_11target_archE1200ELNS1_3gpuE4ELNS1_3repE0EEENS1_30default_config_static_selectorELNS0_4arch9wavefront6targetE0EEEvT1_.uses_flat_scratch, 0
	.set _ZN7rocprim17ROCPRIM_400000_NS6detail17trampoline_kernelINS0_14default_configENS1_25partition_config_selectorILNS1_17partition_subalgoE5ElNS0_10empty_typeEbEEZZNS1_14partition_implILS5_5ELb0ES3_mN6hipcub16HIPCUB_304000_NS21CountingInputIteratorIllEEPS6_NSA_22TransformInputIteratorIbN2at6native12_GLOBAL__N_19NonZeroOpIsEEPKslEENS0_5tupleIJPlS6_EEENSN_IJSD_SD_EEES6_PiJS6_EEE10hipError_tPvRmT3_T4_T5_T6_T7_T9_mT8_P12ihipStream_tbDpT10_ENKUlT_T0_E_clISt17integral_constantIbLb1EES1A_IbLb0EEEEDaS16_S17_EUlS16_E_NS1_11comp_targetILNS1_3genE10ELNS1_11target_archE1200ELNS1_3gpuE4ELNS1_3repE0EEENS1_30default_config_static_selectorELNS0_4arch9wavefront6targetE0EEEvT1_.has_dyn_sized_stack, 0
	.set _ZN7rocprim17ROCPRIM_400000_NS6detail17trampoline_kernelINS0_14default_configENS1_25partition_config_selectorILNS1_17partition_subalgoE5ElNS0_10empty_typeEbEEZZNS1_14partition_implILS5_5ELb0ES3_mN6hipcub16HIPCUB_304000_NS21CountingInputIteratorIllEEPS6_NSA_22TransformInputIteratorIbN2at6native12_GLOBAL__N_19NonZeroOpIsEEPKslEENS0_5tupleIJPlS6_EEENSN_IJSD_SD_EEES6_PiJS6_EEE10hipError_tPvRmT3_T4_T5_T6_T7_T9_mT8_P12ihipStream_tbDpT10_ENKUlT_T0_E_clISt17integral_constantIbLb1EES1A_IbLb0EEEEDaS16_S17_EUlS16_E_NS1_11comp_targetILNS1_3genE10ELNS1_11target_archE1200ELNS1_3gpuE4ELNS1_3repE0EEENS1_30default_config_static_selectorELNS0_4arch9wavefront6targetE0EEEvT1_.has_recursion, 0
	.set _ZN7rocprim17ROCPRIM_400000_NS6detail17trampoline_kernelINS0_14default_configENS1_25partition_config_selectorILNS1_17partition_subalgoE5ElNS0_10empty_typeEbEEZZNS1_14partition_implILS5_5ELb0ES3_mN6hipcub16HIPCUB_304000_NS21CountingInputIteratorIllEEPS6_NSA_22TransformInputIteratorIbN2at6native12_GLOBAL__N_19NonZeroOpIsEEPKslEENS0_5tupleIJPlS6_EEENSN_IJSD_SD_EEES6_PiJS6_EEE10hipError_tPvRmT3_T4_T5_T6_T7_T9_mT8_P12ihipStream_tbDpT10_ENKUlT_T0_E_clISt17integral_constantIbLb1EES1A_IbLb0EEEEDaS16_S17_EUlS16_E_NS1_11comp_targetILNS1_3genE10ELNS1_11target_archE1200ELNS1_3gpuE4ELNS1_3repE0EEENS1_30default_config_static_selectorELNS0_4arch9wavefront6targetE0EEEvT1_.has_indirect_call, 0
	.section	.AMDGPU.csdata,"",@progbits
; Kernel info:
; codeLenInByte = 4
; TotalNumSgprs: 0
; NumVgprs: 0
; ScratchSize: 0
; MemoryBound: 0
; FloatMode: 240
; IeeeMode: 1
; LDSByteSize: 0 bytes/workgroup (compile time only)
; SGPRBlocks: 0
; VGPRBlocks: 0
; NumSGPRsForWavesPerEU: 1
; NumVGPRsForWavesPerEU: 1
; Occupancy: 16
; WaveLimiterHint : 0
; COMPUTE_PGM_RSRC2:SCRATCH_EN: 0
; COMPUTE_PGM_RSRC2:USER_SGPR: 2
; COMPUTE_PGM_RSRC2:TRAP_HANDLER: 0
; COMPUTE_PGM_RSRC2:TGID_X_EN: 1
; COMPUTE_PGM_RSRC2:TGID_Y_EN: 0
; COMPUTE_PGM_RSRC2:TGID_Z_EN: 0
; COMPUTE_PGM_RSRC2:TIDIG_COMP_CNT: 0
	.section	.text._ZN7rocprim17ROCPRIM_400000_NS6detail17trampoline_kernelINS0_14default_configENS1_25partition_config_selectorILNS1_17partition_subalgoE5ElNS0_10empty_typeEbEEZZNS1_14partition_implILS5_5ELb0ES3_mN6hipcub16HIPCUB_304000_NS21CountingInputIteratorIllEEPS6_NSA_22TransformInputIteratorIbN2at6native12_GLOBAL__N_19NonZeroOpIsEEPKslEENS0_5tupleIJPlS6_EEENSN_IJSD_SD_EEES6_PiJS6_EEE10hipError_tPvRmT3_T4_T5_T6_T7_T9_mT8_P12ihipStream_tbDpT10_ENKUlT_T0_E_clISt17integral_constantIbLb1EES1A_IbLb0EEEEDaS16_S17_EUlS16_E_NS1_11comp_targetILNS1_3genE9ELNS1_11target_archE1100ELNS1_3gpuE3ELNS1_3repE0EEENS1_30default_config_static_selectorELNS0_4arch9wavefront6targetE0EEEvT1_,"axG",@progbits,_ZN7rocprim17ROCPRIM_400000_NS6detail17trampoline_kernelINS0_14default_configENS1_25partition_config_selectorILNS1_17partition_subalgoE5ElNS0_10empty_typeEbEEZZNS1_14partition_implILS5_5ELb0ES3_mN6hipcub16HIPCUB_304000_NS21CountingInputIteratorIllEEPS6_NSA_22TransformInputIteratorIbN2at6native12_GLOBAL__N_19NonZeroOpIsEEPKslEENS0_5tupleIJPlS6_EEENSN_IJSD_SD_EEES6_PiJS6_EEE10hipError_tPvRmT3_T4_T5_T6_T7_T9_mT8_P12ihipStream_tbDpT10_ENKUlT_T0_E_clISt17integral_constantIbLb1EES1A_IbLb0EEEEDaS16_S17_EUlS16_E_NS1_11comp_targetILNS1_3genE9ELNS1_11target_archE1100ELNS1_3gpuE3ELNS1_3repE0EEENS1_30default_config_static_selectorELNS0_4arch9wavefront6targetE0EEEvT1_,comdat
	.globl	_ZN7rocprim17ROCPRIM_400000_NS6detail17trampoline_kernelINS0_14default_configENS1_25partition_config_selectorILNS1_17partition_subalgoE5ElNS0_10empty_typeEbEEZZNS1_14partition_implILS5_5ELb0ES3_mN6hipcub16HIPCUB_304000_NS21CountingInputIteratorIllEEPS6_NSA_22TransformInputIteratorIbN2at6native12_GLOBAL__N_19NonZeroOpIsEEPKslEENS0_5tupleIJPlS6_EEENSN_IJSD_SD_EEES6_PiJS6_EEE10hipError_tPvRmT3_T4_T5_T6_T7_T9_mT8_P12ihipStream_tbDpT10_ENKUlT_T0_E_clISt17integral_constantIbLb1EES1A_IbLb0EEEEDaS16_S17_EUlS16_E_NS1_11comp_targetILNS1_3genE9ELNS1_11target_archE1100ELNS1_3gpuE3ELNS1_3repE0EEENS1_30default_config_static_selectorELNS0_4arch9wavefront6targetE0EEEvT1_ ; -- Begin function _ZN7rocprim17ROCPRIM_400000_NS6detail17trampoline_kernelINS0_14default_configENS1_25partition_config_selectorILNS1_17partition_subalgoE5ElNS0_10empty_typeEbEEZZNS1_14partition_implILS5_5ELb0ES3_mN6hipcub16HIPCUB_304000_NS21CountingInputIteratorIllEEPS6_NSA_22TransformInputIteratorIbN2at6native12_GLOBAL__N_19NonZeroOpIsEEPKslEENS0_5tupleIJPlS6_EEENSN_IJSD_SD_EEES6_PiJS6_EEE10hipError_tPvRmT3_T4_T5_T6_T7_T9_mT8_P12ihipStream_tbDpT10_ENKUlT_T0_E_clISt17integral_constantIbLb1EES1A_IbLb0EEEEDaS16_S17_EUlS16_E_NS1_11comp_targetILNS1_3genE9ELNS1_11target_archE1100ELNS1_3gpuE3ELNS1_3repE0EEENS1_30default_config_static_selectorELNS0_4arch9wavefront6targetE0EEEvT1_
	.p2align	8
	.type	_ZN7rocprim17ROCPRIM_400000_NS6detail17trampoline_kernelINS0_14default_configENS1_25partition_config_selectorILNS1_17partition_subalgoE5ElNS0_10empty_typeEbEEZZNS1_14partition_implILS5_5ELb0ES3_mN6hipcub16HIPCUB_304000_NS21CountingInputIteratorIllEEPS6_NSA_22TransformInputIteratorIbN2at6native12_GLOBAL__N_19NonZeroOpIsEEPKslEENS0_5tupleIJPlS6_EEENSN_IJSD_SD_EEES6_PiJS6_EEE10hipError_tPvRmT3_T4_T5_T6_T7_T9_mT8_P12ihipStream_tbDpT10_ENKUlT_T0_E_clISt17integral_constantIbLb1EES1A_IbLb0EEEEDaS16_S17_EUlS16_E_NS1_11comp_targetILNS1_3genE9ELNS1_11target_archE1100ELNS1_3gpuE3ELNS1_3repE0EEENS1_30default_config_static_selectorELNS0_4arch9wavefront6targetE0EEEvT1_,@function
_ZN7rocprim17ROCPRIM_400000_NS6detail17trampoline_kernelINS0_14default_configENS1_25partition_config_selectorILNS1_17partition_subalgoE5ElNS0_10empty_typeEbEEZZNS1_14partition_implILS5_5ELb0ES3_mN6hipcub16HIPCUB_304000_NS21CountingInputIteratorIllEEPS6_NSA_22TransformInputIteratorIbN2at6native12_GLOBAL__N_19NonZeroOpIsEEPKslEENS0_5tupleIJPlS6_EEENSN_IJSD_SD_EEES6_PiJS6_EEE10hipError_tPvRmT3_T4_T5_T6_T7_T9_mT8_P12ihipStream_tbDpT10_ENKUlT_T0_E_clISt17integral_constantIbLb1EES1A_IbLb0EEEEDaS16_S17_EUlS16_E_NS1_11comp_targetILNS1_3genE9ELNS1_11target_archE1100ELNS1_3gpuE3ELNS1_3repE0EEENS1_30default_config_static_selectorELNS0_4arch9wavefront6targetE0EEEvT1_: ; @_ZN7rocprim17ROCPRIM_400000_NS6detail17trampoline_kernelINS0_14default_configENS1_25partition_config_selectorILNS1_17partition_subalgoE5ElNS0_10empty_typeEbEEZZNS1_14partition_implILS5_5ELb0ES3_mN6hipcub16HIPCUB_304000_NS21CountingInputIteratorIllEEPS6_NSA_22TransformInputIteratorIbN2at6native12_GLOBAL__N_19NonZeroOpIsEEPKslEENS0_5tupleIJPlS6_EEENSN_IJSD_SD_EEES6_PiJS6_EEE10hipError_tPvRmT3_T4_T5_T6_T7_T9_mT8_P12ihipStream_tbDpT10_ENKUlT_T0_E_clISt17integral_constantIbLb1EES1A_IbLb0EEEEDaS16_S17_EUlS16_E_NS1_11comp_targetILNS1_3genE9ELNS1_11target_archE1100ELNS1_3gpuE3ELNS1_3repE0EEENS1_30default_config_static_selectorELNS0_4arch9wavefront6targetE0EEEvT1_
; %bb.0:
	.section	.rodata,"a",@progbits
	.p2align	6, 0x0
	.amdhsa_kernel _ZN7rocprim17ROCPRIM_400000_NS6detail17trampoline_kernelINS0_14default_configENS1_25partition_config_selectorILNS1_17partition_subalgoE5ElNS0_10empty_typeEbEEZZNS1_14partition_implILS5_5ELb0ES3_mN6hipcub16HIPCUB_304000_NS21CountingInputIteratorIllEEPS6_NSA_22TransformInputIteratorIbN2at6native12_GLOBAL__N_19NonZeroOpIsEEPKslEENS0_5tupleIJPlS6_EEENSN_IJSD_SD_EEES6_PiJS6_EEE10hipError_tPvRmT3_T4_T5_T6_T7_T9_mT8_P12ihipStream_tbDpT10_ENKUlT_T0_E_clISt17integral_constantIbLb1EES1A_IbLb0EEEEDaS16_S17_EUlS16_E_NS1_11comp_targetILNS1_3genE9ELNS1_11target_archE1100ELNS1_3gpuE3ELNS1_3repE0EEENS1_30default_config_static_selectorELNS0_4arch9wavefront6targetE0EEEvT1_
		.amdhsa_group_segment_fixed_size 0
		.amdhsa_private_segment_fixed_size 0
		.amdhsa_kernarg_size 120
		.amdhsa_user_sgpr_count 2
		.amdhsa_user_sgpr_dispatch_ptr 0
		.amdhsa_user_sgpr_queue_ptr 0
		.amdhsa_user_sgpr_kernarg_segment_ptr 1
		.amdhsa_user_sgpr_dispatch_id 0
		.amdhsa_user_sgpr_private_segment_size 0
		.amdhsa_wavefront_size32 1
		.amdhsa_uses_dynamic_stack 0
		.amdhsa_enable_private_segment 0
		.amdhsa_system_sgpr_workgroup_id_x 1
		.amdhsa_system_sgpr_workgroup_id_y 0
		.amdhsa_system_sgpr_workgroup_id_z 0
		.amdhsa_system_sgpr_workgroup_info 0
		.amdhsa_system_vgpr_workitem_id 0
		.amdhsa_next_free_vgpr 1
		.amdhsa_next_free_sgpr 1
		.amdhsa_reserve_vcc 0
		.amdhsa_float_round_mode_32 0
		.amdhsa_float_round_mode_16_64 0
		.amdhsa_float_denorm_mode_32 3
		.amdhsa_float_denorm_mode_16_64 3
		.amdhsa_fp16_overflow 0
		.amdhsa_workgroup_processor_mode 1
		.amdhsa_memory_ordered 1
		.amdhsa_forward_progress 1
		.amdhsa_inst_pref_size 0
		.amdhsa_round_robin_scheduling 0
		.amdhsa_exception_fp_ieee_invalid_op 0
		.amdhsa_exception_fp_denorm_src 0
		.amdhsa_exception_fp_ieee_div_zero 0
		.amdhsa_exception_fp_ieee_overflow 0
		.amdhsa_exception_fp_ieee_underflow 0
		.amdhsa_exception_fp_ieee_inexact 0
		.amdhsa_exception_int_div_zero 0
	.end_amdhsa_kernel
	.section	.text._ZN7rocprim17ROCPRIM_400000_NS6detail17trampoline_kernelINS0_14default_configENS1_25partition_config_selectorILNS1_17partition_subalgoE5ElNS0_10empty_typeEbEEZZNS1_14partition_implILS5_5ELb0ES3_mN6hipcub16HIPCUB_304000_NS21CountingInputIteratorIllEEPS6_NSA_22TransformInputIteratorIbN2at6native12_GLOBAL__N_19NonZeroOpIsEEPKslEENS0_5tupleIJPlS6_EEENSN_IJSD_SD_EEES6_PiJS6_EEE10hipError_tPvRmT3_T4_T5_T6_T7_T9_mT8_P12ihipStream_tbDpT10_ENKUlT_T0_E_clISt17integral_constantIbLb1EES1A_IbLb0EEEEDaS16_S17_EUlS16_E_NS1_11comp_targetILNS1_3genE9ELNS1_11target_archE1100ELNS1_3gpuE3ELNS1_3repE0EEENS1_30default_config_static_selectorELNS0_4arch9wavefront6targetE0EEEvT1_,"axG",@progbits,_ZN7rocprim17ROCPRIM_400000_NS6detail17trampoline_kernelINS0_14default_configENS1_25partition_config_selectorILNS1_17partition_subalgoE5ElNS0_10empty_typeEbEEZZNS1_14partition_implILS5_5ELb0ES3_mN6hipcub16HIPCUB_304000_NS21CountingInputIteratorIllEEPS6_NSA_22TransformInputIteratorIbN2at6native12_GLOBAL__N_19NonZeroOpIsEEPKslEENS0_5tupleIJPlS6_EEENSN_IJSD_SD_EEES6_PiJS6_EEE10hipError_tPvRmT3_T4_T5_T6_T7_T9_mT8_P12ihipStream_tbDpT10_ENKUlT_T0_E_clISt17integral_constantIbLb1EES1A_IbLb0EEEEDaS16_S17_EUlS16_E_NS1_11comp_targetILNS1_3genE9ELNS1_11target_archE1100ELNS1_3gpuE3ELNS1_3repE0EEENS1_30default_config_static_selectorELNS0_4arch9wavefront6targetE0EEEvT1_,comdat
.Lfunc_end344:
	.size	_ZN7rocprim17ROCPRIM_400000_NS6detail17trampoline_kernelINS0_14default_configENS1_25partition_config_selectorILNS1_17partition_subalgoE5ElNS0_10empty_typeEbEEZZNS1_14partition_implILS5_5ELb0ES3_mN6hipcub16HIPCUB_304000_NS21CountingInputIteratorIllEEPS6_NSA_22TransformInputIteratorIbN2at6native12_GLOBAL__N_19NonZeroOpIsEEPKslEENS0_5tupleIJPlS6_EEENSN_IJSD_SD_EEES6_PiJS6_EEE10hipError_tPvRmT3_T4_T5_T6_T7_T9_mT8_P12ihipStream_tbDpT10_ENKUlT_T0_E_clISt17integral_constantIbLb1EES1A_IbLb0EEEEDaS16_S17_EUlS16_E_NS1_11comp_targetILNS1_3genE9ELNS1_11target_archE1100ELNS1_3gpuE3ELNS1_3repE0EEENS1_30default_config_static_selectorELNS0_4arch9wavefront6targetE0EEEvT1_, .Lfunc_end344-_ZN7rocprim17ROCPRIM_400000_NS6detail17trampoline_kernelINS0_14default_configENS1_25partition_config_selectorILNS1_17partition_subalgoE5ElNS0_10empty_typeEbEEZZNS1_14partition_implILS5_5ELb0ES3_mN6hipcub16HIPCUB_304000_NS21CountingInputIteratorIllEEPS6_NSA_22TransformInputIteratorIbN2at6native12_GLOBAL__N_19NonZeroOpIsEEPKslEENS0_5tupleIJPlS6_EEENSN_IJSD_SD_EEES6_PiJS6_EEE10hipError_tPvRmT3_T4_T5_T6_T7_T9_mT8_P12ihipStream_tbDpT10_ENKUlT_T0_E_clISt17integral_constantIbLb1EES1A_IbLb0EEEEDaS16_S17_EUlS16_E_NS1_11comp_targetILNS1_3genE9ELNS1_11target_archE1100ELNS1_3gpuE3ELNS1_3repE0EEENS1_30default_config_static_selectorELNS0_4arch9wavefront6targetE0EEEvT1_
                                        ; -- End function
	.set _ZN7rocprim17ROCPRIM_400000_NS6detail17trampoline_kernelINS0_14default_configENS1_25partition_config_selectorILNS1_17partition_subalgoE5ElNS0_10empty_typeEbEEZZNS1_14partition_implILS5_5ELb0ES3_mN6hipcub16HIPCUB_304000_NS21CountingInputIteratorIllEEPS6_NSA_22TransformInputIteratorIbN2at6native12_GLOBAL__N_19NonZeroOpIsEEPKslEENS0_5tupleIJPlS6_EEENSN_IJSD_SD_EEES6_PiJS6_EEE10hipError_tPvRmT3_T4_T5_T6_T7_T9_mT8_P12ihipStream_tbDpT10_ENKUlT_T0_E_clISt17integral_constantIbLb1EES1A_IbLb0EEEEDaS16_S17_EUlS16_E_NS1_11comp_targetILNS1_3genE9ELNS1_11target_archE1100ELNS1_3gpuE3ELNS1_3repE0EEENS1_30default_config_static_selectorELNS0_4arch9wavefront6targetE0EEEvT1_.num_vgpr, 0
	.set _ZN7rocprim17ROCPRIM_400000_NS6detail17trampoline_kernelINS0_14default_configENS1_25partition_config_selectorILNS1_17partition_subalgoE5ElNS0_10empty_typeEbEEZZNS1_14partition_implILS5_5ELb0ES3_mN6hipcub16HIPCUB_304000_NS21CountingInputIteratorIllEEPS6_NSA_22TransformInputIteratorIbN2at6native12_GLOBAL__N_19NonZeroOpIsEEPKslEENS0_5tupleIJPlS6_EEENSN_IJSD_SD_EEES6_PiJS6_EEE10hipError_tPvRmT3_T4_T5_T6_T7_T9_mT8_P12ihipStream_tbDpT10_ENKUlT_T0_E_clISt17integral_constantIbLb1EES1A_IbLb0EEEEDaS16_S17_EUlS16_E_NS1_11comp_targetILNS1_3genE9ELNS1_11target_archE1100ELNS1_3gpuE3ELNS1_3repE0EEENS1_30default_config_static_selectorELNS0_4arch9wavefront6targetE0EEEvT1_.num_agpr, 0
	.set _ZN7rocprim17ROCPRIM_400000_NS6detail17trampoline_kernelINS0_14default_configENS1_25partition_config_selectorILNS1_17partition_subalgoE5ElNS0_10empty_typeEbEEZZNS1_14partition_implILS5_5ELb0ES3_mN6hipcub16HIPCUB_304000_NS21CountingInputIteratorIllEEPS6_NSA_22TransformInputIteratorIbN2at6native12_GLOBAL__N_19NonZeroOpIsEEPKslEENS0_5tupleIJPlS6_EEENSN_IJSD_SD_EEES6_PiJS6_EEE10hipError_tPvRmT3_T4_T5_T6_T7_T9_mT8_P12ihipStream_tbDpT10_ENKUlT_T0_E_clISt17integral_constantIbLb1EES1A_IbLb0EEEEDaS16_S17_EUlS16_E_NS1_11comp_targetILNS1_3genE9ELNS1_11target_archE1100ELNS1_3gpuE3ELNS1_3repE0EEENS1_30default_config_static_selectorELNS0_4arch9wavefront6targetE0EEEvT1_.numbered_sgpr, 0
	.set _ZN7rocprim17ROCPRIM_400000_NS6detail17trampoline_kernelINS0_14default_configENS1_25partition_config_selectorILNS1_17partition_subalgoE5ElNS0_10empty_typeEbEEZZNS1_14partition_implILS5_5ELb0ES3_mN6hipcub16HIPCUB_304000_NS21CountingInputIteratorIllEEPS6_NSA_22TransformInputIteratorIbN2at6native12_GLOBAL__N_19NonZeroOpIsEEPKslEENS0_5tupleIJPlS6_EEENSN_IJSD_SD_EEES6_PiJS6_EEE10hipError_tPvRmT3_T4_T5_T6_T7_T9_mT8_P12ihipStream_tbDpT10_ENKUlT_T0_E_clISt17integral_constantIbLb1EES1A_IbLb0EEEEDaS16_S17_EUlS16_E_NS1_11comp_targetILNS1_3genE9ELNS1_11target_archE1100ELNS1_3gpuE3ELNS1_3repE0EEENS1_30default_config_static_selectorELNS0_4arch9wavefront6targetE0EEEvT1_.num_named_barrier, 0
	.set _ZN7rocprim17ROCPRIM_400000_NS6detail17trampoline_kernelINS0_14default_configENS1_25partition_config_selectorILNS1_17partition_subalgoE5ElNS0_10empty_typeEbEEZZNS1_14partition_implILS5_5ELb0ES3_mN6hipcub16HIPCUB_304000_NS21CountingInputIteratorIllEEPS6_NSA_22TransformInputIteratorIbN2at6native12_GLOBAL__N_19NonZeroOpIsEEPKslEENS0_5tupleIJPlS6_EEENSN_IJSD_SD_EEES6_PiJS6_EEE10hipError_tPvRmT3_T4_T5_T6_T7_T9_mT8_P12ihipStream_tbDpT10_ENKUlT_T0_E_clISt17integral_constantIbLb1EES1A_IbLb0EEEEDaS16_S17_EUlS16_E_NS1_11comp_targetILNS1_3genE9ELNS1_11target_archE1100ELNS1_3gpuE3ELNS1_3repE0EEENS1_30default_config_static_selectorELNS0_4arch9wavefront6targetE0EEEvT1_.private_seg_size, 0
	.set _ZN7rocprim17ROCPRIM_400000_NS6detail17trampoline_kernelINS0_14default_configENS1_25partition_config_selectorILNS1_17partition_subalgoE5ElNS0_10empty_typeEbEEZZNS1_14partition_implILS5_5ELb0ES3_mN6hipcub16HIPCUB_304000_NS21CountingInputIteratorIllEEPS6_NSA_22TransformInputIteratorIbN2at6native12_GLOBAL__N_19NonZeroOpIsEEPKslEENS0_5tupleIJPlS6_EEENSN_IJSD_SD_EEES6_PiJS6_EEE10hipError_tPvRmT3_T4_T5_T6_T7_T9_mT8_P12ihipStream_tbDpT10_ENKUlT_T0_E_clISt17integral_constantIbLb1EES1A_IbLb0EEEEDaS16_S17_EUlS16_E_NS1_11comp_targetILNS1_3genE9ELNS1_11target_archE1100ELNS1_3gpuE3ELNS1_3repE0EEENS1_30default_config_static_selectorELNS0_4arch9wavefront6targetE0EEEvT1_.uses_vcc, 0
	.set _ZN7rocprim17ROCPRIM_400000_NS6detail17trampoline_kernelINS0_14default_configENS1_25partition_config_selectorILNS1_17partition_subalgoE5ElNS0_10empty_typeEbEEZZNS1_14partition_implILS5_5ELb0ES3_mN6hipcub16HIPCUB_304000_NS21CountingInputIteratorIllEEPS6_NSA_22TransformInputIteratorIbN2at6native12_GLOBAL__N_19NonZeroOpIsEEPKslEENS0_5tupleIJPlS6_EEENSN_IJSD_SD_EEES6_PiJS6_EEE10hipError_tPvRmT3_T4_T5_T6_T7_T9_mT8_P12ihipStream_tbDpT10_ENKUlT_T0_E_clISt17integral_constantIbLb1EES1A_IbLb0EEEEDaS16_S17_EUlS16_E_NS1_11comp_targetILNS1_3genE9ELNS1_11target_archE1100ELNS1_3gpuE3ELNS1_3repE0EEENS1_30default_config_static_selectorELNS0_4arch9wavefront6targetE0EEEvT1_.uses_flat_scratch, 0
	.set _ZN7rocprim17ROCPRIM_400000_NS6detail17trampoline_kernelINS0_14default_configENS1_25partition_config_selectorILNS1_17partition_subalgoE5ElNS0_10empty_typeEbEEZZNS1_14partition_implILS5_5ELb0ES3_mN6hipcub16HIPCUB_304000_NS21CountingInputIteratorIllEEPS6_NSA_22TransformInputIteratorIbN2at6native12_GLOBAL__N_19NonZeroOpIsEEPKslEENS0_5tupleIJPlS6_EEENSN_IJSD_SD_EEES6_PiJS6_EEE10hipError_tPvRmT3_T4_T5_T6_T7_T9_mT8_P12ihipStream_tbDpT10_ENKUlT_T0_E_clISt17integral_constantIbLb1EES1A_IbLb0EEEEDaS16_S17_EUlS16_E_NS1_11comp_targetILNS1_3genE9ELNS1_11target_archE1100ELNS1_3gpuE3ELNS1_3repE0EEENS1_30default_config_static_selectorELNS0_4arch9wavefront6targetE0EEEvT1_.has_dyn_sized_stack, 0
	.set _ZN7rocprim17ROCPRIM_400000_NS6detail17trampoline_kernelINS0_14default_configENS1_25partition_config_selectorILNS1_17partition_subalgoE5ElNS0_10empty_typeEbEEZZNS1_14partition_implILS5_5ELb0ES3_mN6hipcub16HIPCUB_304000_NS21CountingInputIteratorIllEEPS6_NSA_22TransformInputIteratorIbN2at6native12_GLOBAL__N_19NonZeroOpIsEEPKslEENS0_5tupleIJPlS6_EEENSN_IJSD_SD_EEES6_PiJS6_EEE10hipError_tPvRmT3_T4_T5_T6_T7_T9_mT8_P12ihipStream_tbDpT10_ENKUlT_T0_E_clISt17integral_constantIbLb1EES1A_IbLb0EEEEDaS16_S17_EUlS16_E_NS1_11comp_targetILNS1_3genE9ELNS1_11target_archE1100ELNS1_3gpuE3ELNS1_3repE0EEENS1_30default_config_static_selectorELNS0_4arch9wavefront6targetE0EEEvT1_.has_recursion, 0
	.set _ZN7rocprim17ROCPRIM_400000_NS6detail17trampoline_kernelINS0_14default_configENS1_25partition_config_selectorILNS1_17partition_subalgoE5ElNS0_10empty_typeEbEEZZNS1_14partition_implILS5_5ELb0ES3_mN6hipcub16HIPCUB_304000_NS21CountingInputIteratorIllEEPS6_NSA_22TransformInputIteratorIbN2at6native12_GLOBAL__N_19NonZeroOpIsEEPKslEENS0_5tupleIJPlS6_EEENSN_IJSD_SD_EEES6_PiJS6_EEE10hipError_tPvRmT3_T4_T5_T6_T7_T9_mT8_P12ihipStream_tbDpT10_ENKUlT_T0_E_clISt17integral_constantIbLb1EES1A_IbLb0EEEEDaS16_S17_EUlS16_E_NS1_11comp_targetILNS1_3genE9ELNS1_11target_archE1100ELNS1_3gpuE3ELNS1_3repE0EEENS1_30default_config_static_selectorELNS0_4arch9wavefront6targetE0EEEvT1_.has_indirect_call, 0
	.section	.AMDGPU.csdata,"",@progbits
; Kernel info:
; codeLenInByte = 0
; TotalNumSgprs: 0
; NumVgprs: 0
; ScratchSize: 0
; MemoryBound: 0
; FloatMode: 240
; IeeeMode: 1
; LDSByteSize: 0 bytes/workgroup (compile time only)
; SGPRBlocks: 0
; VGPRBlocks: 0
; NumSGPRsForWavesPerEU: 1
; NumVGPRsForWavesPerEU: 1
; Occupancy: 16
; WaveLimiterHint : 0
; COMPUTE_PGM_RSRC2:SCRATCH_EN: 0
; COMPUTE_PGM_RSRC2:USER_SGPR: 2
; COMPUTE_PGM_RSRC2:TRAP_HANDLER: 0
; COMPUTE_PGM_RSRC2:TGID_X_EN: 1
; COMPUTE_PGM_RSRC2:TGID_Y_EN: 0
; COMPUTE_PGM_RSRC2:TGID_Z_EN: 0
; COMPUTE_PGM_RSRC2:TIDIG_COMP_CNT: 0
	.section	.text._ZN7rocprim17ROCPRIM_400000_NS6detail17trampoline_kernelINS0_14default_configENS1_25partition_config_selectorILNS1_17partition_subalgoE5ElNS0_10empty_typeEbEEZZNS1_14partition_implILS5_5ELb0ES3_mN6hipcub16HIPCUB_304000_NS21CountingInputIteratorIllEEPS6_NSA_22TransformInputIteratorIbN2at6native12_GLOBAL__N_19NonZeroOpIsEEPKslEENS0_5tupleIJPlS6_EEENSN_IJSD_SD_EEES6_PiJS6_EEE10hipError_tPvRmT3_T4_T5_T6_T7_T9_mT8_P12ihipStream_tbDpT10_ENKUlT_T0_E_clISt17integral_constantIbLb1EES1A_IbLb0EEEEDaS16_S17_EUlS16_E_NS1_11comp_targetILNS1_3genE8ELNS1_11target_archE1030ELNS1_3gpuE2ELNS1_3repE0EEENS1_30default_config_static_selectorELNS0_4arch9wavefront6targetE0EEEvT1_,"axG",@progbits,_ZN7rocprim17ROCPRIM_400000_NS6detail17trampoline_kernelINS0_14default_configENS1_25partition_config_selectorILNS1_17partition_subalgoE5ElNS0_10empty_typeEbEEZZNS1_14partition_implILS5_5ELb0ES3_mN6hipcub16HIPCUB_304000_NS21CountingInputIteratorIllEEPS6_NSA_22TransformInputIteratorIbN2at6native12_GLOBAL__N_19NonZeroOpIsEEPKslEENS0_5tupleIJPlS6_EEENSN_IJSD_SD_EEES6_PiJS6_EEE10hipError_tPvRmT3_T4_T5_T6_T7_T9_mT8_P12ihipStream_tbDpT10_ENKUlT_T0_E_clISt17integral_constantIbLb1EES1A_IbLb0EEEEDaS16_S17_EUlS16_E_NS1_11comp_targetILNS1_3genE8ELNS1_11target_archE1030ELNS1_3gpuE2ELNS1_3repE0EEENS1_30default_config_static_selectorELNS0_4arch9wavefront6targetE0EEEvT1_,comdat
	.globl	_ZN7rocprim17ROCPRIM_400000_NS6detail17trampoline_kernelINS0_14default_configENS1_25partition_config_selectorILNS1_17partition_subalgoE5ElNS0_10empty_typeEbEEZZNS1_14partition_implILS5_5ELb0ES3_mN6hipcub16HIPCUB_304000_NS21CountingInputIteratorIllEEPS6_NSA_22TransformInputIteratorIbN2at6native12_GLOBAL__N_19NonZeroOpIsEEPKslEENS0_5tupleIJPlS6_EEENSN_IJSD_SD_EEES6_PiJS6_EEE10hipError_tPvRmT3_T4_T5_T6_T7_T9_mT8_P12ihipStream_tbDpT10_ENKUlT_T0_E_clISt17integral_constantIbLb1EES1A_IbLb0EEEEDaS16_S17_EUlS16_E_NS1_11comp_targetILNS1_3genE8ELNS1_11target_archE1030ELNS1_3gpuE2ELNS1_3repE0EEENS1_30default_config_static_selectorELNS0_4arch9wavefront6targetE0EEEvT1_ ; -- Begin function _ZN7rocprim17ROCPRIM_400000_NS6detail17trampoline_kernelINS0_14default_configENS1_25partition_config_selectorILNS1_17partition_subalgoE5ElNS0_10empty_typeEbEEZZNS1_14partition_implILS5_5ELb0ES3_mN6hipcub16HIPCUB_304000_NS21CountingInputIteratorIllEEPS6_NSA_22TransformInputIteratorIbN2at6native12_GLOBAL__N_19NonZeroOpIsEEPKslEENS0_5tupleIJPlS6_EEENSN_IJSD_SD_EEES6_PiJS6_EEE10hipError_tPvRmT3_T4_T5_T6_T7_T9_mT8_P12ihipStream_tbDpT10_ENKUlT_T0_E_clISt17integral_constantIbLb1EES1A_IbLb0EEEEDaS16_S17_EUlS16_E_NS1_11comp_targetILNS1_3genE8ELNS1_11target_archE1030ELNS1_3gpuE2ELNS1_3repE0EEENS1_30default_config_static_selectorELNS0_4arch9wavefront6targetE0EEEvT1_
	.p2align	8
	.type	_ZN7rocprim17ROCPRIM_400000_NS6detail17trampoline_kernelINS0_14default_configENS1_25partition_config_selectorILNS1_17partition_subalgoE5ElNS0_10empty_typeEbEEZZNS1_14partition_implILS5_5ELb0ES3_mN6hipcub16HIPCUB_304000_NS21CountingInputIteratorIllEEPS6_NSA_22TransformInputIteratorIbN2at6native12_GLOBAL__N_19NonZeroOpIsEEPKslEENS0_5tupleIJPlS6_EEENSN_IJSD_SD_EEES6_PiJS6_EEE10hipError_tPvRmT3_T4_T5_T6_T7_T9_mT8_P12ihipStream_tbDpT10_ENKUlT_T0_E_clISt17integral_constantIbLb1EES1A_IbLb0EEEEDaS16_S17_EUlS16_E_NS1_11comp_targetILNS1_3genE8ELNS1_11target_archE1030ELNS1_3gpuE2ELNS1_3repE0EEENS1_30default_config_static_selectorELNS0_4arch9wavefront6targetE0EEEvT1_,@function
_ZN7rocprim17ROCPRIM_400000_NS6detail17trampoline_kernelINS0_14default_configENS1_25partition_config_selectorILNS1_17partition_subalgoE5ElNS0_10empty_typeEbEEZZNS1_14partition_implILS5_5ELb0ES3_mN6hipcub16HIPCUB_304000_NS21CountingInputIteratorIllEEPS6_NSA_22TransformInputIteratorIbN2at6native12_GLOBAL__N_19NonZeroOpIsEEPKslEENS0_5tupleIJPlS6_EEENSN_IJSD_SD_EEES6_PiJS6_EEE10hipError_tPvRmT3_T4_T5_T6_T7_T9_mT8_P12ihipStream_tbDpT10_ENKUlT_T0_E_clISt17integral_constantIbLb1EES1A_IbLb0EEEEDaS16_S17_EUlS16_E_NS1_11comp_targetILNS1_3genE8ELNS1_11target_archE1030ELNS1_3gpuE2ELNS1_3repE0EEENS1_30default_config_static_selectorELNS0_4arch9wavefront6targetE0EEEvT1_: ; @_ZN7rocprim17ROCPRIM_400000_NS6detail17trampoline_kernelINS0_14default_configENS1_25partition_config_selectorILNS1_17partition_subalgoE5ElNS0_10empty_typeEbEEZZNS1_14partition_implILS5_5ELb0ES3_mN6hipcub16HIPCUB_304000_NS21CountingInputIteratorIllEEPS6_NSA_22TransformInputIteratorIbN2at6native12_GLOBAL__N_19NonZeroOpIsEEPKslEENS0_5tupleIJPlS6_EEENSN_IJSD_SD_EEES6_PiJS6_EEE10hipError_tPvRmT3_T4_T5_T6_T7_T9_mT8_P12ihipStream_tbDpT10_ENKUlT_T0_E_clISt17integral_constantIbLb1EES1A_IbLb0EEEEDaS16_S17_EUlS16_E_NS1_11comp_targetILNS1_3genE8ELNS1_11target_archE1030ELNS1_3gpuE2ELNS1_3repE0EEENS1_30default_config_static_selectorELNS0_4arch9wavefront6targetE0EEEvT1_
; %bb.0:
	.section	.rodata,"a",@progbits
	.p2align	6, 0x0
	.amdhsa_kernel _ZN7rocprim17ROCPRIM_400000_NS6detail17trampoline_kernelINS0_14default_configENS1_25partition_config_selectorILNS1_17partition_subalgoE5ElNS0_10empty_typeEbEEZZNS1_14partition_implILS5_5ELb0ES3_mN6hipcub16HIPCUB_304000_NS21CountingInputIteratorIllEEPS6_NSA_22TransformInputIteratorIbN2at6native12_GLOBAL__N_19NonZeroOpIsEEPKslEENS0_5tupleIJPlS6_EEENSN_IJSD_SD_EEES6_PiJS6_EEE10hipError_tPvRmT3_T4_T5_T6_T7_T9_mT8_P12ihipStream_tbDpT10_ENKUlT_T0_E_clISt17integral_constantIbLb1EES1A_IbLb0EEEEDaS16_S17_EUlS16_E_NS1_11comp_targetILNS1_3genE8ELNS1_11target_archE1030ELNS1_3gpuE2ELNS1_3repE0EEENS1_30default_config_static_selectorELNS0_4arch9wavefront6targetE0EEEvT1_
		.amdhsa_group_segment_fixed_size 0
		.amdhsa_private_segment_fixed_size 0
		.amdhsa_kernarg_size 120
		.amdhsa_user_sgpr_count 2
		.amdhsa_user_sgpr_dispatch_ptr 0
		.amdhsa_user_sgpr_queue_ptr 0
		.amdhsa_user_sgpr_kernarg_segment_ptr 1
		.amdhsa_user_sgpr_dispatch_id 0
		.amdhsa_user_sgpr_private_segment_size 0
		.amdhsa_wavefront_size32 1
		.amdhsa_uses_dynamic_stack 0
		.amdhsa_enable_private_segment 0
		.amdhsa_system_sgpr_workgroup_id_x 1
		.amdhsa_system_sgpr_workgroup_id_y 0
		.amdhsa_system_sgpr_workgroup_id_z 0
		.amdhsa_system_sgpr_workgroup_info 0
		.amdhsa_system_vgpr_workitem_id 0
		.amdhsa_next_free_vgpr 1
		.amdhsa_next_free_sgpr 1
		.amdhsa_reserve_vcc 0
		.amdhsa_float_round_mode_32 0
		.amdhsa_float_round_mode_16_64 0
		.amdhsa_float_denorm_mode_32 3
		.amdhsa_float_denorm_mode_16_64 3
		.amdhsa_fp16_overflow 0
		.amdhsa_workgroup_processor_mode 1
		.amdhsa_memory_ordered 1
		.amdhsa_forward_progress 1
		.amdhsa_inst_pref_size 0
		.amdhsa_round_robin_scheduling 0
		.amdhsa_exception_fp_ieee_invalid_op 0
		.amdhsa_exception_fp_denorm_src 0
		.amdhsa_exception_fp_ieee_div_zero 0
		.amdhsa_exception_fp_ieee_overflow 0
		.amdhsa_exception_fp_ieee_underflow 0
		.amdhsa_exception_fp_ieee_inexact 0
		.amdhsa_exception_int_div_zero 0
	.end_amdhsa_kernel
	.section	.text._ZN7rocprim17ROCPRIM_400000_NS6detail17trampoline_kernelINS0_14default_configENS1_25partition_config_selectorILNS1_17partition_subalgoE5ElNS0_10empty_typeEbEEZZNS1_14partition_implILS5_5ELb0ES3_mN6hipcub16HIPCUB_304000_NS21CountingInputIteratorIllEEPS6_NSA_22TransformInputIteratorIbN2at6native12_GLOBAL__N_19NonZeroOpIsEEPKslEENS0_5tupleIJPlS6_EEENSN_IJSD_SD_EEES6_PiJS6_EEE10hipError_tPvRmT3_T4_T5_T6_T7_T9_mT8_P12ihipStream_tbDpT10_ENKUlT_T0_E_clISt17integral_constantIbLb1EES1A_IbLb0EEEEDaS16_S17_EUlS16_E_NS1_11comp_targetILNS1_3genE8ELNS1_11target_archE1030ELNS1_3gpuE2ELNS1_3repE0EEENS1_30default_config_static_selectorELNS0_4arch9wavefront6targetE0EEEvT1_,"axG",@progbits,_ZN7rocprim17ROCPRIM_400000_NS6detail17trampoline_kernelINS0_14default_configENS1_25partition_config_selectorILNS1_17partition_subalgoE5ElNS0_10empty_typeEbEEZZNS1_14partition_implILS5_5ELb0ES3_mN6hipcub16HIPCUB_304000_NS21CountingInputIteratorIllEEPS6_NSA_22TransformInputIteratorIbN2at6native12_GLOBAL__N_19NonZeroOpIsEEPKslEENS0_5tupleIJPlS6_EEENSN_IJSD_SD_EEES6_PiJS6_EEE10hipError_tPvRmT3_T4_T5_T6_T7_T9_mT8_P12ihipStream_tbDpT10_ENKUlT_T0_E_clISt17integral_constantIbLb1EES1A_IbLb0EEEEDaS16_S17_EUlS16_E_NS1_11comp_targetILNS1_3genE8ELNS1_11target_archE1030ELNS1_3gpuE2ELNS1_3repE0EEENS1_30default_config_static_selectorELNS0_4arch9wavefront6targetE0EEEvT1_,comdat
.Lfunc_end345:
	.size	_ZN7rocprim17ROCPRIM_400000_NS6detail17trampoline_kernelINS0_14default_configENS1_25partition_config_selectorILNS1_17partition_subalgoE5ElNS0_10empty_typeEbEEZZNS1_14partition_implILS5_5ELb0ES3_mN6hipcub16HIPCUB_304000_NS21CountingInputIteratorIllEEPS6_NSA_22TransformInputIteratorIbN2at6native12_GLOBAL__N_19NonZeroOpIsEEPKslEENS0_5tupleIJPlS6_EEENSN_IJSD_SD_EEES6_PiJS6_EEE10hipError_tPvRmT3_T4_T5_T6_T7_T9_mT8_P12ihipStream_tbDpT10_ENKUlT_T0_E_clISt17integral_constantIbLb1EES1A_IbLb0EEEEDaS16_S17_EUlS16_E_NS1_11comp_targetILNS1_3genE8ELNS1_11target_archE1030ELNS1_3gpuE2ELNS1_3repE0EEENS1_30default_config_static_selectorELNS0_4arch9wavefront6targetE0EEEvT1_, .Lfunc_end345-_ZN7rocprim17ROCPRIM_400000_NS6detail17trampoline_kernelINS0_14default_configENS1_25partition_config_selectorILNS1_17partition_subalgoE5ElNS0_10empty_typeEbEEZZNS1_14partition_implILS5_5ELb0ES3_mN6hipcub16HIPCUB_304000_NS21CountingInputIteratorIllEEPS6_NSA_22TransformInputIteratorIbN2at6native12_GLOBAL__N_19NonZeroOpIsEEPKslEENS0_5tupleIJPlS6_EEENSN_IJSD_SD_EEES6_PiJS6_EEE10hipError_tPvRmT3_T4_T5_T6_T7_T9_mT8_P12ihipStream_tbDpT10_ENKUlT_T0_E_clISt17integral_constantIbLb1EES1A_IbLb0EEEEDaS16_S17_EUlS16_E_NS1_11comp_targetILNS1_3genE8ELNS1_11target_archE1030ELNS1_3gpuE2ELNS1_3repE0EEENS1_30default_config_static_selectorELNS0_4arch9wavefront6targetE0EEEvT1_
                                        ; -- End function
	.set _ZN7rocprim17ROCPRIM_400000_NS6detail17trampoline_kernelINS0_14default_configENS1_25partition_config_selectorILNS1_17partition_subalgoE5ElNS0_10empty_typeEbEEZZNS1_14partition_implILS5_5ELb0ES3_mN6hipcub16HIPCUB_304000_NS21CountingInputIteratorIllEEPS6_NSA_22TransformInputIteratorIbN2at6native12_GLOBAL__N_19NonZeroOpIsEEPKslEENS0_5tupleIJPlS6_EEENSN_IJSD_SD_EEES6_PiJS6_EEE10hipError_tPvRmT3_T4_T5_T6_T7_T9_mT8_P12ihipStream_tbDpT10_ENKUlT_T0_E_clISt17integral_constantIbLb1EES1A_IbLb0EEEEDaS16_S17_EUlS16_E_NS1_11comp_targetILNS1_3genE8ELNS1_11target_archE1030ELNS1_3gpuE2ELNS1_3repE0EEENS1_30default_config_static_selectorELNS0_4arch9wavefront6targetE0EEEvT1_.num_vgpr, 0
	.set _ZN7rocprim17ROCPRIM_400000_NS6detail17trampoline_kernelINS0_14default_configENS1_25partition_config_selectorILNS1_17partition_subalgoE5ElNS0_10empty_typeEbEEZZNS1_14partition_implILS5_5ELb0ES3_mN6hipcub16HIPCUB_304000_NS21CountingInputIteratorIllEEPS6_NSA_22TransformInputIteratorIbN2at6native12_GLOBAL__N_19NonZeroOpIsEEPKslEENS0_5tupleIJPlS6_EEENSN_IJSD_SD_EEES6_PiJS6_EEE10hipError_tPvRmT3_T4_T5_T6_T7_T9_mT8_P12ihipStream_tbDpT10_ENKUlT_T0_E_clISt17integral_constantIbLb1EES1A_IbLb0EEEEDaS16_S17_EUlS16_E_NS1_11comp_targetILNS1_3genE8ELNS1_11target_archE1030ELNS1_3gpuE2ELNS1_3repE0EEENS1_30default_config_static_selectorELNS0_4arch9wavefront6targetE0EEEvT1_.num_agpr, 0
	.set _ZN7rocprim17ROCPRIM_400000_NS6detail17trampoline_kernelINS0_14default_configENS1_25partition_config_selectorILNS1_17partition_subalgoE5ElNS0_10empty_typeEbEEZZNS1_14partition_implILS5_5ELb0ES3_mN6hipcub16HIPCUB_304000_NS21CountingInputIteratorIllEEPS6_NSA_22TransformInputIteratorIbN2at6native12_GLOBAL__N_19NonZeroOpIsEEPKslEENS0_5tupleIJPlS6_EEENSN_IJSD_SD_EEES6_PiJS6_EEE10hipError_tPvRmT3_T4_T5_T6_T7_T9_mT8_P12ihipStream_tbDpT10_ENKUlT_T0_E_clISt17integral_constantIbLb1EES1A_IbLb0EEEEDaS16_S17_EUlS16_E_NS1_11comp_targetILNS1_3genE8ELNS1_11target_archE1030ELNS1_3gpuE2ELNS1_3repE0EEENS1_30default_config_static_selectorELNS0_4arch9wavefront6targetE0EEEvT1_.numbered_sgpr, 0
	.set _ZN7rocprim17ROCPRIM_400000_NS6detail17trampoline_kernelINS0_14default_configENS1_25partition_config_selectorILNS1_17partition_subalgoE5ElNS0_10empty_typeEbEEZZNS1_14partition_implILS5_5ELb0ES3_mN6hipcub16HIPCUB_304000_NS21CountingInputIteratorIllEEPS6_NSA_22TransformInputIteratorIbN2at6native12_GLOBAL__N_19NonZeroOpIsEEPKslEENS0_5tupleIJPlS6_EEENSN_IJSD_SD_EEES6_PiJS6_EEE10hipError_tPvRmT3_T4_T5_T6_T7_T9_mT8_P12ihipStream_tbDpT10_ENKUlT_T0_E_clISt17integral_constantIbLb1EES1A_IbLb0EEEEDaS16_S17_EUlS16_E_NS1_11comp_targetILNS1_3genE8ELNS1_11target_archE1030ELNS1_3gpuE2ELNS1_3repE0EEENS1_30default_config_static_selectorELNS0_4arch9wavefront6targetE0EEEvT1_.num_named_barrier, 0
	.set _ZN7rocprim17ROCPRIM_400000_NS6detail17trampoline_kernelINS0_14default_configENS1_25partition_config_selectorILNS1_17partition_subalgoE5ElNS0_10empty_typeEbEEZZNS1_14partition_implILS5_5ELb0ES3_mN6hipcub16HIPCUB_304000_NS21CountingInputIteratorIllEEPS6_NSA_22TransformInputIteratorIbN2at6native12_GLOBAL__N_19NonZeroOpIsEEPKslEENS0_5tupleIJPlS6_EEENSN_IJSD_SD_EEES6_PiJS6_EEE10hipError_tPvRmT3_T4_T5_T6_T7_T9_mT8_P12ihipStream_tbDpT10_ENKUlT_T0_E_clISt17integral_constantIbLb1EES1A_IbLb0EEEEDaS16_S17_EUlS16_E_NS1_11comp_targetILNS1_3genE8ELNS1_11target_archE1030ELNS1_3gpuE2ELNS1_3repE0EEENS1_30default_config_static_selectorELNS0_4arch9wavefront6targetE0EEEvT1_.private_seg_size, 0
	.set _ZN7rocprim17ROCPRIM_400000_NS6detail17trampoline_kernelINS0_14default_configENS1_25partition_config_selectorILNS1_17partition_subalgoE5ElNS0_10empty_typeEbEEZZNS1_14partition_implILS5_5ELb0ES3_mN6hipcub16HIPCUB_304000_NS21CountingInputIteratorIllEEPS6_NSA_22TransformInputIteratorIbN2at6native12_GLOBAL__N_19NonZeroOpIsEEPKslEENS0_5tupleIJPlS6_EEENSN_IJSD_SD_EEES6_PiJS6_EEE10hipError_tPvRmT3_T4_T5_T6_T7_T9_mT8_P12ihipStream_tbDpT10_ENKUlT_T0_E_clISt17integral_constantIbLb1EES1A_IbLb0EEEEDaS16_S17_EUlS16_E_NS1_11comp_targetILNS1_3genE8ELNS1_11target_archE1030ELNS1_3gpuE2ELNS1_3repE0EEENS1_30default_config_static_selectorELNS0_4arch9wavefront6targetE0EEEvT1_.uses_vcc, 0
	.set _ZN7rocprim17ROCPRIM_400000_NS6detail17trampoline_kernelINS0_14default_configENS1_25partition_config_selectorILNS1_17partition_subalgoE5ElNS0_10empty_typeEbEEZZNS1_14partition_implILS5_5ELb0ES3_mN6hipcub16HIPCUB_304000_NS21CountingInputIteratorIllEEPS6_NSA_22TransformInputIteratorIbN2at6native12_GLOBAL__N_19NonZeroOpIsEEPKslEENS0_5tupleIJPlS6_EEENSN_IJSD_SD_EEES6_PiJS6_EEE10hipError_tPvRmT3_T4_T5_T6_T7_T9_mT8_P12ihipStream_tbDpT10_ENKUlT_T0_E_clISt17integral_constantIbLb1EES1A_IbLb0EEEEDaS16_S17_EUlS16_E_NS1_11comp_targetILNS1_3genE8ELNS1_11target_archE1030ELNS1_3gpuE2ELNS1_3repE0EEENS1_30default_config_static_selectorELNS0_4arch9wavefront6targetE0EEEvT1_.uses_flat_scratch, 0
	.set _ZN7rocprim17ROCPRIM_400000_NS6detail17trampoline_kernelINS0_14default_configENS1_25partition_config_selectorILNS1_17partition_subalgoE5ElNS0_10empty_typeEbEEZZNS1_14partition_implILS5_5ELb0ES3_mN6hipcub16HIPCUB_304000_NS21CountingInputIteratorIllEEPS6_NSA_22TransformInputIteratorIbN2at6native12_GLOBAL__N_19NonZeroOpIsEEPKslEENS0_5tupleIJPlS6_EEENSN_IJSD_SD_EEES6_PiJS6_EEE10hipError_tPvRmT3_T4_T5_T6_T7_T9_mT8_P12ihipStream_tbDpT10_ENKUlT_T0_E_clISt17integral_constantIbLb1EES1A_IbLb0EEEEDaS16_S17_EUlS16_E_NS1_11comp_targetILNS1_3genE8ELNS1_11target_archE1030ELNS1_3gpuE2ELNS1_3repE0EEENS1_30default_config_static_selectorELNS0_4arch9wavefront6targetE0EEEvT1_.has_dyn_sized_stack, 0
	.set _ZN7rocprim17ROCPRIM_400000_NS6detail17trampoline_kernelINS0_14default_configENS1_25partition_config_selectorILNS1_17partition_subalgoE5ElNS0_10empty_typeEbEEZZNS1_14partition_implILS5_5ELb0ES3_mN6hipcub16HIPCUB_304000_NS21CountingInputIteratorIllEEPS6_NSA_22TransformInputIteratorIbN2at6native12_GLOBAL__N_19NonZeroOpIsEEPKslEENS0_5tupleIJPlS6_EEENSN_IJSD_SD_EEES6_PiJS6_EEE10hipError_tPvRmT3_T4_T5_T6_T7_T9_mT8_P12ihipStream_tbDpT10_ENKUlT_T0_E_clISt17integral_constantIbLb1EES1A_IbLb0EEEEDaS16_S17_EUlS16_E_NS1_11comp_targetILNS1_3genE8ELNS1_11target_archE1030ELNS1_3gpuE2ELNS1_3repE0EEENS1_30default_config_static_selectorELNS0_4arch9wavefront6targetE0EEEvT1_.has_recursion, 0
	.set _ZN7rocprim17ROCPRIM_400000_NS6detail17trampoline_kernelINS0_14default_configENS1_25partition_config_selectorILNS1_17partition_subalgoE5ElNS0_10empty_typeEbEEZZNS1_14partition_implILS5_5ELb0ES3_mN6hipcub16HIPCUB_304000_NS21CountingInputIteratorIllEEPS6_NSA_22TransformInputIteratorIbN2at6native12_GLOBAL__N_19NonZeroOpIsEEPKslEENS0_5tupleIJPlS6_EEENSN_IJSD_SD_EEES6_PiJS6_EEE10hipError_tPvRmT3_T4_T5_T6_T7_T9_mT8_P12ihipStream_tbDpT10_ENKUlT_T0_E_clISt17integral_constantIbLb1EES1A_IbLb0EEEEDaS16_S17_EUlS16_E_NS1_11comp_targetILNS1_3genE8ELNS1_11target_archE1030ELNS1_3gpuE2ELNS1_3repE0EEENS1_30default_config_static_selectorELNS0_4arch9wavefront6targetE0EEEvT1_.has_indirect_call, 0
	.section	.AMDGPU.csdata,"",@progbits
; Kernel info:
; codeLenInByte = 0
; TotalNumSgprs: 0
; NumVgprs: 0
; ScratchSize: 0
; MemoryBound: 0
; FloatMode: 240
; IeeeMode: 1
; LDSByteSize: 0 bytes/workgroup (compile time only)
; SGPRBlocks: 0
; VGPRBlocks: 0
; NumSGPRsForWavesPerEU: 1
; NumVGPRsForWavesPerEU: 1
; Occupancy: 16
; WaveLimiterHint : 0
; COMPUTE_PGM_RSRC2:SCRATCH_EN: 0
; COMPUTE_PGM_RSRC2:USER_SGPR: 2
; COMPUTE_PGM_RSRC2:TRAP_HANDLER: 0
; COMPUTE_PGM_RSRC2:TGID_X_EN: 1
; COMPUTE_PGM_RSRC2:TGID_Y_EN: 0
; COMPUTE_PGM_RSRC2:TGID_Z_EN: 0
; COMPUTE_PGM_RSRC2:TIDIG_COMP_CNT: 0
	.section	.text._ZN7rocprim17ROCPRIM_400000_NS6detail17trampoline_kernelINS0_14default_configENS1_25partition_config_selectorILNS1_17partition_subalgoE5ElNS0_10empty_typeEbEEZZNS1_14partition_implILS5_5ELb0ES3_mN6hipcub16HIPCUB_304000_NS21CountingInputIteratorIllEEPS6_NSA_22TransformInputIteratorIbN2at6native12_GLOBAL__N_19NonZeroOpIsEEPKslEENS0_5tupleIJPlS6_EEENSN_IJSD_SD_EEES6_PiJS6_EEE10hipError_tPvRmT3_T4_T5_T6_T7_T9_mT8_P12ihipStream_tbDpT10_ENKUlT_T0_E_clISt17integral_constantIbLb0EES1A_IbLb1EEEEDaS16_S17_EUlS16_E_NS1_11comp_targetILNS1_3genE0ELNS1_11target_archE4294967295ELNS1_3gpuE0ELNS1_3repE0EEENS1_30default_config_static_selectorELNS0_4arch9wavefront6targetE0EEEvT1_,"axG",@progbits,_ZN7rocprim17ROCPRIM_400000_NS6detail17trampoline_kernelINS0_14default_configENS1_25partition_config_selectorILNS1_17partition_subalgoE5ElNS0_10empty_typeEbEEZZNS1_14partition_implILS5_5ELb0ES3_mN6hipcub16HIPCUB_304000_NS21CountingInputIteratorIllEEPS6_NSA_22TransformInputIteratorIbN2at6native12_GLOBAL__N_19NonZeroOpIsEEPKslEENS0_5tupleIJPlS6_EEENSN_IJSD_SD_EEES6_PiJS6_EEE10hipError_tPvRmT3_T4_T5_T6_T7_T9_mT8_P12ihipStream_tbDpT10_ENKUlT_T0_E_clISt17integral_constantIbLb0EES1A_IbLb1EEEEDaS16_S17_EUlS16_E_NS1_11comp_targetILNS1_3genE0ELNS1_11target_archE4294967295ELNS1_3gpuE0ELNS1_3repE0EEENS1_30default_config_static_selectorELNS0_4arch9wavefront6targetE0EEEvT1_,comdat
	.globl	_ZN7rocprim17ROCPRIM_400000_NS6detail17trampoline_kernelINS0_14default_configENS1_25partition_config_selectorILNS1_17partition_subalgoE5ElNS0_10empty_typeEbEEZZNS1_14partition_implILS5_5ELb0ES3_mN6hipcub16HIPCUB_304000_NS21CountingInputIteratorIllEEPS6_NSA_22TransformInputIteratorIbN2at6native12_GLOBAL__N_19NonZeroOpIsEEPKslEENS0_5tupleIJPlS6_EEENSN_IJSD_SD_EEES6_PiJS6_EEE10hipError_tPvRmT3_T4_T5_T6_T7_T9_mT8_P12ihipStream_tbDpT10_ENKUlT_T0_E_clISt17integral_constantIbLb0EES1A_IbLb1EEEEDaS16_S17_EUlS16_E_NS1_11comp_targetILNS1_3genE0ELNS1_11target_archE4294967295ELNS1_3gpuE0ELNS1_3repE0EEENS1_30default_config_static_selectorELNS0_4arch9wavefront6targetE0EEEvT1_ ; -- Begin function _ZN7rocprim17ROCPRIM_400000_NS6detail17trampoline_kernelINS0_14default_configENS1_25partition_config_selectorILNS1_17partition_subalgoE5ElNS0_10empty_typeEbEEZZNS1_14partition_implILS5_5ELb0ES3_mN6hipcub16HIPCUB_304000_NS21CountingInputIteratorIllEEPS6_NSA_22TransformInputIteratorIbN2at6native12_GLOBAL__N_19NonZeroOpIsEEPKslEENS0_5tupleIJPlS6_EEENSN_IJSD_SD_EEES6_PiJS6_EEE10hipError_tPvRmT3_T4_T5_T6_T7_T9_mT8_P12ihipStream_tbDpT10_ENKUlT_T0_E_clISt17integral_constantIbLb0EES1A_IbLb1EEEEDaS16_S17_EUlS16_E_NS1_11comp_targetILNS1_3genE0ELNS1_11target_archE4294967295ELNS1_3gpuE0ELNS1_3repE0EEENS1_30default_config_static_selectorELNS0_4arch9wavefront6targetE0EEEvT1_
	.p2align	8
	.type	_ZN7rocprim17ROCPRIM_400000_NS6detail17trampoline_kernelINS0_14default_configENS1_25partition_config_selectorILNS1_17partition_subalgoE5ElNS0_10empty_typeEbEEZZNS1_14partition_implILS5_5ELb0ES3_mN6hipcub16HIPCUB_304000_NS21CountingInputIteratorIllEEPS6_NSA_22TransformInputIteratorIbN2at6native12_GLOBAL__N_19NonZeroOpIsEEPKslEENS0_5tupleIJPlS6_EEENSN_IJSD_SD_EEES6_PiJS6_EEE10hipError_tPvRmT3_T4_T5_T6_T7_T9_mT8_P12ihipStream_tbDpT10_ENKUlT_T0_E_clISt17integral_constantIbLb0EES1A_IbLb1EEEEDaS16_S17_EUlS16_E_NS1_11comp_targetILNS1_3genE0ELNS1_11target_archE4294967295ELNS1_3gpuE0ELNS1_3repE0EEENS1_30default_config_static_selectorELNS0_4arch9wavefront6targetE0EEEvT1_,@function
_ZN7rocprim17ROCPRIM_400000_NS6detail17trampoline_kernelINS0_14default_configENS1_25partition_config_selectorILNS1_17partition_subalgoE5ElNS0_10empty_typeEbEEZZNS1_14partition_implILS5_5ELb0ES3_mN6hipcub16HIPCUB_304000_NS21CountingInputIteratorIllEEPS6_NSA_22TransformInputIteratorIbN2at6native12_GLOBAL__N_19NonZeroOpIsEEPKslEENS0_5tupleIJPlS6_EEENSN_IJSD_SD_EEES6_PiJS6_EEE10hipError_tPvRmT3_T4_T5_T6_T7_T9_mT8_P12ihipStream_tbDpT10_ENKUlT_T0_E_clISt17integral_constantIbLb0EES1A_IbLb1EEEEDaS16_S17_EUlS16_E_NS1_11comp_targetILNS1_3genE0ELNS1_11target_archE4294967295ELNS1_3gpuE0ELNS1_3repE0EEENS1_30default_config_static_selectorELNS0_4arch9wavefront6targetE0EEEvT1_: ; @_ZN7rocprim17ROCPRIM_400000_NS6detail17trampoline_kernelINS0_14default_configENS1_25partition_config_selectorILNS1_17partition_subalgoE5ElNS0_10empty_typeEbEEZZNS1_14partition_implILS5_5ELb0ES3_mN6hipcub16HIPCUB_304000_NS21CountingInputIteratorIllEEPS6_NSA_22TransformInputIteratorIbN2at6native12_GLOBAL__N_19NonZeroOpIsEEPKslEENS0_5tupleIJPlS6_EEENSN_IJSD_SD_EEES6_PiJS6_EEE10hipError_tPvRmT3_T4_T5_T6_T7_T9_mT8_P12ihipStream_tbDpT10_ENKUlT_T0_E_clISt17integral_constantIbLb0EES1A_IbLb1EEEEDaS16_S17_EUlS16_E_NS1_11comp_targetILNS1_3genE0ELNS1_11target_archE4294967295ELNS1_3gpuE0ELNS1_3repE0EEENS1_30default_config_static_selectorELNS0_4arch9wavefront6targetE0EEEvT1_
; %bb.0:
	.section	.rodata,"a",@progbits
	.p2align	6, 0x0
	.amdhsa_kernel _ZN7rocprim17ROCPRIM_400000_NS6detail17trampoline_kernelINS0_14default_configENS1_25partition_config_selectorILNS1_17partition_subalgoE5ElNS0_10empty_typeEbEEZZNS1_14partition_implILS5_5ELb0ES3_mN6hipcub16HIPCUB_304000_NS21CountingInputIteratorIllEEPS6_NSA_22TransformInputIteratorIbN2at6native12_GLOBAL__N_19NonZeroOpIsEEPKslEENS0_5tupleIJPlS6_EEENSN_IJSD_SD_EEES6_PiJS6_EEE10hipError_tPvRmT3_T4_T5_T6_T7_T9_mT8_P12ihipStream_tbDpT10_ENKUlT_T0_E_clISt17integral_constantIbLb0EES1A_IbLb1EEEEDaS16_S17_EUlS16_E_NS1_11comp_targetILNS1_3genE0ELNS1_11target_archE4294967295ELNS1_3gpuE0ELNS1_3repE0EEENS1_30default_config_static_selectorELNS0_4arch9wavefront6targetE0EEEvT1_
		.amdhsa_group_segment_fixed_size 0
		.amdhsa_private_segment_fixed_size 0
		.amdhsa_kernarg_size 136
		.amdhsa_user_sgpr_count 2
		.amdhsa_user_sgpr_dispatch_ptr 0
		.amdhsa_user_sgpr_queue_ptr 0
		.amdhsa_user_sgpr_kernarg_segment_ptr 1
		.amdhsa_user_sgpr_dispatch_id 0
		.amdhsa_user_sgpr_private_segment_size 0
		.amdhsa_wavefront_size32 1
		.amdhsa_uses_dynamic_stack 0
		.amdhsa_enable_private_segment 0
		.amdhsa_system_sgpr_workgroup_id_x 1
		.amdhsa_system_sgpr_workgroup_id_y 0
		.amdhsa_system_sgpr_workgroup_id_z 0
		.amdhsa_system_sgpr_workgroup_info 0
		.amdhsa_system_vgpr_workitem_id 0
		.amdhsa_next_free_vgpr 1
		.amdhsa_next_free_sgpr 1
		.amdhsa_reserve_vcc 0
		.amdhsa_float_round_mode_32 0
		.amdhsa_float_round_mode_16_64 0
		.amdhsa_float_denorm_mode_32 3
		.amdhsa_float_denorm_mode_16_64 3
		.amdhsa_fp16_overflow 0
		.amdhsa_workgroup_processor_mode 1
		.amdhsa_memory_ordered 1
		.amdhsa_forward_progress 1
		.amdhsa_inst_pref_size 0
		.amdhsa_round_robin_scheduling 0
		.amdhsa_exception_fp_ieee_invalid_op 0
		.amdhsa_exception_fp_denorm_src 0
		.amdhsa_exception_fp_ieee_div_zero 0
		.amdhsa_exception_fp_ieee_overflow 0
		.amdhsa_exception_fp_ieee_underflow 0
		.amdhsa_exception_fp_ieee_inexact 0
		.amdhsa_exception_int_div_zero 0
	.end_amdhsa_kernel
	.section	.text._ZN7rocprim17ROCPRIM_400000_NS6detail17trampoline_kernelINS0_14default_configENS1_25partition_config_selectorILNS1_17partition_subalgoE5ElNS0_10empty_typeEbEEZZNS1_14partition_implILS5_5ELb0ES3_mN6hipcub16HIPCUB_304000_NS21CountingInputIteratorIllEEPS6_NSA_22TransformInputIteratorIbN2at6native12_GLOBAL__N_19NonZeroOpIsEEPKslEENS0_5tupleIJPlS6_EEENSN_IJSD_SD_EEES6_PiJS6_EEE10hipError_tPvRmT3_T4_T5_T6_T7_T9_mT8_P12ihipStream_tbDpT10_ENKUlT_T0_E_clISt17integral_constantIbLb0EES1A_IbLb1EEEEDaS16_S17_EUlS16_E_NS1_11comp_targetILNS1_3genE0ELNS1_11target_archE4294967295ELNS1_3gpuE0ELNS1_3repE0EEENS1_30default_config_static_selectorELNS0_4arch9wavefront6targetE0EEEvT1_,"axG",@progbits,_ZN7rocprim17ROCPRIM_400000_NS6detail17trampoline_kernelINS0_14default_configENS1_25partition_config_selectorILNS1_17partition_subalgoE5ElNS0_10empty_typeEbEEZZNS1_14partition_implILS5_5ELb0ES3_mN6hipcub16HIPCUB_304000_NS21CountingInputIteratorIllEEPS6_NSA_22TransformInputIteratorIbN2at6native12_GLOBAL__N_19NonZeroOpIsEEPKslEENS0_5tupleIJPlS6_EEENSN_IJSD_SD_EEES6_PiJS6_EEE10hipError_tPvRmT3_T4_T5_T6_T7_T9_mT8_P12ihipStream_tbDpT10_ENKUlT_T0_E_clISt17integral_constantIbLb0EES1A_IbLb1EEEEDaS16_S17_EUlS16_E_NS1_11comp_targetILNS1_3genE0ELNS1_11target_archE4294967295ELNS1_3gpuE0ELNS1_3repE0EEENS1_30default_config_static_selectorELNS0_4arch9wavefront6targetE0EEEvT1_,comdat
.Lfunc_end346:
	.size	_ZN7rocprim17ROCPRIM_400000_NS6detail17trampoline_kernelINS0_14default_configENS1_25partition_config_selectorILNS1_17partition_subalgoE5ElNS0_10empty_typeEbEEZZNS1_14partition_implILS5_5ELb0ES3_mN6hipcub16HIPCUB_304000_NS21CountingInputIteratorIllEEPS6_NSA_22TransformInputIteratorIbN2at6native12_GLOBAL__N_19NonZeroOpIsEEPKslEENS0_5tupleIJPlS6_EEENSN_IJSD_SD_EEES6_PiJS6_EEE10hipError_tPvRmT3_T4_T5_T6_T7_T9_mT8_P12ihipStream_tbDpT10_ENKUlT_T0_E_clISt17integral_constantIbLb0EES1A_IbLb1EEEEDaS16_S17_EUlS16_E_NS1_11comp_targetILNS1_3genE0ELNS1_11target_archE4294967295ELNS1_3gpuE0ELNS1_3repE0EEENS1_30default_config_static_selectorELNS0_4arch9wavefront6targetE0EEEvT1_, .Lfunc_end346-_ZN7rocprim17ROCPRIM_400000_NS6detail17trampoline_kernelINS0_14default_configENS1_25partition_config_selectorILNS1_17partition_subalgoE5ElNS0_10empty_typeEbEEZZNS1_14partition_implILS5_5ELb0ES3_mN6hipcub16HIPCUB_304000_NS21CountingInputIteratorIllEEPS6_NSA_22TransformInputIteratorIbN2at6native12_GLOBAL__N_19NonZeroOpIsEEPKslEENS0_5tupleIJPlS6_EEENSN_IJSD_SD_EEES6_PiJS6_EEE10hipError_tPvRmT3_T4_T5_T6_T7_T9_mT8_P12ihipStream_tbDpT10_ENKUlT_T0_E_clISt17integral_constantIbLb0EES1A_IbLb1EEEEDaS16_S17_EUlS16_E_NS1_11comp_targetILNS1_3genE0ELNS1_11target_archE4294967295ELNS1_3gpuE0ELNS1_3repE0EEENS1_30default_config_static_selectorELNS0_4arch9wavefront6targetE0EEEvT1_
                                        ; -- End function
	.set _ZN7rocprim17ROCPRIM_400000_NS6detail17trampoline_kernelINS0_14default_configENS1_25partition_config_selectorILNS1_17partition_subalgoE5ElNS0_10empty_typeEbEEZZNS1_14partition_implILS5_5ELb0ES3_mN6hipcub16HIPCUB_304000_NS21CountingInputIteratorIllEEPS6_NSA_22TransformInputIteratorIbN2at6native12_GLOBAL__N_19NonZeroOpIsEEPKslEENS0_5tupleIJPlS6_EEENSN_IJSD_SD_EEES6_PiJS6_EEE10hipError_tPvRmT3_T4_T5_T6_T7_T9_mT8_P12ihipStream_tbDpT10_ENKUlT_T0_E_clISt17integral_constantIbLb0EES1A_IbLb1EEEEDaS16_S17_EUlS16_E_NS1_11comp_targetILNS1_3genE0ELNS1_11target_archE4294967295ELNS1_3gpuE0ELNS1_3repE0EEENS1_30default_config_static_selectorELNS0_4arch9wavefront6targetE0EEEvT1_.num_vgpr, 0
	.set _ZN7rocprim17ROCPRIM_400000_NS6detail17trampoline_kernelINS0_14default_configENS1_25partition_config_selectorILNS1_17partition_subalgoE5ElNS0_10empty_typeEbEEZZNS1_14partition_implILS5_5ELb0ES3_mN6hipcub16HIPCUB_304000_NS21CountingInputIteratorIllEEPS6_NSA_22TransformInputIteratorIbN2at6native12_GLOBAL__N_19NonZeroOpIsEEPKslEENS0_5tupleIJPlS6_EEENSN_IJSD_SD_EEES6_PiJS6_EEE10hipError_tPvRmT3_T4_T5_T6_T7_T9_mT8_P12ihipStream_tbDpT10_ENKUlT_T0_E_clISt17integral_constantIbLb0EES1A_IbLb1EEEEDaS16_S17_EUlS16_E_NS1_11comp_targetILNS1_3genE0ELNS1_11target_archE4294967295ELNS1_3gpuE0ELNS1_3repE0EEENS1_30default_config_static_selectorELNS0_4arch9wavefront6targetE0EEEvT1_.num_agpr, 0
	.set _ZN7rocprim17ROCPRIM_400000_NS6detail17trampoline_kernelINS0_14default_configENS1_25partition_config_selectorILNS1_17partition_subalgoE5ElNS0_10empty_typeEbEEZZNS1_14partition_implILS5_5ELb0ES3_mN6hipcub16HIPCUB_304000_NS21CountingInputIteratorIllEEPS6_NSA_22TransformInputIteratorIbN2at6native12_GLOBAL__N_19NonZeroOpIsEEPKslEENS0_5tupleIJPlS6_EEENSN_IJSD_SD_EEES6_PiJS6_EEE10hipError_tPvRmT3_T4_T5_T6_T7_T9_mT8_P12ihipStream_tbDpT10_ENKUlT_T0_E_clISt17integral_constantIbLb0EES1A_IbLb1EEEEDaS16_S17_EUlS16_E_NS1_11comp_targetILNS1_3genE0ELNS1_11target_archE4294967295ELNS1_3gpuE0ELNS1_3repE0EEENS1_30default_config_static_selectorELNS0_4arch9wavefront6targetE0EEEvT1_.numbered_sgpr, 0
	.set _ZN7rocprim17ROCPRIM_400000_NS6detail17trampoline_kernelINS0_14default_configENS1_25partition_config_selectorILNS1_17partition_subalgoE5ElNS0_10empty_typeEbEEZZNS1_14partition_implILS5_5ELb0ES3_mN6hipcub16HIPCUB_304000_NS21CountingInputIteratorIllEEPS6_NSA_22TransformInputIteratorIbN2at6native12_GLOBAL__N_19NonZeroOpIsEEPKslEENS0_5tupleIJPlS6_EEENSN_IJSD_SD_EEES6_PiJS6_EEE10hipError_tPvRmT3_T4_T5_T6_T7_T9_mT8_P12ihipStream_tbDpT10_ENKUlT_T0_E_clISt17integral_constantIbLb0EES1A_IbLb1EEEEDaS16_S17_EUlS16_E_NS1_11comp_targetILNS1_3genE0ELNS1_11target_archE4294967295ELNS1_3gpuE0ELNS1_3repE0EEENS1_30default_config_static_selectorELNS0_4arch9wavefront6targetE0EEEvT1_.num_named_barrier, 0
	.set _ZN7rocprim17ROCPRIM_400000_NS6detail17trampoline_kernelINS0_14default_configENS1_25partition_config_selectorILNS1_17partition_subalgoE5ElNS0_10empty_typeEbEEZZNS1_14partition_implILS5_5ELb0ES3_mN6hipcub16HIPCUB_304000_NS21CountingInputIteratorIllEEPS6_NSA_22TransformInputIteratorIbN2at6native12_GLOBAL__N_19NonZeroOpIsEEPKslEENS0_5tupleIJPlS6_EEENSN_IJSD_SD_EEES6_PiJS6_EEE10hipError_tPvRmT3_T4_T5_T6_T7_T9_mT8_P12ihipStream_tbDpT10_ENKUlT_T0_E_clISt17integral_constantIbLb0EES1A_IbLb1EEEEDaS16_S17_EUlS16_E_NS1_11comp_targetILNS1_3genE0ELNS1_11target_archE4294967295ELNS1_3gpuE0ELNS1_3repE0EEENS1_30default_config_static_selectorELNS0_4arch9wavefront6targetE0EEEvT1_.private_seg_size, 0
	.set _ZN7rocprim17ROCPRIM_400000_NS6detail17trampoline_kernelINS0_14default_configENS1_25partition_config_selectorILNS1_17partition_subalgoE5ElNS0_10empty_typeEbEEZZNS1_14partition_implILS5_5ELb0ES3_mN6hipcub16HIPCUB_304000_NS21CountingInputIteratorIllEEPS6_NSA_22TransformInputIteratorIbN2at6native12_GLOBAL__N_19NonZeroOpIsEEPKslEENS0_5tupleIJPlS6_EEENSN_IJSD_SD_EEES6_PiJS6_EEE10hipError_tPvRmT3_T4_T5_T6_T7_T9_mT8_P12ihipStream_tbDpT10_ENKUlT_T0_E_clISt17integral_constantIbLb0EES1A_IbLb1EEEEDaS16_S17_EUlS16_E_NS1_11comp_targetILNS1_3genE0ELNS1_11target_archE4294967295ELNS1_3gpuE0ELNS1_3repE0EEENS1_30default_config_static_selectorELNS0_4arch9wavefront6targetE0EEEvT1_.uses_vcc, 0
	.set _ZN7rocprim17ROCPRIM_400000_NS6detail17trampoline_kernelINS0_14default_configENS1_25partition_config_selectorILNS1_17partition_subalgoE5ElNS0_10empty_typeEbEEZZNS1_14partition_implILS5_5ELb0ES3_mN6hipcub16HIPCUB_304000_NS21CountingInputIteratorIllEEPS6_NSA_22TransformInputIteratorIbN2at6native12_GLOBAL__N_19NonZeroOpIsEEPKslEENS0_5tupleIJPlS6_EEENSN_IJSD_SD_EEES6_PiJS6_EEE10hipError_tPvRmT3_T4_T5_T6_T7_T9_mT8_P12ihipStream_tbDpT10_ENKUlT_T0_E_clISt17integral_constantIbLb0EES1A_IbLb1EEEEDaS16_S17_EUlS16_E_NS1_11comp_targetILNS1_3genE0ELNS1_11target_archE4294967295ELNS1_3gpuE0ELNS1_3repE0EEENS1_30default_config_static_selectorELNS0_4arch9wavefront6targetE0EEEvT1_.uses_flat_scratch, 0
	.set _ZN7rocprim17ROCPRIM_400000_NS6detail17trampoline_kernelINS0_14default_configENS1_25partition_config_selectorILNS1_17partition_subalgoE5ElNS0_10empty_typeEbEEZZNS1_14partition_implILS5_5ELb0ES3_mN6hipcub16HIPCUB_304000_NS21CountingInputIteratorIllEEPS6_NSA_22TransformInputIteratorIbN2at6native12_GLOBAL__N_19NonZeroOpIsEEPKslEENS0_5tupleIJPlS6_EEENSN_IJSD_SD_EEES6_PiJS6_EEE10hipError_tPvRmT3_T4_T5_T6_T7_T9_mT8_P12ihipStream_tbDpT10_ENKUlT_T0_E_clISt17integral_constantIbLb0EES1A_IbLb1EEEEDaS16_S17_EUlS16_E_NS1_11comp_targetILNS1_3genE0ELNS1_11target_archE4294967295ELNS1_3gpuE0ELNS1_3repE0EEENS1_30default_config_static_selectorELNS0_4arch9wavefront6targetE0EEEvT1_.has_dyn_sized_stack, 0
	.set _ZN7rocprim17ROCPRIM_400000_NS6detail17trampoline_kernelINS0_14default_configENS1_25partition_config_selectorILNS1_17partition_subalgoE5ElNS0_10empty_typeEbEEZZNS1_14partition_implILS5_5ELb0ES3_mN6hipcub16HIPCUB_304000_NS21CountingInputIteratorIllEEPS6_NSA_22TransformInputIteratorIbN2at6native12_GLOBAL__N_19NonZeroOpIsEEPKslEENS0_5tupleIJPlS6_EEENSN_IJSD_SD_EEES6_PiJS6_EEE10hipError_tPvRmT3_T4_T5_T6_T7_T9_mT8_P12ihipStream_tbDpT10_ENKUlT_T0_E_clISt17integral_constantIbLb0EES1A_IbLb1EEEEDaS16_S17_EUlS16_E_NS1_11comp_targetILNS1_3genE0ELNS1_11target_archE4294967295ELNS1_3gpuE0ELNS1_3repE0EEENS1_30default_config_static_selectorELNS0_4arch9wavefront6targetE0EEEvT1_.has_recursion, 0
	.set _ZN7rocprim17ROCPRIM_400000_NS6detail17trampoline_kernelINS0_14default_configENS1_25partition_config_selectorILNS1_17partition_subalgoE5ElNS0_10empty_typeEbEEZZNS1_14partition_implILS5_5ELb0ES3_mN6hipcub16HIPCUB_304000_NS21CountingInputIteratorIllEEPS6_NSA_22TransformInputIteratorIbN2at6native12_GLOBAL__N_19NonZeroOpIsEEPKslEENS0_5tupleIJPlS6_EEENSN_IJSD_SD_EEES6_PiJS6_EEE10hipError_tPvRmT3_T4_T5_T6_T7_T9_mT8_P12ihipStream_tbDpT10_ENKUlT_T0_E_clISt17integral_constantIbLb0EES1A_IbLb1EEEEDaS16_S17_EUlS16_E_NS1_11comp_targetILNS1_3genE0ELNS1_11target_archE4294967295ELNS1_3gpuE0ELNS1_3repE0EEENS1_30default_config_static_selectorELNS0_4arch9wavefront6targetE0EEEvT1_.has_indirect_call, 0
	.section	.AMDGPU.csdata,"",@progbits
; Kernel info:
; codeLenInByte = 0
; TotalNumSgprs: 0
; NumVgprs: 0
; ScratchSize: 0
; MemoryBound: 0
; FloatMode: 240
; IeeeMode: 1
; LDSByteSize: 0 bytes/workgroup (compile time only)
; SGPRBlocks: 0
; VGPRBlocks: 0
; NumSGPRsForWavesPerEU: 1
; NumVGPRsForWavesPerEU: 1
; Occupancy: 16
; WaveLimiterHint : 0
; COMPUTE_PGM_RSRC2:SCRATCH_EN: 0
; COMPUTE_PGM_RSRC2:USER_SGPR: 2
; COMPUTE_PGM_RSRC2:TRAP_HANDLER: 0
; COMPUTE_PGM_RSRC2:TGID_X_EN: 1
; COMPUTE_PGM_RSRC2:TGID_Y_EN: 0
; COMPUTE_PGM_RSRC2:TGID_Z_EN: 0
; COMPUTE_PGM_RSRC2:TIDIG_COMP_CNT: 0
	.section	.text._ZN7rocprim17ROCPRIM_400000_NS6detail17trampoline_kernelINS0_14default_configENS1_25partition_config_selectorILNS1_17partition_subalgoE5ElNS0_10empty_typeEbEEZZNS1_14partition_implILS5_5ELb0ES3_mN6hipcub16HIPCUB_304000_NS21CountingInputIteratorIllEEPS6_NSA_22TransformInputIteratorIbN2at6native12_GLOBAL__N_19NonZeroOpIsEEPKslEENS0_5tupleIJPlS6_EEENSN_IJSD_SD_EEES6_PiJS6_EEE10hipError_tPvRmT3_T4_T5_T6_T7_T9_mT8_P12ihipStream_tbDpT10_ENKUlT_T0_E_clISt17integral_constantIbLb0EES1A_IbLb1EEEEDaS16_S17_EUlS16_E_NS1_11comp_targetILNS1_3genE5ELNS1_11target_archE942ELNS1_3gpuE9ELNS1_3repE0EEENS1_30default_config_static_selectorELNS0_4arch9wavefront6targetE0EEEvT1_,"axG",@progbits,_ZN7rocprim17ROCPRIM_400000_NS6detail17trampoline_kernelINS0_14default_configENS1_25partition_config_selectorILNS1_17partition_subalgoE5ElNS0_10empty_typeEbEEZZNS1_14partition_implILS5_5ELb0ES3_mN6hipcub16HIPCUB_304000_NS21CountingInputIteratorIllEEPS6_NSA_22TransformInputIteratorIbN2at6native12_GLOBAL__N_19NonZeroOpIsEEPKslEENS0_5tupleIJPlS6_EEENSN_IJSD_SD_EEES6_PiJS6_EEE10hipError_tPvRmT3_T4_T5_T6_T7_T9_mT8_P12ihipStream_tbDpT10_ENKUlT_T0_E_clISt17integral_constantIbLb0EES1A_IbLb1EEEEDaS16_S17_EUlS16_E_NS1_11comp_targetILNS1_3genE5ELNS1_11target_archE942ELNS1_3gpuE9ELNS1_3repE0EEENS1_30default_config_static_selectorELNS0_4arch9wavefront6targetE0EEEvT1_,comdat
	.globl	_ZN7rocprim17ROCPRIM_400000_NS6detail17trampoline_kernelINS0_14default_configENS1_25partition_config_selectorILNS1_17partition_subalgoE5ElNS0_10empty_typeEbEEZZNS1_14partition_implILS5_5ELb0ES3_mN6hipcub16HIPCUB_304000_NS21CountingInputIteratorIllEEPS6_NSA_22TransformInputIteratorIbN2at6native12_GLOBAL__N_19NonZeroOpIsEEPKslEENS0_5tupleIJPlS6_EEENSN_IJSD_SD_EEES6_PiJS6_EEE10hipError_tPvRmT3_T4_T5_T6_T7_T9_mT8_P12ihipStream_tbDpT10_ENKUlT_T0_E_clISt17integral_constantIbLb0EES1A_IbLb1EEEEDaS16_S17_EUlS16_E_NS1_11comp_targetILNS1_3genE5ELNS1_11target_archE942ELNS1_3gpuE9ELNS1_3repE0EEENS1_30default_config_static_selectorELNS0_4arch9wavefront6targetE0EEEvT1_ ; -- Begin function _ZN7rocprim17ROCPRIM_400000_NS6detail17trampoline_kernelINS0_14default_configENS1_25partition_config_selectorILNS1_17partition_subalgoE5ElNS0_10empty_typeEbEEZZNS1_14partition_implILS5_5ELb0ES3_mN6hipcub16HIPCUB_304000_NS21CountingInputIteratorIllEEPS6_NSA_22TransformInputIteratorIbN2at6native12_GLOBAL__N_19NonZeroOpIsEEPKslEENS0_5tupleIJPlS6_EEENSN_IJSD_SD_EEES6_PiJS6_EEE10hipError_tPvRmT3_T4_T5_T6_T7_T9_mT8_P12ihipStream_tbDpT10_ENKUlT_T0_E_clISt17integral_constantIbLb0EES1A_IbLb1EEEEDaS16_S17_EUlS16_E_NS1_11comp_targetILNS1_3genE5ELNS1_11target_archE942ELNS1_3gpuE9ELNS1_3repE0EEENS1_30default_config_static_selectorELNS0_4arch9wavefront6targetE0EEEvT1_
	.p2align	8
	.type	_ZN7rocprim17ROCPRIM_400000_NS6detail17trampoline_kernelINS0_14default_configENS1_25partition_config_selectorILNS1_17partition_subalgoE5ElNS0_10empty_typeEbEEZZNS1_14partition_implILS5_5ELb0ES3_mN6hipcub16HIPCUB_304000_NS21CountingInputIteratorIllEEPS6_NSA_22TransformInputIteratorIbN2at6native12_GLOBAL__N_19NonZeroOpIsEEPKslEENS0_5tupleIJPlS6_EEENSN_IJSD_SD_EEES6_PiJS6_EEE10hipError_tPvRmT3_T4_T5_T6_T7_T9_mT8_P12ihipStream_tbDpT10_ENKUlT_T0_E_clISt17integral_constantIbLb0EES1A_IbLb1EEEEDaS16_S17_EUlS16_E_NS1_11comp_targetILNS1_3genE5ELNS1_11target_archE942ELNS1_3gpuE9ELNS1_3repE0EEENS1_30default_config_static_selectorELNS0_4arch9wavefront6targetE0EEEvT1_,@function
_ZN7rocprim17ROCPRIM_400000_NS6detail17trampoline_kernelINS0_14default_configENS1_25partition_config_selectorILNS1_17partition_subalgoE5ElNS0_10empty_typeEbEEZZNS1_14partition_implILS5_5ELb0ES3_mN6hipcub16HIPCUB_304000_NS21CountingInputIteratorIllEEPS6_NSA_22TransformInputIteratorIbN2at6native12_GLOBAL__N_19NonZeroOpIsEEPKslEENS0_5tupleIJPlS6_EEENSN_IJSD_SD_EEES6_PiJS6_EEE10hipError_tPvRmT3_T4_T5_T6_T7_T9_mT8_P12ihipStream_tbDpT10_ENKUlT_T0_E_clISt17integral_constantIbLb0EES1A_IbLb1EEEEDaS16_S17_EUlS16_E_NS1_11comp_targetILNS1_3genE5ELNS1_11target_archE942ELNS1_3gpuE9ELNS1_3repE0EEENS1_30default_config_static_selectorELNS0_4arch9wavefront6targetE0EEEvT1_: ; @_ZN7rocprim17ROCPRIM_400000_NS6detail17trampoline_kernelINS0_14default_configENS1_25partition_config_selectorILNS1_17partition_subalgoE5ElNS0_10empty_typeEbEEZZNS1_14partition_implILS5_5ELb0ES3_mN6hipcub16HIPCUB_304000_NS21CountingInputIteratorIllEEPS6_NSA_22TransformInputIteratorIbN2at6native12_GLOBAL__N_19NonZeroOpIsEEPKslEENS0_5tupleIJPlS6_EEENSN_IJSD_SD_EEES6_PiJS6_EEE10hipError_tPvRmT3_T4_T5_T6_T7_T9_mT8_P12ihipStream_tbDpT10_ENKUlT_T0_E_clISt17integral_constantIbLb0EES1A_IbLb1EEEEDaS16_S17_EUlS16_E_NS1_11comp_targetILNS1_3genE5ELNS1_11target_archE942ELNS1_3gpuE9ELNS1_3repE0EEENS1_30default_config_static_selectorELNS0_4arch9wavefront6targetE0EEEvT1_
; %bb.0:
	.section	.rodata,"a",@progbits
	.p2align	6, 0x0
	.amdhsa_kernel _ZN7rocprim17ROCPRIM_400000_NS6detail17trampoline_kernelINS0_14default_configENS1_25partition_config_selectorILNS1_17partition_subalgoE5ElNS0_10empty_typeEbEEZZNS1_14partition_implILS5_5ELb0ES3_mN6hipcub16HIPCUB_304000_NS21CountingInputIteratorIllEEPS6_NSA_22TransformInputIteratorIbN2at6native12_GLOBAL__N_19NonZeroOpIsEEPKslEENS0_5tupleIJPlS6_EEENSN_IJSD_SD_EEES6_PiJS6_EEE10hipError_tPvRmT3_T4_T5_T6_T7_T9_mT8_P12ihipStream_tbDpT10_ENKUlT_T0_E_clISt17integral_constantIbLb0EES1A_IbLb1EEEEDaS16_S17_EUlS16_E_NS1_11comp_targetILNS1_3genE5ELNS1_11target_archE942ELNS1_3gpuE9ELNS1_3repE0EEENS1_30default_config_static_selectorELNS0_4arch9wavefront6targetE0EEEvT1_
		.amdhsa_group_segment_fixed_size 0
		.amdhsa_private_segment_fixed_size 0
		.amdhsa_kernarg_size 136
		.amdhsa_user_sgpr_count 2
		.amdhsa_user_sgpr_dispatch_ptr 0
		.amdhsa_user_sgpr_queue_ptr 0
		.amdhsa_user_sgpr_kernarg_segment_ptr 1
		.amdhsa_user_sgpr_dispatch_id 0
		.amdhsa_user_sgpr_private_segment_size 0
		.amdhsa_wavefront_size32 1
		.amdhsa_uses_dynamic_stack 0
		.amdhsa_enable_private_segment 0
		.amdhsa_system_sgpr_workgroup_id_x 1
		.amdhsa_system_sgpr_workgroup_id_y 0
		.amdhsa_system_sgpr_workgroup_id_z 0
		.amdhsa_system_sgpr_workgroup_info 0
		.amdhsa_system_vgpr_workitem_id 0
		.amdhsa_next_free_vgpr 1
		.amdhsa_next_free_sgpr 1
		.amdhsa_reserve_vcc 0
		.amdhsa_float_round_mode_32 0
		.amdhsa_float_round_mode_16_64 0
		.amdhsa_float_denorm_mode_32 3
		.amdhsa_float_denorm_mode_16_64 3
		.amdhsa_fp16_overflow 0
		.amdhsa_workgroup_processor_mode 1
		.amdhsa_memory_ordered 1
		.amdhsa_forward_progress 1
		.amdhsa_inst_pref_size 0
		.amdhsa_round_robin_scheduling 0
		.amdhsa_exception_fp_ieee_invalid_op 0
		.amdhsa_exception_fp_denorm_src 0
		.amdhsa_exception_fp_ieee_div_zero 0
		.amdhsa_exception_fp_ieee_overflow 0
		.amdhsa_exception_fp_ieee_underflow 0
		.amdhsa_exception_fp_ieee_inexact 0
		.amdhsa_exception_int_div_zero 0
	.end_amdhsa_kernel
	.section	.text._ZN7rocprim17ROCPRIM_400000_NS6detail17trampoline_kernelINS0_14default_configENS1_25partition_config_selectorILNS1_17partition_subalgoE5ElNS0_10empty_typeEbEEZZNS1_14partition_implILS5_5ELb0ES3_mN6hipcub16HIPCUB_304000_NS21CountingInputIteratorIllEEPS6_NSA_22TransformInputIteratorIbN2at6native12_GLOBAL__N_19NonZeroOpIsEEPKslEENS0_5tupleIJPlS6_EEENSN_IJSD_SD_EEES6_PiJS6_EEE10hipError_tPvRmT3_T4_T5_T6_T7_T9_mT8_P12ihipStream_tbDpT10_ENKUlT_T0_E_clISt17integral_constantIbLb0EES1A_IbLb1EEEEDaS16_S17_EUlS16_E_NS1_11comp_targetILNS1_3genE5ELNS1_11target_archE942ELNS1_3gpuE9ELNS1_3repE0EEENS1_30default_config_static_selectorELNS0_4arch9wavefront6targetE0EEEvT1_,"axG",@progbits,_ZN7rocprim17ROCPRIM_400000_NS6detail17trampoline_kernelINS0_14default_configENS1_25partition_config_selectorILNS1_17partition_subalgoE5ElNS0_10empty_typeEbEEZZNS1_14partition_implILS5_5ELb0ES3_mN6hipcub16HIPCUB_304000_NS21CountingInputIteratorIllEEPS6_NSA_22TransformInputIteratorIbN2at6native12_GLOBAL__N_19NonZeroOpIsEEPKslEENS0_5tupleIJPlS6_EEENSN_IJSD_SD_EEES6_PiJS6_EEE10hipError_tPvRmT3_T4_T5_T6_T7_T9_mT8_P12ihipStream_tbDpT10_ENKUlT_T0_E_clISt17integral_constantIbLb0EES1A_IbLb1EEEEDaS16_S17_EUlS16_E_NS1_11comp_targetILNS1_3genE5ELNS1_11target_archE942ELNS1_3gpuE9ELNS1_3repE0EEENS1_30default_config_static_selectorELNS0_4arch9wavefront6targetE0EEEvT1_,comdat
.Lfunc_end347:
	.size	_ZN7rocprim17ROCPRIM_400000_NS6detail17trampoline_kernelINS0_14default_configENS1_25partition_config_selectorILNS1_17partition_subalgoE5ElNS0_10empty_typeEbEEZZNS1_14partition_implILS5_5ELb0ES3_mN6hipcub16HIPCUB_304000_NS21CountingInputIteratorIllEEPS6_NSA_22TransformInputIteratorIbN2at6native12_GLOBAL__N_19NonZeroOpIsEEPKslEENS0_5tupleIJPlS6_EEENSN_IJSD_SD_EEES6_PiJS6_EEE10hipError_tPvRmT3_T4_T5_T6_T7_T9_mT8_P12ihipStream_tbDpT10_ENKUlT_T0_E_clISt17integral_constantIbLb0EES1A_IbLb1EEEEDaS16_S17_EUlS16_E_NS1_11comp_targetILNS1_3genE5ELNS1_11target_archE942ELNS1_3gpuE9ELNS1_3repE0EEENS1_30default_config_static_selectorELNS0_4arch9wavefront6targetE0EEEvT1_, .Lfunc_end347-_ZN7rocprim17ROCPRIM_400000_NS6detail17trampoline_kernelINS0_14default_configENS1_25partition_config_selectorILNS1_17partition_subalgoE5ElNS0_10empty_typeEbEEZZNS1_14partition_implILS5_5ELb0ES3_mN6hipcub16HIPCUB_304000_NS21CountingInputIteratorIllEEPS6_NSA_22TransformInputIteratorIbN2at6native12_GLOBAL__N_19NonZeroOpIsEEPKslEENS0_5tupleIJPlS6_EEENSN_IJSD_SD_EEES6_PiJS6_EEE10hipError_tPvRmT3_T4_T5_T6_T7_T9_mT8_P12ihipStream_tbDpT10_ENKUlT_T0_E_clISt17integral_constantIbLb0EES1A_IbLb1EEEEDaS16_S17_EUlS16_E_NS1_11comp_targetILNS1_3genE5ELNS1_11target_archE942ELNS1_3gpuE9ELNS1_3repE0EEENS1_30default_config_static_selectorELNS0_4arch9wavefront6targetE0EEEvT1_
                                        ; -- End function
	.set _ZN7rocprim17ROCPRIM_400000_NS6detail17trampoline_kernelINS0_14default_configENS1_25partition_config_selectorILNS1_17partition_subalgoE5ElNS0_10empty_typeEbEEZZNS1_14partition_implILS5_5ELb0ES3_mN6hipcub16HIPCUB_304000_NS21CountingInputIteratorIllEEPS6_NSA_22TransformInputIteratorIbN2at6native12_GLOBAL__N_19NonZeroOpIsEEPKslEENS0_5tupleIJPlS6_EEENSN_IJSD_SD_EEES6_PiJS6_EEE10hipError_tPvRmT3_T4_T5_T6_T7_T9_mT8_P12ihipStream_tbDpT10_ENKUlT_T0_E_clISt17integral_constantIbLb0EES1A_IbLb1EEEEDaS16_S17_EUlS16_E_NS1_11comp_targetILNS1_3genE5ELNS1_11target_archE942ELNS1_3gpuE9ELNS1_3repE0EEENS1_30default_config_static_selectorELNS0_4arch9wavefront6targetE0EEEvT1_.num_vgpr, 0
	.set _ZN7rocprim17ROCPRIM_400000_NS6detail17trampoline_kernelINS0_14default_configENS1_25partition_config_selectorILNS1_17partition_subalgoE5ElNS0_10empty_typeEbEEZZNS1_14partition_implILS5_5ELb0ES3_mN6hipcub16HIPCUB_304000_NS21CountingInputIteratorIllEEPS6_NSA_22TransformInputIteratorIbN2at6native12_GLOBAL__N_19NonZeroOpIsEEPKslEENS0_5tupleIJPlS6_EEENSN_IJSD_SD_EEES6_PiJS6_EEE10hipError_tPvRmT3_T4_T5_T6_T7_T9_mT8_P12ihipStream_tbDpT10_ENKUlT_T0_E_clISt17integral_constantIbLb0EES1A_IbLb1EEEEDaS16_S17_EUlS16_E_NS1_11comp_targetILNS1_3genE5ELNS1_11target_archE942ELNS1_3gpuE9ELNS1_3repE0EEENS1_30default_config_static_selectorELNS0_4arch9wavefront6targetE0EEEvT1_.num_agpr, 0
	.set _ZN7rocprim17ROCPRIM_400000_NS6detail17trampoline_kernelINS0_14default_configENS1_25partition_config_selectorILNS1_17partition_subalgoE5ElNS0_10empty_typeEbEEZZNS1_14partition_implILS5_5ELb0ES3_mN6hipcub16HIPCUB_304000_NS21CountingInputIteratorIllEEPS6_NSA_22TransformInputIteratorIbN2at6native12_GLOBAL__N_19NonZeroOpIsEEPKslEENS0_5tupleIJPlS6_EEENSN_IJSD_SD_EEES6_PiJS6_EEE10hipError_tPvRmT3_T4_T5_T6_T7_T9_mT8_P12ihipStream_tbDpT10_ENKUlT_T0_E_clISt17integral_constantIbLb0EES1A_IbLb1EEEEDaS16_S17_EUlS16_E_NS1_11comp_targetILNS1_3genE5ELNS1_11target_archE942ELNS1_3gpuE9ELNS1_3repE0EEENS1_30default_config_static_selectorELNS0_4arch9wavefront6targetE0EEEvT1_.numbered_sgpr, 0
	.set _ZN7rocprim17ROCPRIM_400000_NS6detail17trampoline_kernelINS0_14default_configENS1_25partition_config_selectorILNS1_17partition_subalgoE5ElNS0_10empty_typeEbEEZZNS1_14partition_implILS5_5ELb0ES3_mN6hipcub16HIPCUB_304000_NS21CountingInputIteratorIllEEPS6_NSA_22TransformInputIteratorIbN2at6native12_GLOBAL__N_19NonZeroOpIsEEPKslEENS0_5tupleIJPlS6_EEENSN_IJSD_SD_EEES6_PiJS6_EEE10hipError_tPvRmT3_T4_T5_T6_T7_T9_mT8_P12ihipStream_tbDpT10_ENKUlT_T0_E_clISt17integral_constantIbLb0EES1A_IbLb1EEEEDaS16_S17_EUlS16_E_NS1_11comp_targetILNS1_3genE5ELNS1_11target_archE942ELNS1_3gpuE9ELNS1_3repE0EEENS1_30default_config_static_selectorELNS0_4arch9wavefront6targetE0EEEvT1_.num_named_barrier, 0
	.set _ZN7rocprim17ROCPRIM_400000_NS6detail17trampoline_kernelINS0_14default_configENS1_25partition_config_selectorILNS1_17partition_subalgoE5ElNS0_10empty_typeEbEEZZNS1_14partition_implILS5_5ELb0ES3_mN6hipcub16HIPCUB_304000_NS21CountingInputIteratorIllEEPS6_NSA_22TransformInputIteratorIbN2at6native12_GLOBAL__N_19NonZeroOpIsEEPKslEENS0_5tupleIJPlS6_EEENSN_IJSD_SD_EEES6_PiJS6_EEE10hipError_tPvRmT3_T4_T5_T6_T7_T9_mT8_P12ihipStream_tbDpT10_ENKUlT_T0_E_clISt17integral_constantIbLb0EES1A_IbLb1EEEEDaS16_S17_EUlS16_E_NS1_11comp_targetILNS1_3genE5ELNS1_11target_archE942ELNS1_3gpuE9ELNS1_3repE0EEENS1_30default_config_static_selectorELNS0_4arch9wavefront6targetE0EEEvT1_.private_seg_size, 0
	.set _ZN7rocprim17ROCPRIM_400000_NS6detail17trampoline_kernelINS0_14default_configENS1_25partition_config_selectorILNS1_17partition_subalgoE5ElNS0_10empty_typeEbEEZZNS1_14partition_implILS5_5ELb0ES3_mN6hipcub16HIPCUB_304000_NS21CountingInputIteratorIllEEPS6_NSA_22TransformInputIteratorIbN2at6native12_GLOBAL__N_19NonZeroOpIsEEPKslEENS0_5tupleIJPlS6_EEENSN_IJSD_SD_EEES6_PiJS6_EEE10hipError_tPvRmT3_T4_T5_T6_T7_T9_mT8_P12ihipStream_tbDpT10_ENKUlT_T0_E_clISt17integral_constantIbLb0EES1A_IbLb1EEEEDaS16_S17_EUlS16_E_NS1_11comp_targetILNS1_3genE5ELNS1_11target_archE942ELNS1_3gpuE9ELNS1_3repE0EEENS1_30default_config_static_selectorELNS0_4arch9wavefront6targetE0EEEvT1_.uses_vcc, 0
	.set _ZN7rocprim17ROCPRIM_400000_NS6detail17trampoline_kernelINS0_14default_configENS1_25partition_config_selectorILNS1_17partition_subalgoE5ElNS0_10empty_typeEbEEZZNS1_14partition_implILS5_5ELb0ES3_mN6hipcub16HIPCUB_304000_NS21CountingInputIteratorIllEEPS6_NSA_22TransformInputIteratorIbN2at6native12_GLOBAL__N_19NonZeroOpIsEEPKslEENS0_5tupleIJPlS6_EEENSN_IJSD_SD_EEES6_PiJS6_EEE10hipError_tPvRmT3_T4_T5_T6_T7_T9_mT8_P12ihipStream_tbDpT10_ENKUlT_T0_E_clISt17integral_constantIbLb0EES1A_IbLb1EEEEDaS16_S17_EUlS16_E_NS1_11comp_targetILNS1_3genE5ELNS1_11target_archE942ELNS1_3gpuE9ELNS1_3repE0EEENS1_30default_config_static_selectorELNS0_4arch9wavefront6targetE0EEEvT1_.uses_flat_scratch, 0
	.set _ZN7rocprim17ROCPRIM_400000_NS6detail17trampoline_kernelINS0_14default_configENS1_25partition_config_selectorILNS1_17partition_subalgoE5ElNS0_10empty_typeEbEEZZNS1_14partition_implILS5_5ELb0ES3_mN6hipcub16HIPCUB_304000_NS21CountingInputIteratorIllEEPS6_NSA_22TransformInputIteratorIbN2at6native12_GLOBAL__N_19NonZeroOpIsEEPKslEENS0_5tupleIJPlS6_EEENSN_IJSD_SD_EEES6_PiJS6_EEE10hipError_tPvRmT3_T4_T5_T6_T7_T9_mT8_P12ihipStream_tbDpT10_ENKUlT_T0_E_clISt17integral_constantIbLb0EES1A_IbLb1EEEEDaS16_S17_EUlS16_E_NS1_11comp_targetILNS1_3genE5ELNS1_11target_archE942ELNS1_3gpuE9ELNS1_3repE0EEENS1_30default_config_static_selectorELNS0_4arch9wavefront6targetE0EEEvT1_.has_dyn_sized_stack, 0
	.set _ZN7rocprim17ROCPRIM_400000_NS6detail17trampoline_kernelINS0_14default_configENS1_25partition_config_selectorILNS1_17partition_subalgoE5ElNS0_10empty_typeEbEEZZNS1_14partition_implILS5_5ELb0ES3_mN6hipcub16HIPCUB_304000_NS21CountingInputIteratorIllEEPS6_NSA_22TransformInputIteratorIbN2at6native12_GLOBAL__N_19NonZeroOpIsEEPKslEENS0_5tupleIJPlS6_EEENSN_IJSD_SD_EEES6_PiJS6_EEE10hipError_tPvRmT3_T4_T5_T6_T7_T9_mT8_P12ihipStream_tbDpT10_ENKUlT_T0_E_clISt17integral_constantIbLb0EES1A_IbLb1EEEEDaS16_S17_EUlS16_E_NS1_11comp_targetILNS1_3genE5ELNS1_11target_archE942ELNS1_3gpuE9ELNS1_3repE0EEENS1_30default_config_static_selectorELNS0_4arch9wavefront6targetE0EEEvT1_.has_recursion, 0
	.set _ZN7rocprim17ROCPRIM_400000_NS6detail17trampoline_kernelINS0_14default_configENS1_25partition_config_selectorILNS1_17partition_subalgoE5ElNS0_10empty_typeEbEEZZNS1_14partition_implILS5_5ELb0ES3_mN6hipcub16HIPCUB_304000_NS21CountingInputIteratorIllEEPS6_NSA_22TransformInputIteratorIbN2at6native12_GLOBAL__N_19NonZeroOpIsEEPKslEENS0_5tupleIJPlS6_EEENSN_IJSD_SD_EEES6_PiJS6_EEE10hipError_tPvRmT3_T4_T5_T6_T7_T9_mT8_P12ihipStream_tbDpT10_ENKUlT_T0_E_clISt17integral_constantIbLb0EES1A_IbLb1EEEEDaS16_S17_EUlS16_E_NS1_11comp_targetILNS1_3genE5ELNS1_11target_archE942ELNS1_3gpuE9ELNS1_3repE0EEENS1_30default_config_static_selectorELNS0_4arch9wavefront6targetE0EEEvT1_.has_indirect_call, 0
	.section	.AMDGPU.csdata,"",@progbits
; Kernel info:
; codeLenInByte = 0
; TotalNumSgprs: 0
; NumVgprs: 0
; ScratchSize: 0
; MemoryBound: 0
; FloatMode: 240
; IeeeMode: 1
; LDSByteSize: 0 bytes/workgroup (compile time only)
; SGPRBlocks: 0
; VGPRBlocks: 0
; NumSGPRsForWavesPerEU: 1
; NumVGPRsForWavesPerEU: 1
; Occupancy: 16
; WaveLimiterHint : 0
; COMPUTE_PGM_RSRC2:SCRATCH_EN: 0
; COMPUTE_PGM_RSRC2:USER_SGPR: 2
; COMPUTE_PGM_RSRC2:TRAP_HANDLER: 0
; COMPUTE_PGM_RSRC2:TGID_X_EN: 1
; COMPUTE_PGM_RSRC2:TGID_Y_EN: 0
; COMPUTE_PGM_RSRC2:TGID_Z_EN: 0
; COMPUTE_PGM_RSRC2:TIDIG_COMP_CNT: 0
	.section	.text._ZN7rocprim17ROCPRIM_400000_NS6detail17trampoline_kernelINS0_14default_configENS1_25partition_config_selectorILNS1_17partition_subalgoE5ElNS0_10empty_typeEbEEZZNS1_14partition_implILS5_5ELb0ES3_mN6hipcub16HIPCUB_304000_NS21CountingInputIteratorIllEEPS6_NSA_22TransformInputIteratorIbN2at6native12_GLOBAL__N_19NonZeroOpIsEEPKslEENS0_5tupleIJPlS6_EEENSN_IJSD_SD_EEES6_PiJS6_EEE10hipError_tPvRmT3_T4_T5_T6_T7_T9_mT8_P12ihipStream_tbDpT10_ENKUlT_T0_E_clISt17integral_constantIbLb0EES1A_IbLb1EEEEDaS16_S17_EUlS16_E_NS1_11comp_targetILNS1_3genE4ELNS1_11target_archE910ELNS1_3gpuE8ELNS1_3repE0EEENS1_30default_config_static_selectorELNS0_4arch9wavefront6targetE0EEEvT1_,"axG",@progbits,_ZN7rocprim17ROCPRIM_400000_NS6detail17trampoline_kernelINS0_14default_configENS1_25partition_config_selectorILNS1_17partition_subalgoE5ElNS0_10empty_typeEbEEZZNS1_14partition_implILS5_5ELb0ES3_mN6hipcub16HIPCUB_304000_NS21CountingInputIteratorIllEEPS6_NSA_22TransformInputIteratorIbN2at6native12_GLOBAL__N_19NonZeroOpIsEEPKslEENS0_5tupleIJPlS6_EEENSN_IJSD_SD_EEES6_PiJS6_EEE10hipError_tPvRmT3_T4_T5_T6_T7_T9_mT8_P12ihipStream_tbDpT10_ENKUlT_T0_E_clISt17integral_constantIbLb0EES1A_IbLb1EEEEDaS16_S17_EUlS16_E_NS1_11comp_targetILNS1_3genE4ELNS1_11target_archE910ELNS1_3gpuE8ELNS1_3repE0EEENS1_30default_config_static_selectorELNS0_4arch9wavefront6targetE0EEEvT1_,comdat
	.globl	_ZN7rocprim17ROCPRIM_400000_NS6detail17trampoline_kernelINS0_14default_configENS1_25partition_config_selectorILNS1_17partition_subalgoE5ElNS0_10empty_typeEbEEZZNS1_14partition_implILS5_5ELb0ES3_mN6hipcub16HIPCUB_304000_NS21CountingInputIteratorIllEEPS6_NSA_22TransformInputIteratorIbN2at6native12_GLOBAL__N_19NonZeroOpIsEEPKslEENS0_5tupleIJPlS6_EEENSN_IJSD_SD_EEES6_PiJS6_EEE10hipError_tPvRmT3_T4_T5_T6_T7_T9_mT8_P12ihipStream_tbDpT10_ENKUlT_T0_E_clISt17integral_constantIbLb0EES1A_IbLb1EEEEDaS16_S17_EUlS16_E_NS1_11comp_targetILNS1_3genE4ELNS1_11target_archE910ELNS1_3gpuE8ELNS1_3repE0EEENS1_30default_config_static_selectorELNS0_4arch9wavefront6targetE0EEEvT1_ ; -- Begin function _ZN7rocprim17ROCPRIM_400000_NS6detail17trampoline_kernelINS0_14default_configENS1_25partition_config_selectorILNS1_17partition_subalgoE5ElNS0_10empty_typeEbEEZZNS1_14partition_implILS5_5ELb0ES3_mN6hipcub16HIPCUB_304000_NS21CountingInputIteratorIllEEPS6_NSA_22TransformInputIteratorIbN2at6native12_GLOBAL__N_19NonZeroOpIsEEPKslEENS0_5tupleIJPlS6_EEENSN_IJSD_SD_EEES6_PiJS6_EEE10hipError_tPvRmT3_T4_T5_T6_T7_T9_mT8_P12ihipStream_tbDpT10_ENKUlT_T0_E_clISt17integral_constantIbLb0EES1A_IbLb1EEEEDaS16_S17_EUlS16_E_NS1_11comp_targetILNS1_3genE4ELNS1_11target_archE910ELNS1_3gpuE8ELNS1_3repE0EEENS1_30default_config_static_selectorELNS0_4arch9wavefront6targetE0EEEvT1_
	.p2align	8
	.type	_ZN7rocprim17ROCPRIM_400000_NS6detail17trampoline_kernelINS0_14default_configENS1_25partition_config_selectorILNS1_17partition_subalgoE5ElNS0_10empty_typeEbEEZZNS1_14partition_implILS5_5ELb0ES3_mN6hipcub16HIPCUB_304000_NS21CountingInputIteratorIllEEPS6_NSA_22TransformInputIteratorIbN2at6native12_GLOBAL__N_19NonZeroOpIsEEPKslEENS0_5tupleIJPlS6_EEENSN_IJSD_SD_EEES6_PiJS6_EEE10hipError_tPvRmT3_T4_T5_T6_T7_T9_mT8_P12ihipStream_tbDpT10_ENKUlT_T0_E_clISt17integral_constantIbLb0EES1A_IbLb1EEEEDaS16_S17_EUlS16_E_NS1_11comp_targetILNS1_3genE4ELNS1_11target_archE910ELNS1_3gpuE8ELNS1_3repE0EEENS1_30default_config_static_selectorELNS0_4arch9wavefront6targetE0EEEvT1_,@function
_ZN7rocprim17ROCPRIM_400000_NS6detail17trampoline_kernelINS0_14default_configENS1_25partition_config_selectorILNS1_17partition_subalgoE5ElNS0_10empty_typeEbEEZZNS1_14partition_implILS5_5ELb0ES3_mN6hipcub16HIPCUB_304000_NS21CountingInputIteratorIllEEPS6_NSA_22TransformInputIteratorIbN2at6native12_GLOBAL__N_19NonZeroOpIsEEPKslEENS0_5tupleIJPlS6_EEENSN_IJSD_SD_EEES6_PiJS6_EEE10hipError_tPvRmT3_T4_T5_T6_T7_T9_mT8_P12ihipStream_tbDpT10_ENKUlT_T0_E_clISt17integral_constantIbLb0EES1A_IbLb1EEEEDaS16_S17_EUlS16_E_NS1_11comp_targetILNS1_3genE4ELNS1_11target_archE910ELNS1_3gpuE8ELNS1_3repE0EEENS1_30default_config_static_selectorELNS0_4arch9wavefront6targetE0EEEvT1_: ; @_ZN7rocprim17ROCPRIM_400000_NS6detail17trampoline_kernelINS0_14default_configENS1_25partition_config_selectorILNS1_17partition_subalgoE5ElNS0_10empty_typeEbEEZZNS1_14partition_implILS5_5ELb0ES3_mN6hipcub16HIPCUB_304000_NS21CountingInputIteratorIllEEPS6_NSA_22TransformInputIteratorIbN2at6native12_GLOBAL__N_19NonZeroOpIsEEPKslEENS0_5tupleIJPlS6_EEENSN_IJSD_SD_EEES6_PiJS6_EEE10hipError_tPvRmT3_T4_T5_T6_T7_T9_mT8_P12ihipStream_tbDpT10_ENKUlT_T0_E_clISt17integral_constantIbLb0EES1A_IbLb1EEEEDaS16_S17_EUlS16_E_NS1_11comp_targetILNS1_3genE4ELNS1_11target_archE910ELNS1_3gpuE8ELNS1_3repE0EEENS1_30default_config_static_selectorELNS0_4arch9wavefront6targetE0EEEvT1_
; %bb.0:
	.section	.rodata,"a",@progbits
	.p2align	6, 0x0
	.amdhsa_kernel _ZN7rocprim17ROCPRIM_400000_NS6detail17trampoline_kernelINS0_14default_configENS1_25partition_config_selectorILNS1_17partition_subalgoE5ElNS0_10empty_typeEbEEZZNS1_14partition_implILS5_5ELb0ES3_mN6hipcub16HIPCUB_304000_NS21CountingInputIteratorIllEEPS6_NSA_22TransformInputIteratorIbN2at6native12_GLOBAL__N_19NonZeroOpIsEEPKslEENS0_5tupleIJPlS6_EEENSN_IJSD_SD_EEES6_PiJS6_EEE10hipError_tPvRmT3_T4_T5_T6_T7_T9_mT8_P12ihipStream_tbDpT10_ENKUlT_T0_E_clISt17integral_constantIbLb0EES1A_IbLb1EEEEDaS16_S17_EUlS16_E_NS1_11comp_targetILNS1_3genE4ELNS1_11target_archE910ELNS1_3gpuE8ELNS1_3repE0EEENS1_30default_config_static_selectorELNS0_4arch9wavefront6targetE0EEEvT1_
		.amdhsa_group_segment_fixed_size 0
		.amdhsa_private_segment_fixed_size 0
		.amdhsa_kernarg_size 136
		.amdhsa_user_sgpr_count 2
		.amdhsa_user_sgpr_dispatch_ptr 0
		.amdhsa_user_sgpr_queue_ptr 0
		.amdhsa_user_sgpr_kernarg_segment_ptr 1
		.amdhsa_user_sgpr_dispatch_id 0
		.amdhsa_user_sgpr_private_segment_size 0
		.amdhsa_wavefront_size32 1
		.amdhsa_uses_dynamic_stack 0
		.amdhsa_enable_private_segment 0
		.amdhsa_system_sgpr_workgroup_id_x 1
		.amdhsa_system_sgpr_workgroup_id_y 0
		.amdhsa_system_sgpr_workgroup_id_z 0
		.amdhsa_system_sgpr_workgroup_info 0
		.amdhsa_system_vgpr_workitem_id 0
		.amdhsa_next_free_vgpr 1
		.amdhsa_next_free_sgpr 1
		.amdhsa_reserve_vcc 0
		.amdhsa_float_round_mode_32 0
		.amdhsa_float_round_mode_16_64 0
		.amdhsa_float_denorm_mode_32 3
		.amdhsa_float_denorm_mode_16_64 3
		.amdhsa_fp16_overflow 0
		.amdhsa_workgroup_processor_mode 1
		.amdhsa_memory_ordered 1
		.amdhsa_forward_progress 1
		.amdhsa_inst_pref_size 0
		.amdhsa_round_robin_scheduling 0
		.amdhsa_exception_fp_ieee_invalid_op 0
		.amdhsa_exception_fp_denorm_src 0
		.amdhsa_exception_fp_ieee_div_zero 0
		.amdhsa_exception_fp_ieee_overflow 0
		.amdhsa_exception_fp_ieee_underflow 0
		.amdhsa_exception_fp_ieee_inexact 0
		.amdhsa_exception_int_div_zero 0
	.end_amdhsa_kernel
	.section	.text._ZN7rocprim17ROCPRIM_400000_NS6detail17trampoline_kernelINS0_14default_configENS1_25partition_config_selectorILNS1_17partition_subalgoE5ElNS0_10empty_typeEbEEZZNS1_14partition_implILS5_5ELb0ES3_mN6hipcub16HIPCUB_304000_NS21CountingInputIteratorIllEEPS6_NSA_22TransformInputIteratorIbN2at6native12_GLOBAL__N_19NonZeroOpIsEEPKslEENS0_5tupleIJPlS6_EEENSN_IJSD_SD_EEES6_PiJS6_EEE10hipError_tPvRmT3_T4_T5_T6_T7_T9_mT8_P12ihipStream_tbDpT10_ENKUlT_T0_E_clISt17integral_constantIbLb0EES1A_IbLb1EEEEDaS16_S17_EUlS16_E_NS1_11comp_targetILNS1_3genE4ELNS1_11target_archE910ELNS1_3gpuE8ELNS1_3repE0EEENS1_30default_config_static_selectorELNS0_4arch9wavefront6targetE0EEEvT1_,"axG",@progbits,_ZN7rocprim17ROCPRIM_400000_NS6detail17trampoline_kernelINS0_14default_configENS1_25partition_config_selectorILNS1_17partition_subalgoE5ElNS0_10empty_typeEbEEZZNS1_14partition_implILS5_5ELb0ES3_mN6hipcub16HIPCUB_304000_NS21CountingInputIteratorIllEEPS6_NSA_22TransformInputIteratorIbN2at6native12_GLOBAL__N_19NonZeroOpIsEEPKslEENS0_5tupleIJPlS6_EEENSN_IJSD_SD_EEES6_PiJS6_EEE10hipError_tPvRmT3_T4_T5_T6_T7_T9_mT8_P12ihipStream_tbDpT10_ENKUlT_T0_E_clISt17integral_constantIbLb0EES1A_IbLb1EEEEDaS16_S17_EUlS16_E_NS1_11comp_targetILNS1_3genE4ELNS1_11target_archE910ELNS1_3gpuE8ELNS1_3repE0EEENS1_30default_config_static_selectorELNS0_4arch9wavefront6targetE0EEEvT1_,comdat
.Lfunc_end348:
	.size	_ZN7rocprim17ROCPRIM_400000_NS6detail17trampoline_kernelINS0_14default_configENS1_25partition_config_selectorILNS1_17partition_subalgoE5ElNS0_10empty_typeEbEEZZNS1_14partition_implILS5_5ELb0ES3_mN6hipcub16HIPCUB_304000_NS21CountingInputIteratorIllEEPS6_NSA_22TransformInputIteratorIbN2at6native12_GLOBAL__N_19NonZeroOpIsEEPKslEENS0_5tupleIJPlS6_EEENSN_IJSD_SD_EEES6_PiJS6_EEE10hipError_tPvRmT3_T4_T5_T6_T7_T9_mT8_P12ihipStream_tbDpT10_ENKUlT_T0_E_clISt17integral_constantIbLb0EES1A_IbLb1EEEEDaS16_S17_EUlS16_E_NS1_11comp_targetILNS1_3genE4ELNS1_11target_archE910ELNS1_3gpuE8ELNS1_3repE0EEENS1_30default_config_static_selectorELNS0_4arch9wavefront6targetE0EEEvT1_, .Lfunc_end348-_ZN7rocprim17ROCPRIM_400000_NS6detail17trampoline_kernelINS0_14default_configENS1_25partition_config_selectorILNS1_17partition_subalgoE5ElNS0_10empty_typeEbEEZZNS1_14partition_implILS5_5ELb0ES3_mN6hipcub16HIPCUB_304000_NS21CountingInputIteratorIllEEPS6_NSA_22TransformInputIteratorIbN2at6native12_GLOBAL__N_19NonZeroOpIsEEPKslEENS0_5tupleIJPlS6_EEENSN_IJSD_SD_EEES6_PiJS6_EEE10hipError_tPvRmT3_T4_T5_T6_T7_T9_mT8_P12ihipStream_tbDpT10_ENKUlT_T0_E_clISt17integral_constantIbLb0EES1A_IbLb1EEEEDaS16_S17_EUlS16_E_NS1_11comp_targetILNS1_3genE4ELNS1_11target_archE910ELNS1_3gpuE8ELNS1_3repE0EEENS1_30default_config_static_selectorELNS0_4arch9wavefront6targetE0EEEvT1_
                                        ; -- End function
	.set _ZN7rocprim17ROCPRIM_400000_NS6detail17trampoline_kernelINS0_14default_configENS1_25partition_config_selectorILNS1_17partition_subalgoE5ElNS0_10empty_typeEbEEZZNS1_14partition_implILS5_5ELb0ES3_mN6hipcub16HIPCUB_304000_NS21CountingInputIteratorIllEEPS6_NSA_22TransformInputIteratorIbN2at6native12_GLOBAL__N_19NonZeroOpIsEEPKslEENS0_5tupleIJPlS6_EEENSN_IJSD_SD_EEES6_PiJS6_EEE10hipError_tPvRmT3_T4_T5_T6_T7_T9_mT8_P12ihipStream_tbDpT10_ENKUlT_T0_E_clISt17integral_constantIbLb0EES1A_IbLb1EEEEDaS16_S17_EUlS16_E_NS1_11comp_targetILNS1_3genE4ELNS1_11target_archE910ELNS1_3gpuE8ELNS1_3repE0EEENS1_30default_config_static_selectorELNS0_4arch9wavefront6targetE0EEEvT1_.num_vgpr, 0
	.set _ZN7rocprim17ROCPRIM_400000_NS6detail17trampoline_kernelINS0_14default_configENS1_25partition_config_selectorILNS1_17partition_subalgoE5ElNS0_10empty_typeEbEEZZNS1_14partition_implILS5_5ELb0ES3_mN6hipcub16HIPCUB_304000_NS21CountingInputIteratorIllEEPS6_NSA_22TransformInputIteratorIbN2at6native12_GLOBAL__N_19NonZeroOpIsEEPKslEENS0_5tupleIJPlS6_EEENSN_IJSD_SD_EEES6_PiJS6_EEE10hipError_tPvRmT3_T4_T5_T6_T7_T9_mT8_P12ihipStream_tbDpT10_ENKUlT_T0_E_clISt17integral_constantIbLb0EES1A_IbLb1EEEEDaS16_S17_EUlS16_E_NS1_11comp_targetILNS1_3genE4ELNS1_11target_archE910ELNS1_3gpuE8ELNS1_3repE0EEENS1_30default_config_static_selectorELNS0_4arch9wavefront6targetE0EEEvT1_.num_agpr, 0
	.set _ZN7rocprim17ROCPRIM_400000_NS6detail17trampoline_kernelINS0_14default_configENS1_25partition_config_selectorILNS1_17partition_subalgoE5ElNS0_10empty_typeEbEEZZNS1_14partition_implILS5_5ELb0ES3_mN6hipcub16HIPCUB_304000_NS21CountingInputIteratorIllEEPS6_NSA_22TransformInputIteratorIbN2at6native12_GLOBAL__N_19NonZeroOpIsEEPKslEENS0_5tupleIJPlS6_EEENSN_IJSD_SD_EEES6_PiJS6_EEE10hipError_tPvRmT3_T4_T5_T6_T7_T9_mT8_P12ihipStream_tbDpT10_ENKUlT_T0_E_clISt17integral_constantIbLb0EES1A_IbLb1EEEEDaS16_S17_EUlS16_E_NS1_11comp_targetILNS1_3genE4ELNS1_11target_archE910ELNS1_3gpuE8ELNS1_3repE0EEENS1_30default_config_static_selectorELNS0_4arch9wavefront6targetE0EEEvT1_.numbered_sgpr, 0
	.set _ZN7rocprim17ROCPRIM_400000_NS6detail17trampoline_kernelINS0_14default_configENS1_25partition_config_selectorILNS1_17partition_subalgoE5ElNS0_10empty_typeEbEEZZNS1_14partition_implILS5_5ELb0ES3_mN6hipcub16HIPCUB_304000_NS21CountingInputIteratorIllEEPS6_NSA_22TransformInputIteratorIbN2at6native12_GLOBAL__N_19NonZeroOpIsEEPKslEENS0_5tupleIJPlS6_EEENSN_IJSD_SD_EEES6_PiJS6_EEE10hipError_tPvRmT3_T4_T5_T6_T7_T9_mT8_P12ihipStream_tbDpT10_ENKUlT_T0_E_clISt17integral_constantIbLb0EES1A_IbLb1EEEEDaS16_S17_EUlS16_E_NS1_11comp_targetILNS1_3genE4ELNS1_11target_archE910ELNS1_3gpuE8ELNS1_3repE0EEENS1_30default_config_static_selectorELNS0_4arch9wavefront6targetE0EEEvT1_.num_named_barrier, 0
	.set _ZN7rocprim17ROCPRIM_400000_NS6detail17trampoline_kernelINS0_14default_configENS1_25partition_config_selectorILNS1_17partition_subalgoE5ElNS0_10empty_typeEbEEZZNS1_14partition_implILS5_5ELb0ES3_mN6hipcub16HIPCUB_304000_NS21CountingInputIteratorIllEEPS6_NSA_22TransformInputIteratorIbN2at6native12_GLOBAL__N_19NonZeroOpIsEEPKslEENS0_5tupleIJPlS6_EEENSN_IJSD_SD_EEES6_PiJS6_EEE10hipError_tPvRmT3_T4_T5_T6_T7_T9_mT8_P12ihipStream_tbDpT10_ENKUlT_T0_E_clISt17integral_constantIbLb0EES1A_IbLb1EEEEDaS16_S17_EUlS16_E_NS1_11comp_targetILNS1_3genE4ELNS1_11target_archE910ELNS1_3gpuE8ELNS1_3repE0EEENS1_30default_config_static_selectorELNS0_4arch9wavefront6targetE0EEEvT1_.private_seg_size, 0
	.set _ZN7rocprim17ROCPRIM_400000_NS6detail17trampoline_kernelINS0_14default_configENS1_25partition_config_selectorILNS1_17partition_subalgoE5ElNS0_10empty_typeEbEEZZNS1_14partition_implILS5_5ELb0ES3_mN6hipcub16HIPCUB_304000_NS21CountingInputIteratorIllEEPS6_NSA_22TransformInputIteratorIbN2at6native12_GLOBAL__N_19NonZeroOpIsEEPKslEENS0_5tupleIJPlS6_EEENSN_IJSD_SD_EEES6_PiJS6_EEE10hipError_tPvRmT3_T4_T5_T6_T7_T9_mT8_P12ihipStream_tbDpT10_ENKUlT_T0_E_clISt17integral_constantIbLb0EES1A_IbLb1EEEEDaS16_S17_EUlS16_E_NS1_11comp_targetILNS1_3genE4ELNS1_11target_archE910ELNS1_3gpuE8ELNS1_3repE0EEENS1_30default_config_static_selectorELNS0_4arch9wavefront6targetE0EEEvT1_.uses_vcc, 0
	.set _ZN7rocprim17ROCPRIM_400000_NS6detail17trampoline_kernelINS0_14default_configENS1_25partition_config_selectorILNS1_17partition_subalgoE5ElNS0_10empty_typeEbEEZZNS1_14partition_implILS5_5ELb0ES3_mN6hipcub16HIPCUB_304000_NS21CountingInputIteratorIllEEPS6_NSA_22TransformInputIteratorIbN2at6native12_GLOBAL__N_19NonZeroOpIsEEPKslEENS0_5tupleIJPlS6_EEENSN_IJSD_SD_EEES6_PiJS6_EEE10hipError_tPvRmT3_T4_T5_T6_T7_T9_mT8_P12ihipStream_tbDpT10_ENKUlT_T0_E_clISt17integral_constantIbLb0EES1A_IbLb1EEEEDaS16_S17_EUlS16_E_NS1_11comp_targetILNS1_3genE4ELNS1_11target_archE910ELNS1_3gpuE8ELNS1_3repE0EEENS1_30default_config_static_selectorELNS0_4arch9wavefront6targetE0EEEvT1_.uses_flat_scratch, 0
	.set _ZN7rocprim17ROCPRIM_400000_NS6detail17trampoline_kernelINS0_14default_configENS1_25partition_config_selectorILNS1_17partition_subalgoE5ElNS0_10empty_typeEbEEZZNS1_14partition_implILS5_5ELb0ES3_mN6hipcub16HIPCUB_304000_NS21CountingInputIteratorIllEEPS6_NSA_22TransformInputIteratorIbN2at6native12_GLOBAL__N_19NonZeroOpIsEEPKslEENS0_5tupleIJPlS6_EEENSN_IJSD_SD_EEES6_PiJS6_EEE10hipError_tPvRmT3_T4_T5_T6_T7_T9_mT8_P12ihipStream_tbDpT10_ENKUlT_T0_E_clISt17integral_constantIbLb0EES1A_IbLb1EEEEDaS16_S17_EUlS16_E_NS1_11comp_targetILNS1_3genE4ELNS1_11target_archE910ELNS1_3gpuE8ELNS1_3repE0EEENS1_30default_config_static_selectorELNS0_4arch9wavefront6targetE0EEEvT1_.has_dyn_sized_stack, 0
	.set _ZN7rocprim17ROCPRIM_400000_NS6detail17trampoline_kernelINS0_14default_configENS1_25partition_config_selectorILNS1_17partition_subalgoE5ElNS0_10empty_typeEbEEZZNS1_14partition_implILS5_5ELb0ES3_mN6hipcub16HIPCUB_304000_NS21CountingInputIteratorIllEEPS6_NSA_22TransformInputIteratorIbN2at6native12_GLOBAL__N_19NonZeroOpIsEEPKslEENS0_5tupleIJPlS6_EEENSN_IJSD_SD_EEES6_PiJS6_EEE10hipError_tPvRmT3_T4_T5_T6_T7_T9_mT8_P12ihipStream_tbDpT10_ENKUlT_T0_E_clISt17integral_constantIbLb0EES1A_IbLb1EEEEDaS16_S17_EUlS16_E_NS1_11comp_targetILNS1_3genE4ELNS1_11target_archE910ELNS1_3gpuE8ELNS1_3repE0EEENS1_30default_config_static_selectorELNS0_4arch9wavefront6targetE0EEEvT1_.has_recursion, 0
	.set _ZN7rocprim17ROCPRIM_400000_NS6detail17trampoline_kernelINS0_14default_configENS1_25partition_config_selectorILNS1_17partition_subalgoE5ElNS0_10empty_typeEbEEZZNS1_14partition_implILS5_5ELb0ES3_mN6hipcub16HIPCUB_304000_NS21CountingInputIteratorIllEEPS6_NSA_22TransformInputIteratorIbN2at6native12_GLOBAL__N_19NonZeroOpIsEEPKslEENS0_5tupleIJPlS6_EEENSN_IJSD_SD_EEES6_PiJS6_EEE10hipError_tPvRmT3_T4_T5_T6_T7_T9_mT8_P12ihipStream_tbDpT10_ENKUlT_T0_E_clISt17integral_constantIbLb0EES1A_IbLb1EEEEDaS16_S17_EUlS16_E_NS1_11comp_targetILNS1_3genE4ELNS1_11target_archE910ELNS1_3gpuE8ELNS1_3repE0EEENS1_30default_config_static_selectorELNS0_4arch9wavefront6targetE0EEEvT1_.has_indirect_call, 0
	.section	.AMDGPU.csdata,"",@progbits
; Kernel info:
; codeLenInByte = 0
; TotalNumSgprs: 0
; NumVgprs: 0
; ScratchSize: 0
; MemoryBound: 0
; FloatMode: 240
; IeeeMode: 1
; LDSByteSize: 0 bytes/workgroup (compile time only)
; SGPRBlocks: 0
; VGPRBlocks: 0
; NumSGPRsForWavesPerEU: 1
; NumVGPRsForWavesPerEU: 1
; Occupancy: 16
; WaveLimiterHint : 0
; COMPUTE_PGM_RSRC2:SCRATCH_EN: 0
; COMPUTE_PGM_RSRC2:USER_SGPR: 2
; COMPUTE_PGM_RSRC2:TRAP_HANDLER: 0
; COMPUTE_PGM_RSRC2:TGID_X_EN: 1
; COMPUTE_PGM_RSRC2:TGID_Y_EN: 0
; COMPUTE_PGM_RSRC2:TGID_Z_EN: 0
; COMPUTE_PGM_RSRC2:TIDIG_COMP_CNT: 0
	.section	.text._ZN7rocprim17ROCPRIM_400000_NS6detail17trampoline_kernelINS0_14default_configENS1_25partition_config_selectorILNS1_17partition_subalgoE5ElNS0_10empty_typeEbEEZZNS1_14partition_implILS5_5ELb0ES3_mN6hipcub16HIPCUB_304000_NS21CountingInputIteratorIllEEPS6_NSA_22TransformInputIteratorIbN2at6native12_GLOBAL__N_19NonZeroOpIsEEPKslEENS0_5tupleIJPlS6_EEENSN_IJSD_SD_EEES6_PiJS6_EEE10hipError_tPvRmT3_T4_T5_T6_T7_T9_mT8_P12ihipStream_tbDpT10_ENKUlT_T0_E_clISt17integral_constantIbLb0EES1A_IbLb1EEEEDaS16_S17_EUlS16_E_NS1_11comp_targetILNS1_3genE3ELNS1_11target_archE908ELNS1_3gpuE7ELNS1_3repE0EEENS1_30default_config_static_selectorELNS0_4arch9wavefront6targetE0EEEvT1_,"axG",@progbits,_ZN7rocprim17ROCPRIM_400000_NS6detail17trampoline_kernelINS0_14default_configENS1_25partition_config_selectorILNS1_17partition_subalgoE5ElNS0_10empty_typeEbEEZZNS1_14partition_implILS5_5ELb0ES3_mN6hipcub16HIPCUB_304000_NS21CountingInputIteratorIllEEPS6_NSA_22TransformInputIteratorIbN2at6native12_GLOBAL__N_19NonZeroOpIsEEPKslEENS0_5tupleIJPlS6_EEENSN_IJSD_SD_EEES6_PiJS6_EEE10hipError_tPvRmT3_T4_T5_T6_T7_T9_mT8_P12ihipStream_tbDpT10_ENKUlT_T0_E_clISt17integral_constantIbLb0EES1A_IbLb1EEEEDaS16_S17_EUlS16_E_NS1_11comp_targetILNS1_3genE3ELNS1_11target_archE908ELNS1_3gpuE7ELNS1_3repE0EEENS1_30default_config_static_selectorELNS0_4arch9wavefront6targetE0EEEvT1_,comdat
	.globl	_ZN7rocprim17ROCPRIM_400000_NS6detail17trampoline_kernelINS0_14default_configENS1_25partition_config_selectorILNS1_17partition_subalgoE5ElNS0_10empty_typeEbEEZZNS1_14partition_implILS5_5ELb0ES3_mN6hipcub16HIPCUB_304000_NS21CountingInputIteratorIllEEPS6_NSA_22TransformInputIteratorIbN2at6native12_GLOBAL__N_19NonZeroOpIsEEPKslEENS0_5tupleIJPlS6_EEENSN_IJSD_SD_EEES6_PiJS6_EEE10hipError_tPvRmT3_T4_T5_T6_T7_T9_mT8_P12ihipStream_tbDpT10_ENKUlT_T0_E_clISt17integral_constantIbLb0EES1A_IbLb1EEEEDaS16_S17_EUlS16_E_NS1_11comp_targetILNS1_3genE3ELNS1_11target_archE908ELNS1_3gpuE7ELNS1_3repE0EEENS1_30default_config_static_selectorELNS0_4arch9wavefront6targetE0EEEvT1_ ; -- Begin function _ZN7rocprim17ROCPRIM_400000_NS6detail17trampoline_kernelINS0_14default_configENS1_25partition_config_selectorILNS1_17partition_subalgoE5ElNS0_10empty_typeEbEEZZNS1_14partition_implILS5_5ELb0ES3_mN6hipcub16HIPCUB_304000_NS21CountingInputIteratorIllEEPS6_NSA_22TransformInputIteratorIbN2at6native12_GLOBAL__N_19NonZeroOpIsEEPKslEENS0_5tupleIJPlS6_EEENSN_IJSD_SD_EEES6_PiJS6_EEE10hipError_tPvRmT3_T4_T5_T6_T7_T9_mT8_P12ihipStream_tbDpT10_ENKUlT_T0_E_clISt17integral_constantIbLb0EES1A_IbLb1EEEEDaS16_S17_EUlS16_E_NS1_11comp_targetILNS1_3genE3ELNS1_11target_archE908ELNS1_3gpuE7ELNS1_3repE0EEENS1_30default_config_static_selectorELNS0_4arch9wavefront6targetE0EEEvT1_
	.p2align	8
	.type	_ZN7rocprim17ROCPRIM_400000_NS6detail17trampoline_kernelINS0_14default_configENS1_25partition_config_selectorILNS1_17partition_subalgoE5ElNS0_10empty_typeEbEEZZNS1_14partition_implILS5_5ELb0ES3_mN6hipcub16HIPCUB_304000_NS21CountingInputIteratorIllEEPS6_NSA_22TransformInputIteratorIbN2at6native12_GLOBAL__N_19NonZeroOpIsEEPKslEENS0_5tupleIJPlS6_EEENSN_IJSD_SD_EEES6_PiJS6_EEE10hipError_tPvRmT3_T4_T5_T6_T7_T9_mT8_P12ihipStream_tbDpT10_ENKUlT_T0_E_clISt17integral_constantIbLb0EES1A_IbLb1EEEEDaS16_S17_EUlS16_E_NS1_11comp_targetILNS1_3genE3ELNS1_11target_archE908ELNS1_3gpuE7ELNS1_3repE0EEENS1_30default_config_static_selectorELNS0_4arch9wavefront6targetE0EEEvT1_,@function
_ZN7rocprim17ROCPRIM_400000_NS6detail17trampoline_kernelINS0_14default_configENS1_25partition_config_selectorILNS1_17partition_subalgoE5ElNS0_10empty_typeEbEEZZNS1_14partition_implILS5_5ELb0ES3_mN6hipcub16HIPCUB_304000_NS21CountingInputIteratorIllEEPS6_NSA_22TransformInputIteratorIbN2at6native12_GLOBAL__N_19NonZeroOpIsEEPKslEENS0_5tupleIJPlS6_EEENSN_IJSD_SD_EEES6_PiJS6_EEE10hipError_tPvRmT3_T4_T5_T6_T7_T9_mT8_P12ihipStream_tbDpT10_ENKUlT_T0_E_clISt17integral_constantIbLb0EES1A_IbLb1EEEEDaS16_S17_EUlS16_E_NS1_11comp_targetILNS1_3genE3ELNS1_11target_archE908ELNS1_3gpuE7ELNS1_3repE0EEENS1_30default_config_static_selectorELNS0_4arch9wavefront6targetE0EEEvT1_: ; @_ZN7rocprim17ROCPRIM_400000_NS6detail17trampoline_kernelINS0_14default_configENS1_25partition_config_selectorILNS1_17partition_subalgoE5ElNS0_10empty_typeEbEEZZNS1_14partition_implILS5_5ELb0ES3_mN6hipcub16HIPCUB_304000_NS21CountingInputIteratorIllEEPS6_NSA_22TransformInputIteratorIbN2at6native12_GLOBAL__N_19NonZeroOpIsEEPKslEENS0_5tupleIJPlS6_EEENSN_IJSD_SD_EEES6_PiJS6_EEE10hipError_tPvRmT3_T4_T5_T6_T7_T9_mT8_P12ihipStream_tbDpT10_ENKUlT_T0_E_clISt17integral_constantIbLb0EES1A_IbLb1EEEEDaS16_S17_EUlS16_E_NS1_11comp_targetILNS1_3genE3ELNS1_11target_archE908ELNS1_3gpuE7ELNS1_3repE0EEENS1_30default_config_static_selectorELNS0_4arch9wavefront6targetE0EEEvT1_
; %bb.0:
	.section	.rodata,"a",@progbits
	.p2align	6, 0x0
	.amdhsa_kernel _ZN7rocprim17ROCPRIM_400000_NS6detail17trampoline_kernelINS0_14default_configENS1_25partition_config_selectorILNS1_17partition_subalgoE5ElNS0_10empty_typeEbEEZZNS1_14partition_implILS5_5ELb0ES3_mN6hipcub16HIPCUB_304000_NS21CountingInputIteratorIllEEPS6_NSA_22TransformInputIteratorIbN2at6native12_GLOBAL__N_19NonZeroOpIsEEPKslEENS0_5tupleIJPlS6_EEENSN_IJSD_SD_EEES6_PiJS6_EEE10hipError_tPvRmT3_T4_T5_T6_T7_T9_mT8_P12ihipStream_tbDpT10_ENKUlT_T0_E_clISt17integral_constantIbLb0EES1A_IbLb1EEEEDaS16_S17_EUlS16_E_NS1_11comp_targetILNS1_3genE3ELNS1_11target_archE908ELNS1_3gpuE7ELNS1_3repE0EEENS1_30default_config_static_selectorELNS0_4arch9wavefront6targetE0EEEvT1_
		.amdhsa_group_segment_fixed_size 0
		.amdhsa_private_segment_fixed_size 0
		.amdhsa_kernarg_size 136
		.amdhsa_user_sgpr_count 2
		.amdhsa_user_sgpr_dispatch_ptr 0
		.amdhsa_user_sgpr_queue_ptr 0
		.amdhsa_user_sgpr_kernarg_segment_ptr 1
		.amdhsa_user_sgpr_dispatch_id 0
		.amdhsa_user_sgpr_private_segment_size 0
		.amdhsa_wavefront_size32 1
		.amdhsa_uses_dynamic_stack 0
		.amdhsa_enable_private_segment 0
		.amdhsa_system_sgpr_workgroup_id_x 1
		.amdhsa_system_sgpr_workgroup_id_y 0
		.amdhsa_system_sgpr_workgroup_id_z 0
		.amdhsa_system_sgpr_workgroup_info 0
		.amdhsa_system_vgpr_workitem_id 0
		.amdhsa_next_free_vgpr 1
		.amdhsa_next_free_sgpr 1
		.amdhsa_reserve_vcc 0
		.amdhsa_float_round_mode_32 0
		.amdhsa_float_round_mode_16_64 0
		.amdhsa_float_denorm_mode_32 3
		.amdhsa_float_denorm_mode_16_64 3
		.amdhsa_fp16_overflow 0
		.amdhsa_workgroup_processor_mode 1
		.amdhsa_memory_ordered 1
		.amdhsa_forward_progress 1
		.amdhsa_inst_pref_size 0
		.amdhsa_round_robin_scheduling 0
		.amdhsa_exception_fp_ieee_invalid_op 0
		.amdhsa_exception_fp_denorm_src 0
		.amdhsa_exception_fp_ieee_div_zero 0
		.amdhsa_exception_fp_ieee_overflow 0
		.amdhsa_exception_fp_ieee_underflow 0
		.amdhsa_exception_fp_ieee_inexact 0
		.amdhsa_exception_int_div_zero 0
	.end_amdhsa_kernel
	.section	.text._ZN7rocprim17ROCPRIM_400000_NS6detail17trampoline_kernelINS0_14default_configENS1_25partition_config_selectorILNS1_17partition_subalgoE5ElNS0_10empty_typeEbEEZZNS1_14partition_implILS5_5ELb0ES3_mN6hipcub16HIPCUB_304000_NS21CountingInputIteratorIllEEPS6_NSA_22TransformInputIteratorIbN2at6native12_GLOBAL__N_19NonZeroOpIsEEPKslEENS0_5tupleIJPlS6_EEENSN_IJSD_SD_EEES6_PiJS6_EEE10hipError_tPvRmT3_T4_T5_T6_T7_T9_mT8_P12ihipStream_tbDpT10_ENKUlT_T0_E_clISt17integral_constantIbLb0EES1A_IbLb1EEEEDaS16_S17_EUlS16_E_NS1_11comp_targetILNS1_3genE3ELNS1_11target_archE908ELNS1_3gpuE7ELNS1_3repE0EEENS1_30default_config_static_selectorELNS0_4arch9wavefront6targetE0EEEvT1_,"axG",@progbits,_ZN7rocprim17ROCPRIM_400000_NS6detail17trampoline_kernelINS0_14default_configENS1_25partition_config_selectorILNS1_17partition_subalgoE5ElNS0_10empty_typeEbEEZZNS1_14partition_implILS5_5ELb0ES3_mN6hipcub16HIPCUB_304000_NS21CountingInputIteratorIllEEPS6_NSA_22TransformInputIteratorIbN2at6native12_GLOBAL__N_19NonZeroOpIsEEPKslEENS0_5tupleIJPlS6_EEENSN_IJSD_SD_EEES6_PiJS6_EEE10hipError_tPvRmT3_T4_T5_T6_T7_T9_mT8_P12ihipStream_tbDpT10_ENKUlT_T0_E_clISt17integral_constantIbLb0EES1A_IbLb1EEEEDaS16_S17_EUlS16_E_NS1_11comp_targetILNS1_3genE3ELNS1_11target_archE908ELNS1_3gpuE7ELNS1_3repE0EEENS1_30default_config_static_selectorELNS0_4arch9wavefront6targetE0EEEvT1_,comdat
.Lfunc_end349:
	.size	_ZN7rocprim17ROCPRIM_400000_NS6detail17trampoline_kernelINS0_14default_configENS1_25partition_config_selectorILNS1_17partition_subalgoE5ElNS0_10empty_typeEbEEZZNS1_14partition_implILS5_5ELb0ES3_mN6hipcub16HIPCUB_304000_NS21CountingInputIteratorIllEEPS6_NSA_22TransformInputIteratorIbN2at6native12_GLOBAL__N_19NonZeroOpIsEEPKslEENS0_5tupleIJPlS6_EEENSN_IJSD_SD_EEES6_PiJS6_EEE10hipError_tPvRmT3_T4_T5_T6_T7_T9_mT8_P12ihipStream_tbDpT10_ENKUlT_T0_E_clISt17integral_constantIbLb0EES1A_IbLb1EEEEDaS16_S17_EUlS16_E_NS1_11comp_targetILNS1_3genE3ELNS1_11target_archE908ELNS1_3gpuE7ELNS1_3repE0EEENS1_30default_config_static_selectorELNS0_4arch9wavefront6targetE0EEEvT1_, .Lfunc_end349-_ZN7rocprim17ROCPRIM_400000_NS6detail17trampoline_kernelINS0_14default_configENS1_25partition_config_selectorILNS1_17partition_subalgoE5ElNS0_10empty_typeEbEEZZNS1_14partition_implILS5_5ELb0ES3_mN6hipcub16HIPCUB_304000_NS21CountingInputIteratorIllEEPS6_NSA_22TransformInputIteratorIbN2at6native12_GLOBAL__N_19NonZeroOpIsEEPKslEENS0_5tupleIJPlS6_EEENSN_IJSD_SD_EEES6_PiJS6_EEE10hipError_tPvRmT3_T4_T5_T6_T7_T9_mT8_P12ihipStream_tbDpT10_ENKUlT_T0_E_clISt17integral_constantIbLb0EES1A_IbLb1EEEEDaS16_S17_EUlS16_E_NS1_11comp_targetILNS1_3genE3ELNS1_11target_archE908ELNS1_3gpuE7ELNS1_3repE0EEENS1_30default_config_static_selectorELNS0_4arch9wavefront6targetE0EEEvT1_
                                        ; -- End function
	.set _ZN7rocprim17ROCPRIM_400000_NS6detail17trampoline_kernelINS0_14default_configENS1_25partition_config_selectorILNS1_17partition_subalgoE5ElNS0_10empty_typeEbEEZZNS1_14partition_implILS5_5ELb0ES3_mN6hipcub16HIPCUB_304000_NS21CountingInputIteratorIllEEPS6_NSA_22TransformInputIteratorIbN2at6native12_GLOBAL__N_19NonZeroOpIsEEPKslEENS0_5tupleIJPlS6_EEENSN_IJSD_SD_EEES6_PiJS6_EEE10hipError_tPvRmT3_T4_T5_T6_T7_T9_mT8_P12ihipStream_tbDpT10_ENKUlT_T0_E_clISt17integral_constantIbLb0EES1A_IbLb1EEEEDaS16_S17_EUlS16_E_NS1_11comp_targetILNS1_3genE3ELNS1_11target_archE908ELNS1_3gpuE7ELNS1_3repE0EEENS1_30default_config_static_selectorELNS0_4arch9wavefront6targetE0EEEvT1_.num_vgpr, 0
	.set _ZN7rocprim17ROCPRIM_400000_NS6detail17trampoline_kernelINS0_14default_configENS1_25partition_config_selectorILNS1_17partition_subalgoE5ElNS0_10empty_typeEbEEZZNS1_14partition_implILS5_5ELb0ES3_mN6hipcub16HIPCUB_304000_NS21CountingInputIteratorIllEEPS6_NSA_22TransformInputIteratorIbN2at6native12_GLOBAL__N_19NonZeroOpIsEEPKslEENS0_5tupleIJPlS6_EEENSN_IJSD_SD_EEES6_PiJS6_EEE10hipError_tPvRmT3_T4_T5_T6_T7_T9_mT8_P12ihipStream_tbDpT10_ENKUlT_T0_E_clISt17integral_constantIbLb0EES1A_IbLb1EEEEDaS16_S17_EUlS16_E_NS1_11comp_targetILNS1_3genE3ELNS1_11target_archE908ELNS1_3gpuE7ELNS1_3repE0EEENS1_30default_config_static_selectorELNS0_4arch9wavefront6targetE0EEEvT1_.num_agpr, 0
	.set _ZN7rocprim17ROCPRIM_400000_NS6detail17trampoline_kernelINS0_14default_configENS1_25partition_config_selectorILNS1_17partition_subalgoE5ElNS0_10empty_typeEbEEZZNS1_14partition_implILS5_5ELb0ES3_mN6hipcub16HIPCUB_304000_NS21CountingInputIteratorIllEEPS6_NSA_22TransformInputIteratorIbN2at6native12_GLOBAL__N_19NonZeroOpIsEEPKslEENS0_5tupleIJPlS6_EEENSN_IJSD_SD_EEES6_PiJS6_EEE10hipError_tPvRmT3_T4_T5_T6_T7_T9_mT8_P12ihipStream_tbDpT10_ENKUlT_T0_E_clISt17integral_constantIbLb0EES1A_IbLb1EEEEDaS16_S17_EUlS16_E_NS1_11comp_targetILNS1_3genE3ELNS1_11target_archE908ELNS1_3gpuE7ELNS1_3repE0EEENS1_30default_config_static_selectorELNS0_4arch9wavefront6targetE0EEEvT1_.numbered_sgpr, 0
	.set _ZN7rocprim17ROCPRIM_400000_NS6detail17trampoline_kernelINS0_14default_configENS1_25partition_config_selectorILNS1_17partition_subalgoE5ElNS0_10empty_typeEbEEZZNS1_14partition_implILS5_5ELb0ES3_mN6hipcub16HIPCUB_304000_NS21CountingInputIteratorIllEEPS6_NSA_22TransformInputIteratorIbN2at6native12_GLOBAL__N_19NonZeroOpIsEEPKslEENS0_5tupleIJPlS6_EEENSN_IJSD_SD_EEES6_PiJS6_EEE10hipError_tPvRmT3_T4_T5_T6_T7_T9_mT8_P12ihipStream_tbDpT10_ENKUlT_T0_E_clISt17integral_constantIbLb0EES1A_IbLb1EEEEDaS16_S17_EUlS16_E_NS1_11comp_targetILNS1_3genE3ELNS1_11target_archE908ELNS1_3gpuE7ELNS1_3repE0EEENS1_30default_config_static_selectorELNS0_4arch9wavefront6targetE0EEEvT1_.num_named_barrier, 0
	.set _ZN7rocprim17ROCPRIM_400000_NS6detail17trampoline_kernelINS0_14default_configENS1_25partition_config_selectorILNS1_17partition_subalgoE5ElNS0_10empty_typeEbEEZZNS1_14partition_implILS5_5ELb0ES3_mN6hipcub16HIPCUB_304000_NS21CountingInputIteratorIllEEPS6_NSA_22TransformInputIteratorIbN2at6native12_GLOBAL__N_19NonZeroOpIsEEPKslEENS0_5tupleIJPlS6_EEENSN_IJSD_SD_EEES6_PiJS6_EEE10hipError_tPvRmT3_T4_T5_T6_T7_T9_mT8_P12ihipStream_tbDpT10_ENKUlT_T0_E_clISt17integral_constantIbLb0EES1A_IbLb1EEEEDaS16_S17_EUlS16_E_NS1_11comp_targetILNS1_3genE3ELNS1_11target_archE908ELNS1_3gpuE7ELNS1_3repE0EEENS1_30default_config_static_selectorELNS0_4arch9wavefront6targetE0EEEvT1_.private_seg_size, 0
	.set _ZN7rocprim17ROCPRIM_400000_NS6detail17trampoline_kernelINS0_14default_configENS1_25partition_config_selectorILNS1_17partition_subalgoE5ElNS0_10empty_typeEbEEZZNS1_14partition_implILS5_5ELb0ES3_mN6hipcub16HIPCUB_304000_NS21CountingInputIteratorIllEEPS6_NSA_22TransformInputIteratorIbN2at6native12_GLOBAL__N_19NonZeroOpIsEEPKslEENS0_5tupleIJPlS6_EEENSN_IJSD_SD_EEES6_PiJS6_EEE10hipError_tPvRmT3_T4_T5_T6_T7_T9_mT8_P12ihipStream_tbDpT10_ENKUlT_T0_E_clISt17integral_constantIbLb0EES1A_IbLb1EEEEDaS16_S17_EUlS16_E_NS1_11comp_targetILNS1_3genE3ELNS1_11target_archE908ELNS1_3gpuE7ELNS1_3repE0EEENS1_30default_config_static_selectorELNS0_4arch9wavefront6targetE0EEEvT1_.uses_vcc, 0
	.set _ZN7rocprim17ROCPRIM_400000_NS6detail17trampoline_kernelINS0_14default_configENS1_25partition_config_selectorILNS1_17partition_subalgoE5ElNS0_10empty_typeEbEEZZNS1_14partition_implILS5_5ELb0ES3_mN6hipcub16HIPCUB_304000_NS21CountingInputIteratorIllEEPS6_NSA_22TransformInputIteratorIbN2at6native12_GLOBAL__N_19NonZeroOpIsEEPKslEENS0_5tupleIJPlS6_EEENSN_IJSD_SD_EEES6_PiJS6_EEE10hipError_tPvRmT3_T4_T5_T6_T7_T9_mT8_P12ihipStream_tbDpT10_ENKUlT_T0_E_clISt17integral_constantIbLb0EES1A_IbLb1EEEEDaS16_S17_EUlS16_E_NS1_11comp_targetILNS1_3genE3ELNS1_11target_archE908ELNS1_3gpuE7ELNS1_3repE0EEENS1_30default_config_static_selectorELNS0_4arch9wavefront6targetE0EEEvT1_.uses_flat_scratch, 0
	.set _ZN7rocprim17ROCPRIM_400000_NS6detail17trampoline_kernelINS0_14default_configENS1_25partition_config_selectorILNS1_17partition_subalgoE5ElNS0_10empty_typeEbEEZZNS1_14partition_implILS5_5ELb0ES3_mN6hipcub16HIPCUB_304000_NS21CountingInputIteratorIllEEPS6_NSA_22TransformInputIteratorIbN2at6native12_GLOBAL__N_19NonZeroOpIsEEPKslEENS0_5tupleIJPlS6_EEENSN_IJSD_SD_EEES6_PiJS6_EEE10hipError_tPvRmT3_T4_T5_T6_T7_T9_mT8_P12ihipStream_tbDpT10_ENKUlT_T0_E_clISt17integral_constantIbLb0EES1A_IbLb1EEEEDaS16_S17_EUlS16_E_NS1_11comp_targetILNS1_3genE3ELNS1_11target_archE908ELNS1_3gpuE7ELNS1_3repE0EEENS1_30default_config_static_selectorELNS0_4arch9wavefront6targetE0EEEvT1_.has_dyn_sized_stack, 0
	.set _ZN7rocprim17ROCPRIM_400000_NS6detail17trampoline_kernelINS0_14default_configENS1_25partition_config_selectorILNS1_17partition_subalgoE5ElNS0_10empty_typeEbEEZZNS1_14partition_implILS5_5ELb0ES3_mN6hipcub16HIPCUB_304000_NS21CountingInputIteratorIllEEPS6_NSA_22TransformInputIteratorIbN2at6native12_GLOBAL__N_19NonZeroOpIsEEPKslEENS0_5tupleIJPlS6_EEENSN_IJSD_SD_EEES6_PiJS6_EEE10hipError_tPvRmT3_T4_T5_T6_T7_T9_mT8_P12ihipStream_tbDpT10_ENKUlT_T0_E_clISt17integral_constantIbLb0EES1A_IbLb1EEEEDaS16_S17_EUlS16_E_NS1_11comp_targetILNS1_3genE3ELNS1_11target_archE908ELNS1_3gpuE7ELNS1_3repE0EEENS1_30default_config_static_selectorELNS0_4arch9wavefront6targetE0EEEvT1_.has_recursion, 0
	.set _ZN7rocprim17ROCPRIM_400000_NS6detail17trampoline_kernelINS0_14default_configENS1_25partition_config_selectorILNS1_17partition_subalgoE5ElNS0_10empty_typeEbEEZZNS1_14partition_implILS5_5ELb0ES3_mN6hipcub16HIPCUB_304000_NS21CountingInputIteratorIllEEPS6_NSA_22TransformInputIteratorIbN2at6native12_GLOBAL__N_19NonZeroOpIsEEPKslEENS0_5tupleIJPlS6_EEENSN_IJSD_SD_EEES6_PiJS6_EEE10hipError_tPvRmT3_T4_T5_T6_T7_T9_mT8_P12ihipStream_tbDpT10_ENKUlT_T0_E_clISt17integral_constantIbLb0EES1A_IbLb1EEEEDaS16_S17_EUlS16_E_NS1_11comp_targetILNS1_3genE3ELNS1_11target_archE908ELNS1_3gpuE7ELNS1_3repE0EEENS1_30default_config_static_selectorELNS0_4arch9wavefront6targetE0EEEvT1_.has_indirect_call, 0
	.section	.AMDGPU.csdata,"",@progbits
; Kernel info:
; codeLenInByte = 0
; TotalNumSgprs: 0
; NumVgprs: 0
; ScratchSize: 0
; MemoryBound: 0
; FloatMode: 240
; IeeeMode: 1
; LDSByteSize: 0 bytes/workgroup (compile time only)
; SGPRBlocks: 0
; VGPRBlocks: 0
; NumSGPRsForWavesPerEU: 1
; NumVGPRsForWavesPerEU: 1
; Occupancy: 16
; WaveLimiterHint : 0
; COMPUTE_PGM_RSRC2:SCRATCH_EN: 0
; COMPUTE_PGM_RSRC2:USER_SGPR: 2
; COMPUTE_PGM_RSRC2:TRAP_HANDLER: 0
; COMPUTE_PGM_RSRC2:TGID_X_EN: 1
; COMPUTE_PGM_RSRC2:TGID_Y_EN: 0
; COMPUTE_PGM_RSRC2:TGID_Z_EN: 0
; COMPUTE_PGM_RSRC2:TIDIG_COMP_CNT: 0
	.section	.text._ZN7rocprim17ROCPRIM_400000_NS6detail17trampoline_kernelINS0_14default_configENS1_25partition_config_selectorILNS1_17partition_subalgoE5ElNS0_10empty_typeEbEEZZNS1_14partition_implILS5_5ELb0ES3_mN6hipcub16HIPCUB_304000_NS21CountingInputIteratorIllEEPS6_NSA_22TransformInputIteratorIbN2at6native12_GLOBAL__N_19NonZeroOpIsEEPKslEENS0_5tupleIJPlS6_EEENSN_IJSD_SD_EEES6_PiJS6_EEE10hipError_tPvRmT3_T4_T5_T6_T7_T9_mT8_P12ihipStream_tbDpT10_ENKUlT_T0_E_clISt17integral_constantIbLb0EES1A_IbLb1EEEEDaS16_S17_EUlS16_E_NS1_11comp_targetILNS1_3genE2ELNS1_11target_archE906ELNS1_3gpuE6ELNS1_3repE0EEENS1_30default_config_static_selectorELNS0_4arch9wavefront6targetE0EEEvT1_,"axG",@progbits,_ZN7rocprim17ROCPRIM_400000_NS6detail17trampoline_kernelINS0_14default_configENS1_25partition_config_selectorILNS1_17partition_subalgoE5ElNS0_10empty_typeEbEEZZNS1_14partition_implILS5_5ELb0ES3_mN6hipcub16HIPCUB_304000_NS21CountingInputIteratorIllEEPS6_NSA_22TransformInputIteratorIbN2at6native12_GLOBAL__N_19NonZeroOpIsEEPKslEENS0_5tupleIJPlS6_EEENSN_IJSD_SD_EEES6_PiJS6_EEE10hipError_tPvRmT3_T4_T5_T6_T7_T9_mT8_P12ihipStream_tbDpT10_ENKUlT_T0_E_clISt17integral_constantIbLb0EES1A_IbLb1EEEEDaS16_S17_EUlS16_E_NS1_11comp_targetILNS1_3genE2ELNS1_11target_archE906ELNS1_3gpuE6ELNS1_3repE0EEENS1_30default_config_static_selectorELNS0_4arch9wavefront6targetE0EEEvT1_,comdat
	.globl	_ZN7rocprim17ROCPRIM_400000_NS6detail17trampoline_kernelINS0_14default_configENS1_25partition_config_selectorILNS1_17partition_subalgoE5ElNS0_10empty_typeEbEEZZNS1_14partition_implILS5_5ELb0ES3_mN6hipcub16HIPCUB_304000_NS21CountingInputIteratorIllEEPS6_NSA_22TransformInputIteratorIbN2at6native12_GLOBAL__N_19NonZeroOpIsEEPKslEENS0_5tupleIJPlS6_EEENSN_IJSD_SD_EEES6_PiJS6_EEE10hipError_tPvRmT3_T4_T5_T6_T7_T9_mT8_P12ihipStream_tbDpT10_ENKUlT_T0_E_clISt17integral_constantIbLb0EES1A_IbLb1EEEEDaS16_S17_EUlS16_E_NS1_11comp_targetILNS1_3genE2ELNS1_11target_archE906ELNS1_3gpuE6ELNS1_3repE0EEENS1_30default_config_static_selectorELNS0_4arch9wavefront6targetE0EEEvT1_ ; -- Begin function _ZN7rocprim17ROCPRIM_400000_NS6detail17trampoline_kernelINS0_14default_configENS1_25partition_config_selectorILNS1_17partition_subalgoE5ElNS0_10empty_typeEbEEZZNS1_14partition_implILS5_5ELb0ES3_mN6hipcub16HIPCUB_304000_NS21CountingInputIteratorIllEEPS6_NSA_22TransformInputIteratorIbN2at6native12_GLOBAL__N_19NonZeroOpIsEEPKslEENS0_5tupleIJPlS6_EEENSN_IJSD_SD_EEES6_PiJS6_EEE10hipError_tPvRmT3_T4_T5_T6_T7_T9_mT8_P12ihipStream_tbDpT10_ENKUlT_T0_E_clISt17integral_constantIbLb0EES1A_IbLb1EEEEDaS16_S17_EUlS16_E_NS1_11comp_targetILNS1_3genE2ELNS1_11target_archE906ELNS1_3gpuE6ELNS1_3repE0EEENS1_30default_config_static_selectorELNS0_4arch9wavefront6targetE0EEEvT1_
	.p2align	8
	.type	_ZN7rocprim17ROCPRIM_400000_NS6detail17trampoline_kernelINS0_14default_configENS1_25partition_config_selectorILNS1_17partition_subalgoE5ElNS0_10empty_typeEbEEZZNS1_14partition_implILS5_5ELb0ES3_mN6hipcub16HIPCUB_304000_NS21CountingInputIteratorIllEEPS6_NSA_22TransformInputIteratorIbN2at6native12_GLOBAL__N_19NonZeroOpIsEEPKslEENS0_5tupleIJPlS6_EEENSN_IJSD_SD_EEES6_PiJS6_EEE10hipError_tPvRmT3_T4_T5_T6_T7_T9_mT8_P12ihipStream_tbDpT10_ENKUlT_T0_E_clISt17integral_constantIbLb0EES1A_IbLb1EEEEDaS16_S17_EUlS16_E_NS1_11comp_targetILNS1_3genE2ELNS1_11target_archE906ELNS1_3gpuE6ELNS1_3repE0EEENS1_30default_config_static_selectorELNS0_4arch9wavefront6targetE0EEEvT1_,@function
_ZN7rocprim17ROCPRIM_400000_NS6detail17trampoline_kernelINS0_14default_configENS1_25partition_config_selectorILNS1_17partition_subalgoE5ElNS0_10empty_typeEbEEZZNS1_14partition_implILS5_5ELb0ES3_mN6hipcub16HIPCUB_304000_NS21CountingInputIteratorIllEEPS6_NSA_22TransformInputIteratorIbN2at6native12_GLOBAL__N_19NonZeroOpIsEEPKslEENS0_5tupleIJPlS6_EEENSN_IJSD_SD_EEES6_PiJS6_EEE10hipError_tPvRmT3_T4_T5_T6_T7_T9_mT8_P12ihipStream_tbDpT10_ENKUlT_T0_E_clISt17integral_constantIbLb0EES1A_IbLb1EEEEDaS16_S17_EUlS16_E_NS1_11comp_targetILNS1_3genE2ELNS1_11target_archE906ELNS1_3gpuE6ELNS1_3repE0EEENS1_30default_config_static_selectorELNS0_4arch9wavefront6targetE0EEEvT1_: ; @_ZN7rocprim17ROCPRIM_400000_NS6detail17trampoline_kernelINS0_14default_configENS1_25partition_config_selectorILNS1_17partition_subalgoE5ElNS0_10empty_typeEbEEZZNS1_14partition_implILS5_5ELb0ES3_mN6hipcub16HIPCUB_304000_NS21CountingInputIteratorIllEEPS6_NSA_22TransformInputIteratorIbN2at6native12_GLOBAL__N_19NonZeroOpIsEEPKslEENS0_5tupleIJPlS6_EEENSN_IJSD_SD_EEES6_PiJS6_EEE10hipError_tPvRmT3_T4_T5_T6_T7_T9_mT8_P12ihipStream_tbDpT10_ENKUlT_T0_E_clISt17integral_constantIbLb0EES1A_IbLb1EEEEDaS16_S17_EUlS16_E_NS1_11comp_targetILNS1_3genE2ELNS1_11target_archE906ELNS1_3gpuE6ELNS1_3repE0EEENS1_30default_config_static_selectorELNS0_4arch9wavefront6targetE0EEEvT1_
; %bb.0:
	.section	.rodata,"a",@progbits
	.p2align	6, 0x0
	.amdhsa_kernel _ZN7rocprim17ROCPRIM_400000_NS6detail17trampoline_kernelINS0_14default_configENS1_25partition_config_selectorILNS1_17partition_subalgoE5ElNS0_10empty_typeEbEEZZNS1_14partition_implILS5_5ELb0ES3_mN6hipcub16HIPCUB_304000_NS21CountingInputIteratorIllEEPS6_NSA_22TransformInputIteratorIbN2at6native12_GLOBAL__N_19NonZeroOpIsEEPKslEENS0_5tupleIJPlS6_EEENSN_IJSD_SD_EEES6_PiJS6_EEE10hipError_tPvRmT3_T4_T5_T6_T7_T9_mT8_P12ihipStream_tbDpT10_ENKUlT_T0_E_clISt17integral_constantIbLb0EES1A_IbLb1EEEEDaS16_S17_EUlS16_E_NS1_11comp_targetILNS1_3genE2ELNS1_11target_archE906ELNS1_3gpuE6ELNS1_3repE0EEENS1_30default_config_static_selectorELNS0_4arch9wavefront6targetE0EEEvT1_
		.amdhsa_group_segment_fixed_size 0
		.amdhsa_private_segment_fixed_size 0
		.amdhsa_kernarg_size 136
		.amdhsa_user_sgpr_count 2
		.amdhsa_user_sgpr_dispatch_ptr 0
		.amdhsa_user_sgpr_queue_ptr 0
		.amdhsa_user_sgpr_kernarg_segment_ptr 1
		.amdhsa_user_sgpr_dispatch_id 0
		.amdhsa_user_sgpr_private_segment_size 0
		.amdhsa_wavefront_size32 1
		.amdhsa_uses_dynamic_stack 0
		.amdhsa_enable_private_segment 0
		.amdhsa_system_sgpr_workgroup_id_x 1
		.amdhsa_system_sgpr_workgroup_id_y 0
		.amdhsa_system_sgpr_workgroup_id_z 0
		.amdhsa_system_sgpr_workgroup_info 0
		.amdhsa_system_vgpr_workitem_id 0
		.amdhsa_next_free_vgpr 1
		.amdhsa_next_free_sgpr 1
		.amdhsa_reserve_vcc 0
		.amdhsa_float_round_mode_32 0
		.amdhsa_float_round_mode_16_64 0
		.amdhsa_float_denorm_mode_32 3
		.amdhsa_float_denorm_mode_16_64 3
		.amdhsa_fp16_overflow 0
		.amdhsa_workgroup_processor_mode 1
		.amdhsa_memory_ordered 1
		.amdhsa_forward_progress 1
		.amdhsa_inst_pref_size 0
		.amdhsa_round_robin_scheduling 0
		.amdhsa_exception_fp_ieee_invalid_op 0
		.amdhsa_exception_fp_denorm_src 0
		.amdhsa_exception_fp_ieee_div_zero 0
		.amdhsa_exception_fp_ieee_overflow 0
		.amdhsa_exception_fp_ieee_underflow 0
		.amdhsa_exception_fp_ieee_inexact 0
		.amdhsa_exception_int_div_zero 0
	.end_amdhsa_kernel
	.section	.text._ZN7rocprim17ROCPRIM_400000_NS6detail17trampoline_kernelINS0_14default_configENS1_25partition_config_selectorILNS1_17partition_subalgoE5ElNS0_10empty_typeEbEEZZNS1_14partition_implILS5_5ELb0ES3_mN6hipcub16HIPCUB_304000_NS21CountingInputIteratorIllEEPS6_NSA_22TransformInputIteratorIbN2at6native12_GLOBAL__N_19NonZeroOpIsEEPKslEENS0_5tupleIJPlS6_EEENSN_IJSD_SD_EEES6_PiJS6_EEE10hipError_tPvRmT3_T4_T5_T6_T7_T9_mT8_P12ihipStream_tbDpT10_ENKUlT_T0_E_clISt17integral_constantIbLb0EES1A_IbLb1EEEEDaS16_S17_EUlS16_E_NS1_11comp_targetILNS1_3genE2ELNS1_11target_archE906ELNS1_3gpuE6ELNS1_3repE0EEENS1_30default_config_static_selectorELNS0_4arch9wavefront6targetE0EEEvT1_,"axG",@progbits,_ZN7rocprim17ROCPRIM_400000_NS6detail17trampoline_kernelINS0_14default_configENS1_25partition_config_selectorILNS1_17partition_subalgoE5ElNS0_10empty_typeEbEEZZNS1_14partition_implILS5_5ELb0ES3_mN6hipcub16HIPCUB_304000_NS21CountingInputIteratorIllEEPS6_NSA_22TransformInputIteratorIbN2at6native12_GLOBAL__N_19NonZeroOpIsEEPKslEENS0_5tupleIJPlS6_EEENSN_IJSD_SD_EEES6_PiJS6_EEE10hipError_tPvRmT3_T4_T5_T6_T7_T9_mT8_P12ihipStream_tbDpT10_ENKUlT_T0_E_clISt17integral_constantIbLb0EES1A_IbLb1EEEEDaS16_S17_EUlS16_E_NS1_11comp_targetILNS1_3genE2ELNS1_11target_archE906ELNS1_3gpuE6ELNS1_3repE0EEENS1_30default_config_static_selectorELNS0_4arch9wavefront6targetE0EEEvT1_,comdat
.Lfunc_end350:
	.size	_ZN7rocprim17ROCPRIM_400000_NS6detail17trampoline_kernelINS0_14default_configENS1_25partition_config_selectorILNS1_17partition_subalgoE5ElNS0_10empty_typeEbEEZZNS1_14partition_implILS5_5ELb0ES3_mN6hipcub16HIPCUB_304000_NS21CountingInputIteratorIllEEPS6_NSA_22TransformInputIteratorIbN2at6native12_GLOBAL__N_19NonZeroOpIsEEPKslEENS0_5tupleIJPlS6_EEENSN_IJSD_SD_EEES6_PiJS6_EEE10hipError_tPvRmT3_T4_T5_T6_T7_T9_mT8_P12ihipStream_tbDpT10_ENKUlT_T0_E_clISt17integral_constantIbLb0EES1A_IbLb1EEEEDaS16_S17_EUlS16_E_NS1_11comp_targetILNS1_3genE2ELNS1_11target_archE906ELNS1_3gpuE6ELNS1_3repE0EEENS1_30default_config_static_selectorELNS0_4arch9wavefront6targetE0EEEvT1_, .Lfunc_end350-_ZN7rocprim17ROCPRIM_400000_NS6detail17trampoline_kernelINS0_14default_configENS1_25partition_config_selectorILNS1_17partition_subalgoE5ElNS0_10empty_typeEbEEZZNS1_14partition_implILS5_5ELb0ES3_mN6hipcub16HIPCUB_304000_NS21CountingInputIteratorIllEEPS6_NSA_22TransformInputIteratorIbN2at6native12_GLOBAL__N_19NonZeroOpIsEEPKslEENS0_5tupleIJPlS6_EEENSN_IJSD_SD_EEES6_PiJS6_EEE10hipError_tPvRmT3_T4_T5_T6_T7_T9_mT8_P12ihipStream_tbDpT10_ENKUlT_T0_E_clISt17integral_constantIbLb0EES1A_IbLb1EEEEDaS16_S17_EUlS16_E_NS1_11comp_targetILNS1_3genE2ELNS1_11target_archE906ELNS1_3gpuE6ELNS1_3repE0EEENS1_30default_config_static_selectorELNS0_4arch9wavefront6targetE0EEEvT1_
                                        ; -- End function
	.set _ZN7rocprim17ROCPRIM_400000_NS6detail17trampoline_kernelINS0_14default_configENS1_25partition_config_selectorILNS1_17partition_subalgoE5ElNS0_10empty_typeEbEEZZNS1_14partition_implILS5_5ELb0ES3_mN6hipcub16HIPCUB_304000_NS21CountingInputIteratorIllEEPS6_NSA_22TransformInputIteratorIbN2at6native12_GLOBAL__N_19NonZeroOpIsEEPKslEENS0_5tupleIJPlS6_EEENSN_IJSD_SD_EEES6_PiJS6_EEE10hipError_tPvRmT3_T4_T5_T6_T7_T9_mT8_P12ihipStream_tbDpT10_ENKUlT_T0_E_clISt17integral_constantIbLb0EES1A_IbLb1EEEEDaS16_S17_EUlS16_E_NS1_11comp_targetILNS1_3genE2ELNS1_11target_archE906ELNS1_3gpuE6ELNS1_3repE0EEENS1_30default_config_static_selectorELNS0_4arch9wavefront6targetE0EEEvT1_.num_vgpr, 0
	.set _ZN7rocprim17ROCPRIM_400000_NS6detail17trampoline_kernelINS0_14default_configENS1_25partition_config_selectorILNS1_17partition_subalgoE5ElNS0_10empty_typeEbEEZZNS1_14partition_implILS5_5ELb0ES3_mN6hipcub16HIPCUB_304000_NS21CountingInputIteratorIllEEPS6_NSA_22TransformInputIteratorIbN2at6native12_GLOBAL__N_19NonZeroOpIsEEPKslEENS0_5tupleIJPlS6_EEENSN_IJSD_SD_EEES6_PiJS6_EEE10hipError_tPvRmT3_T4_T5_T6_T7_T9_mT8_P12ihipStream_tbDpT10_ENKUlT_T0_E_clISt17integral_constantIbLb0EES1A_IbLb1EEEEDaS16_S17_EUlS16_E_NS1_11comp_targetILNS1_3genE2ELNS1_11target_archE906ELNS1_3gpuE6ELNS1_3repE0EEENS1_30default_config_static_selectorELNS0_4arch9wavefront6targetE0EEEvT1_.num_agpr, 0
	.set _ZN7rocprim17ROCPRIM_400000_NS6detail17trampoline_kernelINS0_14default_configENS1_25partition_config_selectorILNS1_17partition_subalgoE5ElNS0_10empty_typeEbEEZZNS1_14partition_implILS5_5ELb0ES3_mN6hipcub16HIPCUB_304000_NS21CountingInputIteratorIllEEPS6_NSA_22TransformInputIteratorIbN2at6native12_GLOBAL__N_19NonZeroOpIsEEPKslEENS0_5tupleIJPlS6_EEENSN_IJSD_SD_EEES6_PiJS6_EEE10hipError_tPvRmT3_T4_T5_T6_T7_T9_mT8_P12ihipStream_tbDpT10_ENKUlT_T0_E_clISt17integral_constantIbLb0EES1A_IbLb1EEEEDaS16_S17_EUlS16_E_NS1_11comp_targetILNS1_3genE2ELNS1_11target_archE906ELNS1_3gpuE6ELNS1_3repE0EEENS1_30default_config_static_selectorELNS0_4arch9wavefront6targetE0EEEvT1_.numbered_sgpr, 0
	.set _ZN7rocprim17ROCPRIM_400000_NS6detail17trampoline_kernelINS0_14default_configENS1_25partition_config_selectorILNS1_17partition_subalgoE5ElNS0_10empty_typeEbEEZZNS1_14partition_implILS5_5ELb0ES3_mN6hipcub16HIPCUB_304000_NS21CountingInputIteratorIllEEPS6_NSA_22TransformInputIteratorIbN2at6native12_GLOBAL__N_19NonZeroOpIsEEPKslEENS0_5tupleIJPlS6_EEENSN_IJSD_SD_EEES6_PiJS6_EEE10hipError_tPvRmT3_T4_T5_T6_T7_T9_mT8_P12ihipStream_tbDpT10_ENKUlT_T0_E_clISt17integral_constantIbLb0EES1A_IbLb1EEEEDaS16_S17_EUlS16_E_NS1_11comp_targetILNS1_3genE2ELNS1_11target_archE906ELNS1_3gpuE6ELNS1_3repE0EEENS1_30default_config_static_selectorELNS0_4arch9wavefront6targetE0EEEvT1_.num_named_barrier, 0
	.set _ZN7rocprim17ROCPRIM_400000_NS6detail17trampoline_kernelINS0_14default_configENS1_25partition_config_selectorILNS1_17partition_subalgoE5ElNS0_10empty_typeEbEEZZNS1_14partition_implILS5_5ELb0ES3_mN6hipcub16HIPCUB_304000_NS21CountingInputIteratorIllEEPS6_NSA_22TransformInputIteratorIbN2at6native12_GLOBAL__N_19NonZeroOpIsEEPKslEENS0_5tupleIJPlS6_EEENSN_IJSD_SD_EEES6_PiJS6_EEE10hipError_tPvRmT3_T4_T5_T6_T7_T9_mT8_P12ihipStream_tbDpT10_ENKUlT_T0_E_clISt17integral_constantIbLb0EES1A_IbLb1EEEEDaS16_S17_EUlS16_E_NS1_11comp_targetILNS1_3genE2ELNS1_11target_archE906ELNS1_3gpuE6ELNS1_3repE0EEENS1_30default_config_static_selectorELNS0_4arch9wavefront6targetE0EEEvT1_.private_seg_size, 0
	.set _ZN7rocprim17ROCPRIM_400000_NS6detail17trampoline_kernelINS0_14default_configENS1_25partition_config_selectorILNS1_17partition_subalgoE5ElNS0_10empty_typeEbEEZZNS1_14partition_implILS5_5ELb0ES3_mN6hipcub16HIPCUB_304000_NS21CountingInputIteratorIllEEPS6_NSA_22TransformInputIteratorIbN2at6native12_GLOBAL__N_19NonZeroOpIsEEPKslEENS0_5tupleIJPlS6_EEENSN_IJSD_SD_EEES6_PiJS6_EEE10hipError_tPvRmT3_T4_T5_T6_T7_T9_mT8_P12ihipStream_tbDpT10_ENKUlT_T0_E_clISt17integral_constantIbLb0EES1A_IbLb1EEEEDaS16_S17_EUlS16_E_NS1_11comp_targetILNS1_3genE2ELNS1_11target_archE906ELNS1_3gpuE6ELNS1_3repE0EEENS1_30default_config_static_selectorELNS0_4arch9wavefront6targetE0EEEvT1_.uses_vcc, 0
	.set _ZN7rocprim17ROCPRIM_400000_NS6detail17trampoline_kernelINS0_14default_configENS1_25partition_config_selectorILNS1_17partition_subalgoE5ElNS0_10empty_typeEbEEZZNS1_14partition_implILS5_5ELb0ES3_mN6hipcub16HIPCUB_304000_NS21CountingInputIteratorIllEEPS6_NSA_22TransformInputIteratorIbN2at6native12_GLOBAL__N_19NonZeroOpIsEEPKslEENS0_5tupleIJPlS6_EEENSN_IJSD_SD_EEES6_PiJS6_EEE10hipError_tPvRmT3_T4_T5_T6_T7_T9_mT8_P12ihipStream_tbDpT10_ENKUlT_T0_E_clISt17integral_constantIbLb0EES1A_IbLb1EEEEDaS16_S17_EUlS16_E_NS1_11comp_targetILNS1_3genE2ELNS1_11target_archE906ELNS1_3gpuE6ELNS1_3repE0EEENS1_30default_config_static_selectorELNS0_4arch9wavefront6targetE0EEEvT1_.uses_flat_scratch, 0
	.set _ZN7rocprim17ROCPRIM_400000_NS6detail17trampoline_kernelINS0_14default_configENS1_25partition_config_selectorILNS1_17partition_subalgoE5ElNS0_10empty_typeEbEEZZNS1_14partition_implILS5_5ELb0ES3_mN6hipcub16HIPCUB_304000_NS21CountingInputIteratorIllEEPS6_NSA_22TransformInputIteratorIbN2at6native12_GLOBAL__N_19NonZeroOpIsEEPKslEENS0_5tupleIJPlS6_EEENSN_IJSD_SD_EEES6_PiJS6_EEE10hipError_tPvRmT3_T4_T5_T6_T7_T9_mT8_P12ihipStream_tbDpT10_ENKUlT_T0_E_clISt17integral_constantIbLb0EES1A_IbLb1EEEEDaS16_S17_EUlS16_E_NS1_11comp_targetILNS1_3genE2ELNS1_11target_archE906ELNS1_3gpuE6ELNS1_3repE0EEENS1_30default_config_static_selectorELNS0_4arch9wavefront6targetE0EEEvT1_.has_dyn_sized_stack, 0
	.set _ZN7rocprim17ROCPRIM_400000_NS6detail17trampoline_kernelINS0_14default_configENS1_25partition_config_selectorILNS1_17partition_subalgoE5ElNS0_10empty_typeEbEEZZNS1_14partition_implILS5_5ELb0ES3_mN6hipcub16HIPCUB_304000_NS21CountingInputIteratorIllEEPS6_NSA_22TransformInputIteratorIbN2at6native12_GLOBAL__N_19NonZeroOpIsEEPKslEENS0_5tupleIJPlS6_EEENSN_IJSD_SD_EEES6_PiJS6_EEE10hipError_tPvRmT3_T4_T5_T6_T7_T9_mT8_P12ihipStream_tbDpT10_ENKUlT_T0_E_clISt17integral_constantIbLb0EES1A_IbLb1EEEEDaS16_S17_EUlS16_E_NS1_11comp_targetILNS1_3genE2ELNS1_11target_archE906ELNS1_3gpuE6ELNS1_3repE0EEENS1_30default_config_static_selectorELNS0_4arch9wavefront6targetE0EEEvT1_.has_recursion, 0
	.set _ZN7rocprim17ROCPRIM_400000_NS6detail17trampoline_kernelINS0_14default_configENS1_25partition_config_selectorILNS1_17partition_subalgoE5ElNS0_10empty_typeEbEEZZNS1_14partition_implILS5_5ELb0ES3_mN6hipcub16HIPCUB_304000_NS21CountingInputIteratorIllEEPS6_NSA_22TransformInputIteratorIbN2at6native12_GLOBAL__N_19NonZeroOpIsEEPKslEENS0_5tupleIJPlS6_EEENSN_IJSD_SD_EEES6_PiJS6_EEE10hipError_tPvRmT3_T4_T5_T6_T7_T9_mT8_P12ihipStream_tbDpT10_ENKUlT_T0_E_clISt17integral_constantIbLb0EES1A_IbLb1EEEEDaS16_S17_EUlS16_E_NS1_11comp_targetILNS1_3genE2ELNS1_11target_archE906ELNS1_3gpuE6ELNS1_3repE0EEENS1_30default_config_static_selectorELNS0_4arch9wavefront6targetE0EEEvT1_.has_indirect_call, 0
	.section	.AMDGPU.csdata,"",@progbits
; Kernel info:
; codeLenInByte = 0
; TotalNumSgprs: 0
; NumVgprs: 0
; ScratchSize: 0
; MemoryBound: 0
; FloatMode: 240
; IeeeMode: 1
; LDSByteSize: 0 bytes/workgroup (compile time only)
; SGPRBlocks: 0
; VGPRBlocks: 0
; NumSGPRsForWavesPerEU: 1
; NumVGPRsForWavesPerEU: 1
; Occupancy: 16
; WaveLimiterHint : 0
; COMPUTE_PGM_RSRC2:SCRATCH_EN: 0
; COMPUTE_PGM_RSRC2:USER_SGPR: 2
; COMPUTE_PGM_RSRC2:TRAP_HANDLER: 0
; COMPUTE_PGM_RSRC2:TGID_X_EN: 1
; COMPUTE_PGM_RSRC2:TGID_Y_EN: 0
; COMPUTE_PGM_RSRC2:TGID_Z_EN: 0
; COMPUTE_PGM_RSRC2:TIDIG_COMP_CNT: 0
	.section	.text._ZN7rocprim17ROCPRIM_400000_NS6detail17trampoline_kernelINS0_14default_configENS1_25partition_config_selectorILNS1_17partition_subalgoE5ElNS0_10empty_typeEbEEZZNS1_14partition_implILS5_5ELb0ES3_mN6hipcub16HIPCUB_304000_NS21CountingInputIteratorIllEEPS6_NSA_22TransformInputIteratorIbN2at6native12_GLOBAL__N_19NonZeroOpIsEEPKslEENS0_5tupleIJPlS6_EEENSN_IJSD_SD_EEES6_PiJS6_EEE10hipError_tPvRmT3_T4_T5_T6_T7_T9_mT8_P12ihipStream_tbDpT10_ENKUlT_T0_E_clISt17integral_constantIbLb0EES1A_IbLb1EEEEDaS16_S17_EUlS16_E_NS1_11comp_targetILNS1_3genE10ELNS1_11target_archE1200ELNS1_3gpuE4ELNS1_3repE0EEENS1_30default_config_static_selectorELNS0_4arch9wavefront6targetE0EEEvT1_,"axG",@progbits,_ZN7rocprim17ROCPRIM_400000_NS6detail17trampoline_kernelINS0_14default_configENS1_25partition_config_selectorILNS1_17partition_subalgoE5ElNS0_10empty_typeEbEEZZNS1_14partition_implILS5_5ELb0ES3_mN6hipcub16HIPCUB_304000_NS21CountingInputIteratorIllEEPS6_NSA_22TransformInputIteratorIbN2at6native12_GLOBAL__N_19NonZeroOpIsEEPKslEENS0_5tupleIJPlS6_EEENSN_IJSD_SD_EEES6_PiJS6_EEE10hipError_tPvRmT3_T4_T5_T6_T7_T9_mT8_P12ihipStream_tbDpT10_ENKUlT_T0_E_clISt17integral_constantIbLb0EES1A_IbLb1EEEEDaS16_S17_EUlS16_E_NS1_11comp_targetILNS1_3genE10ELNS1_11target_archE1200ELNS1_3gpuE4ELNS1_3repE0EEENS1_30default_config_static_selectorELNS0_4arch9wavefront6targetE0EEEvT1_,comdat
	.globl	_ZN7rocprim17ROCPRIM_400000_NS6detail17trampoline_kernelINS0_14default_configENS1_25partition_config_selectorILNS1_17partition_subalgoE5ElNS0_10empty_typeEbEEZZNS1_14partition_implILS5_5ELb0ES3_mN6hipcub16HIPCUB_304000_NS21CountingInputIteratorIllEEPS6_NSA_22TransformInputIteratorIbN2at6native12_GLOBAL__N_19NonZeroOpIsEEPKslEENS0_5tupleIJPlS6_EEENSN_IJSD_SD_EEES6_PiJS6_EEE10hipError_tPvRmT3_T4_T5_T6_T7_T9_mT8_P12ihipStream_tbDpT10_ENKUlT_T0_E_clISt17integral_constantIbLb0EES1A_IbLb1EEEEDaS16_S17_EUlS16_E_NS1_11comp_targetILNS1_3genE10ELNS1_11target_archE1200ELNS1_3gpuE4ELNS1_3repE0EEENS1_30default_config_static_selectorELNS0_4arch9wavefront6targetE0EEEvT1_ ; -- Begin function _ZN7rocprim17ROCPRIM_400000_NS6detail17trampoline_kernelINS0_14default_configENS1_25partition_config_selectorILNS1_17partition_subalgoE5ElNS0_10empty_typeEbEEZZNS1_14partition_implILS5_5ELb0ES3_mN6hipcub16HIPCUB_304000_NS21CountingInputIteratorIllEEPS6_NSA_22TransformInputIteratorIbN2at6native12_GLOBAL__N_19NonZeroOpIsEEPKslEENS0_5tupleIJPlS6_EEENSN_IJSD_SD_EEES6_PiJS6_EEE10hipError_tPvRmT3_T4_T5_T6_T7_T9_mT8_P12ihipStream_tbDpT10_ENKUlT_T0_E_clISt17integral_constantIbLb0EES1A_IbLb1EEEEDaS16_S17_EUlS16_E_NS1_11comp_targetILNS1_3genE10ELNS1_11target_archE1200ELNS1_3gpuE4ELNS1_3repE0EEENS1_30default_config_static_selectorELNS0_4arch9wavefront6targetE0EEEvT1_
	.p2align	8
	.type	_ZN7rocprim17ROCPRIM_400000_NS6detail17trampoline_kernelINS0_14default_configENS1_25partition_config_selectorILNS1_17partition_subalgoE5ElNS0_10empty_typeEbEEZZNS1_14partition_implILS5_5ELb0ES3_mN6hipcub16HIPCUB_304000_NS21CountingInputIteratorIllEEPS6_NSA_22TransformInputIteratorIbN2at6native12_GLOBAL__N_19NonZeroOpIsEEPKslEENS0_5tupleIJPlS6_EEENSN_IJSD_SD_EEES6_PiJS6_EEE10hipError_tPvRmT3_T4_T5_T6_T7_T9_mT8_P12ihipStream_tbDpT10_ENKUlT_T0_E_clISt17integral_constantIbLb0EES1A_IbLb1EEEEDaS16_S17_EUlS16_E_NS1_11comp_targetILNS1_3genE10ELNS1_11target_archE1200ELNS1_3gpuE4ELNS1_3repE0EEENS1_30default_config_static_selectorELNS0_4arch9wavefront6targetE0EEEvT1_,@function
_ZN7rocprim17ROCPRIM_400000_NS6detail17trampoline_kernelINS0_14default_configENS1_25partition_config_selectorILNS1_17partition_subalgoE5ElNS0_10empty_typeEbEEZZNS1_14partition_implILS5_5ELb0ES3_mN6hipcub16HIPCUB_304000_NS21CountingInputIteratorIllEEPS6_NSA_22TransformInputIteratorIbN2at6native12_GLOBAL__N_19NonZeroOpIsEEPKslEENS0_5tupleIJPlS6_EEENSN_IJSD_SD_EEES6_PiJS6_EEE10hipError_tPvRmT3_T4_T5_T6_T7_T9_mT8_P12ihipStream_tbDpT10_ENKUlT_T0_E_clISt17integral_constantIbLb0EES1A_IbLb1EEEEDaS16_S17_EUlS16_E_NS1_11comp_targetILNS1_3genE10ELNS1_11target_archE1200ELNS1_3gpuE4ELNS1_3repE0EEENS1_30default_config_static_selectorELNS0_4arch9wavefront6targetE0EEEvT1_: ; @_ZN7rocprim17ROCPRIM_400000_NS6detail17trampoline_kernelINS0_14default_configENS1_25partition_config_selectorILNS1_17partition_subalgoE5ElNS0_10empty_typeEbEEZZNS1_14partition_implILS5_5ELb0ES3_mN6hipcub16HIPCUB_304000_NS21CountingInputIteratorIllEEPS6_NSA_22TransformInputIteratorIbN2at6native12_GLOBAL__N_19NonZeroOpIsEEPKslEENS0_5tupleIJPlS6_EEENSN_IJSD_SD_EEES6_PiJS6_EEE10hipError_tPvRmT3_T4_T5_T6_T7_T9_mT8_P12ihipStream_tbDpT10_ENKUlT_T0_E_clISt17integral_constantIbLb0EES1A_IbLb1EEEEDaS16_S17_EUlS16_E_NS1_11comp_targetILNS1_3genE10ELNS1_11target_archE1200ELNS1_3gpuE4ELNS1_3repE0EEENS1_30default_config_static_selectorELNS0_4arch9wavefront6targetE0EEEvT1_
; %bb.0:
	s_clause 0x3
	s_load_b64 s[12:13], s[0:1], 0x30
	s_load_b128 s[4:7], s[0:1], 0x48
	s_load_b64 s[18:19], s[0:1], 0x58
	s_load_b64 s[14:15], s[0:1], 0x68
	v_cmp_eq_u32_e64 s2, 0, v0
	s_and_saveexec_b32 s3, s2
	s_cbranch_execz .LBB351_4
; %bb.1:
	s_mov_b32 s9, exec_lo
	s_mov_b32 s8, exec_lo
	v_mbcnt_lo_u32_b32 v1, s9, 0
                                        ; implicit-def: $vgpr2
	s_delay_alu instid0(VALU_DEP_1)
	v_cmpx_eq_u32_e32 0, v1
	s_cbranch_execz .LBB351_3
; %bb.2:
	s_load_b64 s[10:11], s[0:1], 0x78
	s_bcnt1_i32_b32 s9, s9
	s_wait_alu 0xfffe
	v_dual_mov_b32 v2, 0 :: v_dual_mov_b32 v3, s9
	s_wait_kmcnt 0x0
	global_atomic_add_u32 v2, v2, v3, s[10:11] th:TH_ATOMIC_RETURN scope:SCOPE_DEV
.LBB351_3:
	s_or_b32 exec_lo, exec_lo, s8
	s_wait_loadcnt 0x0
	v_readfirstlane_b32 s8, v2
	s_wait_alu 0xf1ff
	s_delay_alu instid0(VALU_DEP_1)
	v_dual_mov_b32 v2, 0 :: v_dual_add_nc_u32 v1, s8, v1
	ds_store_b32 v2, v1
.LBB351_4:
	s_or_b32 exec_lo, exec_lo, s3
	v_mov_b32_e32 v1, 0
	s_clause 0x2
	s_load_b128 s[8:11], s[0:1], 0x8
	s_load_b64 s[16:17], s[0:1], 0x20
	s_load_b32 s0, s[0:1], 0x70
	s_wait_dscnt 0x0
	s_barrier_signal -1
	s_barrier_wait -1
	global_inv scope:SCOPE_SE
	ds_load_b32 v2, v1
	s_wait_loadcnt_dscnt 0x0
	s_barrier_signal -1
	s_barrier_wait -1
	global_inv scope:SCOPE_SE
	s_wait_kmcnt 0x0
	global_load_b64 v[17:18], v1, s[6:7]
	s_mov_b32 s7, 0
	v_lshrrev_b32_e32 v1, 2, v0
	v_or_b32_e32 v10, 0x200, v0
	v_or_b32_e32 v9, 0x300, v0
	s_add_nc_u64 s[8:9], s[10:11], s[8:9]
	s_lshl_b32 s6, s0, 10
	s_add_co_i32 s20, s0, -1
	s_add_nc_u64 s[0:1], s[10:11], s[6:7]
	s_lshl_b32 s6, s20, 10
	v_cmp_le_u64_e64 s1, s[18:19], s[0:1]
	v_readfirstlane_b32 s21, v2
	s_add_co_i32 s0, s10, s6
	s_lshl_b32 s3, s21, 10
	s_cmp_eq_u32 s21, s20
	s_mov_b32 s6, s3
	s_cselect_b32 s19, -1, 0
	s_wait_alu 0xfffe
	s_and_b32 s1, s1, s19
	s_wait_alu 0xfffe
	s_xor_b32 s20, s1, -1
	s_mov_b32 s1, -1
	s_and_b32 vcc_lo, exec_lo, s20
	s_cbranch_vccz .LBB351_6
; %bb.5:
	v_or_b32_e32 v8, 0x100, v0
	s_add_nc_u64 s[22:23], s[6:7], s[8:9]
	v_lshrrev_b32_e32 v11, 2, v10
	v_add_co_u32 v2, s1, s22, v0
	s_delay_alu instid0(VALU_DEP_3)
	v_lshrrev_b32_e32 v8, 2, v8
	v_lshrrev_b32_e32 v12, 2, v9
	s_wait_alu 0xf1fe
	v_add_co_ci_u32_e64 v3, null, s23, 0, s1
	v_and_b32_e32 v13, 56, v1
	v_lshlrev_b32_e32 v14, 3, v0
	v_and_b32_e32 v8, 0x78, v8
	v_add_co_u32 v4, vcc_lo, 0x100, v2
	v_and_b32_e32 v15, 0xb8, v11
	v_and_b32_e32 v16, 0xf8, v12
	v_add_co_ci_u32_e64 v5, null, 0, v3, vcc_lo
	v_add_co_u32 v6, vcc_lo, 0x200, v2
	v_add_nc_u32_e32 v13, v13, v14
	s_wait_alu 0xfffd
	v_add_co_ci_u32_e64 v7, null, 0, v3, vcc_lo
	v_add_co_u32 v11, vcc_lo, 0x300, v2
	v_add_nc_u32_e32 v8, v8, v14
	v_add_nc_u32_e32 v15, v15, v14
	s_wait_alu 0xfffd
	v_add_co_ci_u32_e64 v12, null, 0, v3, vcc_lo
	v_add_nc_u32_e32 v14, v16, v14
	ds_store_b64 v13, v[2:3]
	ds_store_b64 v8, v[4:5] offset:2048
	ds_store_b64 v15, v[6:7] offset:4096
	;; [unrolled: 1-line block ×3, first 2 shown]
	s_wait_loadcnt_dscnt 0x0
	s_barrier_signal -1
	s_mov_b32 s1, s7
	s_barrier_wait -1
.LBB351_6:
	s_sub_co_i32 s3, s18, s0
	s_wait_alu 0xfffe
	s_and_not1_b32 vcc_lo, exec_lo, s1
	v_cmp_gt_u32_e64 s0, s3, v0
	s_wait_alu 0xfffe
	s_cbranch_vccnz .LBB351_8
; %bb.7:
	v_or_b32_e32 v8, 0x100, v0
	s_add_nc_u64 s[8:9], s[8:9], s[6:7]
	v_lshrrev_b32_e32 v13, 2, v10
	s_wait_alu 0xfffe
	v_add_co_u32 v2, s1, s8, v0
	s_wait_alu 0xf1ff
	v_add_co_ci_u32_e64 v3, null, s9, 0, s1
	v_add_co_u32 v4, s1, s8, v8
	s_wait_alu 0xf1ff
	v_add_co_ci_u32_e64 v5, null, s9, 0, s1
	v_cmp_gt_u32_e32 vcc_lo, s3, v8
	v_add_co_u32 v11, s1, s8, v9
	s_wait_alu 0xf1ff
	v_add_co_ci_u32_e64 v12, null, s9, 0, s1
	s_wait_alu 0xfffd
	v_dual_cndmask_b32 v5, 0, v5 :: v_dual_cndmask_b32 v4, 0, v4
	v_cmp_gt_u32_e32 vcc_lo, s3, v9
	v_lshrrev_b32_e32 v8, 2, v8
	v_lshrrev_b32_e32 v14, 2, v9
	v_cndmask_b32_e64 v3, 0, v3, s0
	v_cndmask_b32_e64 v2, 0, v2, s0
	v_add_co_u32 v6, s0, s8, v10
	s_wait_alu 0xfffd
	v_dual_cndmask_b32 v12, 0, v12 :: v_dual_and_b32 v1, 56, v1
	v_lshlrev_b32_e32 v15, 3, v0
	v_dual_cndmask_b32 v11, 0, v11 :: v_dual_and_b32 v8, 0x78, v8
	s_wait_alu 0xf1ff
	v_add_co_ci_u32_e64 v7, null, s9, 0, s0
	v_cmp_gt_u32_e64 s0, s3, v10
	v_and_b32_e32 v13, 0xb8, v13
	v_and_b32_e32 v14, 0xf8, v14
	v_add_nc_u32_e32 v1, v1, v15
	v_add_nc_u32_e32 v8, v8, v15
	s_wait_alu 0xf1ff
	v_cndmask_b32_e64 v7, 0, v7, s0
	v_cndmask_b32_e64 v6, 0, v6, s0
	v_add_nc_u32_e32 v13, v13, v15
	v_add_nc_u32_e32 v14, v14, v15
	ds_store_b64 v1, v[2:3]
	ds_store_b64 v8, v[4:5] offset:2048
	ds_store_b64 v13, v[6:7] offset:4096
	;; [unrolled: 1-line block ×3, first 2 shown]
	s_wait_loadcnt_dscnt 0x0
	s_barrier_signal -1
	s_barrier_wait -1
.LBB351_8:
	v_and_b32_e32 v1, 0xf8, v0
	s_wait_loadcnt 0x0
	global_inv scope:SCOPE_SE
	s_lshl_b64 s[0:1], s[10:11], 1
	v_lshlrev_b32_e32 v11, 1, v0
	v_lshrrev_b32_e32 v28, 5, v0
	v_lshl_add_u32 v1, v0, 5, v1
	s_wait_alu 0xfffe
	s_add_nc_u64 s[0:1], s[16:17], s[0:1]
	s_lshl_b64 s[6:7], s[6:7], 1
	s_and_b32 vcc_lo, exec_lo, s20
	s_wait_alu 0xfffe
	s_add_nc_u64 s[0:1], s[0:1], s[6:7]
	ds_load_2addr_b64 v[5:8], v1 offset1:1
	ds_load_2addr_b64 v[1:4], v1 offset0:2 offset1:3
	s_mov_b32 s6, -1
	s_wait_loadcnt_dscnt 0x0
	s_barrier_signal -1
	s_barrier_wait -1
	global_inv scope:SCOPE_SE
	s_cbranch_vccz .LBB351_10
; %bb.9:
	s_clause 0x3
	global_load_u16 v12, v11, s[0:1]
	global_load_u16 v13, v11, s[0:1] offset:512
	global_load_u16 v14, v11, s[0:1] offset:1024
	;; [unrolled: 1-line block ×3, first 2 shown]
	v_or_b32_e32 v16, 0x100, v0
	v_lshrrev_b32_e32 v19, 5, v10
	v_lshrrev_b32_e32 v20, 5, v9
	v_and_b32_e32 v21, 4, v28
	s_mov_b32 s6, 0
	v_lshrrev_b32_e32 v16, 5, v16
	v_and_b32_e32 v19, 20, v19
	v_and_b32_e32 v20, 28, v20
	v_add_nc_u32_e32 v21, v21, v0
	s_delay_alu instid0(VALU_DEP_4) | instskip(NEXT) | instid1(VALU_DEP_4)
	v_and_b32_e32 v16, 12, v16
	v_add_nc_u32_e32 v19, v19, v0
	s_delay_alu instid0(VALU_DEP_4) | instskip(NEXT) | instid1(VALU_DEP_3)
	v_add_nc_u32_e32 v20, v20, v0
	v_add_nc_u32_e32 v16, v16, v0
	s_wait_loadcnt 0x3
	v_cmp_ne_u16_e32 vcc_lo, 0, v12
	s_wait_alu 0xfffd
	v_cndmask_b32_e64 v12, 0, 1, vcc_lo
	s_wait_loadcnt 0x2
	v_cmp_ne_u16_e32 vcc_lo, 0, v13
	s_wait_alu 0xfffd
	v_cndmask_b32_e64 v13, 0, 1, vcc_lo
	;; [unrolled: 4-line block ×4, first 2 shown]
	ds_store_b8 v21, v12
	ds_store_b8 v16, v13 offset:256
	ds_store_b8 v19, v14 offset:512
	;; [unrolled: 1-line block ×3, first 2 shown]
	s_wait_dscnt 0x0
	s_barrier_signal -1
	s_barrier_wait -1
.LBB351_10:
	v_lshlrev_b32_e32 v12, 2, v0
	v_lshrrev_b32_e32 v13, 3, v0
	s_and_not1_b32 vcc_lo, exec_lo, s6
	s_wait_alu 0xfffe
	s_cbranch_vccnz .LBB351_18
; %bb.11:
	v_dual_mov_b32 v14, 0 :: v_dual_mov_b32 v15, 0
	s_mov_b32 s6, exec_lo
	v_cmpx_gt_u32_e64 s3, v0
	s_cbranch_execz .LBB351_13
; %bb.12:
	global_load_u16 v14, v11, s[0:1]
	s_wait_loadcnt 0x0
	v_cmp_ne_u16_e32 vcc_lo, 0, v14
	s_wait_alu 0xfffd
	v_cndmask_b32_e64 v14, 0, 1, vcc_lo
	v_cndmask_b32_e64 v15, 0, 1, vcc_lo
.LBB351_13:
	s_or_b32 exec_lo, exec_lo, s6
	v_or_b32_e32 v16, 0x100, v0
	s_mov_b32 s6, exec_lo
	s_delay_alu instid0(VALU_DEP_1)
	v_cmpx_gt_u32_e64 s3, v16
	s_cbranch_execnz .LBB351_132
; %bb.14:
	s_or_b32 exec_lo, exec_lo, s6
	s_delay_alu instid0(SALU_CYCLE_1)
	s_mov_b32 s6, exec_lo
	v_cmpx_gt_u32_e64 s3, v10
	s_cbranch_execnz .LBB351_133
.LBB351_15:
	s_or_b32 exec_lo, exec_lo, s6
	v_cmp_gt_u32_e32 vcc_lo, s3, v9
	s_and_saveexec_b32 s3, vcc_lo
	s_cbranch_execz .LBB351_17
.LBB351_16:
	global_load_u16 v11, v11, s[0:1] offset:1536
	v_lshrrev_b32_e32 v19, 16, v15
	s_wait_loadcnt 0x0
	v_cmp_ne_u16_e32 vcc_lo, 0, v11
	s_wait_alu 0xfffd
	v_cndmask_b32_e64 v11, 0, 1, vcc_lo
	s_delay_alu instid0(VALU_DEP_1) | instskip(NEXT) | instid1(VALU_DEP_1)
	v_lshlrev_b16 v11, 8, v11
	v_or_b32_e32 v11, v19, v11
	s_delay_alu instid0(VALU_DEP_1) | instskip(NEXT) | instid1(VALU_DEP_1)
	v_lshlrev_b32_e32 v11, 16, v11
	v_and_or_b32 v15, 0xffff, v15, v11
.LBB351_17:
	s_wait_alu 0xfffe
	s_or_b32 exec_lo, exec_lo, s3
	v_lshrrev_b32_e32 v11, 5, v16
	v_lshrrev_b32_e32 v10, 5, v10
	;; [unrolled: 1-line block ×3, first 2 shown]
	v_and_b32_e32 v16, 4, v28
	v_lshrrev_b32_e32 v19, 8, v15
	v_and_b32_e32 v11, 12, v11
	v_and_b32_e32 v10, 28, v10
	v_and_b32_e32 v9, 28, v9
	v_add_nc_u32_e32 v16, v16, v0
	v_lshrrev_b32_e32 v20, 24, v15
	v_add_nc_u32_e32 v11, v11, v0
	v_add_nc_u32_e32 v10, v10, v0
	;; [unrolled: 1-line block ×3, first 2 shown]
	ds_store_b8 v16, v14
	ds_store_b8 v11, v19 offset:256
	ds_store_b8_d16_hi v10, v15 offset:512
	ds_store_b8 v9, v20 offset:768
	s_wait_loadcnt_dscnt 0x0
	s_barrier_signal -1
	s_barrier_wait -1
.LBB351_18:
	s_delay_alu instid0(VALU_DEP_1)
	v_dual_mov_b32 v10, 0 :: v_dual_and_b32 v9, 28, v13
	s_wait_loadcnt 0x0
	global_inv scope:SCOPE_SE
	v_mbcnt_lo_u32_b32 v33, -1, 0
	s_cmp_lg_u32 s21, 0
	v_add_nc_u32_e32 v9, v9, v12
	s_mov_b32 s1, -1
	s_delay_alu instid0(VALU_DEP_2)
	v_and_b32_e32 v34, 15, v33
	ds_load_b32 v29, v9
	s_wait_loadcnt_dscnt 0x0
	s_barrier_signal -1
	s_barrier_wait -1
	global_inv scope:SCOPE_SE
	v_and_b32_e32 v32, 0xff, v29
	v_bfe_u32 v31, v29, 8, 8
	v_bfe_u32 v30, v29, 16, 8
	v_lshrrev_b32_e32 v27, 24, v29
	s_delay_alu instid0(VALU_DEP_2) | instskip(NEXT) | instid1(VALU_DEP_1)
	v_add3_u32 v9, v31, v32, v30
	v_add_co_u32 v19, s0, v9, v27
	s_wait_alu 0xf1ff
	v_add_co_ci_u32_e64 v20, null, 0, 0, s0
	v_cmp_ne_u32_e64 s0, 0, v34
	s_cbranch_scc0 .LBB351_75
; %bb.19:
	v_mov_b32_e32 v11, v19
	v_mov_b32_dpp v9, v19 row_shr:1 row_mask:0xf bank_mask:0xf
	v_mov_b32_dpp v14, v10 row_shr:1 row_mask:0xf bank_mask:0xf
	v_dual_mov_b32 v13, v19 :: v_dual_mov_b32 v12, v20
	s_and_saveexec_b32 s1, s0
; %bb.20:
	s_delay_alu instid0(VALU_DEP_3) | instskip(SKIP_2) | instid1(VALU_DEP_2)
	v_add_co_u32 v13, vcc_lo, v19, v9
	s_wait_alu 0xfffd
	v_add_co_ci_u32_e64 v10, null, 0, v20, vcc_lo
	v_add_co_u32 v9, vcc_lo, 0, v13
	s_wait_alu 0xfffd
	s_delay_alu instid0(VALU_DEP_2) | instskip(NEXT) | instid1(VALU_DEP_1)
	v_add_co_ci_u32_e64 v10, null, v14, v10, vcc_lo
	v_dual_mov_b32 v12, v10 :: v_dual_mov_b32 v11, v9
; %bb.21:
	s_wait_alu 0xfffe
	s_or_b32 exec_lo, exec_lo, s1
	v_mov_b32_dpp v9, v13 row_shr:2 row_mask:0xf bank_mask:0xf
	v_mov_b32_dpp v14, v10 row_shr:2 row_mask:0xf bank_mask:0xf
	s_mov_b32 s1, exec_lo
	v_cmpx_lt_u32_e32 1, v34
; %bb.22:
	s_delay_alu instid0(VALU_DEP_3) | instskip(SKIP_2) | instid1(VALU_DEP_2)
	v_add_co_u32 v13, vcc_lo, v11, v9
	s_wait_alu 0xfffd
	v_add_co_ci_u32_e64 v10, null, 0, v12, vcc_lo
	v_add_co_u32 v9, vcc_lo, 0, v13
	s_wait_alu 0xfffd
	s_delay_alu instid0(VALU_DEP_2) | instskip(NEXT) | instid1(VALU_DEP_1)
	v_add_co_ci_u32_e64 v10, null, v14, v10, vcc_lo
	v_dual_mov_b32 v12, v10 :: v_dual_mov_b32 v11, v9
; %bb.23:
	s_wait_alu 0xfffe
	s_or_b32 exec_lo, exec_lo, s1
	v_mov_b32_dpp v9, v13 row_shr:4 row_mask:0xf bank_mask:0xf
	v_mov_b32_dpp v14, v10 row_shr:4 row_mask:0xf bank_mask:0xf
	s_mov_b32 s1, exec_lo
	v_cmpx_lt_u32_e32 3, v34
	;; [unrolled: 17-line block ×3, first 2 shown]
; %bb.26:
	s_delay_alu instid0(VALU_DEP_3) | instskip(SKIP_2) | instid1(VALU_DEP_2)
	v_add_co_u32 v13, vcc_lo, v11, v14
	s_wait_alu 0xfffd
	v_add_co_ci_u32_e64 v10, null, 0, v12, vcc_lo
	v_add_co_u32 v11, vcc_lo, 0, v13
	s_wait_alu 0xfffd
	s_delay_alu instid0(VALU_DEP_2) | instskip(NEXT) | instid1(VALU_DEP_1)
	v_add_co_ci_u32_e64 v12, null, v9, v10, vcc_lo
	v_mov_b32_e32 v10, v12
; %bb.27:
	s_wait_alu 0xfffe
	s_or_b32 exec_lo, exec_lo, s1
	ds_swizzle_b32 v9, v13 offset:swizzle(BROADCAST,32,15)
	ds_swizzle_b32 v14, v10 offset:swizzle(BROADCAST,32,15)
	v_and_b32_e32 v15, 16, v33
	s_mov_b32 s1, exec_lo
	s_delay_alu instid0(VALU_DEP_1)
	v_cmpx_ne_u32_e32 0, v15
	s_cbranch_execz .LBB351_29
; %bb.28:
	s_wait_dscnt 0x1
	v_add_co_u32 v13, vcc_lo, v11, v9
	s_wait_alu 0xfffd
	v_add_co_ci_u32_e64 v10, null, 0, v12, vcc_lo
	s_delay_alu instid0(VALU_DEP_2) | instskip(SKIP_2) | instid1(VALU_DEP_2)
	v_add_co_u32 v9, vcc_lo, 0, v13
	s_wait_dscnt 0x0
	s_wait_alu 0xfffd
	v_add_co_ci_u32_e64 v10, null, v14, v10, vcc_lo
	s_delay_alu instid0(VALU_DEP_1)
	v_dual_mov_b32 v12, v10 :: v_dual_mov_b32 v11, v9
.LBB351_29:
	s_wait_alu 0xfffe
	s_or_b32 exec_lo, exec_lo, s1
	s_wait_dscnt 0x1
	v_or_b32_e32 v9, 31, v0
	s_mov_b32 s1, exec_lo
	s_delay_alu instid0(VALU_DEP_1)
	v_cmpx_eq_u32_e64 v0, v9
; %bb.30:
	v_lshlrev_b32_e32 v9, 3, v28
	ds_store_b64 v9, v[11:12]
; %bb.31:
	s_wait_alu 0xfffe
	s_or_b32 exec_lo, exec_lo, s1
	s_delay_alu instid0(SALU_CYCLE_1)
	s_mov_b32 s1, exec_lo
	s_wait_loadcnt_dscnt 0x0
	s_barrier_signal -1
	s_barrier_wait -1
	global_inv scope:SCOPE_SE
	v_cmpx_gt_u32_e32 8, v0
	s_cbranch_execz .LBB351_39
; %bb.32:
	v_lshlrev_b32_e32 v9, 3, v0
	s_mov_b32 s3, exec_lo
	ds_load_b64 v[11:12], v9
	s_wait_dscnt 0x0
	v_dual_mov_b32 v15, v11 :: v_dual_and_b32 v14, 7, v33
	v_mov_b32_dpp v21, v11 row_shr:1 row_mask:0xf bank_mask:0xf
	v_mov_b32_dpp v16, v12 row_shr:1 row_mask:0xf bank_mask:0xf
	s_delay_alu instid0(VALU_DEP_3)
	v_cmpx_ne_u32_e32 0, v14
; %bb.33:
	s_delay_alu instid0(VALU_DEP_3) | instskip(SKIP_2) | instid1(VALU_DEP_2)
	v_add_co_u32 v15, vcc_lo, v11, v21
	s_wait_alu 0xfffd
	v_add_co_ci_u32_e64 v12, null, 0, v12, vcc_lo
	v_add_co_u32 v11, vcc_lo, 0, v15
	s_wait_alu 0xfffd
	s_delay_alu instid0(VALU_DEP_2)
	v_add_co_ci_u32_e64 v12, null, v16, v12, vcc_lo
; %bb.34:
	s_wait_alu 0xfffe
	s_or_b32 exec_lo, exec_lo, s3
	v_mov_b32_dpp v21, v15 row_shr:2 row_mask:0xf bank_mask:0xf
	s_delay_alu instid0(VALU_DEP_2)
	v_mov_b32_dpp v16, v12 row_shr:2 row_mask:0xf bank_mask:0xf
	s_mov_b32 s3, exec_lo
	v_cmpx_lt_u32_e32 1, v14
; %bb.35:
	s_delay_alu instid0(VALU_DEP_3) | instskip(SKIP_2) | instid1(VALU_DEP_2)
	v_add_co_u32 v15, vcc_lo, v11, v21
	s_wait_alu 0xfffd
	v_add_co_ci_u32_e64 v12, null, 0, v12, vcc_lo
	v_add_co_u32 v11, vcc_lo, 0, v15
	s_wait_alu 0xfffd
	s_delay_alu instid0(VALU_DEP_2)
	v_add_co_ci_u32_e64 v12, null, v16, v12, vcc_lo
; %bb.36:
	s_wait_alu 0xfffe
	s_or_b32 exec_lo, exec_lo, s3
	v_mov_b32_dpp v16, v15 row_shr:4 row_mask:0xf bank_mask:0xf
	s_delay_alu instid0(VALU_DEP_2)
	v_mov_b32_dpp v15, v12 row_shr:4 row_mask:0xf bank_mask:0xf
	s_mov_b32 s3, exec_lo
	v_cmpx_lt_u32_e32 3, v14
; %bb.37:
	s_delay_alu instid0(VALU_DEP_3) | instskip(SKIP_2) | instid1(VALU_DEP_2)
	v_add_co_u32 v11, vcc_lo, v11, v16
	s_wait_alu 0xfffd
	v_add_co_ci_u32_e64 v12, null, 0, v12, vcc_lo
	v_add_co_u32 v11, vcc_lo, v11, 0
	s_wait_alu 0xfffd
	s_delay_alu instid0(VALU_DEP_2)
	v_add_co_ci_u32_e64 v12, null, v12, v15, vcc_lo
; %bb.38:
	s_wait_alu 0xfffe
	s_or_b32 exec_lo, exec_lo, s3
	ds_store_b64 v9, v[11:12]
.LBB351_39:
	s_wait_alu 0xfffe
	s_or_b32 exec_lo, exec_lo, s1
	s_delay_alu instid0(SALU_CYCLE_1)
	s_mov_b32 s3, exec_lo
	v_cmp_gt_u32_e32 vcc_lo, 32, v0
	s_wait_loadcnt_dscnt 0x0
	s_barrier_signal -1
	s_barrier_wait -1
	global_inv scope:SCOPE_SE
                                        ; implicit-def: $vgpr21_vgpr22
	v_cmpx_lt_u32_e32 31, v0
	s_cbranch_execz .LBB351_41
; %bb.40:
	v_lshl_add_u32 v9, v28, 3, -8
	ds_load_b64 v[21:22], v9
	s_wait_dscnt 0x0
	v_add_co_u32 v13, s1, v13, v21
	s_wait_alu 0xf1ff
	v_add_co_ci_u32_e64 v10, null, v10, v22, s1
.LBB351_41:
	s_wait_alu 0xfffe
	s_or_b32 exec_lo, exec_lo, s3
	v_sub_co_u32 v9, s1, v33, 1
	s_delay_alu instid0(VALU_DEP_1) | instskip(SKIP_1) | instid1(VALU_DEP_1)
	v_cmp_gt_i32_e64 s3, 0, v9
	s_wait_alu 0xf1ff
	v_cndmask_b32_e64 v9, v9, v33, s3
	s_delay_alu instid0(VALU_DEP_1)
	v_lshlrev_b32_e32 v9, 2, v9
	ds_bpermute_b32 v35, v9, v13
	ds_bpermute_b32 v36, v9, v10
	s_and_saveexec_b32 s3, vcc_lo
	s_cbranch_execz .LBB351_80
; %bb.42:
	v_mov_b32_e32 v12, 0
	ds_load_b64 v[9:10], v12 offset:56
	s_and_saveexec_b32 s6, s1
	s_cbranch_execz .LBB351_44
; %bb.43:
	s_add_co_i32 s8, s21, 32
	s_mov_b32 s9, 0
	s_wait_alu 0xfffe
	s_lshl_b64 s[8:9], s[8:9], 4
	s_wait_alu 0xfffe
	s_add_nc_u64 s[8:9], s[14:15], s[8:9]
	s_wait_alu 0xfffe
	v_dual_mov_b32 v11, 1 :: v_dual_mov_b32 v14, s9
	v_mov_b32_e32 v13, s8
	s_wait_dscnt 0x0
	;;#ASMSTART
	global_store_b128 v[13:14], v[9:12] off scope:SCOPE_DEV	
s_wait_storecnt 0x0
	;;#ASMEND
.LBB351_44:
	s_or_b32 exec_lo, exec_lo, s6
	v_xad_u32 v23, v33, -1, s21
	s_mov_b32 s7, 0
	s_mov_b32 s6, exec_lo
	s_delay_alu instid0(VALU_DEP_1) | instskip(NEXT) | instid1(VALU_DEP_1)
	v_add_nc_u32_e32 v11, 32, v23
	v_lshlrev_b64_e32 v[11:12], 4, v[11:12]
	s_delay_alu instid0(VALU_DEP_1) | instskip(SKIP_1) | instid1(VALU_DEP_2)
	v_add_co_u32 v11, vcc_lo, s14, v11
	s_wait_alu 0xfffd
	v_add_co_ci_u32_e64 v12, null, s15, v12, vcc_lo
	;;#ASMSTART
	global_load_b128 v[13:16], v[11:12] off scope:SCOPE_DEV	
s_wait_loadcnt 0x0
	;;#ASMEND
	v_and_b32_e32 v16, 0xff, v15
	s_delay_alu instid0(VALU_DEP_1)
	v_cmpx_eq_u16_e32 0, v16
	s_cbranch_execz .LBB351_47
.LBB351_45:                             ; =>This Inner Loop Header: Depth=1
	;;#ASMSTART
	global_load_b128 v[13:16], v[11:12] off scope:SCOPE_DEV	
s_wait_loadcnt 0x0
	;;#ASMEND
	v_and_b32_e32 v16, 0xff, v15
	s_delay_alu instid0(VALU_DEP_1) | instskip(SKIP_1) | instid1(SALU_CYCLE_1)
	v_cmp_ne_u16_e32 vcc_lo, 0, v16
	s_or_b32 s7, vcc_lo, s7
	s_and_not1_b32 exec_lo, exec_lo, s7
	s_cbranch_execnz .LBB351_45
; %bb.46:
	s_or_b32 exec_lo, exec_lo, s7
.LBB351_47:
	s_delay_alu instid0(SALU_CYCLE_1)
	s_or_b32 exec_lo, exec_lo, s6
	v_cmp_ne_u32_e32 vcc_lo, 31, v33
	v_and_b32_e32 v12, 0xff, v15
	v_lshlrev_b32_e64 v38, v33, -1
	s_mov_b32 s6, exec_lo
	s_wait_alu 0xfffd
	v_add_co_ci_u32_e64 v11, null, 0, v33, vcc_lo
	v_cmp_eq_u16_e32 vcc_lo, 2, v12
	s_delay_alu instid0(VALU_DEP_2)
	v_dual_mov_b32 v12, v13 :: v_dual_lshlrev_b32 v37, 2, v11
	s_wait_alu 0xfffd
	v_and_or_b32 v11, vcc_lo, v38, 0x80000000
	ds_bpermute_b32 v24, v37, v13
	ds_bpermute_b32 v16, v37, v14
	v_ctz_i32_b32_e32 v11, v11
	s_delay_alu instid0(VALU_DEP_1)
	v_cmpx_lt_u32_e64 v33, v11
	s_cbranch_execz .LBB351_49
; %bb.48:
	s_wait_dscnt 0x1
	v_add_co_u32 v12, vcc_lo, v13, v24
	s_wait_alu 0xfffd
	v_add_co_ci_u32_e64 v14, null, 0, v14, vcc_lo
	s_delay_alu instid0(VALU_DEP_2) | instskip(SKIP_2) | instid1(VALU_DEP_2)
	v_add_co_u32 v13, vcc_lo, 0, v12
	s_wait_dscnt 0x0
	s_wait_alu 0xfffd
	v_add_co_ci_u32_e64 v14, null, v16, v14, vcc_lo
.LBB351_49:
	s_or_b32 exec_lo, exec_lo, s6
	v_cmp_gt_u32_e32 vcc_lo, 30, v33
	v_add_nc_u32_e32 v40, 2, v33
	s_mov_b32 s6, exec_lo
	s_wait_dscnt 0x0
	s_wait_alu 0xfffd
	v_cndmask_b32_e64 v16, 0, 2, vcc_lo
	s_delay_alu instid0(VALU_DEP_1)
	v_add_lshl_u32 v39, v16, v33, 2
	ds_bpermute_b32 v24, v39, v12
	ds_bpermute_b32 v16, v39, v14
	v_cmpx_le_u32_e64 v40, v11
	s_cbranch_execz .LBB351_51
; %bb.50:
	s_wait_dscnt 0x1
	v_add_co_u32 v12, vcc_lo, v13, v24
	s_wait_alu 0xfffd
	v_add_co_ci_u32_e64 v14, null, 0, v14, vcc_lo
	s_delay_alu instid0(VALU_DEP_2) | instskip(SKIP_2) | instid1(VALU_DEP_2)
	v_add_co_u32 v13, vcc_lo, 0, v12
	s_wait_dscnt 0x0
	s_wait_alu 0xfffd
	v_add_co_ci_u32_e64 v14, null, v16, v14, vcc_lo
.LBB351_51:
	s_or_b32 exec_lo, exec_lo, s6
	v_cmp_gt_u32_e32 vcc_lo, 28, v33
	v_add_nc_u32_e32 v42, 4, v33
	s_mov_b32 s6, exec_lo
	s_wait_dscnt 0x0
	s_wait_alu 0xfffd
	v_cndmask_b32_e64 v16, 0, 4, vcc_lo
	s_delay_alu instid0(VALU_DEP_1)
	v_add_lshl_u32 v41, v16, v33, 2
	ds_bpermute_b32 v24, v41, v12
	ds_bpermute_b32 v16, v41, v14
	v_cmpx_le_u32_e64 v42, v11
	;; [unrolled: 24-line block ×3, first 2 shown]
	s_cbranch_execz .LBB351_55
; %bb.54:
	s_wait_dscnt 0x1
	v_add_co_u32 v12, vcc_lo, v13, v24
	s_wait_alu 0xfffd
	v_add_co_ci_u32_e64 v14, null, 0, v14, vcc_lo
	s_delay_alu instid0(VALU_DEP_2) | instskip(SKIP_2) | instid1(VALU_DEP_2)
	v_add_co_u32 v13, vcc_lo, 0, v12
	s_wait_dscnt 0x0
	s_wait_alu 0xfffd
	v_add_co_ci_u32_e64 v14, null, v16, v14, vcc_lo
.LBB351_55:
	s_or_b32 exec_lo, exec_lo, s6
	v_lshl_or_b32 v45, v33, 2, 64
	v_add_nc_u32_e32 v46, 16, v33
	s_mov_b32 s6, exec_lo
	s_wait_dscnt 0x0
	ds_bpermute_b32 v16, v45, v12
	ds_bpermute_b32 v12, v45, v14
	v_cmpx_le_u32_e64 v46, v11
	s_cbranch_execz .LBB351_57
; %bb.56:
	s_wait_dscnt 0x1
	v_add_co_u32 v11, vcc_lo, v13, v16
	s_wait_alu 0xfffd
	v_add_co_ci_u32_e64 v14, null, 0, v14, vcc_lo
	s_delay_alu instid0(VALU_DEP_2) | instskip(SKIP_2) | instid1(VALU_DEP_2)
	v_add_co_u32 v13, vcc_lo, v11, 0
	s_wait_dscnt 0x0
	s_wait_alu 0xfffd
	v_add_co_ci_u32_e64 v14, null, v14, v12, vcc_lo
.LBB351_57:
	s_or_b32 exec_lo, exec_lo, s6
	v_mov_b32_e32 v24, 0
	s_branch .LBB351_60
.LBB351_58:                             ;   in Loop: Header=BB351_60 Depth=1
	s_or_b32 exec_lo, exec_lo, s6
	v_add_co_u32 v13, vcc_lo, v13, v11
	v_subrev_nc_u32_e32 v23, 32, v23
	s_wait_alu 0xfffd
	v_add_co_ci_u32_e64 v14, null, v14, v12, vcc_lo
	s_mov_b32 s6, 0
.LBB351_59:                             ;   in Loop: Header=BB351_60 Depth=1
	s_delay_alu instid0(SALU_CYCLE_1)
	s_and_b32 vcc_lo, exec_lo, s6
	s_wait_alu 0xfffe
	s_cbranch_vccnz .LBB351_76
.LBB351_60:                             ; =>This Loop Header: Depth=1
                                        ;     Child Loop BB351_63 Depth 2
	v_and_b32_e32 v11, 0xff, v15
	s_mov_b32 s6, -1
	s_delay_alu instid0(VALU_DEP_1)
	v_cmp_ne_u16_e32 vcc_lo, 2, v11
	s_wait_dscnt 0x0
	v_dual_mov_b32 v11, v13 :: v_dual_mov_b32 v12, v14
                                        ; implicit-def: $vgpr13_vgpr14
	s_cmp_lg_u32 vcc_lo, exec_lo
	s_cbranch_scc1 .LBB351_59
; %bb.61:                               ;   in Loop: Header=BB351_60 Depth=1
	v_lshlrev_b64_e32 v[13:14], 4, v[23:24]
	s_mov_b32 s6, exec_lo
	s_delay_alu instid0(VALU_DEP_1) | instskip(SKIP_1) | instid1(VALU_DEP_2)
	v_add_co_u32 v25, vcc_lo, s14, v13
	s_wait_alu 0xfffd
	v_add_co_ci_u32_e64 v26, null, s15, v14, vcc_lo
	;;#ASMSTART
	global_load_b128 v[13:16], v[25:26] off scope:SCOPE_DEV	
s_wait_loadcnt 0x0
	;;#ASMEND
	v_and_b32_e32 v16, 0xff, v15
	s_delay_alu instid0(VALU_DEP_1)
	v_cmpx_eq_u16_e32 0, v16
	s_cbranch_execz .LBB351_65
; %bb.62:                               ;   in Loop: Header=BB351_60 Depth=1
	s_mov_b32 s7, 0
.LBB351_63:                             ;   Parent Loop BB351_60 Depth=1
                                        ; =>  This Inner Loop Header: Depth=2
	;;#ASMSTART
	global_load_b128 v[13:16], v[25:26] off scope:SCOPE_DEV	
s_wait_loadcnt 0x0
	;;#ASMEND
	v_and_b32_e32 v16, 0xff, v15
	s_delay_alu instid0(VALU_DEP_1) | instskip(SKIP_1) | instid1(SALU_CYCLE_1)
	v_cmp_ne_u16_e32 vcc_lo, 0, v16
	s_or_b32 s7, vcc_lo, s7
	s_and_not1_b32 exec_lo, exec_lo, s7
	s_cbranch_execnz .LBB351_63
; %bb.64:                               ;   in Loop: Header=BB351_60 Depth=1
	s_or_b32 exec_lo, exec_lo, s7
.LBB351_65:                             ;   in Loop: Header=BB351_60 Depth=1
	s_delay_alu instid0(SALU_CYCLE_1)
	s_or_b32 exec_lo, exec_lo, s6
	v_dual_mov_b32 v25, v13 :: v_dual_and_b32 v16, 0xff, v15
	ds_bpermute_b32 v47, v37, v13
	ds_bpermute_b32 v26, v37, v14
	s_mov_b32 s6, exec_lo
	v_cmp_eq_u16_e32 vcc_lo, 2, v16
	s_wait_alu 0xfffd
	v_and_or_b32 v16, vcc_lo, v38, 0x80000000
	s_delay_alu instid0(VALU_DEP_1) | instskip(NEXT) | instid1(VALU_DEP_1)
	v_ctz_i32_b32_e32 v16, v16
	v_cmpx_lt_u32_e64 v33, v16
	s_cbranch_execz .LBB351_67
; %bb.66:                               ;   in Loop: Header=BB351_60 Depth=1
	s_wait_dscnt 0x1
	v_add_co_u32 v25, vcc_lo, v13, v47
	s_wait_alu 0xfffd
	v_add_co_ci_u32_e64 v14, null, 0, v14, vcc_lo
	s_delay_alu instid0(VALU_DEP_2) | instskip(SKIP_2) | instid1(VALU_DEP_2)
	v_add_co_u32 v13, vcc_lo, 0, v25
	s_wait_dscnt 0x0
	s_wait_alu 0xfffd
	v_add_co_ci_u32_e64 v14, null, v26, v14, vcc_lo
.LBB351_67:                             ;   in Loop: Header=BB351_60 Depth=1
	s_or_b32 exec_lo, exec_lo, s6
	s_wait_dscnt 0x1
	ds_bpermute_b32 v47, v39, v25
	s_wait_dscnt 0x1
	ds_bpermute_b32 v26, v39, v14
	s_mov_b32 s6, exec_lo
	v_cmpx_le_u32_e64 v40, v16
	s_cbranch_execz .LBB351_69
; %bb.68:                               ;   in Loop: Header=BB351_60 Depth=1
	s_wait_dscnt 0x1
	v_add_co_u32 v25, vcc_lo, v13, v47
	s_wait_alu 0xfffd
	v_add_co_ci_u32_e64 v14, null, 0, v14, vcc_lo
	s_delay_alu instid0(VALU_DEP_2) | instskip(SKIP_2) | instid1(VALU_DEP_2)
	v_add_co_u32 v13, vcc_lo, 0, v25
	s_wait_dscnt 0x0
	s_wait_alu 0xfffd
	v_add_co_ci_u32_e64 v14, null, v26, v14, vcc_lo
.LBB351_69:                             ;   in Loop: Header=BB351_60 Depth=1
	s_or_b32 exec_lo, exec_lo, s6
	s_wait_dscnt 0x1
	ds_bpermute_b32 v47, v41, v25
	s_wait_dscnt 0x1
	ds_bpermute_b32 v26, v41, v14
	s_mov_b32 s6, exec_lo
	v_cmpx_le_u32_e64 v42, v16
	;; [unrolled: 19-line block ×3, first 2 shown]
	s_cbranch_execz .LBB351_73
; %bb.72:                               ;   in Loop: Header=BB351_60 Depth=1
	s_wait_dscnt 0x1
	v_add_co_u32 v25, vcc_lo, v13, v47
	s_wait_alu 0xfffd
	v_add_co_ci_u32_e64 v14, null, 0, v14, vcc_lo
	s_delay_alu instid0(VALU_DEP_2) | instskip(SKIP_2) | instid1(VALU_DEP_2)
	v_add_co_u32 v13, vcc_lo, 0, v25
	s_wait_dscnt 0x0
	s_wait_alu 0xfffd
	v_add_co_ci_u32_e64 v14, null, v26, v14, vcc_lo
.LBB351_73:                             ;   in Loop: Header=BB351_60 Depth=1
	s_or_b32 exec_lo, exec_lo, s6
	s_wait_dscnt 0x0
	ds_bpermute_b32 v26, v45, v25
	ds_bpermute_b32 v25, v45, v14
	s_mov_b32 s6, exec_lo
	v_cmpx_le_u32_e64 v46, v16
	s_cbranch_execz .LBB351_58
; %bb.74:                               ;   in Loop: Header=BB351_60 Depth=1
	s_wait_dscnt 0x1
	v_add_co_u32 v13, vcc_lo, v13, v26
	s_wait_alu 0xfffd
	v_add_co_ci_u32_e64 v14, null, 0, v14, vcc_lo
	s_delay_alu instid0(VALU_DEP_2) | instskip(SKIP_2) | instid1(VALU_DEP_2)
	v_add_co_u32 v13, vcc_lo, v13, 0
	s_wait_dscnt 0x0
	s_wait_alu 0xfffd
	v_add_co_ci_u32_e64 v14, null, v14, v25, vcc_lo
	s_branch .LBB351_58
.LBB351_75:
                                        ; implicit-def: $vgpr15_vgpr16
                                        ; implicit-def: $vgpr13_vgpr14
                                        ; implicit-def: $vgpr21_vgpr22
                                        ; implicit-def: $vgpr23_vgpr24
                                        ; implicit-def: $vgpr11_vgpr12
	s_wait_alu 0xfffe
	s_and_b32 vcc_lo, exec_lo, s1
	s_wait_alu 0xfffe
	s_cbranch_vccnz .LBB351_81
	s_branch .LBB351_106
.LBB351_76:
	s_and_saveexec_b32 s6, s1
	s_cbranch_execz .LBB351_78
; %bb.77:
	s_add_co_i32 s8, s21, 32
	s_mov_b32 s9, 0
	v_add_co_u32 v13, vcc_lo, v11, v9
	s_wait_alu 0xfffe
	s_lshl_b64 s[8:9], s[8:9], 4
	v_dual_mov_b32 v15, 2 :: v_dual_mov_b32 v16, 0
	s_wait_alu 0xfffe
	s_add_nc_u64 s[8:9], s[14:15], s[8:9]
	s_wait_alu 0xfffd
	v_add_co_ci_u32_e64 v14, null, v12, v10, vcc_lo
	s_wait_alu 0xfffe
	v_dual_mov_b32 v24, s9 :: v_dual_mov_b32 v23, s8
	;;#ASMSTART
	global_store_b128 v[23:24], v[13:16] off scope:SCOPE_DEV	
s_wait_storecnt 0x0
	;;#ASMEND
	ds_store_b128 v16, v[9:12] offset:8448
.LBB351_78:
	s_or_b32 exec_lo, exec_lo, s6
	s_delay_alu instid0(SALU_CYCLE_1)
	s_and_b32 exec_lo, exec_lo, s2
; %bb.79:
	v_mov_b32_e32 v9, 0
	ds_store_b64 v9, v[11:12] offset:56
.LBB351_80:
	s_wait_alu 0xfffe
	s_or_b32 exec_lo, exec_lo, s3
	v_mov_b32_e32 v9, 0
	s_wait_loadcnt_dscnt 0x0
	s_barrier_signal -1
	s_barrier_wait -1
	global_inv scope:SCOPE_SE
	ds_load_b64 v[13:14], v9 offset:56
	v_cndmask_b32_e64 v11, v35, v21, s1
	v_cndmask_b32_e64 v10, v36, v22, s1
	s_wait_loadcnt_dscnt 0x0
	s_barrier_signal -1
	s_barrier_wait -1
	v_cndmask_b32_e64 v16, v11, 0, s2
	v_cndmask_b32_e64 v15, v10, 0, s2
	global_inv scope:SCOPE_SE
	ds_load_b128 v[9:12], v9 offset:8448
	v_add_co_u32 v23, vcc_lo, v13, v16
	s_wait_alu 0xfffd
	v_add_co_ci_u32_e64 v24, null, v14, v15, vcc_lo
	s_delay_alu instid0(VALU_DEP_2) | instskip(SKIP_1) | instid1(VALU_DEP_2)
	v_add_co_u32 v21, vcc_lo, v23, v32
	s_wait_alu 0xfffd
	v_add_co_ci_u32_e64 v22, null, 0, v24, vcc_lo
	s_delay_alu instid0(VALU_DEP_2) | instskip(SKIP_1) | instid1(VALU_DEP_2)
	;; [unrolled: 4-line block ×3, first 2 shown]
	v_add_co_u32 v15, vcc_lo, v13, v30
	s_wait_alu 0xfffd
	v_add_co_ci_u32_e64 v16, null, 0, v14, vcc_lo
	s_branch .LBB351_106
.LBB351_81:
	s_wait_dscnt 0x0
	v_dual_mov_b32 v10, 0 :: v_dual_mov_b32 v11, v19
	v_mov_b32_dpp v12, v19 row_shr:1 row_mask:0xf bank_mask:0xf
	s_delay_alu instid0(VALU_DEP_2)
	v_mov_b32_dpp v9, v10 row_shr:1 row_mask:0xf bank_mask:0xf
	s_and_saveexec_b32 s1, s0
; %bb.82:
	s_delay_alu instid0(VALU_DEP_2) | instskip(SKIP_2) | instid1(VALU_DEP_2)
	v_add_co_u32 v11, vcc_lo, v19, v12
	s_wait_alu 0xfffd
	v_add_co_ci_u32_e64 v10, null, 0, v20, vcc_lo
	v_add_co_u32 v19, vcc_lo, 0, v11
	s_wait_alu 0xfffd
	s_delay_alu instid0(VALU_DEP_2) | instskip(NEXT) | instid1(VALU_DEP_1)
	v_add_co_ci_u32_e64 v20, null, v9, v10, vcc_lo
	v_mov_b32_e32 v10, v20
; %bb.83:
	s_wait_alu 0xfffe
	s_or_b32 exec_lo, exec_lo, s1
	v_mov_b32_dpp v9, v11 row_shr:2 row_mask:0xf bank_mask:0xf
	s_delay_alu instid0(VALU_DEP_2)
	v_mov_b32_dpp v12, v10 row_shr:2 row_mask:0xf bank_mask:0xf
	s_mov_b32 s0, exec_lo
	v_cmpx_lt_u32_e32 1, v34
; %bb.84:
	s_delay_alu instid0(VALU_DEP_3) | instskip(SKIP_2) | instid1(VALU_DEP_2)
	v_add_co_u32 v11, vcc_lo, v19, v9
	s_wait_alu 0xfffd
	v_add_co_ci_u32_e64 v10, null, 0, v20, vcc_lo
	v_add_co_u32 v9, vcc_lo, 0, v11
	s_wait_alu 0xfffd
	s_delay_alu instid0(VALU_DEP_2) | instskip(NEXT) | instid1(VALU_DEP_1)
	v_add_co_ci_u32_e64 v10, null, v12, v10, vcc_lo
	v_dual_mov_b32 v20, v10 :: v_dual_mov_b32 v19, v9
; %bb.85:
	s_wait_alu 0xfffe
	s_or_b32 exec_lo, exec_lo, s0
	v_mov_b32_dpp v9, v11 row_shr:4 row_mask:0xf bank_mask:0xf
	v_mov_b32_dpp v12, v10 row_shr:4 row_mask:0xf bank_mask:0xf
	s_mov_b32 s0, exec_lo
	v_cmpx_lt_u32_e32 3, v34
; %bb.86:
	s_delay_alu instid0(VALU_DEP_3) | instskip(SKIP_2) | instid1(VALU_DEP_2)
	v_add_co_u32 v11, vcc_lo, v19, v9
	s_wait_alu 0xfffd
	v_add_co_ci_u32_e64 v10, null, 0, v20, vcc_lo
	v_add_co_u32 v9, vcc_lo, 0, v11
	s_wait_alu 0xfffd
	s_delay_alu instid0(VALU_DEP_2) | instskip(NEXT) | instid1(VALU_DEP_1)
	v_add_co_ci_u32_e64 v10, null, v12, v10, vcc_lo
	v_dual_mov_b32 v20, v10 :: v_dual_mov_b32 v19, v9
; %bb.87:
	s_wait_alu 0xfffe
	s_or_b32 exec_lo, exec_lo, s0
	v_mov_b32_dpp v12, v11 row_shr:8 row_mask:0xf bank_mask:0xf
	v_mov_b32_dpp v9, v10 row_shr:8 row_mask:0xf bank_mask:0xf
	s_mov_b32 s0, exec_lo
	v_cmpx_lt_u32_e32 7, v34
; %bb.88:
	s_delay_alu instid0(VALU_DEP_3) | instskip(SKIP_2) | instid1(VALU_DEP_2)
	v_add_co_u32 v11, vcc_lo, v19, v12
	s_wait_alu 0xfffd
	v_add_co_ci_u32_e64 v10, null, 0, v20, vcc_lo
	v_add_co_u32 v19, vcc_lo, 0, v11
	s_wait_alu 0xfffd
	s_delay_alu instid0(VALU_DEP_2) | instskip(NEXT) | instid1(VALU_DEP_1)
	v_add_co_ci_u32_e64 v20, null, v9, v10, vcc_lo
	v_mov_b32_e32 v10, v20
; %bb.89:
	s_wait_alu 0xfffe
	s_or_b32 exec_lo, exec_lo, s0
	ds_swizzle_b32 v11, v11 offset:swizzle(BROADCAST,32,15)
	ds_swizzle_b32 v9, v10 offset:swizzle(BROADCAST,32,15)
	v_and_b32_e32 v10, 16, v33
	s_mov_b32 s0, exec_lo
	s_delay_alu instid0(VALU_DEP_1)
	v_cmpx_ne_u32_e32 0, v10
	s_cbranch_execz .LBB351_91
; %bb.90:
	s_wait_dscnt 0x1
	v_add_co_u32 v10, vcc_lo, v19, v11
	s_wait_alu 0xfffd
	v_add_co_ci_u32_e64 v11, null, 0, v20, vcc_lo
	s_delay_alu instid0(VALU_DEP_2) | instskip(SKIP_2) | instid1(VALU_DEP_2)
	v_add_co_u32 v19, vcc_lo, v10, 0
	s_wait_dscnt 0x0
	s_wait_alu 0xfffd
	v_add_co_ci_u32_e64 v20, null, v11, v9, vcc_lo
.LBB351_91:
	s_wait_alu 0xfffe
	s_or_b32 exec_lo, exec_lo, s0
	s_wait_dscnt 0x0
	v_or_b32_e32 v9, 31, v0
	s_mov_b32 s0, exec_lo
	s_delay_alu instid0(VALU_DEP_1)
	v_cmpx_eq_u32_e64 v0, v9
; %bb.92:
	v_lshlrev_b32_e32 v9, 3, v28
	ds_store_b64 v9, v[19:20]
; %bb.93:
	s_wait_alu 0xfffe
	s_or_b32 exec_lo, exec_lo, s0
	s_delay_alu instid0(SALU_CYCLE_1)
	s_mov_b32 s0, exec_lo
	s_wait_loadcnt_dscnt 0x0
	s_barrier_signal -1
	s_barrier_wait -1
	global_inv scope:SCOPE_SE
	v_cmpx_gt_u32_e32 8, v0
	s_cbranch_execz .LBB351_101
; %bb.94:
	v_lshlrev_b32_e32 v11, 3, v0
	s_mov_b32 s1, exec_lo
	ds_load_b64 v[9:10], v11
	s_wait_dscnt 0x0
	v_dual_mov_b32 v13, v9 :: v_dual_and_b32 v12, 7, v33
	v_mov_b32_dpp v15, v9 row_shr:1 row_mask:0xf bank_mask:0xf
	v_mov_b32_dpp v14, v10 row_shr:1 row_mask:0xf bank_mask:0xf
	s_delay_alu instid0(VALU_DEP_3)
	v_cmpx_ne_u32_e32 0, v12
; %bb.95:
	s_delay_alu instid0(VALU_DEP_3) | instskip(SKIP_2) | instid1(VALU_DEP_2)
	v_add_co_u32 v13, vcc_lo, v9, v15
	s_wait_alu 0xfffd
	v_add_co_ci_u32_e64 v10, null, 0, v10, vcc_lo
	v_add_co_u32 v9, vcc_lo, 0, v13
	s_wait_alu 0xfffd
	s_delay_alu instid0(VALU_DEP_2)
	v_add_co_ci_u32_e64 v10, null, v14, v10, vcc_lo
; %bb.96:
	s_wait_alu 0xfffe
	s_or_b32 exec_lo, exec_lo, s1
	v_mov_b32_dpp v15, v13 row_shr:2 row_mask:0xf bank_mask:0xf
	s_delay_alu instid0(VALU_DEP_2)
	v_mov_b32_dpp v14, v10 row_shr:2 row_mask:0xf bank_mask:0xf
	s_mov_b32 s1, exec_lo
	v_cmpx_lt_u32_e32 1, v12
; %bb.97:
	s_delay_alu instid0(VALU_DEP_3) | instskip(SKIP_2) | instid1(VALU_DEP_2)
	v_add_co_u32 v13, vcc_lo, v9, v15
	s_wait_alu 0xfffd
	v_add_co_ci_u32_e64 v10, null, 0, v10, vcc_lo
	v_add_co_u32 v9, vcc_lo, 0, v13
	s_wait_alu 0xfffd
	s_delay_alu instid0(VALU_DEP_2)
	v_add_co_ci_u32_e64 v10, null, v14, v10, vcc_lo
; %bb.98:
	s_wait_alu 0xfffe
	s_or_b32 exec_lo, exec_lo, s1
	v_mov_b32_dpp v14, v13 row_shr:4 row_mask:0xf bank_mask:0xf
	s_delay_alu instid0(VALU_DEP_2)
	v_mov_b32_dpp v13, v10 row_shr:4 row_mask:0xf bank_mask:0xf
	s_mov_b32 s1, exec_lo
	v_cmpx_lt_u32_e32 3, v12
; %bb.99:
	s_delay_alu instid0(VALU_DEP_3) | instskip(SKIP_2) | instid1(VALU_DEP_2)
	v_add_co_u32 v9, vcc_lo, v9, v14
	s_wait_alu 0xfffd
	v_add_co_ci_u32_e64 v10, null, 0, v10, vcc_lo
	v_add_co_u32 v9, vcc_lo, v9, 0
	s_wait_alu 0xfffd
	s_delay_alu instid0(VALU_DEP_2)
	v_add_co_ci_u32_e64 v10, null, v10, v13, vcc_lo
; %bb.100:
	s_wait_alu 0xfffe
	s_or_b32 exec_lo, exec_lo, s1
	ds_store_b64 v11, v[9:10]
.LBB351_101:
	s_wait_alu 0xfffe
	s_or_b32 exec_lo, exec_lo, s0
	v_mov_b32_e32 v13, 0
	v_mov_b32_e32 v14, 0
	s_mov_b32 s0, exec_lo
	s_wait_loadcnt_dscnt 0x0
	s_barrier_signal -1
	s_barrier_wait -1
	global_inv scope:SCOPE_SE
	v_cmpx_lt_u32_e32 31, v0
; %bb.102:
	v_lshl_add_u32 v9, v28, 3, -8
	ds_load_b64 v[13:14], v9
; %bb.103:
	s_wait_alu 0xfffe
	s_or_b32 exec_lo, exec_lo, s0
	v_sub_co_u32 v9, vcc_lo, v33, 1
	v_mov_b32_e32 v12, 0
	s_delay_alu instid0(VALU_DEP_2) | instskip(SKIP_1) | instid1(VALU_DEP_1)
	v_cmp_gt_i32_e64 s0, 0, v9
	s_wait_alu 0xf1ff
	v_cndmask_b32_e64 v9, v9, v33, s0
	s_wait_dscnt 0x0
	v_add_co_u32 v10, s0, v13, v19
	s_wait_alu 0xf1ff
	v_add_co_ci_u32_e64 v11, null, v14, v20, s0
	v_lshlrev_b32_e32 v9, 2, v9
	ds_bpermute_b32 v15, v9, v10
	ds_bpermute_b32 v16, v9, v11
	ds_load_b64 v[9:10], v12 offset:56
	s_and_saveexec_b32 s0, s2
	s_cbranch_execz .LBB351_105
; %bb.104:
	s_add_nc_u64 s[6:7], s[14:15], 0x200
	s_delay_alu instid0(SALU_CYCLE_1)
	v_dual_mov_b32 v11, 2 :: v_dual_mov_b32 v20, s7
	v_mov_b32_e32 v19, s6
	s_wait_dscnt 0x0
	;;#ASMSTART
	global_store_b128 v[19:20], v[9:12] off scope:SCOPE_DEV	
s_wait_storecnt 0x0
	;;#ASMEND
.LBB351_105:
	s_wait_alu 0xfffe
	s_or_b32 exec_lo, exec_lo, s0
	s_wait_dscnt 0x1
	s_wait_alu 0xfffd
	v_dual_cndmask_b32 v11, v15, v13 :: v_dual_cndmask_b32 v12, v16, v14
	s_wait_loadcnt_dscnt 0x0
	s_barrier_signal -1
	s_barrier_wait -1
	s_delay_alu instid0(VALU_DEP_1)
	v_cndmask_b32_e64 v23, v11, 0, s2
	v_cndmask_b32_e64 v24, v12, 0, s2
	v_mov_b32_e32 v11, 0
	v_mov_b32_e32 v12, 0
	global_inv scope:SCOPE_SE
	v_add_co_u32 v21, vcc_lo, v23, v32
	s_wait_alu 0xfffd
	v_add_co_ci_u32_e64 v22, null, 0, v24, vcc_lo
	s_delay_alu instid0(VALU_DEP_2) | instskip(SKIP_1) | instid1(VALU_DEP_2)
	v_add_co_u32 v13, vcc_lo, v21, v31
	s_wait_alu 0xfffd
	v_add_co_ci_u32_e64 v14, null, 0, v22, vcc_lo
	s_delay_alu instid0(VALU_DEP_2) | instskip(SKIP_1) | instid1(VALU_DEP_2)
	v_add_co_u32 v15, vcc_lo, v13, v30
	s_wait_alu 0xfffd
	v_add_co_ci_u32_e64 v16, null, 0, v14, vcc_lo
.LBB351_106:
	v_and_b32_e32 v28, 1, v29
	s_wait_dscnt 0x0
	v_cmp_gt_u64_e32 vcc_lo, 0x101, v[9:10]
	v_lshrrev_b32_e32 v25, 16, v29
	v_lshrrev_b32_e32 v26, 8, v29
	s_mov_b32 s1, -1
	v_cmp_eq_u32_e64 s0, 1, v28
	s_cbranch_vccnz .LBB351_110
; %bb.107:
	s_wait_alu 0xfffe
	s_and_b32 vcc_lo, exec_lo, s1
	s_wait_alu 0xfffe
	s_cbranch_vccnz .LBB351_119
.LBB351_108:
	s_and_b32 s0, s2, s19
	s_wait_alu 0xfffe
	s_and_saveexec_b32 s1, s0
	s_cbranch_execnz .LBB351_131
.LBB351_109:
	s_endpgm
.LBB351_110:
	v_add_co_u32 v19, vcc_lo, v11, v9
	s_wait_alu 0xfffd
	v_add_co_ci_u32_e64 v20, null, v12, v10, vcc_lo
	s_delay_alu instid0(VALU_DEP_1)
	v_cmp_lt_u64_e32 vcc_lo, v[23:24], v[19:20]
	s_or_b32 s1, s20, vcc_lo
	s_wait_alu 0xfffe
	s_and_b32 s1, s1, s0
	s_wait_alu 0xfffe
	s_and_saveexec_b32 s0, s1
	s_cbranch_execz .LBB351_112
; %bb.111:
	v_lshlrev_b64_e32 v[29:30], 3, v[17:18]
	v_lshlrev_b64_e32 v[31:32], 3, v[23:24]
	s_delay_alu instid0(VALU_DEP_2) | instskip(SKIP_1) | instid1(VALU_DEP_3)
	v_add_co_u32 v24, vcc_lo, s12, v29
	s_wait_alu 0xfffd
	v_add_co_ci_u32_e64 v30, null, s13, v30, vcc_lo
	s_delay_alu instid0(VALU_DEP_2) | instskip(SKIP_1) | instid1(VALU_DEP_2)
	v_add_co_u32 v29, vcc_lo, v24, v31
	s_wait_alu 0xfffd
	v_add_co_ci_u32_e64 v30, null, v30, v32, vcc_lo
	global_store_b64 v[29:30], v[5:6], off
.LBB351_112:
	s_wait_alu 0xfffe
	s_or_b32 exec_lo, exec_lo, s0
	v_and_b32_e32 v24, 1, v26
	v_cmp_lt_u64_e32 vcc_lo, v[21:22], v[19:20]
	s_delay_alu instid0(VALU_DEP_2)
	v_cmp_eq_u32_e64 s0, 1, v24
	s_or_b32 s1, s20, vcc_lo
	s_wait_alu 0xfffe
	s_and_b32 s1, s1, s0
	s_wait_alu 0xfffe
	s_and_saveexec_b32 s0, s1
	s_cbranch_execz .LBB351_114
; %bb.113:
	v_lshlrev_b64_e32 v[29:30], 3, v[17:18]
	v_lshlrev_b64_e32 v[31:32], 3, v[21:22]
	s_delay_alu instid0(VALU_DEP_2) | instskip(SKIP_1) | instid1(VALU_DEP_3)
	v_add_co_u32 v22, vcc_lo, s12, v29
	s_wait_alu 0xfffd
	v_add_co_ci_u32_e64 v24, null, s13, v30, vcc_lo
	s_delay_alu instid0(VALU_DEP_2) | instskip(SKIP_1) | instid1(VALU_DEP_2)
	v_add_co_u32 v29, vcc_lo, v22, v31
	s_wait_alu 0xfffd
	v_add_co_ci_u32_e64 v30, null, v24, v32, vcc_lo
	global_store_b64 v[29:30], v[7:8], off
.LBB351_114:
	s_wait_alu 0xfffe
	s_or_b32 exec_lo, exec_lo, s0
	v_and_b32_e32 v22, 1, v25
	v_cmp_lt_u64_e32 vcc_lo, v[13:14], v[19:20]
	s_delay_alu instid0(VALU_DEP_2)
	v_cmp_eq_u32_e64 s0, 1, v22
	;; [unrolled: 25-line block ×3, first 2 shown]
	s_or_b32 s1, s20, vcc_lo
	s_wait_alu 0xfffe
	s_and_b32 s1, s1, s0
	s_wait_alu 0xfffe
	s_and_saveexec_b32 s0, s1
	s_cbranch_execz .LBB351_118
; %bb.117:
	v_lshlrev_b64_e32 v[19:20], 3, v[17:18]
	v_lshlrev_b64_e32 v[29:30], 3, v[15:16]
	s_delay_alu instid0(VALU_DEP_2) | instskip(SKIP_1) | instid1(VALU_DEP_3)
	v_add_co_u32 v14, vcc_lo, s12, v19
	s_wait_alu 0xfffd
	v_add_co_ci_u32_e64 v16, null, s13, v20, vcc_lo
	s_delay_alu instid0(VALU_DEP_2) | instskip(SKIP_1) | instid1(VALU_DEP_2)
	v_add_co_u32 v19, vcc_lo, v14, v29
	s_wait_alu 0xfffd
	v_add_co_ci_u32_e64 v20, null, v16, v30, vcc_lo
	global_store_b64 v[19:20], v[3:4], off
.LBB351_118:
	s_wait_alu 0xfffe
	s_or_b32 exec_lo, exec_lo, s0
	s_branch .LBB351_108
.LBB351_119:
	s_mov_b32 s0, exec_lo
	v_cmpx_eq_u32_e32 1, v28
; %bb.120:
	v_sub_nc_u32_e32 v14, v23, v11
	s_delay_alu instid0(VALU_DEP_1)
	v_lshlrev_b32_e32 v14, 3, v14
	ds_store_b64 v14, v[5:6]
; %bb.121:
	s_wait_alu 0xfffe
	s_or_b32 exec_lo, exec_lo, s0
	v_and_b32_e32 v5, 1, v26
	s_mov_b32 s0, exec_lo
	s_delay_alu instid0(VALU_DEP_1)
	v_cmpx_eq_u32_e32 1, v5
; %bb.122:
	v_sub_nc_u32_e32 v5, v21, v11
	s_delay_alu instid0(VALU_DEP_1)
	v_lshlrev_b32_e32 v5, 3, v5
	ds_store_b64 v5, v[7:8]
; %bb.123:
	s_wait_alu 0xfffe
	s_or_b32 exec_lo, exec_lo, s0
	v_and_b32_e32 v5, 1, v25
	s_mov_b32 s0, exec_lo
	s_delay_alu instid0(VALU_DEP_1)
	;; [unrolled: 12-line block ×3, first 2 shown]
	v_cmpx_eq_u32_e32 1, v1
; %bb.126:
	v_sub_nc_u32_e32 v1, v15, v11
	s_delay_alu instid0(VALU_DEP_1)
	v_lshlrev_b32_e32 v1, 3, v1
	ds_store_b64 v1, v[3:4]
; %bb.127:
	s_wait_alu 0xfffe
	s_or_b32 exec_lo, exec_lo, s0
	v_mov_b32_e32 v1, 0
	s_mov_b32 s1, exec_lo
	s_wait_storecnt 0x0
	s_wait_loadcnt_dscnt 0x0
	s_barrier_signal -1
	s_barrier_wait -1
	global_inv scope:SCOPE_SE
	v_cmpx_gt_u64_e64 v[9:10], v[0:1]
	s_cbranch_execz .LBB351_130
; %bb.128:
	v_lshlrev_b64_e32 v[2:3], 3, v[11:12]
	v_lshlrev_b64_e32 v[4:5], 3, v[17:18]
	s_mov_b32 s3, 0
	s_delay_alu instid0(VALU_DEP_2) | instskip(SKIP_1) | instid1(VALU_DEP_3)
	v_add_co_u32 v6, vcc_lo, s12, v2
	s_wait_alu 0xfffd
	v_add_co_ci_u32_e64 v7, null, s13, v3, vcc_lo
	v_dual_mov_b32 v3, v1 :: v_dual_mov_b32 v2, v0
	s_delay_alu instid0(VALU_DEP_3) | instskip(SKIP_1) | instid1(VALU_DEP_3)
	v_add_co_u32 v4, vcc_lo, v6, v4
	s_wait_alu 0xfffd
	v_add_co_ci_u32_e64 v5, null, v7, v5, vcc_lo
	v_or_b32_e32 v0, 0x100, v0
.LBB351_129:                            ; =>This Inner Loop Header: Depth=1
	v_lshlrev_b32_e32 v6, 3, v2
	v_lshlrev_b64_e32 v[13:14], 3, v[2:3]
	v_mov_b32_e32 v3, v1
	s_delay_alu instid0(VALU_DEP_4)
	v_cmp_le_u64_e32 vcc_lo, v[9:10], v[0:1]
	v_mov_b32_e32 v2, v0
	ds_load_b64 v[6:7], v6
	v_add_nc_u32_e32 v0, 0x100, v0
	v_add_co_u32 v13, s0, v4, v13
	s_wait_alu 0xf1ff
	v_add_co_ci_u32_e64 v14, null, v5, v14, s0
	s_wait_alu 0xfffe
	s_or_b32 s3, vcc_lo, s3
	s_wait_dscnt 0x0
	global_store_b64 v[13:14], v[6:7], off
	s_wait_alu 0xfffe
	s_and_not1_b32 exec_lo, exec_lo, s3
	s_cbranch_execnz .LBB351_129
.LBB351_130:
	s_wait_alu 0xfffe
	s_or_b32 exec_lo, exec_lo, s1
	s_and_b32 s0, s2, s19
	s_wait_alu 0xfffe
	s_and_saveexec_b32 s1, s0
	s_cbranch_execz .LBB351_109
.LBB351_131:
	v_add_co_u32 v0, vcc_lo, v11, v9
	s_wait_alu 0xfffd
	v_add_co_ci_u32_e64 v1, null, v12, v10, vcc_lo
	v_mov_b32_e32 v2, 0
	s_delay_alu instid0(VALU_DEP_3) | instskip(SKIP_1) | instid1(VALU_DEP_3)
	v_add_co_u32 v0, vcc_lo, v0, v17
	s_wait_alu 0xfffd
	v_add_co_ci_u32_e64 v1, null, v1, v18, vcc_lo
	global_store_b64 v2, v[0:1], s[4:5]
	s_endpgm
.LBB351_132:
	global_load_u16 v19, v11, s[0:1] offset:512
	s_wait_loadcnt 0x0
	v_cmp_ne_u16_e32 vcc_lo, 0, v19
	s_wait_alu 0xfffd
	v_cndmask_b32_e64 v19, 0, 1, vcc_lo
	s_delay_alu instid0(VALU_DEP_1) | instskip(NEXT) | instid1(VALU_DEP_1)
	v_lshlrev_b16 v19, 8, v19
	v_or_b32_e32 v15, v15, v19
	s_delay_alu instid0(VALU_DEP_1) | instskip(SKIP_1) | instid1(SALU_CYCLE_1)
	v_and_b32_e32 v15, 0xffff, v15
	s_or_b32 exec_lo, exec_lo, s6
	s_mov_b32 s6, exec_lo
	v_cmpx_gt_u32_e64 s3, v10
	s_cbranch_execz .LBB351_15
.LBB351_133:
	global_load_u16 v19, v11, s[0:1] offset:1024
	s_wait_loadcnt 0x0
	v_cmp_ne_u16_e32 vcc_lo, 0, v19
	s_wait_alu 0xfffd
	v_cndmask_b32_e64 v19, 0, 1, vcc_lo
	s_delay_alu instid0(VALU_DEP_1)
	v_lshl_or_b32 v15, v19, 16, v15
	s_or_b32 exec_lo, exec_lo, s6
	v_cmp_gt_u32_e32 vcc_lo, s3, v9
	s_and_saveexec_b32 s3, vcc_lo
	s_cbranch_execnz .LBB351_16
	s_branch .LBB351_17
	.section	.rodata,"a",@progbits
	.p2align	6, 0x0
	.amdhsa_kernel _ZN7rocprim17ROCPRIM_400000_NS6detail17trampoline_kernelINS0_14default_configENS1_25partition_config_selectorILNS1_17partition_subalgoE5ElNS0_10empty_typeEbEEZZNS1_14partition_implILS5_5ELb0ES3_mN6hipcub16HIPCUB_304000_NS21CountingInputIteratorIllEEPS6_NSA_22TransformInputIteratorIbN2at6native12_GLOBAL__N_19NonZeroOpIsEEPKslEENS0_5tupleIJPlS6_EEENSN_IJSD_SD_EEES6_PiJS6_EEE10hipError_tPvRmT3_T4_T5_T6_T7_T9_mT8_P12ihipStream_tbDpT10_ENKUlT_T0_E_clISt17integral_constantIbLb0EES1A_IbLb1EEEEDaS16_S17_EUlS16_E_NS1_11comp_targetILNS1_3genE10ELNS1_11target_archE1200ELNS1_3gpuE4ELNS1_3repE0EEENS1_30default_config_static_selectorELNS0_4arch9wavefront6targetE0EEEvT1_
		.amdhsa_group_segment_fixed_size 8464
		.amdhsa_private_segment_fixed_size 0
		.amdhsa_kernarg_size 136
		.amdhsa_user_sgpr_count 2
		.amdhsa_user_sgpr_dispatch_ptr 0
		.amdhsa_user_sgpr_queue_ptr 0
		.amdhsa_user_sgpr_kernarg_segment_ptr 1
		.amdhsa_user_sgpr_dispatch_id 0
		.amdhsa_user_sgpr_private_segment_size 0
		.amdhsa_wavefront_size32 1
		.amdhsa_uses_dynamic_stack 0
		.amdhsa_enable_private_segment 0
		.amdhsa_system_sgpr_workgroup_id_x 1
		.amdhsa_system_sgpr_workgroup_id_y 0
		.amdhsa_system_sgpr_workgroup_id_z 0
		.amdhsa_system_sgpr_workgroup_info 0
		.amdhsa_system_vgpr_workitem_id 0
		.amdhsa_next_free_vgpr 48
		.amdhsa_next_free_sgpr 24
		.amdhsa_reserve_vcc 1
		.amdhsa_float_round_mode_32 0
		.amdhsa_float_round_mode_16_64 0
		.amdhsa_float_denorm_mode_32 3
		.amdhsa_float_denorm_mode_16_64 3
		.amdhsa_fp16_overflow 0
		.amdhsa_workgroup_processor_mode 1
		.amdhsa_memory_ordered 1
		.amdhsa_forward_progress 1
		.amdhsa_inst_pref_size 55
		.amdhsa_round_robin_scheduling 0
		.amdhsa_exception_fp_ieee_invalid_op 0
		.amdhsa_exception_fp_denorm_src 0
		.amdhsa_exception_fp_ieee_div_zero 0
		.amdhsa_exception_fp_ieee_overflow 0
		.amdhsa_exception_fp_ieee_underflow 0
		.amdhsa_exception_fp_ieee_inexact 0
		.amdhsa_exception_int_div_zero 0
	.end_amdhsa_kernel
	.section	.text._ZN7rocprim17ROCPRIM_400000_NS6detail17trampoline_kernelINS0_14default_configENS1_25partition_config_selectorILNS1_17partition_subalgoE5ElNS0_10empty_typeEbEEZZNS1_14partition_implILS5_5ELb0ES3_mN6hipcub16HIPCUB_304000_NS21CountingInputIteratorIllEEPS6_NSA_22TransformInputIteratorIbN2at6native12_GLOBAL__N_19NonZeroOpIsEEPKslEENS0_5tupleIJPlS6_EEENSN_IJSD_SD_EEES6_PiJS6_EEE10hipError_tPvRmT3_T4_T5_T6_T7_T9_mT8_P12ihipStream_tbDpT10_ENKUlT_T0_E_clISt17integral_constantIbLb0EES1A_IbLb1EEEEDaS16_S17_EUlS16_E_NS1_11comp_targetILNS1_3genE10ELNS1_11target_archE1200ELNS1_3gpuE4ELNS1_3repE0EEENS1_30default_config_static_selectorELNS0_4arch9wavefront6targetE0EEEvT1_,"axG",@progbits,_ZN7rocprim17ROCPRIM_400000_NS6detail17trampoline_kernelINS0_14default_configENS1_25partition_config_selectorILNS1_17partition_subalgoE5ElNS0_10empty_typeEbEEZZNS1_14partition_implILS5_5ELb0ES3_mN6hipcub16HIPCUB_304000_NS21CountingInputIteratorIllEEPS6_NSA_22TransformInputIteratorIbN2at6native12_GLOBAL__N_19NonZeroOpIsEEPKslEENS0_5tupleIJPlS6_EEENSN_IJSD_SD_EEES6_PiJS6_EEE10hipError_tPvRmT3_T4_T5_T6_T7_T9_mT8_P12ihipStream_tbDpT10_ENKUlT_T0_E_clISt17integral_constantIbLb0EES1A_IbLb1EEEEDaS16_S17_EUlS16_E_NS1_11comp_targetILNS1_3genE10ELNS1_11target_archE1200ELNS1_3gpuE4ELNS1_3repE0EEENS1_30default_config_static_selectorELNS0_4arch9wavefront6targetE0EEEvT1_,comdat
.Lfunc_end351:
	.size	_ZN7rocprim17ROCPRIM_400000_NS6detail17trampoline_kernelINS0_14default_configENS1_25partition_config_selectorILNS1_17partition_subalgoE5ElNS0_10empty_typeEbEEZZNS1_14partition_implILS5_5ELb0ES3_mN6hipcub16HIPCUB_304000_NS21CountingInputIteratorIllEEPS6_NSA_22TransformInputIteratorIbN2at6native12_GLOBAL__N_19NonZeroOpIsEEPKslEENS0_5tupleIJPlS6_EEENSN_IJSD_SD_EEES6_PiJS6_EEE10hipError_tPvRmT3_T4_T5_T6_T7_T9_mT8_P12ihipStream_tbDpT10_ENKUlT_T0_E_clISt17integral_constantIbLb0EES1A_IbLb1EEEEDaS16_S17_EUlS16_E_NS1_11comp_targetILNS1_3genE10ELNS1_11target_archE1200ELNS1_3gpuE4ELNS1_3repE0EEENS1_30default_config_static_selectorELNS0_4arch9wavefront6targetE0EEEvT1_, .Lfunc_end351-_ZN7rocprim17ROCPRIM_400000_NS6detail17trampoline_kernelINS0_14default_configENS1_25partition_config_selectorILNS1_17partition_subalgoE5ElNS0_10empty_typeEbEEZZNS1_14partition_implILS5_5ELb0ES3_mN6hipcub16HIPCUB_304000_NS21CountingInputIteratorIllEEPS6_NSA_22TransformInputIteratorIbN2at6native12_GLOBAL__N_19NonZeroOpIsEEPKslEENS0_5tupleIJPlS6_EEENSN_IJSD_SD_EEES6_PiJS6_EEE10hipError_tPvRmT3_T4_T5_T6_T7_T9_mT8_P12ihipStream_tbDpT10_ENKUlT_T0_E_clISt17integral_constantIbLb0EES1A_IbLb1EEEEDaS16_S17_EUlS16_E_NS1_11comp_targetILNS1_3genE10ELNS1_11target_archE1200ELNS1_3gpuE4ELNS1_3repE0EEENS1_30default_config_static_selectorELNS0_4arch9wavefront6targetE0EEEvT1_
                                        ; -- End function
	.set _ZN7rocprim17ROCPRIM_400000_NS6detail17trampoline_kernelINS0_14default_configENS1_25partition_config_selectorILNS1_17partition_subalgoE5ElNS0_10empty_typeEbEEZZNS1_14partition_implILS5_5ELb0ES3_mN6hipcub16HIPCUB_304000_NS21CountingInputIteratorIllEEPS6_NSA_22TransformInputIteratorIbN2at6native12_GLOBAL__N_19NonZeroOpIsEEPKslEENS0_5tupleIJPlS6_EEENSN_IJSD_SD_EEES6_PiJS6_EEE10hipError_tPvRmT3_T4_T5_T6_T7_T9_mT8_P12ihipStream_tbDpT10_ENKUlT_T0_E_clISt17integral_constantIbLb0EES1A_IbLb1EEEEDaS16_S17_EUlS16_E_NS1_11comp_targetILNS1_3genE10ELNS1_11target_archE1200ELNS1_3gpuE4ELNS1_3repE0EEENS1_30default_config_static_selectorELNS0_4arch9wavefront6targetE0EEEvT1_.num_vgpr, 48
	.set _ZN7rocprim17ROCPRIM_400000_NS6detail17trampoline_kernelINS0_14default_configENS1_25partition_config_selectorILNS1_17partition_subalgoE5ElNS0_10empty_typeEbEEZZNS1_14partition_implILS5_5ELb0ES3_mN6hipcub16HIPCUB_304000_NS21CountingInputIteratorIllEEPS6_NSA_22TransformInputIteratorIbN2at6native12_GLOBAL__N_19NonZeroOpIsEEPKslEENS0_5tupleIJPlS6_EEENSN_IJSD_SD_EEES6_PiJS6_EEE10hipError_tPvRmT3_T4_T5_T6_T7_T9_mT8_P12ihipStream_tbDpT10_ENKUlT_T0_E_clISt17integral_constantIbLb0EES1A_IbLb1EEEEDaS16_S17_EUlS16_E_NS1_11comp_targetILNS1_3genE10ELNS1_11target_archE1200ELNS1_3gpuE4ELNS1_3repE0EEENS1_30default_config_static_selectorELNS0_4arch9wavefront6targetE0EEEvT1_.num_agpr, 0
	.set _ZN7rocprim17ROCPRIM_400000_NS6detail17trampoline_kernelINS0_14default_configENS1_25partition_config_selectorILNS1_17partition_subalgoE5ElNS0_10empty_typeEbEEZZNS1_14partition_implILS5_5ELb0ES3_mN6hipcub16HIPCUB_304000_NS21CountingInputIteratorIllEEPS6_NSA_22TransformInputIteratorIbN2at6native12_GLOBAL__N_19NonZeroOpIsEEPKslEENS0_5tupleIJPlS6_EEENSN_IJSD_SD_EEES6_PiJS6_EEE10hipError_tPvRmT3_T4_T5_T6_T7_T9_mT8_P12ihipStream_tbDpT10_ENKUlT_T0_E_clISt17integral_constantIbLb0EES1A_IbLb1EEEEDaS16_S17_EUlS16_E_NS1_11comp_targetILNS1_3genE10ELNS1_11target_archE1200ELNS1_3gpuE4ELNS1_3repE0EEENS1_30default_config_static_selectorELNS0_4arch9wavefront6targetE0EEEvT1_.numbered_sgpr, 24
	.set _ZN7rocprim17ROCPRIM_400000_NS6detail17trampoline_kernelINS0_14default_configENS1_25partition_config_selectorILNS1_17partition_subalgoE5ElNS0_10empty_typeEbEEZZNS1_14partition_implILS5_5ELb0ES3_mN6hipcub16HIPCUB_304000_NS21CountingInputIteratorIllEEPS6_NSA_22TransformInputIteratorIbN2at6native12_GLOBAL__N_19NonZeroOpIsEEPKslEENS0_5tupleIJPlS6_EEENSN_IJSD_SD_EEES6_PiJS6_EEE10hipError_tPvRmT3_T4_T5_T6_T7_T9_mT8_P12ihipStream_tbDpT10_ENKUlT_T0_E_clISt17integral_constantIbLb0EES1A_IbLb1EEEEDaS16_S17_EUlS16_E_NS1_11comp_targetILNS1_3genE10ELNS1_11target_archE1200ELNS1_3gpuE4ELNS1_3repE0EEENS1_30default_config_static_selectorELNS0_4arch9wavefront6targetE0EEEvT1_.num_named_barrier, 0
	.set _ZN7rocprim17ROCPRIM_400000_NS6detail17trampoline_kernelINS0_14default_configENS1_25partition_config_selectorILNS1_17partition_subalgoE5ElNS0_10empty_typeEbEEZZNS1_14partition_implILS5_5ELb0ES3_mN6hipcub16HIPCUB_304000_NS21CountingInputIteratorIllEEPS6_NSA_22TransformInputIteratorIbN2at6native12_GLOBAL__N_19NonZeroOpIsEEPKslEENS0_5tupleIJPlS6_EEENSN_IJSD_SD_EEES6_PiJS6_EEE10hipError_tPvRmT3_T4_T5_T6_T7_T9_mT8_P12ihipStream_tbDpT10_ENKUlT_T0_E_clISt17integral_constantIbLb0EES1A_IbLb1EEEEDaS16_S17_EUlS16_E_NS1_11comp_targetILNS1_3genE10ELNS1_11target_archE1200ELNS1_3gpuE4ELNS1_3repE0EEENS1_30default_config_static_selectorELNS0_4arch9wavefront6targetE0EEEvT1_.private_seg_size, 0
	.set _ZN7rocprim17ROCPRIM_400000_NS6detail17trampoline_kernelINS0_14default_configENS1_25partition_config_selectorILNS1_17partition_subalgoE5ElNS0_10empty_typeEbEEZZNS1_14partition_implILS5_5ELb0ES3_mN6hipcub16HIPCUB_304000_NS21CountingInputIteratorIllEEPS6_NSA_22TransformInputIteratorIbN2at6native12_GLOBAL__N_19NonZeroOpIsEEPKslEENS0_5tupleIJPlS6_EEENSN_IJSD_SD_EEES6_PiJS6_EEE10hipError_tPvRmT3_T4_T5_T6_T7_T9_mT8_P12ihipStream_tbDpT10_ENKUlT_T0_E_clISt17integral_constantIbLb0EES1A_IbLb1EEEEDaS16_S17_EUlS16_E_NS1_11comp_targetILNS1_3genE10ELNS1_11target_archE1200ELNS1_3gpuE4ELNS1_3repE0EEENS1_30default_config_static_selectorELNS0_4arch9wavefront6targetE0EEEvT1_.uses_vcc, 1
	.set _ZN7rocprim17ROCPRIM_400000_NS6detail17trampoline_kernelINS0_14default_configENS1_25partition_config_selectorILNS1_17partition_subalgoE5ElNS0_10empty_typeEbEEZZNS1_14partition_implILS5_5ELb0ES3_mN6hipcub16HIPCUB_304000_NS21CountingInputIteratorIllEEPS6_NSA_22TransformInputIteratorIbN2at6native12_GLOBAL__N_19NonZeroOpIsEEPKslEENS0_5tupleIJPlS6_EEENSN_IJSD_SD_EEES6_PiJS6_EEE10hipError_tPvRmT3_T4_T5_T6_T7_T9_mT8_P12ihipStream_tbDpT10_ENKUlT_T0_E_clISt17integral_constantIbLb0EES1A_IbLb1EEEEDaS16_S17_EUlS16_E_NS1_11comp_targetILNS1_3genE10ELNS1_11target_archE1200ELNS1_3gpuE4ELNS1_3repE0EEENS1_30default_config_static_selectorELNS0_4arch9wavefront6targetE0EEEvT1_.uses_flat_scratch, 0
	.set _ZN7rocprim17ROCPRIM_400000_NS6detail17trampoline_kernelINS0_14default_configENS1_25partition_config_selectorILNS1_17partition_subalgoE5ElNS0_10empty_typeEbEEZZNS1_14partition_implILS5_5ELb0ES3_mN6hipcub16HIPCUB_304000_NS21CountingInputIteratorIllEEPS6_NSA_22TransformInputIteratorIbN2at6native12_GLOBAL__N_19NonZeroOpIsEEPKslEENS0_5tupleIJPlS6_EEENSN_IJSD_SD_EEES6_PiJS6_EEE10hipError_tPvRmT3_T4_T5_T6_T7_T9_mT8_P12ihipStream_tbDpT10_ENKUlT_T0_E_clISt17integral_constantIbLb0EES1A_IbLb1EEEEDaS16_S17_EUlS16_E_NS1_11comp_targetILNS1_3genE10ELNS1_11target_archE1200ELNS1_3gpuE4ELNS1_3repE0EEENS1_30default_config_static_selectorELNS0_4arch9wavefront6targetE0EEEvT1_.has_dyn_sized_stack, 0
	.set _ZN7rocprim17ROCPRIM_400000_NS6detail17trampoline_kernelINS0_14default_configENS1_25partition_config_selectorILNS1_17partition_subalgoE5ElNS0_10empty_typeEbEEZZNS1_14partition_implILS5_5ELb0ES3_mN6hipcub16HIPCUB_304000_NS21CountingInputIteratorIllEEPS6_NSA_22TransformInputIteratorIbN2at6native12_GLOBAL__N_19NonZeroOpIsEEPKslEENS0_5tupleIJPlS6_EEENSN_IJSD_SD_EEES6_PiJS6_EEE10hipError_tPvRmT3_T4_T5_T6_T7_T9_mT8_P12ihipStream_tbDpT10_ENKUlT_T0_E_clISt17integral_constantIbLb0EES1A_IbLb1EEEEDaS16_S17_EUlS16_E_NS1_11comp_targetILNS1_3genE10ELNS1_11target_archE1200ELNS1_3gpuE4ELNS1_3repE0EEENS1_30default_config_static_selectorELNS0_4arch9wavefront6targetE0EEEvT1_.has_recursion, 0
	.set _ZN7rocprim17ROCPRIM_400000_NS6detail17trampoline_kernelINS0_14default_configENS1_25partition_config_selectorILNS1_17partition_subalgoE5ElNS0_10empty_typeEbEEZZNS1_14partition_implILS5_5ELb0ES3_mN6hipcub16HIPCUB_304000_NS21CountingInputIteratorIllEEPS6_NSA_22TransformInputIteratorIbN2at6native12_GLOBAL__N_19NonZeroOpIsEEPKslEENS0_5tupleIJPlS6_EEENSN_IJSD_SD_EEES6_PiJS6_EEE10hipError_tPvRmT3_T4_T5_T6_T7_T9_mT8_P12ihipStream_tbDpT10_ENKUlT_T0_E_clISt17integral_constantIbLb0EES1A_IbLb1EEEEDaS16_S17_EUlS16_E_NS1_11comp_targetILNS1_3genE10ELNS1_11target_archE1200ELNS1_3gpuE4ELNS1_3repE0EEENS1_30default_config_static_selectorELNS0_4arch9wavefront6targetE0EEEvT1_.has_indirect_call, 0
	.section	.AMDGPU.csdata,"",@progbits
; Kernel info:
; codeLenInByte = 6924
; TotalNumSgprs: 26
; NumVgprs: 48
; ScratchSize: 0
; MemoryBound: 0
; FloatMode: 240
; IeeeMode: 1
; LDSByteSize: 8464 bytes/workgroup (compile time only)
; SGPRBlocks: 0
; VGPRBlocks: 5
; NumSGPRsForWavesPerEU: 26
; NumVGPRsForWavesPerEU: 48
; Occupancy: 16
; WaveLimiterHint : 1
; COMPUTE_PGM_RSRC2:SCRATCH_EN: 0
; COMPUTE_PGM_RSRC2:USER_SGPR: 2
; COMPUTE_PGM_RSRC2:TRAP_HANDLER: 0
; COMPUTE_PGM_RSRC2:TGID_X_EN: 1
; COMPUTE_PGM_RSRC2:TGID_Y_EN: 0
; COMPUTE_PGM_RSRC2:TGID_Z_EN: 0
; COMPUTE_PGM_RSRC2:TIDIG_COMP_CNT: 0
	.section	.text._ZN7rocprim17ROCPRIM_400000_NS6detail17trampoline_kernelINS0_14default_configENS1_25partition_config_selectorILNS1_17partition_subalgoE5ElNS0_10empty_typeEbEEZZNS1_14partition_implILS5_5ELb0ES3_mN6hipcub16HIPCUB_304000_NS21CountingInputIteratorIllEEPS6_NSA_22TransformInputIteratorIbN2at6native12_GLOBAL__N_19NonZeroOpIsEEPKslEENS0_5tupleIJPlS6_EEENSN_IJSD_SD_EEES6_PiJS6_EEE10hipError_tPvRmT3_T4_T5_T6_T7_T9_mT8_P12ihipStream_tbDpT10_ENKUlT_T0_E_clISt17integral_constantIbLb0EES1A_IbLb1EEEEDaS16_S17_EUlS16_E_NS1_11comp_targetILNS1_3genE9ELNS1_11target_archE1100ELNS1_3gpuE3ELNS1_3repE0EEENS1_30default_config_static_selectorELNS0_4arch9wavefront6targetE0EEEvT1_,"axG",@progbits,_ZN7rocprim17ROCPRIM_400000_NS6detail17trampoline_kernelINS0_14default_configENS1_25partition_config_selectorILNS1_17partition_subalgoE5ElNS0_10empty_typeEbEEZZNS1_14partition_implILS5_5ELb0ES3_mN6hipcub16HIPCUB_304000_NS21CountingInputIteratorIllEEPS6_NSA_22TransformInputIteratorIbN2at6native12_GLOBAL__N_19NonZeroOpIsEEPKslEENS0_5tupleIJPlS6_EEENSN_IJSD_SD_EEES6_PiJS6_EEE10hipError_tPvRmT3_T4_T5_T6_T7_T9_mT8_P12ihipStream_tbDpT10_ENKUlT_T0_E_clISt17integral_constantIbLb0EES1A_IbLb1EEEEDaS16_S17_EUlS16_E_NS1_11comp_targetILNS1_3genE9ELNS1_11target_archE1100ELNS1_3gpuE3ELNS1_3repE0EEENS1_30default_config_static_selectorELNS0_4arch9wavefront6targetE0EEEvT1_,comdat
	.globl	_ZN7rocprim17ROCPRIM_400000_NS6detail17trampoline_kernelINS0_14default_configENS1_25partition_config_selectorILNS1_17partition_subalgoE5ElNS0_10empty_typeEbEEZZNS1_14partition_implILS5_5ELb0ES3_mN6hipcub16HIPCUB_304000_NS21CountingInputIteratorIllEEPS6_NSA_22TransformInputIteratorIbN2at6native12_GLOBAL__N_19NonZeroOpIsEEPKslEENS0_5tupleIJPlS6_EEENSN_IJSD_SD_EEES6_PiJS6_EEE10hipError_tPvRmT3_T4_T5_T6_T7_T9_mT8_P12ihipStream_tbDpT10_ENKUlT_T0_E_clISt17integral_constantIbLb0EES1A_IbLb1EEEEDaS16_S17_EUlS16_E_NS1_11comp_targetILNS1_3genE9ELNS1_11target_archE1100ELNS1_3gpuE3ELNS1_3repE0EEENS1_30default_config_static_selectorELNS0_4arch9wavefront6targetE0EEEvT1_ ; -- Begin function _ZN7rocprim17ROCPRIM_400000_NS6detail17trampoline_kernelINS0_14default_configENS1_25partition_config_selectorILNS1_17partition_subalgoE5ElNS0_10empty_typeEbEEZZNS1_14partition_implILS5_5ELb0ES3_mN6hipcub16HIPCUB_304000_NS21CountingInputIteratorIllEEPS6_NSA_22TransformInputIteratorIbN2at6native12_GLOBAL__N_19NonZeroOpIsEEPKslEENS0_5tupleIJPlS6_EEENSN_IJSD_SD_EEES6_PiJS6_EEE10hipError_tPvRmT3_T4_T5_T6_T7_T9_mT8_P12ihipStream_tbDpT10_ENKUlT_T0_E_clISt17integral_constantIbLb0EES1A_IbLb1EEEEDaS16_S17_EUlS16_E_NS1_11comp_targetILNS1_3genE9ELNS1_11target_archE1100ELNS1_3gpuE3ELNS1_3repE0EEENS1_30default_config_static_selectorELNS0_4arch9wavefront6targetE0EEEvT1_
	.p2align	8
	.type	_ZN7rocprim17ROCPRIM_400000_NS6detail17trampoline_kernelINS0_14default_configENS1_25partition_config_selectorILNS1_17partition_subalgoE5ElNS0_10empty_typeEbEEZZNS1_14partition_implILS5_5ELb0ES3_mN6hipcub16HIPCUB_304000_NS21CountingInputIteratorIllEEPS6_NSA_22TransformInputIteratorIbN2at6native12_GLOBAL__N_19NonZeroOpIsEEPKslEENS0_5tupleIJPlS6_EEENSN_IJSD_SD_EEES6_PiJS6_EEE10hipError_tPvRmT3_T4_T5_T6_T7_T9_mT8_P12ihipStream_tbDpT10_ENKUlT_T0_E_clISt17integral_constantIbLb0EES1A_IbLb1EEEEDaS16_S17_EUlS16_E_NS1_11comp_targetILNS1_3genE9ELNS1_11target_archE1100ELNS1_3gpuE3ELNS1_3repE0EEENS1_30default_config_static_selectorELNS0_4arch9wavefront6targetE0EEEvT1_,@function
_ZN7rocprim17ROCPRIM_400000_NS6detail17trampoline_kernelINS0_14default_configENS1_25partition_config_selectorILNS1_17partition_subalgoE5ElNS0_10empty_typeEbEEZZNS1_14partition_implILS5_5ELb0ES3_mN6hipcub16HIPCUB_304000_NS21CountingInputIteratorIllEEPS6_NSA_22TransformInputIteratorIbN2at6native12_GLOBAL__N_19NonZeroOpIsEEPKslEENS0_5tupleIJPlS6_EEENSN_IJSD_SD_EEES6_PiJS6_EEE10hipError_tPvRmT3_T4_T5_T6_T7_T9_mT8_P12ihipStream_tbDpT10_ENKUlT_T0_E_clISt17integral_constantIbLb0EES1A_IbLb1EEEEDaS16_S17_EUlS16_E_NS1_11comp_targetILNS1_3genE9ELNS1_11target_archE1100ELNS1_3gpuE3ELNS1_3repE0EEENS1_30default_config_static_selectorELNS0_4arch9wavefront6targetE0EEEvT1_: ; @_ZN7rocprim17ROCPRIM_400000_NS6detail17trampoline_kernelINS0_14default_configENS1_25partition_config_selectorILNS1_17partition_subalgoE5ElNS0_10empty_typeEbEEZZNS1_14partition_implILS5_5ELb0ES3_mN6hipcub16HIPCUB_304000_NS21CountingInputIteratorIllEEPS6_NSA_22TransformInputIteratorIbN2at6native12_GLOBAL__N_19NonZeroOpIsEEPKslEENS0_5tupleIJPlS6_EEENSN_IJSD_SD_EEES6_PiJS6_EEE10hipError_tPvRmT3_T4_T5_T6_T7_T9_mT8_P12ihipStream_tbDpT10_ENKUlT_T0_E_clISt17integral_constantIbLb0EES1A_IbLb1EEEEDaS16_S17_EUlS16_E_NS1_11comp_targetILNS1_3genE9ELNS1_11target_archE1100ELNS1_3gpuE3ELNS1_3repE0EEENS1_30default_config_static_selectorELNS0_4arch9wavefront6targetE0EEEvT1_
; %bb.0:
	.section	.rodata,"a",@progbits
	.p2align	6, 0x0
	.amdhsa_kernel _ZN7rocprim17ROCPRIM_400000_NS6detail17trampoline_kernelINS0_14default_configENS1_25partition_config_selectorILNS1_17partition_subalgoE5ElNS0_10empty_typeEbEEZZNS1_14partition_implILS5_5ELb0ES3_mN6hipcub16HIPCUB_304000_NS21CountingInputIteratorIllEEPS6_NSA_22TransformInputIteratorIbN2at6native12_GLOBAL__N_19NonZeroOpIsEEPKslEENS0_5tupleIJPlS6_EEENSN_IJSD_SD_EEES6_PiJS6_EEE10hipError_tPvRmT3_T4_T5_T6_T7_T9_mT8_P12ihipStream_tbDpT10_ENKUlT_T0_E_clISt17integral_constantIbLb0EES1A_IbLb1EEEEDaS16_S17_EUlS16_E_NS1_11comp_targetILNS1_3genE9ELNS1_11target_archE1100ELNS1_3gpuE3ELNS1_3repE0EEENS1_30default_config_static_selectorELNS0_4arch9wavefront6targetE0EEEvT1_
		.amdhsa_group_segment_fixed_size 0
		.amdhsa_private_segment_fixed_size 0
		.amdhsa_kernarg_size 136
		.amdhsa_user_sgpr_count 2
		.amdhsa_user_sgpr_dispatch_ptr 0
		.amdhsa_user_sgpr_queue_ptr 0
		.amdhsa_user_sgpr_kernarg_segment_ptr 1
		.amdhsa_user_sgpr_dispatch_id 0
		.amdhsa_user_sgpr_private_segment_size 0
		.amdhsa_wavefront_size32 1
		.amdhsa_uses_dynamic_stack 0
		.amdhsa_enable_private_segment 0
		.amdhsa_system_sgpr_workgroup_id_x 1
		.amdhsa_system_sgpr_workgroup_id_y 0
		.amdhsa_system_sgpr_workgroup_id_z 0
		.amdhsa_system_sgpr_workgroup_info 0
		.amdhsa_system_vgpr_workitem_id 0
		.amdhsa_next_free_vgpr 1
		.amdhsa_next_free_sgpr 1
		.amdhsa_reserve_vcc 0
		.amdhsa_float_round_mode_32 0
		.amdhsa_float_round_mode_16_64 0
		.amdhsa_float_denorm_mode_32 3
		.amdhsa_float_denorm_mode_16_64 3
		.amdhsa_fp16_overflow 0
		.amdhsa_workgroup_processor_mode 1
		.amdhsa_memory_ordered 1
		.amdhsa_forward_progress 1
		.amdhsa_inst_pref_size 0
		.amdhsa_round_robin_scheduling 0
		.amdhsa_exception_fp_ieee_invalid_op 0
		.amdhsa_exception_fp_denorm_src 0
		.amdhsa_exception_fp_ieee_div_zero 0
		.amdhsa_exception_fp_ieee_overflow 0
		.amdhsa_exception_fp_ieee_underflow 0
		.amdhsa_exception_fp_ieee_inexact 0
		.amdhsa_exception_int_div_zero 0
	.end_amdhsa_kernel
	.section	.text._ZN7rocprim17ROCPRIM_400000_NS6detail17trampoline_kernelINS0_14default_configENS1_25partition_config_selectorILNS1_17partition_subalgoE5ElNS0_10empty_typeEbEEZZNS1_14partition_implILS5_5ELb0ES3_mN6hipcub16HIPCUB_304000_NS21CountingInputIteratorIllEEPS6_NSA_22TransformInputIteratorIbN2at6native12_GLOBAL__N_19NonZeroOpIsEEPKslEENS0_5tupleIJPlS6_EEENSN_IJSD_SD_EEES6_PiJS6_EEE10hipError_tPvRmT3_T4_T5_T6_T7_T9_mT8_P12ihipStream_tbDpT10_ENKUlT_T0_E_clISt17integral_constantIbLb0EES1A_IbLb1EEEEDaS16_S17_EUlS16_E_NS1_11comp_targetILNS1_3genE9ELNS1_11target_archE1100ELNS1_3gpuE3ELNS1_3repE0EEENS1_30default_config_static_selectorELNS0_4arch9wavefront6targetE0EEEvT1_,"axG",@progbits,_ZN7rocprim17ROCPRIM_400000_NS6detail17trampoline_kernelINS0_14default_configENS1_25partition_config_selectorILNS1_17partition_subalgoE5ElNS0_10empty_typeEbEEZZNS1_14partition_implILS5_5ELb0ES3_mN6hipcub16HIPCUB_304000_NS21CountingInputIteratorIllEEPS6_NSA_22TransformInputIteratorIbN2at6native12_GLOBAL__N_19NonZeroOpIsEEPKslEENS0_5tupleIJPlS6_EEENSN_IJSD_SD_EEES6_PiJS6_EEE10hipError_tPvRmT3_T4_T5_T6_T7_T9_mT8_P12ihipStream_tbDpT10_ENKUlT_T0_E_clISt17integral_constantIbLb0EES1A_IbLb1EEEEDaS16_S17_EUlS16_E_NS1_11comp_targetILNS1_3genE9ELNS1_11target_archE1100ELNS1_3gpuE3ELNS1_3repE0EEENS1_30default_config_static_selectorELNS0_4arch9wavefront6targetE0EEEvT1_,comdat
.Lfunc_end352:
	.size	_ZN7rocprim17ROCPRIM_400000_NS6detail17trampoline_kernelINS0_14default_configENS1_25partition_config_selectorILNS1_17partition_subalgoE5ElNS0_10empty_typeEbEEZZNS1_14partition_implILS5_5ELb0ES3_mN6hipcub16HIPCUB_304000_NS21CountingInputIteratorIllEEPS6_NSA_22TransformInputIteratorIbN2at6native12_GLOBAL__N_19NonZeroOpIsEEPKslEENS0_5tupleIJPlS6_EEENSN_IJSD_SD_EEES6_PiJS6_EEE10hipError_tPvRmT3_T4_T5_T6_T7_T9_mT8_P12ihipStream_tbDpT10_ENKUlT_T0_E_clISt17integral_constantIbLb0EES1A_IbLb1EEEEDaS16_S17_EUlS16_E_NS1_11comp_targetILNS1_3genE9ELNS1_11target_archE1100ELNS1_3gpuE3ELNS1_3repE0EEENS1_30default_config_static_selectorELNS0_4arch9wavefront6targetE0EEEvT1_, .Lfunc_end352-_ZN7rocprim17ROCPRIM_400000_NS6detail17trampoline_kernelINS0_14default_configENS1_25partition_config_selectorILNS1_17partition_subalgoE5ElNS0_10empty_typeEbEEZZNS1_14partition_implILS5_5ELb0ES3_mN6hipcub16HIPCUB_304000_NS21CountingInputIteratorIllEEPS6_NSA_22TransformInputIteratorIbN2at6native12_GLOBAL__N_19NonZeroOpIsEEPKslEENS0_5tupleIJPlS6_EEENSN_IJSD_SD_EEES6_PiJS6_EEE10hipError_tPvRmT3_T4_T5_T6_T7_T9_mT8_P12ihipStream_tbDpT10_ENKUlT_T0_E_clISt17integral_constantIbLb0EES1A_IbLb1EEEEDaS16_S17_EUlS16_E_NS1_11comp_targetILNS1_3genE9ELNS1_11target_archE1100ELNS1_3gpuE3ELNS1_3repE0EEENS1_30default_config_static_selectorELNS0_4arch9wavefront6targetE0EEEvT1_
                                        ; -- End function
	.set _ZN7rocprim17ROCPRIM_400000_NS6detail17trampoline_kernelINS0_14default_configENS1_25partition_config_selectorILNS1_17partition_subalgoE5ElNS0_10empty_typeEbEEZZNS1_14partition_implILS5_5ELb0ES3_mN6hipcub16HIPCUB_304000_NS21CountingInputIteratorIllEEPS6_NSA_22TransformInputIteratorIbN2at6native12_GLOBAL__N_19NonZeroOpIsEEPKslEENS0_5tupleIJPlS6_EEENSN_IJSD_SD_EEES6_PiJS6_EEE10hipError_tPvRmT3_T4_T5_T6_T7_T9_mT8_P12ihipStream_tbDpT10_ENKUlT_T0_E_clISt17integral_constantIbLb0EES1A_IbLb1EEEEDaS16_S17_EUlS16_E_NS1_11comp_targetILNS1_3genE9ELNS1_11target_archE1100ELNS1_3gpuE3ELNS1_3repE0EEENS1_30default_config_static_selectorELNS0_4arch9wavefront6targetE0EEEvT1_.num_vgpr, 0
	.set _ZN7rocprim17ROCPRIM_400000_NS6detail17trampoline_kernelINS0_14default_configENS1_25partition_config_selectorILNS1_17partition_subalgoE5ElNS0_10empty_typeEbEEZZNS1_14partition_implILS5_5ELb0ES3_mN6hipcub16HIPCUB_304000_NS21CountingInputIteratorIllEEPS6_NSA_22TransformInputIteratorIbN2at6native12_GLOBAL__N_19NonZeroOpIsEEPKslEENS0_5tupleIJPlS6_EEENSN_IJSD_SD_EEES6_PiJS6_EEE10hipError_tPvRmT3_T4_T5_T6_T7_T9_mT8_P12ihipStream_tbDpT10_ENKUlT_T0_E_clISt17integral_constantIbLb0EES1A_IbLb1EEEEDaS16_S17_EUlS16_E_NS1_11comp_targetILNS1_3genE9ELNS1_11target_archE1100ELNS1_3gpuE3ELNS1_3repE0EEENS1_30default_config_static_selectorELNS0_4arch9wavefront6targetE0EEEvT1_.num_agpr, 0
	.set _ZN7rocprim17ROCPRIM_400000_NS6detail17trampoline_kernelINS0_14default_configENS1_25partition_config_selectorILNS1_17partition_subalgoE5ElNS0_10empty_typeEbEEZZNS1_14partition_implILS5_5ELb0ES3_mN6hipcub16HIPCUB_304000_NS21CountingInputIteratorIllEEPS6_NSA_22TransformInputIteratorIbN2at6native12_GLOBAL__N_19NonZeroOpIsEEPKslEENS0_5tupleIJPlS6_EEENSN_IJSD_SD_EEES6_PiJS6_EEE10hipError_tPvRmT3_T4_T5_T6_T7_T9_mT8_P12ihipStream_tbDpT10_ENKUlT_T0_E_clISt17integral_constantIbLb0EES1A_IbLb1EEEEDaS16_S17_EUlS16_E_NS1_11comp_targetILNS1_3genE9ELNS1_11target_archE1100ELNS1_3gpuE3ELNS1_3repE0EEENS1_30default_config_static_selectorELNS0_4arch9wavefront6targetE0EEEvT1_.numbered_sgpr, 0
	.set _ZN7rocprim17ROCPRIM_400000_NS6detail17trampoline_kernelINS0_14default_configENS1_25partition_config_selectorILNS1_17partition_subalgoE5ElNS0_10empty_typeEbEEZZNS1_14partition_implILS5_5ELb0ES3_mN6hipcub16HIPCUB_304000_NS21CountingInputIteratorIllEEPS6_NSA_22TransformInputIteratorIbN2at6native12_GLOBAL__N_19NonZeroOpIsEEPKslEENS0_5tupleIJPlS6_EEENSN_IJSD_SD_EEES6_PiJS6_EEE10hipError_tPvRmT3_T4_T5_T6_T7_T9_mT8_P12ihipStream_tbDpT10_ENKUlT_T0_E_clISt17integral_constantIbLb0EES1A_IbLb1EEEEDaS16_S17_EUlS16_E_NS1_11comp_targetILNS1_3genE9ELNS1_11target_archE1100ELNS1_3gpuE3ELNS1_3repE0EEENS1_30default_config_static_selectorELNS0_4arch9wavefront6targetE0EEEvT1_.num_named_barrier, 0
	.set _ZN7rocprim17ROCPRIM_400000_NS6detail17trampoline_kernelINS0_14default_configENS1_25partition_config_selectorILNS1_17partition_subalgoE5ElNS0_10empty_typeEbEEZZNS1_14partition_implILS5_5ELb0ES3_mN6hipcub16HIPCUB_304000_NS21CountingInputIteratorIllEEPS6_NSA_22TransformInputIteratorIbN2at6native12_GLOBAL__N_19NonZeroOpIsEEPKslEENS0_5tupleIJPlS6_EEENSN_IJSD_SD_EEES6_PiJS6_EEE10hipError_tPvRmT3_T4_T5_T6_T7_T9_mT8_P12ihipStream_tbDpT10_ENKUlT_T0_E_clISt17integral_constantIbLb0EES1A_IbLb1EEEEDaS16_S17_EUlS16_E_NS1_11comp_targetILNS1_3genE9ELNS1_11target_archE1100ELNS1_3gpuE3ELNS1_3repE0EEENS1_30default_config_static_selectorELNS0_4arch9wavefront6targetE0EEEvT1_.private_seg_size, 0
	.set _ZN7rocprim17ROCPRIM_400000_NS6detail17trampoline_kernelINS0_14default_configENS1_25partition_config_selectorILNS1_17partition_subalgoE5ElNS0_10empty_typeEbEEZZNS1_14partition_implILS5_5ELb0ES3_mN6hipcub16HIPCUB_304000_NS21CountingInputIteratorIllEEPS6_NSA_22TransformInputIteratorIbN2at6native12_GLOBAL__N_19NonZeroOpIsEEPKslEENS0_5tupleIJPlS6_EEENSN_IJSD_SD_EEES6_PiJS6_EEE10hipError_tPvRmT3_T4_T5_T6_T7_T9_mT8_P12ihipStream_tbDpT10_ENKUlT_T0_E_clISt17integral_constantIbLb0EES1A_IbLb1EEEEDaS16_S17_EUlS16_E_NS1_11comp_targetILNS1_3genE9ELNS1_11target_archE1100ELNS1_3gpuE3ELNS1_3repE0EEENS1_30default_config_static_selectorELNS0_4arch9wavefront6targetE0EEEvT1_.uses_vcc, 0
	.set _ZN7rocprim17ROCPRIM_400000_NS6detail17trampoline_kernelINS0_14default_configENS1_25partition_config_selectorILNS1_17partition_subalgoE5ElNS0_10empty_typeEbEEZZNS1_14partition_implILS5_5ELb0ES3_mN6hipcub16HIPCUB_304000_NS21CountingInputIteratorIllEEPS6_NSA_22TransformInputIteratorIbN2at6native12_GLOBAL__N_19NonZeroOpIsEEPKslEENS0_5tupleIJPlS6_EEENSN_IJSD_SD_EEES6_PiJS6_EEE10hipError_tPvRmT3_T4_T5_T6_T7_T9_mT8_P12ihipStream_tbDpT10_ENKUlT_T0_E_clISt17integral_constantIbLb0EES1A_IbLb1EEEEDaS16_S17_EUlS16_E_NS1_11comp_targetILNS1_3genE9ELNS1_11target_archE1100ELNS1_3gpuE3ELNS1_3repE0EEENS1_30default_config_static_selectorELNS0_4arch9wavefront6targetE0EEEvT1_.uses_flat_scratch, 0
	.set _ZN7rocprim17ROCPRIM_400000_NS6detail17trampoline_kernelINS0_14default_configENS1_25partition_config_selectorILNS1_17partition_subalgoE5ElNS0_10empty_typeEbEEZZNS1_14partition_implILS5_5ELb0ES3_mN6hipcub16HIPCUB_304000_NS21CountingInputIteratorIllEEPS6_NSA_22TransformInputIteratorIbN2at6native12_GLOBAL__N_19NonZeroOpIsEEPKslEENS0_5tupleIJPlS6_EEENSN_IJSD_SD_EEES6_PiJS6_EEE10hipError_tPvRmT3_T4_T5_T6_T7_T9_mT8_P12ihipStream_tbDpT10_ENKUlT_T0_E_clISt17integral_constantIbLb0EES1A_IbLb1EEEEDaS16_S17_EUlS16_E_NS1_11comp_targetILNS1_3genE9ELNS1_11target_archE1100ELNS1_3gpuE3ELNS1_3repE0EEENS1_30default_config_static_selectorELNS0_4arch9wavefront6targetE0EEEvT1_.has_dyn_sized_stack, 0
	.set _ZN7rocprim17ROCPRIM_400000_NS6detail17trampoline_kernelINS0_14default_configENS1_25partition_config_selectorILNS1_17partition_subalgoE5ElNS0_10empty_typeEbEEZZNS1_14partition_implILS5_5ELb0ES3_mN6hipcub16HIPCUB_304000_NS21CountingInputIteratorIllEEPS6_NSA_22TransformInputIteratorIbN2at6native12_GLOBAL__N_19NonZeroOpIsEEPKslEENS0_5tupleIJPlS6_EEENSN_IJSD_SD_EEES6_PiJS6_EEE10hipError_tPvRmT3_T4_T5_T6_T7_T9_mT8_P12ihipStream_tbDpT10_ENKUlT_T0_E_clISt17integral_constantIbLb0EES1A_IbLb1EEEEDaS16_S17_EUlS16_E_NS1_11comp_targetILNS1_3genE9ELNS1_11target_archE1100ELNS1_3gpuE3ELNS1_3repE0EEENS1_30default_config_static_selectorELNS0_4arch9wavefront6targetE0EEEvT1_.has_recursion, 0
	.set _ZN7rocprim17ROCPRIM_400000_NS6detail17trampoline_kernelINS0_14default_configENS1_25partition_config_selectorILNS1_17partition_subalgoE5ElNS0_10empty_typeEbEEZZNS1_14partition_implILS5_5ELb0ES3_mN6hipcub16HIPCUB_304000_NS21CountingInputIteratorIllEEPS6_NSA_22TransformInputIteratorIbN2at6native12_GLOBAL__N_19NonZeroOpIsEEPKslEENS0_5tupleIJPlS6_EEENSN_IJSD_SD_EEES6_PiJS6_EEE10hipError_tPvRmT3_T4_T5_T6_T7_T9_mT8_P12ihipStream_tbDpT10_ENKUlT_T0_E_clISt17integral_constantIbLb0EES1A_IbLb1EEEEDaS16_S17_EUlS16_E_NS1_11comp_targetILNS1_3genE9ELNS1_11target_archE1100ELNS1_3gpuE3ELNS1_3repE0EEENS1_30default_config_static_selectorELNS0_4arch9wavefront6targetE0EEEvT1_.has_indirect_call, 0
	.section	.AMDGPU.csdata,"",@progbits
; Kernel info:
; codeLenInByte = 0
; TotalNumSgprs: 0
; NumVgprs: 0
; ScratchSize: 0
; MemoryBound: 0
; FloatMode: 240
; IeeeMode: 1
; LDSByteSize: 0 bytes/workgroup (compile time only)
; SGPRBlocks: 0
; VGPRBlocks: 0
; NumSGPRsForWavesPerEU: 1
; NumVGPRsForWavesPerEU: 1
; Occupancy: 16
; WaveLimiterHint : 0
; COMPUTE_PGM_RSRC2:SCRATCH_EN: 0
; COMPUTE_PGM_RSRC2:USER_SGPR: 2
; COMPUTE_PGM_RSRC2:TRAP_HANDLER: 0
; COMPUTE_PGM_RSRC2:TGID_X_EN: 1
; COMPUTE_PGM_RSRC2:TGID_Y_EN: 0
; COMPUTE_PGM_RSRC2:TGID_Z_EN: 0
; COMPUTE_PGM_RSRC2:TIDIG_COMP_CNT: 0
	.section	.text._ZN7rocprim17ROCPRIM_400000_NS6detail17trampoline_kernelINS0_14default_configENS1_25partition_config_selectorILNS1_17partition_subalgoE5ElNS0_10empty_typeEbEEZZNS1_14partition_implILS5_5ELb0ES3_mN6hipcub16HIPCUB_304000_NS21CountingInputIteratorIllEEPS6_NSA_22TransformInputIteratorIbN2at6native12_GLOBAL__N_19NonZeroOpIsEEPKslEENS0_5tupleIJPlS6_EEENSN_IJSD_SD_EEES6_PiJS6_EEE10hipError_tPvRmT3_T4_T5_T6_T7_T9_mT8_P12ihipStream_tbDpT10_ENKUlT_T0_E_clISt17integral_constantIbLb0EES1A_IbLb1EEEEDaS16_S17_EUlS16_E_NS1_11comp_targetILNS1_3genE8ELNS1_11target_archE1030ELNS1_3gpuE2ELNS1_3repE0EEENS1_30default_config_static_selectorELNS0_4arch9wavefront6targetE0EEEvT1_,"axG",@progbits,_ZN7rocprim17ROCPRIM_400000_NS6detail17trampoline_kernelINS0_14default_configENS1_25partition_config_selectorILNS1_17partition_subalgoE5ElNS0_10empty_typeEbEEZZNS1_14partition_implILS5_5ELb0ES3_mN6hipcub16HIPCUB_304000_NS21CountingInputIteratorIllEEPS6_NSA_22TransformInputIteratorIbN2at6native12_GLOBAL__N_19NonZeroOpIsEEPKslEENS0_5tupleIJPlS6_EEENSN_IJSD_SD_EEES6_PiJS6_EEE10hipError_tPvRmT3_T4_T5_T6_T7_T9_mT8_P12ihipStream_tbDpT10_ENKUlT_T0_E_clISt17integral_constantIbLb0EES1A_IbLb1EEEEDaS16_S17_EUlS16_E_NS1_11comp_targetILNS1_3genE8ELNS1_11target_archE1030ELNS1_3gpuE2ELNS1_3repE0EEENS1_30default_config_static_selectorELNS0_4arch9wavefront6targetE0EEEvT1_,comdat
	.globl	_ZN7rocprim17ROCPRIM_400000_NS6detail17trampoline_kernelINS0_14default_configENS1_25partition_config_selectorILNS1_17partition_subalgoE5ElNS0_10empty_typeEbEEZZNS1_14partition_implILS5_5ELb0ES3_mN6hipcub16HIPCUB_304000_NS21CountingInputIteratorIllEEPS6_NSA_22TransformInputIteratorIbN2at6native12_GLOBAL__N_19NonZeroOpIsEEPKslEENS0_5tupleIJPlS6_EEENSN_IJSD_SD_EEES6_PiJS6_EEE10hipError_tPvRmT3_T4_T5_T6_T7_T9_mT8_P12ihipStream_tbDpT10_ENKUlT_T0_E_clISt17integral_constantIbLb0EES1A_IbLb1EEEEDaS16_S17_EUlS16_E_NS1_11comp_targetILNS1_3genE8ELNS1_11target_archE1030ELNS1_3gpuE2ELNS1_3repE0EEENS1_30default_config_static_selectorELNS0_4arch9wavefront6targetE0EEEvT1_ ; -- Begin function _ZN7rocprim17ROCPRIM_400000_NS6detail17trampoline_kernelINS0_14default_configENS1_25partition_config_selectorILNS1_17partition_subalgoE5ElNS0_10empty_typeEbEEZZNS1_14partition_implILS5_5ELb0ES3_mN6hipcub16HIPCUB_304000_NS21CountingInputIteratorIllEEPS6_NSA_22TransformInputIteratorIbN2at6native12_GLOBAL__N_19NonZeroOpIsEEPKslEENS0_5tupleIJPlS6_EEENSN_IJSD_SD_EEES6_PiJS6_EEE10hipError_tPvRmT3_T4_T5_T6_T7_T9_mT8_P12ihipStream_tbDpT10_ENKUlT_T0_E_clISt17integral_constantIbLb0EES1A_IbLb1EEEEDaS16_S17_EUlS16_E_NS1_11comp_targetILNS1_3genE8ELNS1_11target_archE1030ELNS1_3gpuE2ELNS1_3repE0EEENS1_30default_config_static_selectorELNS0_4arch9wavefront6targetE0EEEvT1_
	.p2align	8
	.type	_ZN7rocprim17ROCPRIM_400000_NS6detail17trampoline_kernelINS0_14default_configENS1_25partition_config_selectorILNS1_17partition_subalgoE5ElNS0_10empty_typeEbEEZZNS1_14partition_implILS5_5ELb0ES3_mN6hipcub16HIPCUB_304000_NS21CountingInputIteratorIllEEPS6_NSA_22TransformInputIteratorIbN2at6native12_GLOBAL__N_19NonZeroOpIsEEPKslEENS0_5tupleIJPlS6_EEENSN_IJSD_SD_EEES6_PiJS6_EEE10hipError_tPvRmT3_T4_T5_T6_T7_T9_mT8_P12ihipStream_tbDpT10_ENKUlT_T0_E_clISt17integral_constantIbLb0EES1A_IbLb1EEEEDaS16_S17_EUlS16_E_NS1_11comp_targetILNS1_3genE8ELNS1_11target_archE1030ELNS1_3gpuE2ELNS1_3repE0EEENS1_30default_config_static_selectorELNS0_4arch9wavefront6targetE0EEEvT1_,@function
_ZN7rocprim17ROCPRIM_400000_NS6detail17trampoline_kernelINS0_14default_configENS1_25partition_config_selectorILNS1_17partition_subalgoE5ElNS0_10empty_typeEbEEZZNS1_14partition_implILS5_5ELb0ES3_mN6hipcub16HIPCUB_304000_NS21CountingInputIteratorIllEEPS6_NSA_22TransformInputIteratorIbN2at6native12_GLOBAL__N_19NonZeroOpIsEEPKslEENS0_5tupleIJPlS6_EEENSN_IJSD_SD_EEES6_PiJS6_EEE10hipError_tPvRmT3_T4_T5_T6_T7_T9_mT8_P12ihipStream_tbDpT10_ENKUlT_T0_E_clISt17integral_constantIbLb0EES1A_IbLb1EEEEDaS16_S17_EUlS16_E_NS1_11comp_targetILNS1_3genE8ELNS1_11target_archE1030ELNS1_3gpuE2ELNS1_3repE0EEENS1_30default_config_static_selectorELNS0_4arch9wavefront6targetE0EEEvT1_: ; @_ZN7rocprim17ROCPRIM_400000_NS6detail17trampoline_kernelINS0_14default_configENS1_25partition_config_selectorILNS1_17partition_subalgoE5ElNS0_10empty_typeEbEEZZNS1_14partition_implILS5_5ELb0ES3_mN6hipcub16HIPCUB_304000_NS21CountingInputIteratorIllEEPS6_NSA_22TransformInputIteratorIbN2at6native12_GLOBAL__N_19NonZeroOpIsEEPKslEENS0_5tupleIJPlS6_EEENSN_IJSD_SD_EEES6_PiJS6_EEE10hipError_tPvRmT3_T4_T5_T6_T7_T9_mT8_P12ihipStream_tbDpT10_ENKUlT_T0_E_clISt17integral_constantIbLb0EES1A_IbLb1EEEEDaS16_S17_EUlS16_E_NS1_11comp_targetILNS1_3genE8ELNS1_11target_archE1030ELNS1_3gpuE2ELNS1_3repE0EEENS1_30default_config_static_selectorELNS0_4arch9wavefront6targetE0EEEvT1_
; %bb.0:
	.section	.rodata,"a",@progbits
	.p2align	6, 0x0
	.amdhsa_kernel _ZN7rocprim17ROCPRIM_400000_NS6detail17trampoline_kernelINS0_14default_configENS1_25partition_config_selectorILNS1_17partition_subalgoE5ElNS0_10empty_typeEbEEZZNS1_14partition_implILS5_5ELb0ES3_mN6hipcub16HIPCUB_304000_NS21CountingInputIteratorIllEEPS6_NSA_22TransformInputIteratorIbN2at6native12_GLOBAL__N_19NonZeroOpIsEEPKslEENS0_5tupleIJPlS6_EEENSN_IJSD_SD_EEES6_PiJS6_EEE10hipError_tPvRmT3_T4_T5_T6_T7_T9_mT8_P12ihipStream_tbDpT10_ENKUlT_T0_E_clISt17integral_constantIbLb0EES1A_IbLb1EEEEDaS16_S17_EUlS16_E_NS1_11comp_targetILNS1_3genE8ELNS1_11target_archE1030ELNS1_3gpuE2ELNS1_3repE0EEENS1_30default_config_static_selectorELNS0_4arch9wavefront6targetE0EEEvT1_
		.amdhsa_group_segment_fixed_size 0
		.amdhsa_private_segment_fixed_size 0
		.amdhsa_kernarg_size 136
		.amdhsa_user_sgpr_count 2
		.amdhsa_user_sgpr_dispatch_ptr 0
		.amdhsa_user_sgpr_queue_ptr 0
		.amdhsa_user_sgpr_kernarg_segment_ptr 1
		.amdhsa_user_sgpr_dispatch_id 0
		.amdhsa_user_sgpr_private_segment_size 0
		.amdhsa_wavefront_size32 1
		.amdhsa_uses_dynamic_stack 0
		.amdhsa_enable_private_segment 0
		.amdhsa_system_sgpr_workgroup_id_x 1
		.amdhsa_system_sgpr_workgroup_id_y 0
		.amdhsa_system_sgpr_workgroup_id_z 0
		.amdhsa_system_sgpr_workgroup_info 0
		.amdhsa_system_vgpr_workitem_id 0
		.amdhsa_next_free_vgpr 1
		.amdhsa_next_free_sgpr 1
		.amdhsa_reserve_vcc 0
		.amdhsa_float_round_mode_32 0
		.amdhsa_float_round_mode_16_64 0
		.amdhsa_float_denorm_mode_32 3
		.amdhsa_float_denorm_mode_16_64 3
		.amdhsa_fp16_overflow 0
		.amdhsa_workgroup_processor_mode 1
		.amdhsa_memory_ordered 1
		.amdhsa_forward_progress 1
		.amdhsa_inst_pref_size 0
		.amdhsa_round_robin_scheduling 0
		.amdhsa_exception_fp_ieee_invalid_op 0
		.amdhsa_exception_fp_denorm_src 0
		.amdhsa_exception_fp_ieee_div_zero 0
		.amdhsa_exception_fp_ieee_overflow 0
		.amdhsa_exception_fp_ieee_underflow 0
		.amdhsa_exception_fp_ieee_inexact 0
		.amdhsa_exception_int_div_zero 0
	.end_amdhsa_kernel
	.section	.text._ZN7rocprim17ROCPRIM_400000_NS6detail17trampoline_kernelINS0_14default_configENS1_25partition_config_selectorILNS1_17partition_subalgoE5ElNS0_10empty_typeEbEEZZNS1_14partition_implILS5_5ELb0ES3_mN6hipcub16HIPCUB_304000_NS21CountingInputIteratorIllEEPS6_NSA_22TransformInputIteratorIbN2at6native12_GLOBAL__N_19NonZeroOpIsEEPKslEENS0_5tupleIJPlS6_EEENSN_IJSD_SD_EEES6_PiJS6_EEE10hipError_tPvRmT3_T4_T5_T6_T7_T9_mT8_P12ihipStream_tbDpT10_ENKUlT_T0_E_clISt17integral_constantIbLb0EES1A_IbLb1EEEEDaS16_S17_EUlS16_E_NS1_11comp_targetILNS1_3genE8ELNS1_11target_archE1030ELNS1_3gpuE2ELNS1_3repE0EEENS1_30default_config_static_selectorELNS0_4arch9wavefront6targetE0EEEvT1_,"axG",@progbits,_ZN7rocprim17ROCPRIM_400000_NS6detail17trampoline_kernelINS0_14default_configENS1_25partition_config_selectorILNS1_17partition_subalgoE5ElNS0_10empty_typeEbEEZZNS1_14partition_implILS5_5ELb0ES3_mN6hipcub16HIPCUB_304000_NS21CountingInputIteratorIllEEPS6_NSA_22TransformInputIteratorIbN2at6native12_GLOBAL__N_19NonZeroOpIsEEPKslEENS0_5tupleIJPlS6_EEENSN_IJSD_SD_EEES6_PiJS6_EEE10hipError_tPvRmT3_T4_T5_T6_T7_T9_mT8_P12ihipStream_tbDpT10_ENKUlT_T0_E_clISt17integral_constantIbLb0EES1A_IbLb1EEEEDaS16_S17_EUlS16_E_NS1_11comp_targetILNS1_3genE8ELNS1_11target_archE1030ELNS1_3gpuE2ELNS1_3repE0EEENS1_30default_config_static_selectorELNS0_4arch9wavefront6targetE0EEEvT1_,comdat
.Lfunc_end353:
	.size	_ZN7rocprim17ROCPRIM_400000_NS6detail17trampoline_kernelINS0_14default_configENS1_25partition_config_selectorILNS1_17partition_subalgoE5ElNS0_10empty_typeEbEEZZNS1_14partition_implILS5_5ELb0ES3_mN6hipcub16HIPCUB_304000_NS21CountingInputIteratorIllEEPS6_NSA_22TransformInputIteratorIbN2at6native12_GLOBAL__N_19NonZeroOpIsEEPKslEENS0_5tupleIJPlS6_EEENSN_IJSD_SD_EEES6_PiJS6_EEE10hipError_tPvRmT3_T4_T5_T6_T7_T9_mT8_P12ihipStream_tbDpT10_ENKUlT_T0_E_clISt17integral_constantIbLb0EES1A_IbLb1EEEEDaS16_S17_EUlS16_E_NS1_11comp_targetILNS1_3genE8ELNS1_11target_archE1030ELNS1_3gpuE2ELNS1_3repE0EEENS1_30default_config_static_selectorELNS0_4arch9wavefront6targetE0EEEvT1_, .Lfunc_end353-_ZN7rocprim17ROCPRIM_400000_NS6detail17trampoline_kernelINS0_14default_configENS1_25partition_config_selectorILNS1_17partition_subalgoE5ElNS0_10empty_typeEbEEZZNS1_14partition_implILS5_5ELb0ES3_mN6hipcub16HIPCUB_304000_NS21CountingInputIteratorIllEEPS6_NSA_22TransformInputIteratorIbN2at6native12_GLOBAL__N_19NonZeroOpIsEEPKslEENS0_5tupleIJPlS6_EEENSN_IJSD_SD_EEES6_PiJS6_EEE10hipError_tPvRmT3_T4_T5_T6_T7_T9_mT8_P12ihipStream_tbDpT10_ENKUlT_T0_E_clISt17integral_constantIbLb0EES1A_IbLb1EEEEDaS16_S17_EUlS16_E_NS1_11comp_targetILNS1_3genE8ELNS1_11target_archE1030ELNS1_3gpuE2ELNS1_3repE0EEENS1_30default_config_static_selectorELNS0_4arch9wavefront6targetE0EEEvT1_
                                        ; -- End function
	.set _ZN7rocprim17ROCPRIM_400000_NS6detail17trampoline_kernelINS0_14default_configENS1_25partition_config_selectorILNS1_17partition_subalgoE5ElNS0_10empty_typeEbEEZZNS1_14partition_implILS5_5ELb0ES3_mN6hipcub16HIPCUB_304000_NS21CountingInputIteratorIllEEPS6_NSA_22TransformInputIteratorIbN2at6native12_GLOBAL__N_19NonZeroOpIsEEPKslEENS0_5tupleIJPlS6_EEENSN_IJSD_SD_EEES6_PiJS6_EEE10hipError_tPvRmT3_T4_T5_T6_T7_T9_mT8_P12ihipStream_tbDpT10_ENKUlT_T0_E_clISt17integral_constantIbLb0EES1A_IbLb1EEEEDaS16_S17_EUlS16_E_NS1_11comp_targetILNS1_3genE8ELNS1_11target_archE1030ELNS1_3gpuE2ELNS1_3repE0EEENS1_30default_config_static_selectorELNS0_4arch9wavefront6targetE0EEEvT1_.num_vgpr, 0
	.set _ZN7rocprim17ROCPRIM_400000_NS6detail17trampoline_kernelINS0_14default_configENS1_25partition_config_selectorILNS1_17partition_subalgoE5ElNS0_10empty_typeEbEEZZNS1_14partition_implILS5_5ELb0ES3_mN6hipcub16HIPCUB_304000_NS21CountingInputIteratorIllEEPS6_NSA_22TransformInputIteratorIbN2at6native12_GLOBAL__N_19NonZeroOpIsEEPKslEENS0_5tupleIJPlS6_EEENSN_IJSD_SD_EEES6_PiJS6_EEE10hipError_tPvRmT3_T4_T5_T6_T7_T9_mT8_P12ihipStream_tbDpT10_ENKUlT_T0_E_clISt17integral_constantIbLb0EES1A_IbLb1EEEEDaS16_S17_EUlS16_E_NS1_11comp_targetILNS1_3genE8ELNS1_11target_archE1030ELNS1_3gpuE2ELNS1_3repE0EEENS1_30default_config_static_selectorELNS0_4arch9wavefront6targetE0EEEvT1_.num_agpr, 0
	.set _ZN7rocprim17ROCPRIM_400000_NS6detail17trampoline_kernelINS0_14default_configENS1_25partition_config_selectorILNS1_17partition_subalgoE5ElNS0_10empty_typeEbEEZZNS1_14partition_implILS5_5ELb0ES3_mN6hipcub16HIPCUB_304000_NS21CountingInputIteratorIllEEPS6_NSA_22TransformInputIteratorIbN2at6native12_GLOBAL__N_19NonZeroOpIsEEPKslEENS0_5tupleIJPlS6_EEENSN_IJSD_SD_EEES6_PiJS6_EEE10hipError_tPvRmT3_T4_T5_T6_T7_T9_mT8_P12ihipStream_tbDpT10_ENKUlT_T0_E_clISt17integral_constantIbLb0EES1A_IbLb1EEEEDaS16_S17_EUlS16_E_NS1_11comp_targetILNS1_3genE8ELNS1_11target_archE1030ELNS1_3gpuE2ELNS1_3repE0EEENS1_30default_config_static_selectorELNS0_4arch9wavefront6targetE0EEEvT1_.numbered_sgpr, 0
	.set _ZN7rocprim17ROCPRIM_400000_NS6detail17trampoline_kernelINS0_14default_configENS1_25partition_config_selectorILNS1_17partition_subalgoE5ElNS0_10empty_typeEbEEZZNS1_14partition_implILS5_5ELb0ES3_mN6hipcub16HIPCUB_304000_NS21CountingInputIteratorIllEEPS6_NSA_22TransformInputIteratorIbN2at6native12_GLOBAL__N_19NonZeroOpIsEEPKslEENS0_5tupleIJPlS6_EEENSN_IJSD_SD_EEES6_PiJS6_EEE10hipError_tPvRmT3_T4_T5_T6_T7_T9_mT8_P12ihipStream_tbDpT10_ENKUlT_T0_E_clISt17integral_constantIbLb0EES1A_IbLb1EEEEDaS16_S17_EUlS16_E_NS1_11comp_targetILNS1_3genE8ELNS1_11target_archE1030ELNS1_3gpuE2ELNS1_3repE0EEENS1_30default_config_static_selectorELNS0_4arch9wavefront6targetE0EEEvT1_.num_named_barrier, 0
	.set _ZN7rocprim17ROCPRIM_400000_NS6detail17trampoline_kernelINS0_14default_configENS1_25partition_config_selectorILNS1_17partition_subalgoE5ElNS0_10empty_typeEbEEZZNS1_14partition_implILS5_5ELb0ES3_mN6hipcub16HIPCUB_304000_NS21CountingInputIteratorIllEEPS6_NSA_22TransformInputIteratorIbN2at6native12_GLOBAL__N_19NonZeroOpIsEEPKslEENS0_5tupleIJPlS6_EEENSN_IJSD_SD_EEES6_PiJS6_EEE10hipError_tPvRmT3_T4_T5_T6_T7_T9_mT8_P12ihipStream_tbDpT10_ENKUlT_T0_E_clISt17integral_constantIbLb0EES1A_IbLb1EEEEDaS16_S17_EUlS16_E_NS1_11comp_targetILNS1_3genE8ELNS1_11target_archE1030ELNS1_3gpuE2ELNS1_3repE0EEENS1_30default_config_static_selectorELNS0_4arch9wavefront6targetE0EEEvT1_.private_seg_size, 0
	.set _ZN7rocprim17ROCPRIM_400000_NS6detail17trampoline_kernelINS0_14default_configENS1_25partition_config_selectorILNS1_17partition_subalgoE5ElNS0_10empty_typeEbEEZZNS1_14partition_implILS5_5ELb0ES3_mN6hipcub16HIPCUB_304000_NS21CountingInputIteratorIllEEPS6_NSA_22TransformInputIteratorIbN2at6native12_GLOBAL__N_19NonZeroOpIsEEPKslEENS0_5tupleIJPlS6_EEENSN_IJSD_SD_EEES6_PiJS6_EEE10hipError_tPvRmT3_T4_T5_T6_T7_T9_mT8_P12ihipStream_tbDpT10_ENKUlT_T0_E_clISt17integral_constantIbLb0EES1A_IbLb1EEEEDaS16_S17_EUlS16_E_NS1_11comp_targetILNS1_3genE8ELNS1_11target_archE1030ELNS1_3gpuE2ELNS1_3repE0EEENS1_30default_config_static_selectorELNS0_4arch9wavefront6targetE0EEEvT1_.uses_vcc, 0
	.set _ZN7rocprim17ROCPRIM_400000_NS6detail17trampoline_kernelINS0_14default_configENS1_25partition_config_selectorILNS1_17partition_subalgoE5ElNS0_10empty_typeEbEEZZNS1_14partition_implILS5_5ELb0ES3_mN6hipcub16HIPCUB_304000_NS21CountingInputIteratorIllEEPS6_NSA_22TransformInputIteratorIbN2at6native12_GLOBAL__N_19NonZeroOpIsEEPKslEENS0_5tupleIJPlS6_EEENSN_IJSD_SD_EEES6_PiJS6_EEE10hipError_tPvRmT3_T4_T5_T6_T7_T9_mT8_P12ihipStream_tbDpT10_ENKUlT_T0_E_clISt17integral_constantIbLb0EES1A_IbLb1EEEEDaS16_S17_EUlS16_E_NS1_11comp_targetILNS1_3genE8ELNS1_11target_archE1030ELNS1_3gpuE2ELNS1_3repE0EEENS1_30default_config_static_selectorELNS0_4arch9wavefront6targetE0EEEvT1_.uses_flat_scratch, 0
	.set _ZN7rocprim17ROCPRIM_400000_NS6detail17trampoline_kernelINS0_14default_configENS1_25partition_config_selectorILNS1_17partition_subalgoE5ElNS0_10empty_typeEbEEZZNS1_14partition_implILS5_5ELb0ES3_mN6hipcub16HIPCUB_304000_NS21CountingInputIteratorIllEEPS6_NSA_22TransformInputIteratorIbN2at6native12_GLOBAL__N_19NonZeroOpIsEEPKslEENS0_5tupleIJPlS6_EEENSN_IJSD_SD_EEES6_PiJS6_EEE10hipError_tPvRmT3_T4_T5_T6_T7_T9_mT8_P12ihipStream_tbDpT10_ENKUlT_T0_E_clISt17integral_constantIbLb0EES1A_IbLb1EEEEDaS16_S17_EUlS16_E_NS1_11comp_targetILNS1_3genE8ELNS1_11target_archE1030ELNS1_3gpuE2ELNS1_3repE0EEENS1_30default_config_static_selectorELNS0_4arch9wavefront6targetE0EEEvT1_.has_dyn_sized_stack, 0
	.set _ZN7rocprim17ROCPRIM_400000_NS6detail17trampoline_kernelINS0_14default_configENS1_25partition_config_selectorILNS1_17partition_subalgoE5ElNS0_10empty_typeEbEEZZNS1_14partition_implILS5_5ELb0ES3_mN6hipcub16HIPCUB_304000_NS21CountingInputIteratorIllEEPS6_NSA_22TransformInputIteratorIbN2at6native12_GLOBAL__N_19NonZeroOpIsEEPKslEENS0_5tupleIJPlS6_EEENSN_IJSD_SD_EEES6_PiJS6_EEE10hipError_tPvRmT3_T4_T5_T6_T7_T9_mT8_P12ihipStream_tbDpT10_ENKUlT_T0_E_clISt17integral_constantIbLb0EES1A_IbLb1EEEEDaS16_S17_EUlS16_E_NS1_11comp_targetILNS1_3genE8ELNS1_11target_archE1030ELNS1_3gpuE2ELNS1_3repE0EEENS1_30default_config_static_selectorELNS0_4arch9wavefront6targetE0EEEvT1_.has_recursion, 0
	.set _ZN7rocprim17ROCPRIM_400000_NS6detail17trampoline_kernelINS0_14default_configENS1_25partition_config_selectorILNS1_17partition_subalgoE5ElNS0_10empty_typeEbEEZZNS1_14partition_implILS5_5ELb0ES3_mN6hipcub16HIPCUB_304000_NS21CountingInputIteratorIllEEPS6_NSA_22TransformInputIteratorIbN2at6native12_GLOBAL__N_19NonZeroOpIsEEPKslEENS0_5tupleIJPlS6_EEENSN_IJSD_SD_EEES6_PiJS6_EEE10hipError_tPvRmT3_T4_T5_T6_T7_T9_mT8_P12ihipStream_tbDpT10_ENKUlT_T0_E_clISt17integral_constantIbLb0EES1A_IbLb1EEEEDaS16_S17_EUlS16_E_NS1_11comp_targetILNS1_3genE8ELNS1_11target_archE1030ELNS1_3gpuE2ELNS1_3repE0EEENS1_30default_config_static_selectorELNS0_4arch9wavefront6targetE0EEEvT1_.has_indirect_call, 0
	.section	.AMDGPU.csdata,"",@progbits
; Kernel info:
; codeLenInByte = 0
; TotalNumSgprs: 0
; NumVgprs: 0
; ScratchSize: 0
; MemoryBound: 0
; FloatMode: 240
; IeeeMode: 1
; LDSByteSize: 0 bytes/workgroup (compile time only)
; SGPRBlocks: 0
; VGPRBlocks: 0
; NumSGPRsForWavesPerEU: 1
; NumVGPRsForWavesPerEU: 1
; Occupancy: 16
; WaveLimiterHint : 0
; COMPUTE_PGM_RSRC2:SCRATCH_EN: 0
; COMPUTE_PGM_RSRC2:USER_SGPR: 2
; COMPUTE_PGM_RSRC2:TRAP_HANDLER: 0
; COMPUTE_PGM_RSRC2:TGID_X_EN: 1
; COMPUTE_PGM_RSRC2:TGID_Y_EN: 0
; COMPUTE_PGM_RSRC2:TGID_Z_EN: 0
; COMPUTE_PGM_RSRC2:TIDIG_COMP_CNT: 0
	.section	.text._ZN7rocprim17ROCPRIM_400000_NS6detail17trampoline_kernelINS0_14default_configENS1_22reduce_config_selectorIiEEZNS1_11reduce_implILb1ES3_PiS7_iN6hipcub16HIPCUB_304000_NS6detail34convert_binary_result_type_wrapperINS9_3SumENS9_22TransformInputIteratorIbN2at6native12_GLOBAL__N_19NonZeroOpIdEEPKdlEEiEEEE10hipError_tPvRmT1_T2_T3_mT4_P12ihipStream_tbEUlT_E0_NS1_11comp_targetILNS1_3genE0ELNS1_11target_archE4294967295ELNS1_3gpuE0ELNS1_3repE0EEENS1_30default_config_static_selectorELNS0_4arch9wavefront6targetE0EEEvSQ_,"axG",@progbits,_ZN7rocprim17ROCPRIM_400000_NS6detail17trampoline_kernelINS0_14default_configENS1_22reduce_config_selectorIiEEZNS1_11reduce_implILb1ES3_PiS7_iN6hipcub16HIPCUB_304000_NS6detail34convert_binary_result_type_wrapperINS9_3SumENS9_22TransformInputIteratorIbN2at6native12_GLOBAL__N_19NonZeroOpIdEEPKdlEEiEEEE10hipError_tPvRmT1_T2_T3_mT4_P12ihipStream_tbEUlT_E0_NS1_11comp_targetILNS1_3genE0ELNS1_11target_archE4294967295ELNS1_3gpuE0ELNS1_3repE0EEENS1_30default_config_static_selectorELNS0_4arch9wavefront6targetE0EEEvSQ_,comdat
	.globl	_ZN7rocprim17ROCPRIM_400000_NS6detail17trampoline_kernelINS0_14default_configENS1_22reduce_config_selectorIiEEZNS1_11reduce_implILb1ES3_PiS7_iN6hipcub16HIPCUB_304000_NS6detail34convert_binary_result_type_wrapperINS9_3SumENS9_22TransformInputIteratorIbN2at6native12_GLOBAL__N_19NonZeroOpIdEEPKdlEEiEEEE10hipError_tPvRmT1_T2_T3_mT4_P12ihipStream_tbEUlT_E0_NS1_11comp_targetILNS1_3genE0ELNS1_11target_archE4294967295ELNS1_3gpuE0ELNS1_3repE0EEENS1_30default_config_static_selectorELNS0_4arch9wavefront6targetE0EEEvSQ_ ; -- Begin function _ZN7rocprim17ROCPRIM_400000_NS6detail17trampoline_kernelINS0_14default_configENS1_22reduce_config_selectorIiEEZNS1_11reduce_implILb1ES3_PiS7_iN6hipcub16HIPCUB_304000_NS6detail34convert_binary_result_type_wrapperINS9_3SumENS9_22TransformInputIteratorIbN2at6native12_GLOBAL__N_19NonZeroOpIdEEPKdlEEiEEEE10hipError_tPvRmT1_T2_T3_mT4_P12ihipStream_tbEUlT_E0_NS1_11comp_targetILNS1_3genE0ELNS1_11target_archE4294967295ELNS1_3gpuE0ELNS1_3repE0EEENS1_30default_config_static_selectorELNS0_4arch9wavefront6targetE0EEEvSQ_
	.p2align	8
	.type	_ZN7rocprim17ROCPRIM_400000_NS6detail17trampoline_kernelINS0_14default_configENS1_22reduce_config_selectorIiEEZNS1_11reduce_implILb1ES3_PiS7_iN6hipcub16HIPCUB_304000_NS6detail34convert_binary_result_type_wrapperINS9_3SumENS9_22TransformInputIteratorIbN2at6native12_GLOBAL__N_19NonZeroOpIdEEPKdlEEiEEEE10hipError_tPvRmT1_T2_T3_mT4_P12ihipStream_tbEUlT_E0_NS1_11comp_targetILNS1_3genE0ELNS1_11target_archE4294967295ELNS1_3gpuE0ELNS1_3repE0EEENS1_30default_config_static_selectorELNS0_4arch9wavefront6targetE0EEEvSQ_,@function
_ZN7rocprim17ROCPRIM_400000_NS6detail17trampoline_kernelINS0_14default_configENS1_22reduce_config_selectorIiEEZNS1_11reduce_implILb1ES3_PiS7_iN6hipcub16HIPCUB_304000_NS6detail34convert_binary_result_type_wrapperINS9_3SumENS9_22TransformInputIteratorIbN2at6native12_GLOBAL__N_19NonZeroOpIdEEPKdlEEiEEEE10hipError_tPvRmT1_T2_T3_mT4_P12ihipStream_tbEUlT_E0_NS1_11comp_targetILNS1_3genE0ELNS1_11target_archE4294967295ELNS1_3gpuE0ELNS1_3repE0EEENS1_30default_config_static_selectorELNS0_4arch9wavefront6targetE0EEEvSQ_: ; @_ZN7rocprim17ROCPRIM_400000_NS6detail17trampoline_kernelINS0_14default_configENS1_22reduce_config_selectorIiEEZNS1_11reduce_implILb1ES3_PiS7_iN6hipcub16HIPCUB_304000_NS6detail34convert_binary_result_type_wrapperINS9_3SumENS9_22TransformInputIteratorIbN2at6native12_GLOBAL__N_19NonZeroOpIdEEPKdlEEiEEEE10hipError_tPvRmT1_T2_T3_mT4_P12ihipStream_tbEUlT_E0_NS1_11comp_targetILNS1_3genE0ELNS1_11target_archE4294967295ELNS1_3gpuE0ELNS1_3repE0EEENS1_30default_config_static_selectorELNS0_4arch9wavefront6targetE0EEEvSQ_
; %bb.0:
	.section	.rodata,"a",@progbits
	.p2align	6, 0x0
	.amdhsa_kernel _ZN7rocprim17ROCPRIM_400000_NS6detail17trampoline_kernelINS0_14default_configENS1_22reduce_config_selectorIiEEZNS1_11reduce_implILb1ES3_PiS7_iN6hipcub16HIPCUB_304000_NS6detail34convert_binary_result_type_wrapperINS9_3SumENS9_22TransformInputIteratorIbN2at6native12_GLOBAL__N_19NonZeroOpIdEEPKdlEEiEEEE10hipError_tPvRmT1_T2_T3_mT4_P12ihipStream_tbEUlT_E0_NS1_11comp_targetILNS1_3genE0ELNS1_11target_archE4294967295ELNS1_3gpuE0ELNS1_3repE0EEENS1_30default_config_static_selectorELNS0_4arch9wavefront6targetE0EEEvSQ_
		.amdhsa_group_segment_fixed_size 0
		.amdhsa_private_segment_fixed_size 0
		.amdhsa_kernarg_size 56
		.amdhsa_user_sgpr_count 2
		.amdhsa_user_sgpr_dispatch_ptr 0
		.amdhsa_user_sgpr_queue_ptr 0
		.amdhsa_user_sgpr_kernarg_segment_ptr 1
		.amdhsa_user_sgpr_dispatch_id 0
		.amdhsa_user_sgpr_private_segment_size 0
		.amdhsa_wavefront_size32 1
		.amdhsa_uses_dynamic_stack 0
		.amdhsa_enable_private_segment 0
		.amdhsa_system_sgpr_workgroup_id_x 1
		.amdhsa_system_sgpr_workgroup_id_y 0
		.amdhsa_system_sgpr_workgroup_id_z 0
		.amdhsa_system_sgpr_workgroup_info 0
		.amdhsa_system_vgpr_workitem_id 0
		.amdhsa_next_free_vgpr 1
		.amdhsa_next_free_sgpr 1
		.amdhsa_reserve_vcc 0
		.amdhsa_float_round_mode_32 0
		.amdhsa_float_round_mode_16_64 0
		.amdhsa_float_denorm_mode_32 3
		.amdhsa_float_denorm_mode_16_64 3
		.amdhsa_fp16_overflow 0
		.amdhsa_workgroup_processor_mode 1
		.amdhsa_memory_ordered 1
		.amdhsa_forward_progress 1
		.amdhsa_inst_pref_size 0
		.amdhsa_round_robin_scheduling 0
		.amdhsa_exception_fp_ieee_invalid_op 0
		.amdhsa_exception_fp_denorm_src 0
		.amdhsa_exception_fp_ieee_div_zero 0
		.amdhsa_exception_fp_ieee_overflow 0
		.amdhsa_exception_fp_ieee_underflow 0
		.amdhsa_exception_fp_ieee_inexact 0
		.amdhsa_exception_int_div_zero 0
	.end_amdhsa_kernel
	.section	.text._ZN7rocprim17ROCPRIM_400000_NS6detail17trampoline_kernelINS0_14default_configENS1_22reduce_config_selectorIiEEZNS1_11reduce_implILb1ES3_PiS7_iN6hipcub16HIPCUB_304000_NS6detail34convert_binary_result_type_wrapperINS9_3SumENS9_22TransformInputIteratorIbN2at6native12_GLOBAL__N_19NonZeroOpIdEEPKdlEEiEEEE10hipError_tPvRmT1_T2_T3_mT4_P12ihipStream_tbEUlT_E0_NS1_11comp_targetILNS1_3genE0ELNS1_11target_archE4294967295ELNS1_3gpuE0ELNS1_3repE0EEENS1_30default_config_static_selectorELNS0_4arch9wavefront6targetE0EEEvSQ_,"axG",@progbits,_ZN7rocprim17ROCPRIM_400000_NS6detail17trampoline_kernelINS0_14default_configENS1_22reduce_config_selectorIiEEZNS1_11reduce_implILb1ES3_PiS7_iN6hipcub16HIPCUB_304000_NS6detail34convert_binary_result_type_wrapperINS9_3SumENS9_22TransformInputIteratorIbN2at6native12_GLOBAL__N_19NonZeroOpIdEEPKdlEEiEEEE10hipError_tPvRmT1_T2_T3_mT4_P12ihipStream_tbEUlT_E0_NS1_11comp_targetILNS1_3genE0ELNS1_11target_archE4294967295ELNS1_3gpuE0ELNS1_3repE0EEENS1_30default_config_static_selectorELNS0_4arch9wavefront6targetE0EEEvSQ_,comdat
.Lfunc_end354:
	.size	_ZN7rocprim17ROCPRIM_400000_NS6detail17trampoline_kernelINS0_14default_configENS1_22reduce_config_selectorIiEEZNS1_11reduce_implILb1ES3_PiS7_iN6hipcub16HIPCUB_304000_NS6detail34convert_binary_result_type_wrapperINS9_3SumENS9_22TransformInputIteratorIbN2at6native12_GLOBAL__N_19NonZeroOpIdEEPKdlEEiEEEE10hipError_tPvRmT1_T2_T3_mT4_P12ihipStream_tbEUlT_E0_NS1_11comp_targetILNS1_3genE0ELNS1_11target_archE4294967295ELNS1_3gpuE0ELNS1_3repE0EEENS1_30default_config_static_selectorELNS0_4arch9wavefront6targetE0EEEvSQ_, .Lfunc_end354-_ZN7rocprim17ROCPRIM_400000_NS6detail17trampoline_kernelINS0_14default_configENS1_22reduce_config_selectorIiEEZNS1_11reduce_implILb1ES3_PiS7_iN6hipcub16HIPCUB_304000_NS6detail34convert_binary_result_type_wrapperINS9_3SumENS9_22TransformInputIteratorIbN2at6native12_GLOBAL__N_19NonZeroOpIdEEPKdlEEiEEEE10hipError_tPvRmT1_T2_T3_mT4_P12ihipStream_tbEUlT_E0_NS1_11comp_targetILNS1_3genE0ELNS1_11target_archE4294967295ELNS1_3gpuE0ELNS1_3repE0EEENS1_30default_config_static_selectorELNS0_4arch9wavefront6targetE0EEEvSQ_
                                        ; -- End function
	.set _ZN7rocprim17ROCPRIM_400000_NS6detail17trampoline_kernelINS0_14default_configENS1_22reduce_config_selectorIiEEZNS1_11reduce_implILb1ES3_PiS7_iN6hipcub16HIPCUB_304000_NS6detail34convert_binary_result_type_wrapperINS9_3SumENS9_22TransformInputIteratorIbN2at6native12_GLOBAL__N_19NonZeroOpIdEEPKdlEEiEEEE10hipError_tPvRmT1_T2_T3_mT4_P12ihipStream_tbEUlT_E0_NS1_11comp_targetILNS1_3genE0ELNS1_11target_archE4294967295ELNS1_3gpuE0ELNS1_3repE0EEENS1_30default_config_static_selectorELNS0_4arch9wavefront6targetE0EEEvSQ_.num_vgpr, 0
	.set _ZN7rocprim17ROCPRIM_400000_NS6detail17trampoline_kernelINS0_14default_configENS1_22reduce_config_selectorIiEEZNS1_11reduce_implILb1ES3_PiS7_iN6hipcub16HIPCUB_304000_NS6detail34convert_binary_result_type_wrapperINS9_3SumENS9_22TransformInputIteratorIbN2at6native12_GLOBAL__N_19NonZeroOpIdEEPKdlEEiEEEE10hipError_tPvRmT1_T2_T3_mT4_P12ihipStream_tbEUlT_E0_NS1_11comp_targetILNS1_3genE0ELNS1_11target_archE4294967295ELNS1_3gpuE0ELNS1_3repE0EEENS1_30default_config_static_selectorELNS0_4arch9wavefront6targetE0EEEvSQ_.num_agpr, 0
	.set _ZN7rocprim17ROCPRIM_400000_NS6detail17trampoline_kernelINS0_14default_configENS1_22reduce_config_selectorIiEEZNS1_11reduce_implILb1ES3_PiS7_iN6hipcub16HIPCUB_304000_NS6detail34convert_binary_result_type_wrapperINS9_3SumENS9_22TransformInputIteratorIbN2at6native12_GLOBAL__N_19NonZeroOpIdEEPKdlEEiEEEE10hipError_tPvRmT1_T2_T3_mT4_P12ihipStream_tbEUlT_E0_NS1_11comp_targetILNS1_3genE0ELNS1_11target_archE4294967295ELNS1_3gpuE0ELNS1_3repE0EEENS1_30default_config_static_selectorELNS0_4arch9wavefront6targetE0EEEvSQ_.numbered_sgpr, 0
	.set _ZN7rocprim17ROCPRIM_400000_NS6detail17trampoline_kernelINS0_14default_configENS1_22reduce_config_selectorIiEEZNS1_11reduce_implILb1ES3_PiS7_iN6hipcub16HIPCUB_304000_NS6detail34convert_binary_result_type_wrapperINS9_3SumENS9_22TransformInputIteratorIbN2at6native12_GLOBAL__N_19NonZeroOpIdEEPKdlEEiEEEE10hipError_tPvRmT1_T2_T3_mT4_P12ihipStream_tbEUlT_E0_NS1_11comp_targetILNS1_3genE0ELNS1_11target_archE4294967295ELNS1_3gpuE0ELNS1_3repE0EEENS1_30default_config_static_selectorELNS0_4arch9wavefront6targetE0EEEvSQ_.num_named_barrier, 0
	.set _ZN7rocprim17ROCPRIM_400000_NS6detail17trampoline_kernelINS0_14default_configENS1_22reduce_config_selectorIiEEZNS1_11reduce_implILb1ES3_PiS7_iN6hipcub16HIPCUB_304000_NS6detail34convert_binary_result_type_wrapperINS9_3SumENS9_22TransformInputIteratorIbN2at6native12_GLOBAL__N_19NonZeroOpIdEEPKdlEEiEEEE10hipError_tPvRmT1_T2_T3_mT4_P12ihipStream_tbEUlT_E0_NS1_11comp_targetILNS1_3genE0ELNS1_11target_archE4294967295ELNS1_3gpuE0ELNS1_3repE0EEENS1_30default_config_static_selectorELNS0_4arch9wavefront6targetE0EEEvSQ_.private_seg_size, 0
	.set _ZN7rocprim17ROCPRIM_400000_NS6detail17trampoline_kernelINS0_14default_configENS1_22reduce_config_selectorIiEEZNS1_11reduce_implILb1ES3_PiS7_iN6hipcub16HIPCUB_304000_NS6detail34convert_binary_result_type_wrapperINS9_3SumENS9_22TransformInputIteratorIbN2at6native12_GLOBAL__N_19NonZeroOpIdEEPKdlEEiEEEE10hipError_tPvRmT1_T2_T3_mT4_P12ihipStream_tbEUlT_E0_NS1_11comp_targetILNS1_3genE0ELNS1_11target_archE4294967295ELNS1_3gpuE0ELNS1_3repE0EEENS1_30default_config_static_selectorELNS0_4arch9wavefront6targetE0EEEvSQ_.uses_vcc, 0
	.set _ZN7rocprim17ROCPRIM_400000_NS6detail17trampoline_kernelINS0_14default_configENS1_22reduce_config_selectorIiEEZNS1_11reduce_implILb1ES3_PiS7_iN6hipcub16HIPCUB_304000_NS6detail34convert_binary_result_type_wrapperINS9_3SumENS9_22TransformInputIteratorIbN2at6native12_GLOBAL__N_19NonZeroOpIdEEPKdlEEiEEEE10hipError_tPvRmT1_T2_T3_mT4_P12ihipStream_tbEUlT_E0_NS1_11comp_targetILNS1_3genE0ELNS1_11target_archE4294967295ELNS1_3gpuE0ELNS1_3repE0EEENS1_30default_config_static_selectorELNS0_4arch9wavefront6targetE0EEEvSQ_.uses_flat_scratch, 0
	.set _ZN7rocprim17ROCPRIM_400000_NS6detail17trampoline_kernelINS0_14default_configENS1_22reduce_config_selectorIiEEZNS1_11reduce_implILb1ES3_PiS7_iN6hipcub16HIPCUB_304000_NS6detail34convert_binary_result_type_wrapperINS9_3SumENS9_22TransformInputIteratorIbN2at6native12_GLOBAL__N_19NonZeroOpIdEEPKdlEEiEEEE10hipError_tPvRmT1_T2_T3_mT4_P12ihipStream_tbEUlT_E0_NS1_11comp_targetILNS1_3genE0ELNS1_11target_archE4294967295ELNS1_3gpuE0ELNS1_3repE0EEENS1_30default_config_static_selectorELNS0_4arch9wavefront6targetE0EEEvSQ_.has_dyn_sized_stack, 0
	.set _ZN7rocprim17ROCPRIM_400000_NS6detail17trampoline_kernelINS0_14default_configENS1_22reduce_config_selectorIiEEZNS1_11reduce_implILb1ES3_PiS7_iN6hipcub16HIPCUB_304000_NS6detail34convert_binary_result_type_wrapperINS9_3SumENS9_22TransformInputIteratorIbN2at6native12_GLOBAL__N_19NonZeroOpIdEEPKdlEEiEEEE10hipError_tPvRmT1_T2_T3_mT4_P12ihipStream_tbEUlT_E0_NS1_11comp_targetILNS1_3genE0ELNS1_11target_archE4294967295ELNS1_3gpuE0ELNS1_3repE0EEENS1_30default_config_static_selectorELNS0_4arch9wavefront6targetE0EEEvSQ_.has_recursion, 0
	.set _ZN7rocprim17ROCPRIM_400000_NS6detail17trampoline_kernelINS0_14default_configENS1_22reduce_config_selectorIiEEZNS1_11reduce_implILb1ES3_PiS7_iN6hipcub16HIPCUB_304000_NS6detail34convert_binary_result_type_wrapperINS9_3SumENS9_22TransformInputIteratorIbN2at6native12_GLOBAL__N_19NonZeroOpIdEEPKdlEEiEEEE10hipError_tPvRmT1_T2_T3_mT4_P12ihipStream_tbEUlT_E0_NS1_11comp_targetILNS1_3genE0ELNS1_11target_archE4294967295ELNS1_3gpuE0ELNS1_3repE0EEENS1_30default_config_static_selectorELNS0_4arch9wavefront6targetE0EEEvSQ_.has_indirect_call, 0
	.section	.AMDGPU.csdata,"",@progbits
; Kernel info:
; codeLenInByte = 0
; TotalNumSgprs: 0
; NumVgprs: 0
; ScratchSize: 0
; MemoryBound: 0
; FloatMode: 240
; IeeeMode: 1
; LDSByteSize: 0 bytes/workgroup (compile time only)
; SGPRBlocks: 0
; VGPRBlocks: 0
; NumSGPRsForWavesPerEU: 1
; NumVGPRsForWavesPerEU: 1
; Occupancy: 16
; WaveLimiterHint : 0
; COMPUTE_PGM_RSRC2:SCRATCH_EN: 0
; COMPUTE_PGM_RSRC2:USER_SGPR: 2
; COMPUTE_PGM_RSRC2:TRAP_HANDLER: 0
; COMPUTE_PGM_RSRC2:TGID_X_EN: 1
; COMPUTE_PGM_RSRC2:TGID_Y_EN: 0
; COMPUTE_PGM_RSRC2:TGID_Z_EN: 0
; COMPUTE_PGM_RSRC2:TIDIG_COMP_CNT: 0
	.section	.text._ZN7rocprim17ROCPRIM_400000_NS6detail17trampoline_kernelINS0_14default_configENS1_22reduce_config_selectorIiEEZNS1_11reduce_implILb1ES3_PiS7_iN6hipcub16HIPCUB_304000_NS6detail34convert_binary_result_type_wrapperINS9_3SumENS9_22TransformInputIteratorIbN2at6native12_GLOBAL__N_19NonZeroOpIdEEPKdlEEiEEEE10hipError_tPvRmT1_T2_T3_mT4_P12ihipStream_tbEUlT_E0_NS1_11comp_targetILNS1_3genE5ELNS1_11target_archE942ELNS1_3gpuE9ELNS1_3repE0EEENS1_30default_config_static_selectorELNS0_4arch9wavefront6targetE0EEEvSQ_,"axG",@progbits,_ZN7rocprim17ROCPRIM_400000_NS6detail17trampoline_kernelINS0_14default_configENS1_22reduce_config_selectorIiEEZNS1_11reduce_implILb1ES3_PiS7_iN6hipcub16HIPCUB_304000_NS6detail34convert_binary_result_type_wrapperINS9_3SumENS9_22TransformInputIteratorIbN2at6native12_GLOBAL__N_19NonZeroOpIdEEPKdlEEiEEEE10hipError_tPvRmT1_T2_T3_mT4_P12ihipStream_tbEUlT_E0_NS1_11comp_targetILNS1_3genE5ELNS1_11target_archE942ELNS1_3gpuE9ELNS1_3repE0EEENS1_30default_config_static_selectorELNS0_4arch9wavefront6targetE0EEEvSQ_,comdat
	.globl	_ZN7rocprim17ROCPRIM_400000_NS6detail17trampoline_kernelINS0_14default_configENS1_22reduce_config_selectorIiEEZNS1_11reduce_implILb1ES3_PiS7_iN6hipcub16HIPCUB_304000_NS6detail34convert_binary_result_type_wrapperINS9_3SumENS9_22TransformInputIteratorIbN2at6native12_GLOBAL__N_19NonZeroOpIdEEPKdlEEiEEEE10hipError_tPvRmT1_T2_T3_mT4_P12ihipStream_tbEUlT_E0_NS1_11comp_targetILNS1_3genE5ELNS1_11target_archE942ELNS1_3gpuE9ELNS1_3repE0EEENS1_30default_config_static_selectorELNS0_4arch9wavefront6targetE0EEEvSQ_ ; -- Begin function _ZN7rocprim17ROCPRIM_400000_NS6detail17trampoline_kernelINS0_14default_configENS1_22reduce_config_selectorIiEEZNS1_11reduce_implILb1ES3_PiS7_iN6hipcub16HIPCUB_304000_NS6detail34convert_binary_result_type_wrapperINS9_3SumENS9_22TransformInputIteratorIbN2at6native12_GLOBAL__N_19NonZeroOpIdEEPKdlEEiEEEE10hipError_tPvRmT1_T2_T3_mT4_P12ihipStream_tbEUlT_E0_NS1_11comp_targetILNS1_3genE5ELNS1_11target_archE942ELNS1_3gpuE9ELNS1_3repE0EEENS1_30default_config_static_selectorELNS0_4arch9wavefront6targetE0EEEvSQ_
	.p2align	8
	.type	_ZN7rocprim17ROCPRIM_400000_NS6detail17trampoline_kernelINS0_14default_configENS1_22reduce_config_selectorIiEEZNS1_11reduce_implILb1ES3_PiS7_iN6hipcub16HIPCUB_304000_NS6detail34convert_binary_result_type_wrapperINS9_3SumENS9_22TransformInputIteratorIbN2at6native12_GLOBAL__N_19NonZeroOpIdEEPKdlEEiEEEE10hipError_tPvRmT1_T2_T3_mT4_P12ihipStream_tbEUlT_E0_NS1_11comp_targetILNS1_3genE5ELNS1_11target_archE942ELNS1_3gpuE9ELNS1_3repE0EEENS1_30default_config_static_selectorELNS0_4arch9wavefront6targetE0EEEvSQ_,@function
_ZN7rocprim17ROCPRIM_400000_NS6detail17trampoline_kernelINS0_14default_configENS1_22reduce_config_selectorIiEEZNS1_11reduce_implILb1ES3_PiS7_iN6hipcub16HIPCUB_304000_NS6detail34convert_binary_result_type_wrapperINS9_3SumENS9_22TransformInputIteratorIbN2at6native12_GLOBAL__N_19NonZeroOpIdEEPKdlEEiEEEE10hipError_tPvRmT1_T2_T3_mT4_P12ihipStream_tbEUlT_E0_NS1_11comp_targetILNS1_3genE5ELNS1_11target_archE942ELNS1_3gpuE9ELNS1_3repE0EEENS1_30default_config_static_selectorELNS0_4arch9wavefront6targetE0EEEvSQ_: ; @_ZN7rocprim17ROCPRIM_400000_NS6detail17trampoline_kernelINS0_14default_configENS1_22reduce_config_selectorIiEEZNS1_11reduce_implILb1ES3_PiS7_iN6hipcub16HIPCUB_304000_NS6detail34convert_binary_result_type_wrapperINS9_3SumENS9_22TransformInputIteratorIbN2at6native12_GLOBAL__N_19NonZeroOpIdEEPKdlEEiEEEE10hipError_tPvRmT1_T2_T3_mT4_P12ihipStream_tbEUlT_E0_NS1_11comp_targetILNS1_3genE5ELNS1_11target_archE942ELNS1_3gpuE9ELNS1_3repE0EEENS1_30default_config_static_selectorELNS0_4arch9wavefront6targetE0EEEvSQ_
; %bb.0:
	.section	.rodata,"a",@progbits
	.p2align	6, 0x0
	.amdhsa_kernel _ZN7rocprim17ROCPRIM_400000_NS6detail17trampoline_kernelINS0_14default_configENS1_22reduce_config_selectorIiEEZNS1_11reduce_implILb1ES3_PiS7_iN6hipcub16HIPCUB_304000_NS6detail34convert_binary_result_type_wrapperINS9_3SumENS9_22TransformInputIteratorIbN2at6native12_GLOBAL__N_19NonZeroOpIdEEPKdlEEiEEEE10hipError_tPvRmT1_T2_T3_mT4_P12ihipStream_tbEUlT_E0_NS1_11comp_targetILNS1_3genE5ELNS1_11target_archE942ELNS1_3gpuE9ELNS1_3repE0EEENS1_30default_config_static_selectorELNS0_4arch9wavefront6targetE0EEEvSQ_
		.amdhsa_group_segment_fixed_size 0
		.amdhsa_private_segment_fixed_size 0
		.amdhsa_kernarg_size 56
		.amdhsa_user_sgpr_count 2
		.amdhsa_user_sgpr_dispatch_ptr 0
		.amdhsa_user_sgpr_queue_ptr 0
		.amdhsa_user_sgpr_kernarg_segment_ptr 1
		.amdhsa_user_sgpr_dispatch_id 0
		.amdhsa_user_sgpr_private_segment_size 0
		.amdhsa_wavefront_size32 1
		.amdhsa_uses_dynamic_stack 0
		.amdhsa_enable_private_segment 0
		.amdhsa_system_sgpr_workgroup_id_x 1
		.amdhsa_system_sgpr_workgroup_id_y 0
		.amdhsa_system_sgpr_workgroup_id_z 0
		.amdhsa_system_sgpr_workgroup_info 0
		.amdhsa_system_vgpr_workitem_id 0
		.amdhsa_next_free_vgpr 1
		.amdhsa_next_free_sgpr 1
		.amdhsa_reserve_vcc 0
		.amdhsa_float_round_mode_32 0
		.amdhsa_float_round_mode_16_64 0
		.amdhsa_float_denorm_mode_32 3
		.amdhsa_float_denorm_mode_16_64 3
		.amdhsa_fp16_overflow 0
		.amdhsa_workgroup_processor_mode 1
		.amdhsa_memory_ordered 1
		.amdhsa_forward_progress 1
		.amdhsa_inst_pref_size 0
		.amdhsa_round_robin_scheduling 0
		.amdhsa_exception_fp_ieee_invalid_op 0
		.amdhsa_exception_fp_denorm_src 0
		.amdhsa_exception_fp_ieee_div_zero 0
		.amdhsa_exception_fp_ieee_overflow 0
		.amdhsa_exception_fp_ieee_underflow 0
		.amdhsa_exception_fp_ieee_inexact 0
		.amdhsa_exception_int_div_zero 0
	.end_amdhsa_kernel
	.section	.text._ZN7rocprim17ROCPRIM_400000_NS6detail17trampoline_kernelINS0_14default_configENS1_22reduce_config_selectorIiEEZNS1_11reduce_implILb1ES3_PiS7_iN6hipcub16HIPCUB_304000_NS6detail34convert_binary_result_type_wrapperINS9_3SumENS9_22TransformInputIteratorIbN2at6native12_GLOBAL__N_19NonZeroOpIdEEPKdlEEiEEEE10hipError_tPvRmT1_T2_T3_mT4_P12ihipStream_tbEUlT_E0_NS1_11comp_targetILNS1_3genE5ELNS1_11target_archE942ELNS1_3gpuE9ELNS1_3repE0EEENS1_30default_config_static_selectorELNS0_4arch9wavefront6targetE0EEEvSQ_,"axG",@progbits,_ZN7rocprim17ROCPRIM_400000_NS6detail17trampoline_kernelINS0_14default_configENS1_22reduce_config_selectorIiEEZNS1_11reduce_implILb1ES3_PiS7_iN6hipcub16HIPCUB_304000_NS6detail34convert_binary_result_type_wrapperINS9_3SumENS9_22TransformInputIteratorIbN2at6native12_GLOBAL__N_19NonZeroOpIdEEPKdlEEiEEEE10hipError_tPvRmT1_T2_T3_mT4_P12ihipStream_tbEUlT_E0_NS1_11comp_targetILNS1_3genE5ELNS1_11target_archE942ELNS1_3gpuE9ELNS1_3repE0EEENS1_30default_config_static_selectorELNS0_4arch9wavefront6targetE0EEEvSQ_,comdat
.Lfunc_end355:
	.size	_ZN7rocprim17ROCPRIM_400000_NS6detail17trampoline_kernelINS0_14default_configENS1_22reduce_config_selectorIiEEZNS1_11reduce_implILb1ES3_PiS7_iN6hipcub16HIPCUB_304000_NS6detail34convert_binary_result_type_wrapperINS9_3SumENS9_22TransformInputIteratorIbN2at6native12_GLOBAL__N_19NonZeroOpIdEEPKdlEEiEEEE10hipError_tPvRmT1_T2_T3_mT4_P12ihipStream_tbEUlT_E0_NS1_11comp_targetILNS1_3genE5ELNS1_11target_archE942ELNS1_3gpuE9ELNS1_3repE0EEENS1_30default_config_static_selectorELNS0_4arch9wavefront6targetE0EEEvSQ_, .Lfunc_end355-_ZN7rocprim17ROCPRIM_400000_NS6detail17trampoline_kernelINS0_14default_configENS1_22reduce_config_selectorIiEEZNS1_11reduce_implILb1ES3_PiS7_iN6hipcub16HIPCUB_304000_NS6detail34convert_binary_result_type_wrapperINS9_3SumENS9_22TransformInputIteratorIbN2at6native12_GLOBAL__N_19NonZeroOpIdEEPKdlEEiEEEE10hipError_tPvRmT1_T2_T3_mT4_P12ihipStream_tbEUlT_E0_NS1_11comp_targetILNS1_3genE5ELNS1_11target_archE942ELNS1_3gpuE9ELNS1_3repE0EEENS1_30default_config_static_selectorELNS0_4arch9wavefront6targetE0EEEvSQ_
                                        ; -- End function
	.set _ZN7rocprim17ROCPRIM_400000_NS6detail17trampoline_kernelINS0_14default_configENS1_22reduce_config_selectorIiEEZNS1_11reduce_implILb1ES3_PiS7_iN6hipcub16HIPCUB_304000_NS6detail34convert_binary_result_type_wrapperINS9_3SumENS9_22TransformInputIteratorIbN2at6native12_GLOBAL__N_19NonZeroOpIdEEPKdlEEiEEEE10hipError_tPvRmT1_T2_T3_mT4_P12ihipStream_tbEUlT_E0_NS1_11comp_targetILNS1_3genE5ELNS1_11target_archE942ELNS1_3gpuE9ELNS1_3repE0EEENS1_30default_config_static_selectorELNS0_4arch9wavefront6targetE0EEEvSQ_.num_vgpr, 0
	.set _ZN7rocprim17ROCPRIM_400000_NS6detail17trampoline_kernelINS0_14default_configENS1_22reduce_config_selectorIiEEZNS1_11reduce_implILb1ES3_PiS7_iN6hipcub16HIPCUB_304000_NS6detail34convert_binary_result_type_wrapperINS9_3SumENS9_22TransformInputIteratorIbN2at6native12_GLOBAL__N_19NonZeroOpIdEEPKdlEEiEEEE10hipError_tPvRmT1_T2_T3_mT4_P12ihipStream_tbEUlT_E0_NS1_11comp_targetILNS1_3genE5ELNS1_11target_archE942ELNS1_3gpuE9ELNS1_3repE0EEENS1_30default_config_static_selectorELNS0_4arch9wavefront6targetE0EEEvSQ_.num_agpr, 0
	.set _ZN7rocprim17ROCPRIM_400000_NS6detail17trampoline_kernelINS0_14default_configENS1_22reduce_config_selectorIiEEZNS1_11reduce_implILb1ES3_PiS7_iN6hipcub16HIPCUB_304000_NS6detail34convert_binary_result_type_wrapperINS9_3SumENS9_22TransformInputIteratorIbN2at6native12_GLOBAL__N_19NonZeroOpIdEEPKdlEEiEEEE10hipError_tPvRmT1_T2_T3_mT4_P12ihipStream_tbEUlT_E0_NS1_11comp_targetILNS1_3genE5ELNS1_11target_archE942ELNS1_3gpuE9ELNS1_3repE0EEENS1_30default_config_static_selectorELNS0_4arch9wavefront6targetE0EEEvSQ_.numbered_sgpr, 0
	.set _ZN7rocprim17ROCPRIM_400000_NS6detail17trampoline_kernelINS0_14default_configENS1_22reduce_config_selectorIiEEZNS1_11reduce_implILb1ES3_PiS7_iN6hipcub16HIPCUB_304000_NS6detail34convert_binary_result_type_wrapperINS9_3SumENS9_22TransformInputIteratorIbN2at6native12_GLOBAL__N_19NonZeroOpIdEEPKdlEEiEEEE10hipError_tPvRmT1_T2_T3_mT4_P12ihipStream_tbEUlT_E0_NS1_11comp_targetILNS1_3genE5ELNS1_11target_archE942ELNS1_3gpuE9ELNS1_3repE0EEENS1_30default_config_static_selectorELNS0_4arch9wavefront6targetE0EEEvSQ_.num_named_barrier, 0
	.set _ZN7rocprim17ROCPRIM_400000_NS6detail17trampoline_kernelINS0_14default_configENS1_22reduce_config_selectorIiEEZNS1_11reduce_implILb1ES3_PiS7_iN6hipcub16HIPCUB_304000_NS6detail34convert_binary_result_type_wrapperINS9_3SumENS9_22TransformInputIteratorIbN2at6native12_GLOBAL__N_19NonZeroOpIdEEPKdlEEiEEEE10hipError_tPvRmT1_T2_T3_mT4_P12ihipStream_tbEUlT_E0_NS1_11comp_targetILNS1_3genE5ELNS1_11target_archE942ELNS1_3gpuE9ELNS1_3repE0EEENS1_30default_config_static_selectorELNS0_4arch9wavefront6targetE0EEEvSQ_.private_seg_size, 0
	.set _ZN7rocprim17ROCPRIM_400000_NS6detail17trampoline_kernelINS0_14default_configENS1_22reduce_config_selectorIiEEZNS1_11reduce_implILb1ES3_PiS7_iN6hipcub16HIPCUB_304000_NS6detail34convert_binary_result_type_wrapperINS9_3SumENS9_22TransformInputIteratorIbN2at6native12_GLOBAL__N_19NonZeroOpIdEEPKdlEEiEEEE10hipError_tPvRmT1_T2_T3_mT4_P12ihipStream_tbEUlT_E0_NS1_11comp_targetILNS1_3genE5ELNS1_11target_archE942ELNS1_3gpuE9ELNS1_3repE0EEENS1_30default_config_static_selectorELNS0_4arch9wavefront6targetE0EEEvSQ_.uses_vcc, 0
	.set _ZN7rocprim17ROCPRIM_400000_NS6detail17trampoline_kernelINS0_14default_configENS1_22reduce_config_selectorIiEEZNS1_11reduce_implILb1ES3_PiS7_iN6hipcub16HIPCUB_304000_NS6detail34convert_binary_result_type_wrapperINS9_3SumENS9_22TransformInputIteratorIbN2at6native12_GLOBAL__N_19NonZeroOpIdEEPKdlEEiEEEE10hipError_tPvRmT1_T2_T3_mT4_P12ihipStream_tbEUlT_E0_NS1_11comp_targetILNS1_3genE5ELNS1_11target_archE942ELNS1_3gpuE9ELNS1_3repE0EEENS1_30default_config_static_selectorELNS0_4arch9wavefront6targetE0EEEvSQ_.uses_flat_scratch, 0
	.set _ZN7rocprim17ROCPRIM_400000_NS6detail17trampoline_kernelINS0_14default_configENS1_22reduce_config_selectorIiEEZNS1_11reduce_implILb1ES3_PiS7_iN6hipcub16HIPCUB_304000_NS6detail34convert_binary_result_type_wrapperINS9_3SumENS9_22TransformInputIteratorIbN2at6native12_GLOBAL__N_19NonZeroOpIdEEPKdlEEiEEEE10hipError_tPvRmT1_T2_T3_mT4_P12ihipStream_tbEUlT_E0_NS1_11comp_targetILNS1_3genE5ELNS1_11target_archE942ELNS1_3gpuE9ELNS1_3repE0EEENS1_30default_config_static_selectorELNS0_4arch9wavefront6targetE0EEEvSQ_.has_dyn_sized_stack, 0
	.set _ZN7rocprim17ROCPRIM_400000_NS6detail17trampoline_kernelINS0_14default_configENS1_22reduce_config_selectorIiEEZNS1_11reduce_implILb1ES3_PiS7_iN6hipcub16HIPCUB_304000_NS6detail34convert_binary_result_type_wrapperINS9_3SumENS9_22TransformInputIteratorIbN2at6native12_GLOBAL__N_19NonZeroOpIdEEPKdlEEiEEEE10hipError_tPvRmT1_T2_T3_mT4_P12ihipStream_tbEUlT_E0_NS1_11comp_targetILNS1_3genE5ELNS1_11target_archE942ELNS1_3gpuE9ELNS1_3repE0EEENS1_30default_config_static_selectorELNS0_4arch9wavefront6targetE0EEEvSQ_.has_recursion, 0
	.set _ZN7rocprim17ROCPRIM_400000_NS6detail17trampoline_kernelINS0_14default_configENS1_22reduce_config_selectorIiEEZNS1_11reduce_implILb1ES3_PiS7_iN6hipcub16HIPCUB_304000_NS6detail34convert_binary_result_type_wrapperINS9_3SumENS9_22TransformInputIteratorIbN2at6native12_GLOBAL__N_19NonZeroOpIdEEPKdlEEiEEEE10hipError_tPvRmT1_T2_T3_mT4_P12ihipStream_tbEUlT_E0_NS1_11comp_targetILNS1_3genE5ELNS1_11target_archE942ELNS1_3gpuE9ELNS1_3repE0EEENS1_30default_config_static_selectorELNS0_4arch9wavefront6targetE0EEEvSQ_.has_indirect_call, 0
	.section	.AMDGPU.csdata,"",@progbits
; Kernel info:
; codeLenInByte = 0
; TotalNumSgprs: 0
; NumVgprs: 0
; ScratchSize: 0
; MemoryBound: 0
; FloatMode: 240
; IeeeMode: 1
; LDSByteSize: 0 bytes/workgroup (compile time only)
; SGPRBlocks: 0
; VGPRBlocks: 0
; NumSGPRsForWavesPerEU: 1
; NumVGPRsForWavesPerEU: 1
; Occupancy: 16
; WaveLimiterHint : 0
; COMPUTE_PGM_RSRC2:SCRATCH_EN: 0
; COMPUTE_PGM_RSRC2:USER_SGPR: 2
; COMPUTE_PGM_RSRC2:TRAP_HANDLER: 0
; COMPUTE_PGM_RSRC2:TGID_X_EN: 1
; COMPUTE_PGM_RSRC2:TGID_Y_EN: 0
; COMPUTE_PGM_RSRC2:TGID_Z_EN: 0
; COMPUTE_PGM_RSRC2:TIDIG_COMP_CNT: 0
	.section	.text._ZN7rocprim17ROCPRIM_400000_NS6detail17trampoline_kernelINS0_14default_configENS1_22reduce_config_selectorIiEEZNS1_11reduce_implILb1ES3_PiS7_iN6hipcub16HIPCUB_304000_NS6detail34convert_binary_result_type_wrapperINS9_3SumENS9_22TransformInputIteratorIbN2at6native12_GLOBAL__N_19NonZeroOpIdEEPKdlEEiEEEE10hipError_tPvRmT1_T2_T3_mT4_P12ihipStream_tbEUlT_E0_NS1_11comp_targetILNS1_3genE4ELNS1_11target_archE910ELNS1_3gpuE8ELNS1_3repE0EEENS1_30default_config_static_selectorELNS0_4arch9wavefront6targetE0EEEvSQ_,"axG",@progbits,_ZN7rocprim17ROCPRIM_400000_NS6detail17trampoline_kernelINS0_14default_configENS1_22reduce_config_selectorIiEEZNS1_11reduce_implILb1ES3_PiS7_iN6hipcub16HIPCUB_304000_NS6detail34convert_binary_result_type_wrapperINS9_3SumENS9_22TransformInputIteratorIbN2at6native12_GLOBAL__N_19NonZeroOpIdEEPKdlEEiEEEE10hipError_tPvRmT1_T2_T3_mT4_P12ihipStream_tbEUlT_E0_NS1_11comp_targetILNS1_3genE4ELNS1_11target_archE910ELNS1_3gpuE8ELNS1_3repE0EEENS1_30default_config_static_selectorELNS0_4arch9wavefront6targetE0EEEvSQ_,comdat
	.globl	_ZN7rocprim17ROCPRIM_400000_NS6detail17trampoline_kernelINS0_14default_configENS1_22reduce_config_selectorIiEEZNS1_11reduce_implILb1ES3_PiS7_iN6hipcub16HIPCUB_304000_NS6detail34convert_binary_result_type_wrapperINS9_3SumENS9_22TransformInputIteratorIbN2at6native12_GLOBAL__N_19NonZeroOpIdEEPKdlEEiEEEE10hipError_tPvRmT1_T2_T3_mT4_P12ihipStream_tbEUlT_E0_NS1_11comp_targetILNS1_3genE4ELNS1_11target_archE910ELNS1_3gpuE8ELNS1_3repE0EEENS1_30default_config_static_selectorELNS0_4arch9wavefront6targetE0EEEvSQ_ ; -- Begin function _ZN7rocprim17ROCPRIM_400000_NS6detail17trampoline_kernelINS0_14default_configENS1_22reduce_config_selectorIiEEZNS1_11reduce_implILb1ES3_PiS7_iN6hipcub16HIPCUB_304000_NS6detail34convert_binary_result_type_wrapperINS9_3SumENS9_22TransformInputIteratorIbN2at6native12_GLOBAL__N_19NonZeroOpIdEEPKdlEEiEEEE10hipError_tPvRmT1_T2_T3_mT4_P12ihipStream_tbEUlT_E0_NS1_11comp_targetILNS1_3genE4ELNS1_11target_archE910ELNS1_3gpuE8ELNS1_3repE0EEENS1_30default_config_static_selectorELNS0_4arch9wavefront6targetE0EEEvSQ_
	.p2align	8
	.type	_ZN7rocprim17ROCPRIM_400000_NS6detail17trampoline_kernelINS0_14default_configENS1_22reduce_config_selectorIiEEZNS1_11reduce_implILb1ES3_PiS7_iN6hipcub16HIPCUB_304000_NS6detail34convert_binary_result_type_wrapperINS9_3SumENS9_22TransformInputIteratorIbN2at6native12_GLOBAL__N_19NonZeroOpIdEEPKdlEEiEEEE10hipError_tPvRmT1_T2_T3_mT4_P12ihipStream_tbEUlT_E0_NS1_11comp_targetILNS1_3genE4ELNS1_11target_archE910ELNS1_3gpuE8ELNS1_3repE0EEENS1_30default_config_static_selectorELNS0_4arch9wavefront6targetE0EEEvSQ_,@function
_ZN7rocprim17ROCPRIM_400000_NS6detail17trampoline_kernelINS0_14default_configENS1_22reduce_config_selectorIiEEZNS1_11reduce_implILb1ES3_PiS7_iN6hipcub16HIPCUB_304000_NS6detail34convert_binary_result_type_wrapperINS9_3SumENS9_22TransformInputIteratorIbN2at6native12_GLOBAL__N_19NonZeroOpIdEEPKdlEEiEEEE10hipError_tPvRmT1_T2_T3_mT4_P12ihipStream_tbEUlT_E0_NS1_11comp_targetILNS1_3genE4ELNS1_11target_archE910ELNS1_3gpuE8ELNS1_3repE0EEENS1_30default_config_static_selectorELNS0_4arch9wavefront6targetE0EEEvSQ_: ; @_ZN7rocprim17ROCPRIM_400000_NS6detail17trampoline_kernelINS0_14default_configENS1_22reduce_config_selectorIiEEZNS1_11reduce_implILb1ES3_PiS7_iN6hipcub16HIPCUB_304000_NS6detail34convert_binary_result_type_wrapperINS9_3SumENS9_22TransformInputIteratorIbN2at6native12_GLOBAL__N_19NonZeroOpIdEEPKdlEEiEEEE10hipError_tPvRmT1_T2_T3_mT4_P12ihipStream_tbEUlT_E0_NS1_11comp_targetILNS1_3genE4ELNS1_11target_archE910ELNS1_3gpuE8ELNS1_3repE0EEENS1_30default_config_static_selectorELNS0_4arch9wavefront6targetE0EEEvSQ_
; %bb.0:
	.section	.rodata,"a",@progbits
	.p2align	6, 0x0
	.amdhsa_kernel _ZN7rocprim17ROCPRIM_400000_NS6detail17trampoline_kernelINS0_14default_configENS1_22reduce_config_selectorIiEEZNS1_11reduce_implILb1ES3_PiS7_iN6hipcub16HIPCUB_304000_NS6detail34convert_binary_result_type_wrapperINS9_3SumENS9_22TransformInputIteratorIbN2at6native12_GLOBAL__N_19NonZeroOpIdEEPKdlEEiEEEE10hipError_tPvRmT1_T2_T3_mT4_P12ihipStream_tbEUlT_E0_NS1_11comp_targetILNS1_3genE4ELNS1_11target_archE910ELNS1_3gpuE8ELNS1_3repE0EEENS1_30default_config_static_selectorELNS0_4arch9wavefront6targetE0EEEvSQ_
		.amdhsa_group_segment_fixed_size 0
		.amdhsa_private_segment_fixed_size 0
		.amdhsa_kernarg_size 56
		.amdhsa_user_sgpr_count 2
		.amdhsa_user_sgpr_dispatch_ptr 0
		.amdhsa_user_sgpr_queue_ptr 0
		.amdhsa_user_sgpr_kernarg_segment_ptr 1
		.amdhsa_user_sgpr_dispatch_id 0
		.amdhsa_user_sgpr_private_segment_size 0
		.amdhsa_wavefront_size32 1
		.amdhsa_uses_dynamic_stack 0
		.amdhsa_enable_private_segment 0
		.amdhsa_system_sgpr_workgroup_id_x 1
		.amdhsa_system_sgpr_workgroup_id_y 0
		.amdhsa_system_sgpr_workgroup_id_z 0
		.amdhsa_system_sgpr_workgroup_info 0
		.amdhsa_system_vgpr_workitem_id 0
		.amdhsa_next_free_vgpr 1
		.amdhsa_next_free_sgpr 1
		.amdhsa_reserve_vcc 0
		.amdhsa_float_round_mode_32 0
		.amdhsa_float_round_mode_16_64 0
		.amdhsa_float_denorm_mode_32 3
		.amdhsa_float_denorm_mode_16_64 3
		.amdhsa_fp16_overflow 0
		.amdhsa_workgroup_processor_mode 1
		.amdhsa_memory_ordered 1
		.amdhsa_forward_progress 1
		.amdhsa_inst_pref_size 0
		.amdhsa_round_robin_scheduling 0
		.amdhsa_exception_fp_ieee_invalid_op 0
		.amdhsa_exception_fp_denorm_src 0
		.amdhsa_exception_fp_ieee_div_zero 0
		.amdhsa_exception_fp_ieee_overflow 0
		.amdhsa_exception_fp_ieee_underflow 0
		.amdhsa_exception_fp_ieee_inexact 0
		.amdhsa_exception_int_div_zero 0
	.end_amdhsa_kernel
	.section	.text._ZN7rocprim17ROCPRIM_400000_NS6detail17trampoline_kernelINS0_14default_configENS1_22reduce_config_selectorIiEEZNS1_11reduce_implILb1ES3_PiS7_iN6hipcub16HIPCUB_304000_NS6detail34convert_binary_result_type_wrapperINS9_3SumENS9_22TransformInputIteratorIbN2at6native12_GLOBAL__N_19NonZeroOpIdEEPKdlEEiEEEE10hipError_tPvRmT1_T2_T3_mT4_P12ihipStream_tbEUlT_E0_NS1_11comp_targetILNS1_3genE4ELNS1_11target_archE910ELNS1_3gpuE8ELNS1_3repE0EEENS1_30default_config_static_selectorELNS0_4arch9wavefront6targetE0EEEvSQ_,"axG",@progbits,_ZN7rocprim17ROCPRIM_400000_NS6detail17trampoline_kernelINS0_14default_configENS1_22reduce_config_selectorIiEEZNS1_11reduce_implILb1ES3_PiS7_iN6hipcub16HIPCUB_304000_NS6detail34convert_binary_result_type_wrapperINS9_3SumENS9_22TransformInputIteratorIbN2at6native12_GLOBAL__N_19NonZeroOpIdEEPKdlEEiEEEE10hipError_tPvRmT1_T2_T3_mT4_P12ihipStream_tbEUlT_E0_NS1_11comp_targetILNS1_3genE4ELNS1_11target_archE910ELNS1_3gpuE8ELNS1_3repE0EEENS1_30default_config_static_selectorELNS0_4arch9wavefront6targetE0EEEvSQ_,comdat
.Lfunc_end356:
	.size	_ZN7rocprim17ROCPRIM_400000_NS6detail17trampoline_kernelINS0_14default_configENS1_22reduce_config_selectorIiEEZNS1_11reduce_implILb1ES3_PiS7_iN6hipcub16HIPCUB_304000_NS6detail34convert_binary_result_type_wrapperINS9_3SumENS9_22TransformInputIteratorIbN2at6native12_GLOBAL__N_19NonZeroOpIdEEPKdlEEiEEEE10hipError_tPvRmT1_T2_T3_mT4_P12ihipStream_tbEUlT_E0_NS1_11comp_targetILNS1_3genE4ELNS1_11target_archE910ELNS1_3gpuE8ELNS1_3repE0EEENS1_30default_config_static_selectorELNS0_4arch9wavefront6targetE0EEEvSQ_, .Lfunc_end356-_ZN7rocprim17ROCPRIM_400000_NS6detail17trampoline_kernelINS0_14default_configENS1_22reduce_config_selectorIiEEZNS1_11reduce_implILb1ES3_PiS7_iN6hipcub16HIPCUB_304000_NS6detail34convert_binary_result_type_wrapperINS9_3SumENS9_22TransformInputIteratorIbN2at6native12_GLOBAL__N_19NonZeroOpIdEEPKdlEEiEEEE10hipError_tPvRmT1_T2_T3_mT4_P12ihipStream_tbEUlT_E0_NS1_11comp_targetILNS1_3genE4ELNS1_11target_archE910ELNS1_3gpuE8ELNS1_3repE0EEENS1_30default_config_static_selectorELNS0_4arch9wavefront6targetE0EEEvSQ_
                                        ; -- End function
	.set _ZN7rocprim17ROCPRIM_400000_NS6detail17trampoline_kernelINS0_14default_configENS1_22reduce_config_selectorIiEEZNS1_11reduce_implILb1ES3_PiS7_iN6hipcub16HIPCUB_304000_NS6detail34convert_binary_result_type_wrapperINS9_3SumENS9_22TransformInputIteratorIbN2at6native12_GLOBAL__N_19NonZeroOpIdEEPKdlEEiEEEE10hipError_tPvRmT1_T2_T3_mT4_P12ihipStream_tbEUlT_E0_NS1_11comp_targetILNS1_3genE4ELNS1_11target_archE910ELNS1_3gpuE8ELNS1_3repE0EEENS1_30default_config_static_selectorELNS0_4arch9wavefront6targetE0EEEvSQ_.num_vgpr, 0
	.set _ZN7rocprim17ROCPRIM_400000_NS6detail17trampoline_kernelINS0_14default_configENS1_22reduce_config_selectorIiEEZNS1_11reduce_implILb1ES3_PiS7_iN6hipcub16HIPCUB_304000_NS6detail34convert_binary_result_type_wrapperINS9_3SumENS9_22TransformInputIteratorIbN2at6native12_GLOBAL__N_19NonZeroOpIdEEPKdlEEiEEEE10hipError_tPvRmT1_T2_T3_mT4_P12ihipStream_tbEUlT_E0_NS1_11comp_targetILNS1_3genE4ELNS1_11target_archE910ELNS1_3gpuE8ELNS1_3repE0EEENS1_30default_config_static_selectorELNS0_4arch9wavefront6targetE0EEEvSQ_.num_agpr, 0
	.set _ZN7rocprim17ROCPRIM_400000_NS6detail17trampoline_kernelINS0_14default_configENS1_22reduce_config_selectorIiEEZNS1_11reduce_implILb1ES3_PiS7_iN6hipcub16HIPCUB_304000_NS6detail34convert_binary_result_type_wrapperINS9_3SumENS9_22TransformInputIteratorIbN2at6native12_GLOBAL__N_19NonZeroOpIdEEPKdlEEiEEEE10hipError_tPvRmT1_T2_T3_mT4_P12ihipStream_tbEUlT_E0_NS1_11comp_targetILNS1_3genE4ELNS1_11target_archE910ELNS1_3gpuE8ELNS1_3repE0EEENS1_30default_config_static_selectorELNS0_4arch9wavefront6targetE0EEEvSQ_.numbered_sgpr, 0
	.set _ZN7rocprim17ROCPRIM_400000_NS6detail17trampoline_kernelINS0_14default_configENS1_22reduce_config_selectorIiEEZNS1_11reduce_implILb1ES3_PiS7_iN6hipcub16HIPCUB_304000_NS6detail34convert_binary_result_type_wrapperINS9_3SumENS9_22TransformInputIteratorIbN2at6native12_GLOBAL__N_19NonZeroOpIdEEPKdlEEiEEEE10hipError_tPvRmT1_T2_T3_mT4_P12ihipStream_tbEUlT_E0_NS1_11comp_targetILNS1_3genE4ELNS1_11target_archE910ELNS1_3gpuE8ELNS1_3repE0EEENS1_30default_config_static_selectorELNS0_4arch9wavefront6targetE0EEEvSQ_.num_named_barrier, 0
	.set _ZN7rocprim17ROCPRIM_400000_NS6detail17trampoline_kernelINS0_14default_configENS1_22reduce_config_selectorIiEEZNS1_11reduce_implILb1ES3_PiS7_iN6hipcub16HIPCUB_304000_NS6detail34convert_binary_result_type_wrapperINS9_3SumENS9_22TransformInputIteratorIbN2at6native12_GLOBAL__N_19NonZeroOpIdEEPKdlEEiEEEE10hipError_tPvRmT1_T2_T3_mT4_P12ihipStream_tbEUlT_E0_NS1_11comp_targetILNS1_3genE4ELNS1_11target_archE910ELNS1_3gpuE8ELNS1_3repE0EEENS1_30default_config_static_selectorELNS0_4arch9wavefront6targetE0EEEvSQ_.private_seg_size, 0
	.set _ZN7rocprim17ROCPRIM_400000_NS6detail17trampoline_kernelINS0_14default_configENS1_22reduce_config_selectorIiEEZNS1_11reduce_implILb1ES3_PiS7_iN6hipcub16HIPCUB_304000_NS6detail34convert_binary_result_type_wrapperINS9_3SumENS9_22TransformInputIteratorIbN2at6native12_GLOBAL__N_19NonZeroOpIdEEPKdlEEiEEEE10hipError_tPvRmT1_T2_T3_mT4_P12ihipStream_tbEUlT_E0_NS1_11comp_targetILNS1_3genE4ELNS1_11target_archE910ELNS1_3gpuE8ELNS1_3repE0EEENS1_30default_config_static_selectorELNS0_4arch9wavefront6targetE0EEEvSQ_.uses_vcc, 0
	.set _ZN7rocprim17ROCPRIM_400000_NS6detail17trampoline_kernelINS0_14default_configENS1_22reduce_config_selectorIiEEZNS1_11reduce_implILb1ES3_PiS7_iN6hipcub16HIPCUB_304000_NS6detail34convert_binary_result_type_wrapperINS9_3SumENS9_22TransformInputIteratorIbN2at6native12_GLOBAL__N_19NonZeroOpIdEEPKdlEEiEEEE10hipError_tPvRmT1_T2_T3_mT4_P12ihipStream_tbEUlT_E0_NS1_11comp_targetILNS1_3genE4ELNS1_11target_archE910ELNS1_3gpuE8ELNS1_3repE0EEENS1_30default_config_static_selectorELNS0_4arch9wavefront6targetE0EEEvSQ_.uses_flat_scratch, 0
	.set _ZN7rocprim17ROCPRIM_400000_NS6detail17trampoline_kernelINS0_14default_configENS1_22reduce_config_selectorIiEEZNS1_11reduce_implILb1ES3_PiS7_iN6hipcub16HIPCUB_304000_NS6detail34convert_binary_result_type_wrapperINS9_3SumENS9_22TransformInputIteratorIbN2at6native12_GLOBAL__N_19NonZeroOpIdEEPKdlEEiEEEE10hipError_tPvRmT1_T2_T3_mT4_P12ihipStream_tbEUlT_E0_NS1_11comp_targetILNS1_3genE4ELNS1_11target_archE910ELNS1_3gpuE8ELNS1_3repE0EEENS1_30default_config_static_selectorELNS0_4arch9wavefront6targetE0EEEvSQ_.has_dyn_sized_stack, 0
	.set _ZN7rocprim17ROCPRIM_400000_NS6detail17trampoline_kernelINS0_14default_configENS1_22reduce_config_selectorIiEEZNS1_11reduce_implILb1ES3_PiS7_iN6hipcub16HIPCUB_304000_NS6detail34convert_binary_result_type_wrapperINS9_3SumENS9_22TransformInputIteratorIbN2at6native12_GLOBAL__N_19NonZeroOpIdEEPKdlEEiEEEE10hipError_tPvRmT1_T2_T3_mT4_P12ihipStream_tbEUlT_E0_NS1_11comp_targetILNS1_3genE4ELNS1_11target_archE910ELNS1_3gpuE8ELNS1_3repE0EEENS1_30default_config_static_selectorELNS0_4arch9wavefront6targetE0EEEvSQ_.has_recursion, 0
	.set _ZN7rocprim17ROCPRIM_400000_NS6detail17trampoline_kernelINS0_14default_configENS1_22reduce_config_selectorIiEEZNS1_11reduce_implILb1ES3_PiS7_iN6hipcub16HIPCUB_304000_NS6detail34convert_binary_result_type_wrapperINS9_3SumENS9_22TransformInputIteratorIbN2at6native12_GLOBAL__N_19NonZeroOpIdEEPKdlEEiEEEE10hipError_tPvRmT1_T2_T3_mT4_P12ihipStream_tbEUlT_E0_NS1_11comp_targetILNS1_3genE4ELNS1_11target_archE910ELNS1_3gpuE8ELNS1_3repE0EEENS1_30default_config_static_selectorELNS0_4arch9wavefront6targetE0EEEvSQ_.has_indirect_call, 0
	.section	.AMDGPU.csdata,"",@progbits
; Kernel info:
; codeLenInByte = 0
; TotalNumSgprs: 0
; NumVgprs: 0
; ScratchSize: 0
; MemoryBound: 0
; FloatMode: 240
; IeeeMode: 1
; LDSByteSize: 0 bytes/workgroup (compile time only)
; SGPRBlocks: 0
; VGPRBlocks: 0
; NumSGPRsForWavesPerEU: 1
; NumVGPRsForWavesPerEU: 1
; Occupancy: 16
; WaveLimiterHint : 0
; COMPUTE_PGM_RSRC2:SCRATCH_EN: 0
; COMPUTE_PGM_RSRC2:USER_SGPR: 2
; COMPUTE_PGM_RSRC2:TRAP_HANDLER: 0
; COMPUTE_PGM_RSRC2:TGID_X_EN: 1
; COMPUTE_PGM_RSRC2:TGID_Y_EN: 0
; COMPUTE_PGM_RSRC2:TGID_Z_EN: 0
; COMPUTE_PGM_RSRC2:TIDIG_COMP_CNT: 0
	.section	.text._ZN7rocprim17ROCPRIM_400000_NS6detail17trampoline_kernelINS0_14default_configENS1_22reduce_config_selectorIiEEZNS1_11reduce_implILb1ES3_PiS7_iN6hipcub16HIPCUB_304000_NS6detail34convert_binary_result_type_wrapperINS9_3SumENS9_22TransformInputIteratorIbN2at6native12_GLOBAL__N_19NonZeroOpIdEEPKdlEEiEEEE10hipError_tPvRmT1_T2_T3_mT4_P12ihipStream_tbEUlT_E0_NS1_11comp_targetILNS1_3genE3ELNS1_11target_archE908ELNS1_3gpuE7ELNS1_3repE0EEENS1_30default_config_static_selectorELNS0_4arch9wavefront6targetE0EEEvSQ_,"axG",@progbits,_ZN7rocprim17ROCPRIM_400000_NS6detail17trampoline_kernelINS0_14default_configENS1_22reduce_config_selectorIiEEZNS1_11reduce_implILb1ES3_PiS7_iN6hipcub16HIPCUB_304000_NS6detail34convert_binary_result_type_wrapperINS9_3SumENS9_22TransformInputIteratorIbN2at6native12_GLOBAL__N_19NonZeroOpIdEEPKdlEEiEEEE10hipError_tPvRmT1_T2_T3_mT4_P12ihipStream_tbEUlT_E0_NS1_11comp_targetILNS1_3genE3ELNS1_11target_archE908ELNS1_3gpuE7ELNS1_3repE0EEENS1_30default_config_static_selectorELNS0_4arch9wavefront6targetE0EEEvSQ_,comdat
	.globl	_ZN7rocprim17ROCPRIM_400000_NS6detail17trampoline_kernelINS0_14default_configENS1_22reduce_config_selectorIiEEZNS1_11reduce_implILb1ES3_PiS7_iN6hipcub16HIPCUB_304000_NS6detail34convert_binary_result_type_wrapperINS9_3SumENS9_22TransformInputIteratorIbN2at6native12_GLOBAL__N_19NonZeroOpIdEEPKdlEEiEEEE10hipError_tPvRmT1_T2_T3_mT4_P12ihipStream_tbEUlT_E0_NS1_11comp_targetILNS1_3genE3ELNS1_11target_archE908ELNS1_3gpuE7ELNS1_3repE0EEENS1_30default_config_static_selectorELNS0_4arch9wavefront6targetE0EEEvSQ_ ; -- Begin function _ZN7rocprim17ROCPRIM_400000_NS6detail17trampoline_kernelINS0_14default_configENS1_22reduce_config_selectorIiEEZNS1_11reduce_implILb1ES3_PiS7_iN6hipcub16HIPCUB_304000_NS6detail34convert_binary_result_type_wrapperINS9_3SumENS9_22TransformInputIteratorIbN2at6native12_GLOBAL__N_19NonZeroOpIdEEPKdlEEiEEEE10hipError_tPvRmT1_T2_T3_mT4_P12ihipStream_tbEUlT_E0_NS1_11comp_targetILNS1_3genE3ELNS1_11target_archE908ELNS1_3gpuE7ELNS1_3repE0EEENS1_30default_config_static_selectorELNS0_4arch9wavefront6targetE0EEEvSQ_
	.p2align	8
	.type	_ZN7rocprim17ROCPRIM_400000_NS6detail17trampoline_kernelINS0_14default_configENS1_22reduce_config_selectorIiEEZNS1_11reduce_implILb1ES3_PiS7_iN6hipcub16HIPCUB_304000_NS6detail34convert_binary_result_type_wrapperINS9_3SumENS9_22TransformInputIteratorIbN2at6native12_GLOBAL__N_19NonZeroOpIdEEPKdlEEiEEEE10hipError_tPvRmT1_T2_T3_mT4_P12ihipStream_tbEUlT_E0_NS1_11comp_targetILNS1_3genE3ELNS1_11target_archE908ELNS1_3gpuE7ELNS1_3repE0EEENS1_30default_config_static_selectorELNS0_4arch9wavefront6targetE0EEEvSQ_,@function
_ZN7rocprim17ROCPRIM_400000_NS6detail17trampoline_kernelINS0_14default_configENS1_22reduce_config_selectorIiEEZNS1_11reduce_implILb1ES3_PiS7_iN6hipcub16HIPCUB_304000_NS6detail34convert_binary_result_type_wrapperINS9_3SumENS9_22TransformInputIteratorIbN2at6native12_GLOBAL__N_19NonZeroOpIdEEPKdlEEiEEEE10hipError_tPvRmT1_T2_T3_mT4_P12ihipStream_tbEUlT_E0_NS1_11comp_targetILNS1_3genE3ELNS1_11target_archE908ELNS1_3gpuE7ELNS1_3repE0EEENS1_30default_config_static_selectorELNS0_4arch9wavefront6targetE0EEEvSQ_: ; @_ZN7rocprim17ROCPRIM_400000_NS6detail17trampoline_kernelINS0_14default_configENS1_22reduce_config_selectorIiEEZNS1_11reduce_implILb1ES3_PiS7_iN6hipcub16HIPCUB_304000_NS6detail34convert_binary_result_type_wrapperINS9_3SumENS9_22TransformInputIteratorIbN2at6native12_GLOBAL__N_19NonZeroOpIdEEPKdlEEiEEEE10hipError_tPvRmT1_T2_T3_mT4_P12ihipStream_tbEUlT_E0_NS1_11comp_targetILNS1_3genE3ELNS1_11target_archE908ELNS1_3gpuE7ELNS1_3repE0EEENS1_30default_config_static_selectorELNS0_4arch9wavefront6targetE0EEEvSQ_
; %bb.0:
	.section	.rodata,"a",@progbits
	.p2align	6, 0x0
	.amdhsa_kernel _ZN7rocprim17ROCPRIM_400000_NS6detail17trampoline_kernelINS0_14default_configENS1_22reduce_config_selectorIiEEZNS1_11reduce_implILb1ES3_PiS7_iN6hipcub16HIPCUB_304000_NS6detail34convert_binary_result_type_wrapperINS9_3SumENS9_22TransformInputIteratorIbN2at6native12_GLOBAL__N_19NonZeroOpIdEEPKdlEEiEEEE10hipError_tPvRmT1_T2_T3_mT4_P12ihipStream_tbEUlT_E0_NS1_11comp_targetILNS1_3genE3ELNS1_11target_archE908ELNS1_3gpuE7ELNS1_3repE0EEENS1_30default_config_static_selectorELNS0_4arch9wavefront6targetE0EEEvSQ_
		.amdhsa_group_segment_fixed_size 0
		.amdhsa_private_segment_fixed_size 0
		.amdhsa_kernarg_size 56
		.amdhsa_user_sgpr_count 2
		.amdhsa_user_sgpr_dispatch_ptr 0
		.amdhsa_user_sgpr_queue_ptr 0
		.amdhsa_user_sgpr_kernarg_segment_ptr 1
		.amdhsa_user_sgpr_dispatch_id 0
		.amdhsa_user_sgpr_private_segment_size 0
		.amdhsa_wavefront_size32 1
		.amdhsa_uses_dynamic_stack 0
		.amdhsa_enable_private_segment 0
		.amdhsa_system_sgpr_workgroup_id_x 1
		.amdhsa_system_sgpr_workgroup_id_y 0
		.amdhsa_system_sgpr_workgroup_id_z 0
		.amdhsa_system_sgpr_workgroup_info 0
		.amdhsa_system_vgpr_workitem_id 0
		.amdhsa_next_free_vgpr 1
		.amdhsa_next_free_sgpr 1
		.amdhsa_reserve_vcc 0
		.amdhsa_float_round_mode_32 0
		.amdhsa_float_round_mode_16_64 0
		.amdhsa_float_denorm_mode_32 3
		.amdhsa_float_denorm_mode_16_64 3
		.amdhsa_fp16_overflow 0
		.amdhsa_workgroup_processor_mode 1
		.amdhsa_memory_ordered 1
		.amdhsa_forward_progress 1
		.amdhsa_inst_pref_size 0
		.amdhsa_round_robin_scheduling 0
		.amdhsa_exception_fp_ieee_invalid_op 0
		.amdhsa_exception_fp_denorm_src 0
		.amdhsa_exception_fp_ieee_div_zero 0
		.amdhsa_exception_fp_ieee_overflow 0
		.amdhsa_exception_fp_ieee_underflow 0
		.amdhsa_exception_fp_ieee_inexact 0
		.amdhsa_exception_int_div_zero 0
	.end_amdhsa_kernel
	.section	.text._ZN7rocprim17ROCPRIM_400000_NS6detail17trampoline_kernelINS0_14default_configENS1_22reduce_config_selectorIiEEZNS1_11reduce_implILb1ES3_PiS7_iN6hipcub16HIPCUB_304000_NS6detail34convert_binary_result_type_wrapperINS9_3SumENS9_22TransformInputIteratorIbN2at6native12_GLOBAL__N_19NonZeroOpIdEEPKdlEEiEEEE10hipError_tPvRmT1_T2_T3_mT4_P12ihipStream_tbEUlT_E0_NS1_11comp_targetILNS1_3genE3ELNS1_11target_archE908ELNS1_3gpuE7ELNS1_3repE0EEENS1_30default_config_static_selectorELNS0_4arch9wavefront6targetE0EEEvSQ_,"axG",@progbits,_ZN7rocprim17ROCPRIM_400000_NS6detail17trampoline_kernelINS0_14default_configENS1_22reduce_config_selectorIiEEZNS1_11reduce_implILb1ES3_PiS7_iN6hipcub16HIPCUB_304000_NS6detail34convert_binary_result_type_wrapperINS9_3SumENS9_22TransformInputIteratorIbN2at6native12_GLOBAL__N_19NonZeroOpIdEEPKdlEEiEEEE10hipError_tPvRmT1_T2_T3_mT4_P12ihipStream_tbEUlT_E0_NS1_11comp_targetILNS1_3genE3ELNS1_11target_archE908ELNS1_3gpuE7ELNS1_3repE0EEENS1_30default_config_static_selectorELNS0_4arch9wavefront6targetE0EEEvSQ_,comdat
.Lfunc_end357:
	.size	_ZN7rocprim17ROCPRIM_400000_NS6detail17trampoline_kernelINS0_14default_configENS1_22reduce_config_selectorIiEEZNS1_11reduce_implILb1ES3_PiS7_iN6hipcub16HIPCUB_304000_NS6detail34convert_binary_result_type_wrapperINS9_3SumENS9_22TransformInputIteratorIbN2at6native12_GLOBAL__N_19NonZeroOpIdEEPKdlEEiEEEE10hipError_tPvRmT1_T2_T3_mT4_P12ihipStream_tbEUlT_E0_NS1_11comp_targetILNS1_3genE3ELNS1_11target_archE908ELNS1_3gpuE7ELNS1_3repE0EEENS1_30default_config_static_selectorELNS0_4arch9wavefront6targetE0EEEvSQ_, .Lfunc_end357-_ZN7rocprim17ROCPRIM_400000_NS6detail17trampoline_kernelINS0_14default_configENS1_22reduce_config_selectorIiEEZNS1_11reduce_implILb1ES3_PiS7_iN6hipcub16HIPCUB_304000_NS6detail34convert_binary_result_type_wrapperINS9_3SumENS9_22TransformInputIteratorIbN2at6native12_GLOBAL__N_19NonZeroOpIdEEPKdlEEiEEEE10hipError_tPvRmT1_T2_T3_mT4_P12ihipStream_tbEUlT_E0_NS1_11comp_targetILNS1_3genE3ELNS1_11target_archE908ELNS1_3gpuE7ELNS1_3repE0EEENS1_30default_config_static_selectorELNS0_4arch9wavefront6targetE0EEEvSQ_
                                        ; -- End function
	.set _ZN7rocprim17ROCPRIM_400000_NS6detail17trampoline_kernelINS0_14default_configENS1_22reduce_config_selectorIiEEZNS1_11reduce_implILb1ES3_PiS7_iN6hipcub16HIPCUB_304000_NS6detail34convert_binary_result_type_wrapperINS9_3SumENS9_22TransformInputIteratorIbN2at6native12_GLOBAL__N_19NonZeroOpIdEEPKdlEEiEEEE10hipError_tPvRmT1_T2_T3_mT4_P12ihipStream_tbEUlT_E0_NS1_11comp_targetILNS1_3genE3ELNS1_11target_archE908ELNS1_3gpuE7ELNS1_3repE0EEENS1_30default_config_static_selectorELNS0_4arch9wavefront6targetE0EEEvSQ_.num_vgpr, 0
	.set _ZN7rocprim17ROCPRIM_400000_NS6detail17trampoline_kernelINS0_14default_configENS1_22reduce_config_selectorIiEEZNS1_11reduce_implILb1ES3_PiS7_iN6hipcub16HIPCUB_304000_NS6detail34convert_binary_result_type_wrapperINS9_3SumENS9_22TransformInputIteratorIbN2at6native12_GLOBAL__N_19NonZeroOpIdEEPKdlEEiEEEE10hipError_tPvRmT1_T2_T3_mT4_P12ihipStream_tbEUlT_E0_NS1_11comp_targetILNS1_3genE3ELNS1_11target_archE908ELNS1_3gpuE7ELNS1_3repE0EEENS1_30default_config_static_selectorELNS0_4arch9wavefront6targetE0EEEvSQ_.num_agpr, 0
	.set _ZN7rocprim17ROCPRIM_400000_NS6detail17trampoline_kernelINS0_14default_configENS1_22reduce_config_selectorIiEEZNS1_11reduce_implILb1ES3_PiS7_iN6hipcub16HIPCUB_304000_NS6detail34convert_binary_result_type_wrapperINS9_3SumENS9_22TransformInputIteratorIbN2at6native12_GLOBAL__N_19NonZeroOpIdEEPKdlEEiEEEE10hipError_tPvRmT1_T2_T3_mT4_P12ihipStream_tbEUlT_E0_NS1_11comp_targetILNS1_3genE3ELNS1_11target_archE908ELNS1_3gpuE7ELNS1_3repE0EEENS1_30default_config_static_selectorELNS0_4arch9wavefront6targetE0EEEvSQ_.numbered_sgpr, 0
	.set _ZN7rocprim17ROCPRIM_400000_NS6detail17trampoline_kernelINS0_14default_configENS1_22reduce_config_selectorIiEEZNS1_11reduce_implILb1ES3_PiS7_iN6hipcub16HIPCUB_304000_NS6detail34convert_binary_result_type_wrapperINS9_3SumENS9_22TransformInputIteratorIbN2at6native12_GLOBAL__N_19NonZeroOpIdEEPKdlEEiEEEE10hipError_tPvRmT1_T2_T3_mT4_P12ihipStream_tbEUlT_E0_NS1_11comp_targetILNS1_3genE3ELNS1_11target_archE908ELNS1_3gpuE7ELNS1_3repE0EEENS1_30default_config_static_selectorELNS0_4arch9wavefront6targetE0EEEvSQ_.num_named_barrier, 0
	.set _ZN7rocprim17ROCPRIM_400000_NS6detail17trampoline_kernelINS0_14default_configENS1_22reduce_config_selectorIiEEZNS1_11reduce_implILb1ES3_PiS7_iN6hipcub16HIPCUB_304000_NS6detail34convert_binary_result_type_wrapperINS9_3SumENS9_22TransformInputIteratorIbN2at6native12_GLOBAL__N_19NonZeroOpIdEEPKdlEEiEEEE10hipError_tPvRmT1_T2_T3_mT4_P12ihipStream_tbEUlT_E0_NS1_11comp_targetILNS1_3genE3ELNS1_11target_archE908ELNS1_3gpuE7ELNS1_3repE0EEENS1_30default_config_static_selectorELNS0_4arch9wavefront6targetE0EEEvSQ_.private_seg_size, 0
	.set _ZN7rocprim17ROCPRIM_400000_NS6detail17trampoline_kernelINS0_14default_configENS1_22reduce_config_selectorIiEEZNS1_11reduce_implILb1ES3_PiS7_iN6hipcub16HIPCUB_304000_NS6detail34convert_binary_result_type_wrapperINS9_3SumENS9_22TransformInputIteratorIbN2at6native12_GLOBAL__N_19NonZeroOpIdEEPKdlEEiEEEE10hipError_tPvRmT1_T2_T3_mT4_P12ihipStream_tbEUlT_E0_NS1_11comp_targetILNS1_3genE3ELNS1_11target_archE908ELNS1_3gpuE7ELNS1_3repE0EEENS1_30default_config_static_selectorELNS0_4arch9wavefront6targetE0EEEvSQ_.uses_vcc, 0
	.set _ZN7rocprim17ROCPRIM_400000_NS6detail17trampoline_kernelINS0_14default_configENS1_22reduce_config_selectorIiEEZNS1_11reduce_implILb1ES3_PiS7_iN6hipcub16HIPCUB_304000_NS6detail34convert_binary_result_type_wrapperINS9_3SumENS9_22TransformInputIteratorIbN2at6native12_GLOBAL__N_19NonZeroOpIdEEPKdlEEiEEEE10hipError_tPvRmT1_T2_T3_mT4_P12ihipStream_tbEUlT_E0_NS1_11comp_targetILNS1_3genE3ELNS1_11target_archE908ELNS1_3gpuE7ELNS1_3repE0EEENS1_30default_config_static_selectorELNS0_4arch9wavefront6targetE0EEEvSQ_.uses_flat_scratch, 0
	.set _ZN7rocprim17ROCPRIM_400000_NS6detail17trampoline_kernelINS0_14default_configENS1_22reduce_config_selectorIiEEZNS1_11reduce_implILb1ES3_PiS7_iN6hipcub16HIPCUB_304000_NS6detail34convert_binary_result_type_wrapperINS9_3SumENS9_22TransformInputIteratorIbN2at6native12_GLOBAL__N_19NonZeroOpIdEEPKdlEEiEEEE10hipError_tPvRmT1_T2_T3_mT4_P12ihipStream_tbEUlT_E0_NS1_11comp_targetILNS1_3genE3ELNS1_11target_archE908ELNS1_3gpuE7ELNS1_3repE0EEENS1_30default_config_static_selectorELNS0_4arch9wavefront6targetE0EEEvSQ_.has_dyn_sized_stack, 0
	.set _ZN7rocprim17ROCPRIM_400000_NS6detail17trampoline_kernelINS0_14default_configENS1_22reduce_config_selectorIiEEZNS1_11reduce_implILb1ES3_PiS7_iN6hipcub16HIPCUB_304000_NS6detail34convert_binary_result_type_wrapperINS9_3SumENS9_22TransformInputIteratorIbN2at6native12_GLOBAL__N_19NonZeroOpIdEEPKdlEEiEEEE10hipError_tPvRmT1_T2_T3_mT4_P12ihipStream_tbEUlT_E0_NS1_11comp_targetILNS1_3genE3ELNS1_11target_archE908ELNS1_3gpuE7ELNS1_3repE0EEENS1_30default_config_static_selectorELNS0_4arch9wavefront6targetE0EEEvSQ_.has_recursion, 0
	.set _ZN7rocprim17ROCPRIM_400000_NS6detail17trampoline_kernelINS0_14default_configENS1_22reduce_config_selectorIiEEZNS1_11reduce_implILb1ES3_PiS7_iN6hipcub16HIPCUB_304000_NS6detail34convert_binary_result_type_wrapperINS9_3SumENS9_22TransformInputIteratorIbN2at6native12_GLOBAL__N_19NonZeroOpIdEEPKdlEEiEEEE10hipError_tPvRmT1_T2_T3_mT4_P12ihipStream_tbEUlT_E0_NS1_11comp_targetILNS1_3genE3ELNS1_11target_archE908ELNS1_3gpuE7ELNS1_3repE0EEENS1_30default_config_static_selectorELNS0_4arch9wavefront6targetE0EEEvSQ_.has_indirect_call, 0
	.section	.AMDGPU.csdata,"",@progbits
; Kernel info:
; codeLenInByte = 0
; TotalNumSgprs: 0
; NumVgprs: 0
; ScratchSize: 0
; MemoryBound: 0
; FloatMode: 240
; IeeeMode: 1
; LDSByteSize: 0 bytes/workgroup (compile time only)
; SGPRBlocks: 0
; VGPRBlocks: 0
; NumSGPRsForWavesPerEU: 1
; NumVGPRsForWavesPerEU: 1
; Occupancy: 16
; WaveLimiterHint : 0
; COMPUTE_PGM_RSRC2:SCRATCH_EN: 0
; COMPUTE_PGM_RSRC2:USER_SGPR: 2
; COMPUTE_PGM_RSRC2:TRAP_HANDLER: 0
; COMPUTE_PGM_RSRC2:TGID_X_EN: 1
; COMPUTE_PGM_RSRC2:TGID_Y_EN: 0
; COMPUTE_PGM_RSRC2:TGID_Z_EN: 0
; COMPUTE_PGM_RSRC2:TIDIG_COMP_CNT: 0
	.section	.text._ZN7rocprim17ROCPRIM_400000_NS6detail17trampoline_kernelINS0_14default_configENS1_22reduce_config_selectorIiEEZNS1_11reduce_implILb1ES3_PiS7_iN6hipcub16HIPCUB_304000_NS6detail34convert_binary_result_type_wrapperINS9_3SumENS9_22TransformInputIteratorIbN2at6native12_GLOBAL__N_19NonZeroOpIdEEPKdlEEiEEEE10hipError_tPvRmT1_T2_T3_mT4_P12ihipStream_tbEUlT_E0_NS1_11comp_targetILNS1_3genE2ELNS1_11target_archE906ELNS1_3gpuE6ELNS1_3repE0EEENS1_30default_config_static_selectorELNS0_4arch9wavefront6targetE0EEEvSQ_,"axG",@progbits,_ZN7rocprim17ROCPRIM_400000_NS6detail17trampoline_kernelINS0_14default_configENS1_22reduce_config_selectorIiEEZNS1_11reduce_implILb1ES3_PiS7_iN6hipcub16HIPCUB_304000_NS6detail34convert_binary_result_type_wrapperINS9_3SumENS9_22TransformInputIteratorIbN2at6native12_GLOBAL__N_19NonZeroOpIdEEPKdlEEiEEEE10hipError_tPvRmT1_T2_T3_mT4_P12ihipStream_tbEUlT_E0_NS1_11comp_targetILNS1_3genE2ELNS1_11target_archE906ELNS1_3gpuE6ELNS1_3repE0EEENS1_30default_config_static_selectorELNS0_4arch9wavefront6targetE0EEEvSQ_,comdat
	.globl	_ZN7rocprim17ROCPRIM_400000_NS6detail17trampoline_kernelINS0_14default_configENS1_22reduce_config_selectorIiEEZNS1_11reduce_implILb1ES3_PiS7_iN6hipcub16HIPCUB_304000_NS6detail34convert_binary_result_type_wrapperINS9_3SumENS9_22TransformInputIteratorIbN2at6native12_GLOBAL__N_19NonZeroOpIdEEPKdlEEiEEEE10hipError_tPvRmT1_T2_T3_mT4_P12ihipStream_tbEUlT_E0_NS1_11comp_targetILNS1_3genE2ELNS1_11target_archE906ELNS1_3gpuE6ELNS1_3repE0EEENS1_30default_config_static_selectorELNS0_4arch9wavefront6targetE0EEEvSQ_ ; -- Begin function _ZN7rocprim17ROCPRIM_400000_NS6detail17trampoline_kernelINS0_14default_configENS1_22reduce_config_selectorIiEEZNS1_11reduce_implILb1ES3_PiS7_iN6hipcub16HIPCUB_304000_NS6detail34convert_binary_result_type_wrapperINS9_3SumENS9_22TransformInputIteratorIbN2at6native12_GLOBAL__N_19NonZeroOpIdEEPKdlEEiEEEE10hipError_tPvRmT1_T2_T3_mT4_P12ihipStream_tbEUlT_E0_NS1_11comp_targetILNS1_3genE2ELNS1_11target_archE906ELNS1_3gpuE6ELNS1_3repE0EEENS1_30default_config_static_selectorELNS0_4arch9wavefront6targetE0EEEvSQ_
	.p2align	8
	.type	_ZN7rocprim17ROCPRIM_400000_NS6detail17trampoline_kernelINS0_14default_configENS1_22reduce_config_selectorIiEEZNS1_11reduce_implILb1ES3_PiS7_iN6hipcub16HIPCUB_304000_NS6detail34convert_binary_result_type_wrapperINS9_3SumENS9_22TransformInputIteratorIbN2at6native12_GLOBAL__N_19NonZeroOpIdEEPKdlEEiEEEE10hipError_tPvRmT1_T2_T3_mT4_P12ihipStream_tbEUlT_E0_NS1_11comp_targetILNS1_3genE2ELNS1_11target_archE906ELNS1_3gpuE6ELNS1_3repE0EEENS1_30default_config_static_selectorELNS0_4arch9wavefront6targetE0EEEvSQ_,@function
_ZN7rocprim17ROCPRIM_400000_NS6detail17trampoline_kernelINS0_14default_configENS1_22reduce_config_selectorIiEEZNS1_11reduce_implILb1ES3_PiS7_iN6hipcub16HIPCUB_304000_NS6detail34convert_binary_result_type_wrapperINS9_3SumENS9_22TransformInputIteratorIbN2at6native12_GLOBAL__N_19NonZeroOpIdEEPKdlEEiEEEE10hipError_tPvRmT1_T2_T3_mT4_P12ihipStream_tbEUlT_E0_NS1_11comp_targetILNS1_3genE2ELNS1_11target_archE906ELNS1_3gpuE6ELNS1_3repE0EEENS1_30default_config_static_selectorELNS0_4arch9wavefront6targetE0EEEvSQ_: ; @_ZN7rocprim17ROCPRIM_400000_NS6detail17trampoline_kernelINS0_14default_configENS1_22reduce_config_selectorIiEEZNS1_11reduce_implILb1ES3_PiS7_iN6hipcub16HIPCUB_304000_NS6detail34convert_binary_result_type_wrapperINS9_3SumENS9_22TransformInputIteratorIbN2at6native12_GLOBAL__N_19NonZeroOpIdEEPKdlEEiEEEE10hipError_tPvRmT1_T2_T3_mT4_P12ihipStream_tbEUlT_E0_NS1_11comp_targetILNS1_3genE2ELNS1_11target_archE906ELNS1_3gpuE6ELNS1_3repE0EEENS1_30default_config_static_selectorELNS0_4arch9wavefront6targetE0EEEvSQ_
; %bb.0:
	.section	.rodata,"a",@progbits
	.p2align	6, 0x0
	.amdhsa_kernel _ZN7rocprim17ROCPRIM_400000_NS6detail17trampoline_kernelINS0_14default_configENS1_22reduce_config_selectorIiEEZNS1_11reduce_implILb1ES3_PiS7_iN6hipcub16HIPCUB_304000_NS6detail34convert_binary_result_type_wrapperINS9_3SumENS9_22TransformInputIteratorIbN2at6native12_GLOBAL__N_19NonZeroOpIdEEPKdlEEiEEEE10hipError_tPvRmT1_T2_T3_mT4_P12ihipStream_tbEUlT_E0_NS1_11comp_targetILNS1_3genE2ELNS1_11target_archE906ELNS1_3gpuE6ELNS1_3repE0EEENS1_30default_config_static_selectorELNS0_4arch9wavefront6targetE0EEEvSQ_
		.amdhsa_group_segment_fixed_size 0
		.amdhsa_private_segment_fixed_size 0
		.amdhsa_kernarg_size 56
		.amdhsa_user_sgpr_count 2
		.amdhsa_user_sgpr_dispatch_ptr 0
		.amdhsa_user_sgpr_queue_ptr 0
		.amdhsa_user_sgpr_kernarg_segment_ptr 1
		.amdhsa_user_sgpr_dispatch_id 0
		.amdhsa_user_sgpr_private_segment_size 0
		.amdhsa_wavefront_size32 1
		.amdhsa_uses_dynamic_stack 0
		.amdhsa_enable_private_segment 0
		.amdhsa_system_sgpr_workgroup_id_x 1
		.amdhsa_system_sgpr_workgroup_id_y 0
		.amdhsa_system_sgpr_workgroup_id_z 0
		.amdhsa_system_sgpr_workgroup_info 0
		.amdhsa_system_vgpr_workitem_id 0
		.amdhsa_next_free_vgpr 1
		.amdhsa_next_free_sgpr 1
		.amdhsa_reserve_vcc 0
		.amdhsa_float_round_mode_32 0
		.amdhsa_float_round_mode_16_64 0
		.amdhsa_float_denorm_mode_32 3
		.amdhsa_float_denorm_mode_16_64 3
		.amdhsa_fp16_overflow 0
		.amdhsa_workgroup_processor_mode 1
		.amdhsa_memory_ordered 1
		.amdhsa_forward_progress 1
		.amdhsa_inst_pref_size 0
		.amdhsa_round_robin_scheduling 0
		.amdhsa_exception_fp_ieee_invalid_op 0
		.amdhsa_exception_fp_denorm_src 0
		.amdhsa_exception_fp_ieee_div_zero 0
		.amdhsa_exception_fp_ieee_overflow 0
		.amdhsa_exception_fp_ieee_underflow 0
		.amdhsa_exception_fp_ieee_inexact 0
		.amdhsa_exception_int_div_zero 0
	.end_amdhsa_kernel
	.section	.text._ZN7rocprim17ROCPRIM_400000_NS6detail17trampoline_kernelINS0_14default_configENS1_22reduce_config_selectorIiEEZNS1_11reduce_implILb1ES3_PiS7_iN6hipcub16HIPCUB_304000_NS6detail34convert_binary_result_type_wrapperINS9_3SumENS9_22TransformInputIteratorIbN2at6native12_GLOBAL__N_19NonZeroOpIdEEPKdlEEiEEEE10hipError_tPvRmT1_T2_T3_mT4_P12ihipStream_tbEUlT_E0_NS1_11comp_targetILNS1_3genE2ELNS1_11target_archE906ELNS1_3gpuE6ELNS1_3repE0EEENS1_30default_config_static_selectorELNS0_4arch9wavefront6targetE0EEEvSQ_,"axG",@progbits,_ZN7rocprim17ROCPRIM_400000_NS6detail17trampoline_kernelINS0_14default_configENS1_22reduce_config_selectorIiEEZNS1_11reduce_implILb1ES3_PiS7_iN6hipcub16HIPCUB_304000_NS6detail34convert_binary_result_type_wrapperINS9_3SumENS9_22TransformInputIteratorIbN2at6native12_GLOBAL__N_19NonZeroOpIdEEPKdlEEiEEEE10hipError_tPvRmT1_T2_T3_mT4_P12ihipStream_tbEUlT_E0_NS1_11comp_targetILNS1_3genE2ELNS1_11target_archE906ELNS1_3gpuE6ELNS1_3repE0EEENS1_30default_config_static_selectorELNS0_4arch9wavefront6targetE0EEEvSQ_,comdat
.Lfunc_end358:
	.size	_ZN7rocprim17ROCPRIM_400000_NS6detail17trampoline_kernelINS0_14default_configENS1_22reduce_config_selectorIiEEZNS1_11reduce_implILb1ES3_PiS7_iN6hipcub16HIPCUB_304000_NS6detail34convert_binary_result_type_wrapperINS9_3SumENS9_22TransformInputIteratorIbN2at6native12_GLOBAL__N_19NonZeroOpIdEEPKdlEEiEEEE10hipError_tPvRmT1_T2_T3_mT4_P12ihipStream_tbEUlT_E0_NS1_11comp_targetILNS1_3genE2ELNS1_11target_archE906ELNS1_3gpuE6ELNS1_3repE0EEENS1_30default_config_static_selectorELNS0_4arch9wavefront6targetE0EEEvSQ_, .Lfunc_end358-_ZN7rocprim17ROCPRIM_400000_NS6detail17trampoline_kernelINS0_14default_configENS1_22reduce_config_selectorIiEEZNS1_11reduce_implILb1ES3_PiS7_iN6hipcub16HIPCUB_304000_NS6detail34convert_binary_result_type_wrapperINS9_3SumENS9_22TransformInputIteratorIbN2at6native12_GLOBAL__N_19NonZeroOpIdEEPKdlEEiEEEE10hipError_tPvRmT1_T2_T3_mT4_P12ihipStream_tbEUlT_E0_NS1_11comp_targetILNS1_3genE2ELNS1_11target_archE906ELNS1_3gpuE6ELNS1_3repE0EEENS1_30default_config_static_selectorELNS0_4arch9wavefront6targetE0EEEvSQ_
                                        ; -- End function
	.set _ZN7rocprim17ROCPRIM_400000_NS6detail17trampoline_kernelINS0_14default_configENS1_22reduce_config_selectorIiEEZNS1_11reduce_implILb1ES3_PiS7_iN6hipcub16HIPCUB_304000_NS6detail34convert_binary_result_type_wrapperINS9_3SumENS9_22TransformInputIteratorIbN2at6native12_GLOBAL__N_19NonZeroOpIdEEPKdlEEiEEEE10hipError_tPvRmT1_T2_T3_mT4_P12ihipStream_tbEUlT_E0_NS1_11comp_targetILNS1_3genE2ELNS1_11target_archE906ELNS1_3gpuE6ELNS1_3repE0EEENS1_30default_config_static_selectorELNS0_4arch9wavefront6targetE0EEEvSQ_.num_vgpr, 0
	.set _ZN7rocprim17ROCPRIM_400000_NS6detail17trampoline_kernelINS0_14default_configENS1_22reduce_config_selectorIiEEZNS1_11reduce_implILb1ES3_PiS7_iN6hipcub16HIPCUB_304000_NS6detail34convert_binary_result_type_wrapperINS9_3SumENS9_22TransformInputIteratorIbN2at6native12_GLOBAL__N_19NonZeroOpIdEEPKdlEEiEEEE10hipError_tPvRmT1_T2_T3_mT4_P12ihipStream_tbEUlT_E0_NS1_11comp_targetILNS1_3genE2ELNS1_11target_archE906ELNS1_3gpuE6ELNS1_3repE0EEENS1_30default_config_static_selectorELNS0_4arch9wavefront6targetE0EEEvSQ_.num_agpr, 0
	.set _ZN7rocprim17ROCPRIM_400000_NS6detail17trampoline_kernelINS0_14default_configENS1_22reduce_config_selectorIiEEZNS1_11reduce_implILb1ES3_PiS7_iN6hipcub16HIPCUB_304000_NS6detail34convert_binary_result_type_wrapperINS9_3SumENS9_22TransformInputIteratorIbN2at6native12_GLOBAL__N_19NonZeroOpIdEEPKdlEEiEEEE10hipError_tPvRmT1_T2_T3_mT4_P12ihipStream_tbEUlT_E0_NS1_11comp_targetILNS1_3genE2ELNS1_11target_archE906ELNS1_3gpuE6ELNS1_3repE0EEENS1_30default_config_static_selectorELNS0_4arch9wavefront6targetE0EEEvSQ_.numbered_sgpr, 0
	.set _ZN7rocprim17ROCPRIM_400000_NS6detail17trampoline_kernelINS0_14default_configENS1_22reduce_config_selectorIiEEZNS1_11reduce_implILb1ES3_PiS7_iN6hipcub16HIPCUB_304000_NS6detail34convert_binary_result_type_wrapperINS9_3SumENS9_22TransformInputIteratorIbN2at6native12_GLOBAL__N_19NonZeroOpIdEEPKdlEEiEEEE10hipError_tPvRmT1_T2_T3_mT4_P12ihipStream_tbEUlT_E0_NS1_11comp_targetILNS1_3genE2ELNS1_11target_archE906ELNS1_3gpuE6ELNS1_3repE0EEENS1_30default_config_static_selectorELNS0_4arch9wavefront6targetE0EEEvSQ_.num_named_barrier, 0
	.set _ZN7rocprim17ROCPRIM_400000_NS6detail17trampoline_kernelINS0_14default_configENS1_22reduce_config_selectorIiEEZNS1_11reduce_implILb1ES3_PiS7_iN6hipcub16HIPCUB_304000_NS6detail34convert_binary_result_type_wrapperINS9_3SumENS9_22TransformInputIteratorIbN2at6native12_GLOBAL__N_19NonZeroOpIdEEPKdlEEiEEEE10hipError_tPvRmT1_T2_T3_mT4_P12ihipStream_tbEUlT_E0_NS1_11comp_targetILNS1_3genE2ELNS1_11target_archE906ELNS1_3gpuE6ELNS1_3repE0EEENS1_30default_config_static_selectorELNS0_4arch9wavefront6targetE0EEEvSQ_.private_seg_size, 0
	.set _ZN7rocprim17ROCPRIM_400000_NS6detail17trampoline_kernelINS0_14default_configENS1_22reduce_config_selectorIiEEZNS1_11reduce_implILb1ES3_PiS7_iN6hipcub16HIPCUB_304000_NS6detail34convert_binary_result_type_wrapperINS9_3SumENS9_22TransformInputIteratorIbN2at6native12_GLOBAL__N_19NonZeroOpIdEEPKdlEEiEEEE10hipError_tPvRmT1_T2_T3_mT4_P12ihipStream_tbEUlT_E0_NS1_11comp_targetILNS1_3genE2ELNS1_11target_archE906ELNS1_3gpuE6ELNS1_3repE0EEENS1_30default_config_static_selectorELNS0_4arch9wavefront6targetE0EEEvSQ_.uses_vcc, 0
	.set _ZN7rocprim17ROCPRIM_400000_NS6detail17trampoline_kernelINS0_14default_configENS1_22reduce_config_selectorIiEEZNS1_11reduce_implILb1ES3_PiS7_iN6hipcub16HIPCUB_304000_NS6detail34convert_binary_result_type_wrapperINS9_3SumENS9_22TransformInputIteratorIbN2at6native12_GLOBAL__N_19NonZeroOpIdEEPKdlEEiEEEE10hipError_tPvRmT1_T2_T3_mT4_P12ihipStream_tbEUlT_E0_NS1_11comp_targetILNS1_3genE2ELNS1_11target_archE906ELNS1_3gpuE6ELNS1_3repE0EEENS1_30default_config_static_selectorELNS0_4arch9wavefront6targetE0EEEvSQ_.uses_flat_scratch, 0
	.set _ZN7rocprim17ROCPRIM_400000_NS6detail17trampoline_kernelINS0_14default_configENS1_22reduce_config_selectorIiEEZNS1_11reduce_implILb1ES3_PiS7_iN6hipcub16HIPCUB_304000_NS6detail34convert_binary_result_type_wrapperINS9_3SumENS9_22TransformInputIteratorIbN2at6native12_GLOBAL__N_19NonZeroOpIdEEPKdlEEiEEEE10hipError_tPvRmT1_T2_T3_mT4_P12ihipStream_tbEUlT_E0_NS1_11comp_targetILNS1_3genE2ELNS1_11target_archE906ELNS1_3gpuE6ELNS1_3repE0EEENS1_30default_config_static_selectorELNS0_4arch9wavefront6targetE0EEEvSQ_.has_dyn_sized_stack, 0
	.set _ZN7rocprim17ROCPRIM_400000_NS6detail17trampoline_kernelINS0_14default_configENS1_22reduce_config_selectorIiEEZNS1_11reduce_implILb1ES3_PiS7_iN6hipcub16HIPCUB_304000_NS6detail34convert_binary_result_type_wrapperINS9_3SumENS9_22TransformInputIteratorIbN2at6native12_GLOBAL__N_19NonZeroOpIdEEPKdlEEiEEEE10hipError_tPvRmT1_T2_T3_mT4_P12ihipStream_tbEUlT_E0_NS1_11comp_targetILNS1_3genE2ELNS1_11target_archE906ELNS1_3gpuE6ELNS1_3repE0EEENS1_30default_config_static_selectorELNS0_4arch9wavefront6targetE0EEEvSQ_.has_recursion, 0
	.set _ZN7rocprim17ROCPRIM_400000_NS6detail17trampoline_kernelINS0_14default_configENS1_22reduce_config_selectorIiEEZNS1_11reduce_implILb1ES3_PiS7_iN6hipcub16HIPCUB_304000_NS6detail34convert_binary_result_type_wrapperINS9_3SumENS9_22TransformInputIteratorIbN2at6native12_GLOBAL__N_19NonZeroOpIdEEPKdlEEiEEEE10hipError_tPvRmT1_T2_T3_mT4_P12ihipStream_tbEUlT_E0_NS1_11comp_targetILNS1_3genE2ELNS1_11target_archE906ELNS1_3gpuE6ELNS1_3repE0EEENS1_30default_config_static_selectorELNS0_4arch9wavefront6targetE0EEEvSQ_.has_indirect_call, 0
	.section	.AMDGPU.csdata,"",@progbits
; Kernel info:
; codeLenInByte = 0
; TotalNumSgprs: 0
; NumVgprs: 0
; ScratchSize: 0
; MemoryBound: 0
; FloatMode: 240
; IeeeMode: 1
; LDSByteSize: 0 bytes/workgroup (compile time only)
; SGPRBlocks: 0
; VGPRBlocks: 0
; NumSGPRsForWavesPerEU: 1
; NumVGPRsForWavesPerEU: 1
; Occupancy: 16
; WaveLimiterHint : 0
; COMPUTE_PGM_RSRC2:SCRATCH_EN: 0
; COMPUTE_PGM_RSRC2:USER_SGPR: 2
; COMPUTE_PGM_RSRC2:TRAP_HANDLER: 0
; COMPUTE_PGM_RSRC2:TGID_X_EN: 1
; COMPUTE_PGM_RSRC2:TGID_Y_EN: 0
; COMPUTE_PGM_RSRC2:TGID_Z_EN: 0
; COMPUTE_PGM_RSRC2:TIDIG_COMP_CNT: 0
	.section	.text._ZN7rocprim17ROCPRIM_400000_NS6detail17trampoline_kernelINS0_14default_configENS1_22reduce_config_selectorIiEEZNS1_11reduce_implILb1ES3_PiS7_iN6hipcub16HIPCUB_304000_NS6detail34convert_binary_result_type_wrapperINS9_3SumENS9_22TransformInputIteratorIbN2at6native12_GLOBAL__N_19NonZeroOpIdEEPKdlEEiEEEE10hipError_tPvRmT1_T2_T3_mT4_P12ihipStream_tbEUlT_E0_NS1_11comp_targetILNS1_3genE10ELNS1_11target_archE1201ELNS1_3gpuE5ELNS1_3repE0EEENS1_30default_config_static_selectorELNS0_4arch9wavefront6targetE0EEEvSQ_,"axG",@progbits,_ZN7rocprim17ROCPRIM_400000_NS6detail17trampoline_kernelINS0_14default_configENS1_22reduce_config_selectorIiEEZNS1_11reduce_implILb1ES3_PiS7_iN6hipcub16HIPCUB_304000_NS6detail34convert_binary_result_type_wrapperINS9_3SumENS9_22TransformInputIteratorIbN2at6native12_GLOBAL__N_19NonZeroOpIdEEPKdlEEiEEEE10hipError_tPvRmT1_T2_T3_mT4_P12ihipStream_tbEUlT_E0_NS1_11comp_targetILNS1_3genE10ELNS1_11target_archE1201ELNS1_3gpuE5ELNS1_3repE0EEENS1_30default_config_static_selectorELNS0_4arch9wavefront6targetE0EEEvSQ_,comdat
	.globl	_ZN7rocprim17ROCPRIM_400000_NS6detail17trampoline_kernelINS0_14default_configENS1_22reduce_config_selectorIiEEZNS1_11reduce_implILb1ES3_PiS7_iN6hipcub16HIPCUB_304000_NS6detail34convert_binary_result_type_wrapperINS9_3SumENS9_22TransformInputIteratorIbN2at6native12_GLOBAL__N_19NonZeroOpIdEEPKdlEEiEEEE10hipError_tPvRmT1_T2_T3_mT4_P12ihipStream_tbEUlT_E0_NS1_11comp_targetILNS1_3genE10ELNS1_11target_archE1201ELNS1_3gpuE5ELNS1_3repE0EEENS1_30default_config_static_selectorELNS0_4arch9wavefront6targetE0EEEvSQ_ ; -- Begin function _ZN7rocprim17ROCPRIM_400000_NS6detail17trampoline_kernelINS0_14default_configENS1_22reduce_config_selectorIiEEZNS1_11reduce_implILb1ES3_PiS7_iN6hipcub16HIPCUB_304000_NS6detail34convert_binary_result_type_wrapperINS9_3SumENS9_22TransformInputIteratorIbN2at6native12_GLOBAL__N_19NonZeroOpIdEEPKdlEEiEEEE10hipError_tPvRmT1_T2_T3_mT4_P12ihipStream_tbEUlT_E0_NS1_11comp_targetILNS1_3genE10ELNS1_11target_archE1201ELNS1_3gpuE5ELNS1_3repE0EEENS1_30default_config_static_selectorELNS0_4arch9wavefront6targetE0EEEvSQ_
	.p2align	8
	.type	_ZN7rocprim17ROCPRIM_400000_NS6detail17trampoline_kernelINS0_14default_configENS1_22reduce_config_selectorIiEEZNS1_11reduce_implILb1ES3_PiS7_iN6hipcub16HIPCUB_304000_NS6detail34convert_binary_result_type_wrapperINS9_3SumENS9_22TransformInputIteratorIbN2at6native12_GLOBAL__N_19NonZeroOpIdEEPKdlEEiEEEE10hipError_tPvRmT1_T2_T3_mT4_P12ihipStream_tbEUlT_E0_NS1_11comp_targetILNS1_3genE10ELNS1_11target_archE1201ELNS1_3gpuE5ELNS1_3repE0EEENS1_30default_config_static_selectorELNS0_4arch9wavefront6targetE0EEEvSQ_,@function
_ZN7rocprim17ROCPRIM_400000_NS6detail17trampoline_kernelINS0_14default_configENS1_22reduce_config_selectorIiEEZNS1_11reduce_implILb1ES3_PiS7_iN6hipcub16HIPCUB_304000_NS6detail34convert_binary_result_type_wrapperINS9_3SumENS9_22TransformInputIteratorIbN2at6native12_GLOBAL__N_19NonZeroOpIdEEPKdlEEiEEEE10hipError_tPvRmT1_T2_T3_mT4_P12ihipStream_tbEUlT_E0_NS1_11comp_targetILNS1_3genE10ELNS1_11target_archE1201ELNS1_3gpuE5ELNS1_3repE0EEENS1_30default_config_static_selectorELNS0_4arch9wavefront6targetE0EEEvSQ_: ; @_ZN7rocprim17ROCPRIM_400000_NS6detail17trampoline_kernelINS0_14default_configENS1_22reduce_config_selectorIiEEZNS1_11reduce_implILb1ES3_PiS7_iN6hipcub16HIPCUB_304000_NS6detail34convert_binary_result_type_wrapperINS9_3SumENS9_22TransformInputIteratorIbN2at6native12_GLOBAL__N_19NonZeroOpIdEEPKdlEEiEEEE10hipError_tPvRmT1_T2_T3_mT4_P12ihipStream_tbEUlT_E0_NS1_11comp_targetILNS1_3genE10ELNS1_11target_archE1201ELNS1_3gpuE5ELNS1_3repE0EEENS1_30default_config_static_selectorELNS0_4arch9wavefront6targetE0EEEvSQ_
; %bb.0:
	s_clause 0x1
	s_load_b256 s[12:19], s[0:1], 0x0
	s_load_b128 s[20:23], s[0:1], 0x20
	s_lshl_b32 s2, ttmp9, 12
	s_mov_b32 s3, 0
	v_mbcnt_lo_u32_b32 v18, -1, 0
	v_lshlrev_b32_e32 v19, 2, v0
	s_mov_b32 s24, ttmp9
	s_mov_b32 s25, s3
	s_lshl_b64 s[8:9], s[2:3], 2
	s_wait_kmcnt 0x0
	s_lshl_b64 s[4:5], s[14:15], 2
	s_lshr_b64 s[6:7], s[16:17], 12
	s_add_nc_u64 s[4:5], s[12:13], s[4:5]
	s_cmp_lg_u64 s[6:7], s[24:25]
	s_add_nc_u64 s[26:27], s[4:5], s[8:9]
	s_cbranch_scc0 .LBB359_6
; %bb.1:
	s_clause 0xf
	global_load_b32 v1, v19, s[26:27]
	global_load_b32 v2, v19, s[26:27] offset:1024
	global_load_b32 v3, v19, s[26:27] offset:2048
	;; [unrolled: 1-line block ×15, first 2 shown]
	s_mov_b32 s3, exec_lo
	s_wait_loadcnt 0xe
	v_add_nc_u32_e32 v1, v2, v1
	s_wait_loadcnt 0xc
	s_delay_alu instid0(VALU_DEP_1) | instskip(SKIP_1) | instid1(VALU_DEP_1)
	v_add3_u32 v1, v1, v3, v4
	s_wait_loadcnt 0xa
	v_add3_u32 v1, v1, v5, v6
	s_wait_loadcnt 0x8
	s_delay_alu instid0(VALU_DEP_1) | instskip(SKIP_1) | instid1(VALU_DEP_1)
	v_add3_u32 v1, v1, v7, v8
	s_wait_loadcnt 0x6
	v_add3_u32 v1, v1, v9, v10
	;; [unrolled: 5-line block ×3, first 2 shown]
	s_wait_loadcnt 0x0
	s_delay_alu instid0(VALU_DEP_1) | instskip(NEXT) | instid1(VALU_DEP_1)
	v_add3_u32 v1, v1, v15, v16
	v_mov_b32_dpp v2, v1 quad_perm:[1,0,3,2] row_mask:0xf bank_mask:0xf
	s_delay_alu instid0(VALU_DEP_1) | instskip(NEXT) | instid1(VALU_DEP_1)
	v_add_nc_u32_e32 v1, v2, v1
	v_mov_b32_dpp v2, v1 quad_perm:[2,3,0,1] row_mask:0xf bank_mask:0xf
	s_delay_alu instid0(VALU_DEP_1) | instskip(NEXT) | instid1(VALU_DEP_1)
	v_add_nc_u32_e32 v1, v1, v2
	v_mov_b32_dpp v2, v1 row_ror:4 row_mask:0xf bank_mask:0xf
	s_delay_alu instid0(VALU_DEP_1) | instskip(NEXT) | instid1(VALU_DEP_1)
	v_add_nc_u32_e32 v1, v1, v2
	v_mov_b32_dpp v2, v1 row_ror:8 row_mask:0xf bank_mask:0xf
	s_delay_alu instid0(VALU_DEP_1)
	v_add_nc_u32_e32 v1, v1, v2
	ds_swizzle_b32 v2, v1 offset:swizzle(BROADCAST,32,15)
	s_wait_dscnt 0x0
	v_dual_mov_b32 v2, 0 :: v_dual_add_nc_u32 v1, v1, v2
	ds_bpermute_b32 v1, v2, v1 offset:124
	v_cmpx_eq_u32_e32 0, v18
	s_cbranch_execz .LBB359_3
; %bb.2:
	v_lshrrev_b32_e32 v2, 3, v0
	s_delay_alu instid0(VALU_DEP_1)
	v_and_b32_e32 v2, 28, v2
	s_wait_dscnt 0x0
	ds_store_b32 v2, v1
.LBB359_3:
	s_or_b32 exec_lo, exec_lo, s3
	s_delay_alu instid0(SALU_CYCLE_1)
	s_mov_b32 s3, exec_lo
	s_wait_dscnt 0x0
	s_barrier_signal -1
	s_barrier_wait -1
	global_inv scope:SCOPE_SE
	v_cmpx_gt_u32_e32 32, v0
	s_cbranch_execz .LBB359_5
; %bb.4:
	v_and_b32_e32 v1, 7, v18
	s_delay_alu instid0(VALU_DEP_1) | instskip(SKIP_4) | instid1(VALU_DEP_2)
	v_lshlrev_b32_e32 v2, 2, v1
	v_cmp_ne_u32_e32 vcc_lo, 7, v1
	ds_load_b32 v2, v2
	v_add_co_ci_u32_e64 v3, null, 0, v18, vcc_lo
	v_cmp_gt_u32_e32 vcc_lo, 6, v1
	v_lshlrev_b32_e32 v3, 2, v3
	s_wait_alu 0xfffd
	v_cndmask_b32_e64 v1, 0, 2, vcc_lo
	s_delay_alu instid0(VALU_DEP_1)
	v_add_lshl_u32 v1, v1, v18, 2
	s_wait_dscnt 0x0
	ds_bpermute_b32 v3, v3, v2
	s_wait_dscnt 0x0
	v_add_nc_u32_e32 v2, v3, v2
	v_lshlrev_b32_e32 v3, 2, v18
	ds_bpermute_b32 v1, v1, v2
	s_wait_dscnt 0x0
	v_add_nc_u32_e32 v1, v1, v2
	v_or_b32_e32 v2, 16, v3
	ds_bpermute_b32 v2, v2, v1
	s_wait_dscnt 0x0
	v_add_nc_u32_e32 v1, v2, v1
.LBB359_5:
	s_or_b32 exec_lo, exec_lo, s3
	s_branch .LBB359_44
.LBB359_6:
                                        ; implicit-def: $vgpr1
	s_cbranch_execz .LBB359_44
; %bb.7:
	v_mov_b32_e32 v1, 0
	s_sub_co_i32 s28, s16, s2
	s_mov_b32 s2, exec_lo
	s_delay_alu instid0(VALU_DEP_1)
	v_dual_mov_b32 v2, v1 :: v_dual_mov_b32 v3, v1
	v_dual_mov_b32 v4, v1 :: v_dual_mov_b32 v5, v1
	;; [unrolled: 1-line block ×7, first 2 shown]
	v_mov_b32_e32 v16, v1
	v_cmpx_gt_u32_e64 s28, v0
	s_cbranch_execz .LBB359_9
; %bb.8:
	global_load_b32 v2, v19, s[26:27]
	v_mov_b32_e32 v17, v1
	v_dual_mov_b32 v3, v1 :: v_dual_mov_b32 v4, v1
	v_dual_mov_b32 v5, v1 :: v_dual_mov_b32 v6, v1
	;; [unrolled: 1-line block ×7, first 2 shown]
	s_wait_loadcnt 0x0
	v_mov_b32_e32 v1, v2
	v_mov_b32_e32 v2, v3
	v_mov_b32_e32 v3, v4
	v_mov_b32_e32 v4, v5
	v_mov_b32_e32 v5, v6
	v_mov_b32_e32 v6, v7
	v_mov_b32_e32 v7, v8
	v_mov_b32_e32 v8, v9
	v_mov_b32_e32 v9, v10
	v_mov_b32_e32 v10, v11
	v_mov_b32_e32 v11, v12
	v_mov_b32_e32 v12, v13
	v_mov_b32_e32 v13, v14
	v_mov_b32_e32 v14, v15
	v_mov_b32_e32 v15, v16
	v_mov_b32_e32 v16, v17
.LBB359_9:
	s_or_b32 exec_lo, exec_lo, s2
	v_or_b32_e32 v17, 0x100, v0
	s_delay_alu instid0(VALU_DEP_1)
	v_cmp_gt_u32_e32 vcc_lo, s28, v17
	s_and_saveexec_b32 s2, vcc_lo
	s_cbranch_execz .LBB359_11
; %bb.10:
	global_load_b32 v2, v19, s[26:27] offset:1024
.LBB359_11:
	s_or_b32 exec_lo, exec_lo, s2
	v_or_b32_e32 v17, 0x200, v0
	s_delay_alu instid0(VALU_DEP_1)
	v_cmp_gt_u32_e64 s2, s28, v17
	s_and_saveexec_b32 s3, s2
	s_cbranch_execz .LBB359_13
; %bb.12:
	global_load_b32 v3, v19, s[26:27] offset:2048
.LBB359_13:
	s_or_b32 exec_lo, exec_lo, s3
	v_or_b32_e32 v17, 0x300, v0
	s_delay_alu instid0(VALU_DEP_1)
	v_cmp_gt_u32_e64 s3, s28, v17
	s_and_saveexec_b32 s4, s3
	;; [unrolled: 9-line block ×14, first 2 shown]
	s_cbranch_execz .LBB359_39
; %bb.38:
	global_load_b32 v16, v19, s[26:27] offset:15360
.LBB359_39:
	s_wait_alu 0xfffe
	s_or_b32 exec_lo, exec_lo, s29
	s_wait_loadcnt 0x0
	v_cndmask_b32_e32 v2, 0, v2, vcc_lo
	v_cndmask_b32_e64 v3, 0, v3, s2
	v_cndmask_b32_e64 v4, 0, v4, s3
	v_cmp_ne_u32_e32 vcc_lo, 31, v18
	s_min_u32 s2, s28, 0x100
	v_add_nc_u32_e32 v1, v2, v1
	v_cndmask_b32_e64 v2, 0, v5, s4
	v_cndmask_b32_e64 v5, 0, v6, s5
	;; [unrolled: 1-line block ×3, first 2 shown]
	s_mov_b32 s3, exec_lo
	v_add3_u32 v1, v1, v3, v4
	v_cndmask_b32_e64 v3, 0, v7, s6
	v_cndmask_b32_e64 v4, 0, v8, s7
	s_delay_alu instid0(VALU_DEP_3) | instskip(SKIP_2) | instid1(VALU_DEP_3)
	v_add3_u32 v1, v1, v2, v5
	v_cndmask_b32_e64 v2, 0, v9, s8
	v_cndmask_b32_e64 v5, 0, v10, s9
	v_add3_u32 v1, v1, v3, v4
	v_cndmask_b32_e64 v3, 0, v11, s10
	v_cndmask_b32_e64 v4, 0, v12, s11
	s_delay_alu instid0(VALU_DEP_3) | instskip(SKIP_2) | instid1(VALU_DEP_3)
	v_add3_u32 v1, v1, v2, v5
	v_cndmask_b32_e64 v2, 0, v13, s12
	v_cndmask_b32_e64 v5, 0, v14, s13
	v_add3_u32 v1, v1, v3, v4
	v_cndmask_b32_e64 v3, 0, v16, s15
	s_wait_alu 0xfffd
	v_add_co_ci_u32_e64 v4, null, 0, v18, vcc_lo
	v_cmp_gt_u32_e32 vcc_lo, 30, v18
	v_add3_u32 v1, v1, v2, v5
	s_delay_alu instid0(VALU_DEP_3)
	v_lshlrev_b32_e32 v2, 2, v4
	v_add_nc_u32_e32 v4, 1, v18
	s_wait_alu 0xfffd
	v_cndmask_b32_e64 v5, 0, 2, vcc_lo
	v_add3_u32 v1, v1, v6, v3
	v_and_b32_e32 v3, 0xe0, v0
	ds_bpermute_b32 v2, v2, v1
	s_wait_alu 0xfffe
	v_sub_nc_u32_e64 v3, s2, v3 clamp
	s_delay_alu instid0(VALU_DEP_1)
	v_cmp_lt_u32_e32 vcc_lo, v4, v3
	v_add_lshl_u32 v4, v5, v18, 2
	s_wait_dscnt 0x0
	s_wait_alu 0xfffd
	v_cndmask_b32_e32 v2, 0, v2, vcc_lo
	v_cmp_gt_u32_e32 vcc_lo, 28, v18
	s_delay_alu instid0(VALU_DEP_2) | instskip(SKIP_4) | instid1(VALU_DEP_1)
	v_add_nc_u32_e32 v1, v1, v2
	s_wait_alu 0xfffd
	v_cndmask_b32_e64 v5, 0, 4, vcc_lo
	ds_bpermute_b32 v2, v4, v1
	v_add_nc_u32_e32 v4, 2, v18
	v_cmp_lt_u32_e32 vcc_lo, v4, v3
	v_add_lshl_u32 v4, v5, v18, 2
	s_wait_dscnt 0x0
	s_wait_alu 0xfffd
	v_cndmask_b32_e32 v2, 0, v2, vcc_lo
	v_cmp_gt_u32_e32 vcc_lo, 24, v18
	s_delay_alu instid0(VALU_DEP_2) | instskip(SKIP_4) | instid1(VALU_DEP_1)
	v_add_nc_u32_e32 v1, v1, v2
	s_wait_alu 0xfffd
	v_cndmask_b32_e64 v5, 0, 8, vcc_lo
	ds_bpermute_b32 v2, v4, v1
	v_add_nc_u32_e32 v4, 4, v18
	v_cmp_lt_u32_e32 vcc_lo, v4, v3
	v_add_lshl_u32 v4, v5, v18, 2
	v_add_nc_u32_e32 v5, 8, v18
	s_wait_dscnt 0x0
	s_wait_alu 0xfffd
	v_cndmask_b32_e32 v2, 0, v2, vcc_lo
	s_delay_alu instid0(VALU_DEP_2) | instskip(NEXT) | instid1(VALU_DEP_2)
	v_cmp_lt_u32_e32 vcc_lo, v5, v3
	v_add_nc_u32_e32 v1, v1, v2
	v_lshlrev_b32_e32 v2, 2, v18
	ds_bpermute_b32 v4, v4, v1
	v_or_b32_e32 v5, 64, v2
	s_wait_dscnt 0x0
	s_wait_alu 0xfffd
	v_cndmask_b32_e32 v4, 0, v4, vcc_lo
	s_delay_alu instid0(VALU_DEP_1) | instskip(SKIP_2) | instid1(VALU_DEP_1)
	v_add_nc_u32_e32 v1, v1, v4
	ds_bpermute_b32 v4, v5, v1
	v_add_nc_u32_e32 v5, 16, v18
	v_cmp_lt_u32_e32 vcc_lo, v5, v3
	s_wait_dscnt 0x0
	s_wait_alu 0xfffd
	v_cndmask_b32_e32 v3, 0, v4, vcc_lo
	s_delay_alu instid0(VALU_DEP_1)
	v_add_nc_u32_e32 v1, v1, v3
	v_cmpx_eq_u32_e32 0, v18
; %bb.40:
	v_lshrrev_b32_e32 v3, 3, v0
	s_delay_alu instid0(VALU_DEP_1)
	v_and_b32_e32 v3, 28, v3
	ds_store_b32 v3, v1 offset:32
; %bb.41:
	s_or_b32 exec_lo, exec_lo, s3
	s_delay_alu instid0(SALU_CYCLE_1)
	s_mov_b32 s3, exec_lo
	s_wait_dscnt 0x0
	s_barrier_signal -1
	s_barrier_wait -1
	global_inv scope:SCOPE_SE
	v_cmpx_gt_u32_e32 8, v0
	s_cbranch_execz .LBB359_43
; %bb.42:
	ds_load_b32 v1, v2 offset:32
	v_and_b32_e32 v3, 7, v18
	s_add_co_i32 s2, s2, 31
	v_or_b32_e32 v2, 16, v2
	s_wait_alu 0xfffe
	s_lshr_b32 s2, s2, 5
	v_cmp_ne_u32_e32 vcc_lo, 7, v3
	v_add_nc_u32_e32 v5, 1, v3
	s_wait_alu 0xfffd
	v_add_co_ci_u32_e64 v4, null, 0, v18, vcc_lo
	v_cmp_gt_u32_e32 vcc_lo, 6, v3
	s_delay_alu instid0(VALU_DEP_2)
	v_lshlrev_b32_e32 v4, 2, v4
	s_wait_alu 0xfffd
	v_cndmask_b32_e64 v6, 0, 2, vcc_lo
	s_wait_alu 0xfffe
	v_cmp_gt_u32_e32 vcc_lo, s2, v5
	s_wait_dscnt 0x0
	ds_bpermute_b32 v4, v4, v1
	v_add_lshl_u32 v5, v6, v18, 2
	s_wait_dscnt 0x0
	s_wait_alu 0xfffd
	v_cndmask_b32_e32 v4, 0, v4, vcc_lo
	s_delay_alu instid0(VALU_DEP_1) | instskip(SKIP_3) | instid1(VALU_DEP_2)
	v_add_nc_u32_e32 v1, v4, v1
	ds_bpermute_b32 v4, v5, v1
	v_add_nc_u32_e32 v5, 2, v3
	v_add_nc_u32_e32 v3, 4, v3
	v_cmp_gt_u32_e32 vcc_lo, s2, v5
	s_wait_dscnt 0x0
	s_wait_alu 0xfffd
	v_cndmask_b32_e32 v4, 0, v4, vcc_lo
	v_cmp_gt_u32_e32 vcc_lo, s2, v3
	s_delay_alu instid0(VALU_DEP_2) | instskip(SKIP_4) | instid1(VALU_DEP_1)
	v_add_nc_u32_e32 v1, v1, v4
	ds_bpermute_b32 v2, v2, v1
	s_wait_dscnt 0x0
	s_wait_alu 0xfffd
	v_cndmask_b32_e32 v2, 0, v2, vcc_lo
	v_add_nc_u32_e32 v1, v1, v2
.LBB359_43:
	s_wait_alu 0xfffe
	s_or_b32 exec_lo, exec_lo, s3
.LBB359_44:
	s_load_b32 s0, s[0:1], 0x30
	s_mov_b32 s1, exec_lo
	v_cmpx_eq_u32_e32 0, v0
	s_cbranch_execz .LBB359_46
; %bb.45:
	s_mul_u64 s[2:3], s[22:23], s[20:21]
	s_wait_alu 0xfffe
	s_lshl_b64 s[2:3], s[2:3], 2
	s_cmp_eq_u64 s[16:17], 0
	s_wait_alu 0xfffe
	s_add_nc_u64 s[2:3], s[18:19], s[2:3]
	s_cselect_b32 s1, -1, 0
	s_wait_kmcnt 0x0
	v_cndmask_b32_e64 v0, v1, s0, s1
	v_mov_b32_e32 v1, 0
	s_lshl_b64 s[0:1], s[24:25], 2
	s_wait_alu 0xfffe
	s_add_nc_u64 s[0:1], s[2:3], s[0:1]
	global_store_b32 v1, v0, s[0:1]
.LBB359_46:
	s_endpgm
	.section	.rodata,"a",@progbits
	.p2align	6, 0x0
	.amdhsa_kernel _ZN7rocprim17ROCPRIM_400000_NS6detail17trampoline_kernelINS0_14default_configENS1_22reduce_config_selectorIiEEZNS1_11reduce_implILb1ES3_PiS7_iN6hipcub16HIPCUB_304000_NS6detail34convert_binary_result_type_wrapperINS9_3SumENS9_22TransformInputIteratorIbN2at6native12_GLOBAL__N_19NonZeroOpIdEEPKdlEEiEEEE10hipError_tPvRmT1_T2_T3_mT4_P12ihipStream_tbEUlT_E0_NS1_11comp_targetILNS1_3genE10ELNS1_11target_archE1201ELNS1_3gpuE5ELNS1_3repE0EEENS1_30default_config_static_selectorELNS0_4arch9wavefront6targetE0EEEvSQ_
		.amdhsa_group_segment_fixed_size 64
		.amdhsa_private_segment_fixed_size 0
		.amdhsa_kernarg_size 56
		.amdhsa_user_sgpr_count 2
		.amdhsa_user_sgpr_dispatch_ptr 0
		.amdhsa_user_sgpr_queue_ptr 0
		.amdhsa_user_sgpr_kernarg_segment_ptr 1
		.amdhsa_user_sgpr_dispatch_id 0
		.amdhsa_user_sgpr_private_segment_size 0
		.amdhsa_wavefront_size32 1
		.amdhsa_uses_dynamic_stack 0
		.amdhsa_enable_private_segment 0
		.amdhsa_system_sgpr_workgroup_id_x 1
		.amdhsa_system_sgpr_workgroup_id_y 0
		.amdhsa_system_sgpr_workgroup_id_z 0
		.amdhsa_system_sgpr_workgroup_info 0
		.amdhsa_system_vgpr_workitem_id 0
		.amdhsa_next_free_vgpr 20
		.amdhsa_next_free_sgpr 30
		.amdhsa_reserve_vcc 1
		.amdhsa_float_round_mode_32 0
		.amdhsa_float_round_mode_16_64 0
		.amdhsa_float_denorm_mode_32 3
		.amdhsa_float_denorm_mode_16_64 3
		.amdhsa_fp16_overflow 0
		.amdhsa_workgroup_processor_mode 1
		.amdhsa_memory_ordered 1
		.amdhsa_forward_progress 1
		.amdhsa_inst_pref_size 20
		.amdhsa_round_robin_scheduling 0
		.amdhsa_exception_fp_ieee_invalid_op 0
		.amdhsa_exception_fp_denorm_src 0
		.amdhsa_exception_fp_ieee_div_zero 0
		.amdhsa_exception_fp_ieee_overflow 0
		.amdhsa_exception_fp_ieee_underflow 0
		.amdhsa_exception_fp_ieee_inexact 0
		.amdhsa_exception_int_div_zero 0
	.end_amdhsa_kernel
	.section	.text._ZN7rocprim17ROCPRIM_400000_NS6detail17trampoline_kernelINS0_14default_configENS1_22reduce_config_selectorIiEEZNS1_11reduce_implILb1ES3_PiS7_iN6hipcub16HIPCUB_304000_NS6detail34convert_binary_result_type_wrapperINS9_3SumENS9_22TransformInputIteratorIbN2at6native12_GLOBAL__N_19NonZeroOpIdEEPKdlEEiEEEE10hipError_tPvRmT1_T2_T3_mT4_P12ihipStream_tbEUlT_E0_NS1_11comp_targetILNS1_3genE10ELNS1_11target_archE1201ELNS1_3gpuE5ELNS1_3repE0EEENS1_30default_config_static_selectorELNS0_4arch9wavefront6targetE0EEEvSQ_,"axG",@progbits,_ZN7rocprim17ROCPRIM_400000_NS6detail17trampoline_kernelINS0_14default_configENS1_22reduce_config_selectorIiEEZNS1_11reduce_implILb1ES3_PiS7_iN6hipcub16HIPCUB_304000_NS6detail34convert_binary_result_type_wrapperINS9_3SumENS9_22TransformInputIteratorIbN2at6native12_GLOBAL__N_19NonZeroOpIdEEPKdlEEiEEEE10hipError_tPvRmT1_T2_T3_mT4_P12ihipStream_tbEUlT_E0_NS1_11comp_targetILNS1_3genE10ELNS1_11target_archE1201ELNS1_3gpuE5ELNS1_3repE0EEENS1_30default_config_static_selectorELNS0_4arch9wavefront6targetE0EEEvSQ_,comdat
.Lfunc_end359:
	.size	_ZN7rocprim17ROCPRIM_400000_NS6detail17trampoline_kernelINS0_14default_configENS1_22reduce_config_selectorIiEEZNS1_11reduce_implILb1ES3_PiS7_iN6hipcub16HIPCUB_304000_NS6detail34convert_binary_result_type_wrapperINS9_3SumENS9_22TransformInputIteratorIbN2at6native12_GLOBAL__N_19NonZeroOpIdEEPKdlEEiEEEE10hipError_tPvRmT1_T2_T3_mT4_P12ihipStream_tbEUlT_E0_NS1_11comp_targetILNS1_3genE10ELNS1_11target_archE1201ELNS1_3gpuE5ELNS1_3repE0EEENS1_30default_config_static_selectorELNS0_4arch9wavefront6targetE0EEEvSQ_, .Lfunc_end359-_ZN7rocprim17ROCPRIM_400000_NS6detail17trampoline_kernelINS0_14default_configENS1_22reduce_config_selectorIiEEZNS1_11reduce_implILb1ES3_PiS7_iN6hipcub16HIPCUB_304000_NS6detail34convert_binary_result_type_wrapperINS9_3SumENS9_22TransformInputIteratorIbN2at6native12_GLOBAL__N_19NonZeroOpIdEEPKdlEEiEEEE10hipError_tPvRmT1_T2_T3_mT4_P12ihipStream_tbEUlT_E0_NS1_11comp_targetILNS1_3genE10ELNS1_11target_archE1201ELNS1_3gpuE5ELNS1_3repE0EEENS1_30default_config_static_selectorELNS0_4arch9wavefront6targetE0EEEvSQ_
                                        ; -- End function
	.set _ZN7rocprim17ROCPRIM_400000_NS6detail17trampoline_kernelINS0_14default_configENS1_22reduce_config_selectorIiEEZNS1_11reduce_implILb1ES3_PiS7_iN6hipcub16HIPCUB_304000_NS6detail34convert_binary_result_type_wrapperINS9_3SumENS9_22TransformInputIteratorIbN2at6native12_GLOBAL__N_19NonZeroOpIdEEPKdlEEiEEEE10hipError_tPvRmT1_T2_T3_mT4_P12ihipStream_tbEUlT_E0_NS1_11comp_targetILNS1_3genE10ELNS1_11target_archE1201ELNS1_3gpuE5ELNS1_3repE0EEENS1_30default_config_static_selectorELNS0_4arch9wavefront6targetE0EEEvSQ_.num_vgpr, 20
	.set _ZN7rocprim17ROCPRIM_400000_NS6detail17trampoline_kernelINS0_14default_configENS1_22reduce_config_selectorIiEEZNS1_11reduce_implILb1ES3_PiS7_iN6hipcub16HIPCUB_304000_NS6detail34convert_binary_result_type_wrapperINS9_3SumENS9_22TransformInputIteratorIbN2at6native12_GLOBAL__N_19NonZeroOpIdEEPKdlEEiEEEE10hipError_tPvRmT1_T2_T3_mT4_P12ihipStream_tbEUlT_E0_NS1_11comp_targetILNS1_3genE10ELNS1_11target_archE1201ELNS1_3gpuE5ELNS1_3repE0EEENS1_30default_config_static_selectorELNS0_4arch9wavefront6targetE0EEEvSQ_.num_agpr, 0
	.set _ZN7rocprim17ROCPRIM_400000_NS6detail17trampoline_kernelINS0_14default_configENS1_22reduce_config_selectorIiEEZNS1_11reduce_implILb1ES3_PiS7_iN6hipcub16HIPCUB_304000_NS6detail34convert_binary_result_type_wrapperINS9_3SumENS9_22TransformInputIteratorIbN2at6native12_GLOBAL__N_19NonZeroOpIdEEPKdlEEiEEEE10hipError_tPvRmT1_T2_T3_mT4_P12ihipStream_tbEUlT_E0_NS1_11comp_targetILNS1_3genE10ELNS1_11target_archE1201ELNS1_3gpuE5ELNS1_3repE0EEENS1_30default_config_static_selectorELNS0_4arch9wavefront6targetE0EEEvSQ_.numbered_sgpr, 30
	.set _ZN7rocprim17ROCPRIM_400000_NS6detail17trampoline_kernelINS0_14default_configENS1_22reduce_config_selectorIiEEZNS1_11reduce_implILb1ES3_PiS7_iN6hipcub16HIPCUB_304000_NS6detail34convert_binary_result_type_wrapperINS9_3SumENS9_22TransformInputIteratorIbN2at6native12_GLOBAL__N_19NonZeroOpIdEEPKdlEEiEEEE10hipError_tPvRmT1_T2_T3_mT4_P12ihipStream_tbEUlT_E0_NS1_11comp_targetILNS1_3genE10ELNS1_11target_archE1201ELNS1_3gpuE5ELNS1_3repE0EEENS1_30default_config_static_selectorELNS0_4arch9wavefront6targetE0EEEvSQ_.num_named_barrier, 0
	.set _ZN7rocprim17ROCPRIM_400000_NS6detail17trampoline_kernelINS0_14default_configENS1_22reduce_config_selectorIiEEZNS1_11reduce_implILb1ES3_PiS7_iN6hipcub16HIPCUB_304000_NS6detail34convert_binary_result_type_wrapperINS9_3SumENS9_22TransformInputIteratorIbN2at6native12_GLOBAL__N_19NonZeroOpIdEEPKdlEEiEEEE10hipError_tPvRmT1_T2_T3_mT4_P12ihipStream_tbEUlT_E0_NS1_11comp_targetILNS1_3genE10ELNS1_11target_archE1201ELNS1_3gpuE5ELNS1_3repE0EEENS1_30default_config_static_selectorELNS0_4arch9wavefront6targetE0EEEvSQ_.private_seg_size, 0
	.set _ZN7rocprim17ROCPRIM_400000_NS6detail17trampoline_kernelINS0_14default_configENS1_22reduce_config_selectorIiEEZNS1_11reduce_implILb1ES3_PiS7_iN6hipcub16HIPCUB_304000_NS6detail34convert_binary_result_type_wrapperINS9_3SumENS9_22TransformInputIteratorIbN2at6native12_GLOBAL__N_19NonZeroOpIdEEPKdlEEiEEEE10hipError_tPvRmT1_T2_T3_mT4_P12ihipStream_tbEUlT_E0_NS1_11comp_targetILNS1_3genE10ELNS1_11target_archE1201ELNS1_3gpuE5ELNS1_3repE0EEENS1_30default_config_static_selectorELNS0_4arch9wavefront6targetE0EEEvSQ_.uses_vcc, 1
	.set _ZN7rocprim17ROCPRIM_400000_NS6detail17trampoline_kernelINS0_14default_configENS1_22reduce_config_selectorIiEEZNS1_11reduce_implILb1ES3_PiS7_iN6hipcub16HIPCUB_304000_NS6detail34convert_binary_result_type_wrapperINS9_3SumENS9_22TransformInputIteratorIbN2at6native12_GLOBAL__N_19NonZeroOpIdEEPKdlEEiEEEE10hipError_tPvRmT1_T2_T3_mT4_P12ihipStream_tbEUlT_E0_NS1_11comp_targetILNS1_3genE10ELNS1_11target_archE1201ELNS1_3gpuE5ELNS1_3repE0EEENS1_30default_config_static_selectorELNS0_4arch9wavefront6targetE0EEEvSQ_.uses_flat_scratch, 0
	.set _ZN7rocprim17ROCPRIM_400000_NS6detail17trampoline_kernelINS0_14default_configENS1_22reduce_config_selectorIiEEZNS1_11reduce_implILb1ES3_PiS7_iN6hipcub16HIPCUB_304000_NS6detail34convert_binary_result_type_wrapperINS9_3SumENS9_22TransformInputIteratorIbN2at6native12_GLOBAL__N_19NonZeroOpIdEEPKdlEEiEEEE10hipError_tPvRmT1_T2_T3_mT4_P12ihipStream_tbEUlT_E0_NS1_11comp_targetILNS1_3genE10ELNS1_11target_archE1201ELNS1_3gpuE5ELNS1_3repE0EEENS1_30default_config_static_selectorELNS0_4arch9wavefront6targetE0EEEvSQ_.has_dyn_sized_stack, 0
	.set _ZN7rocprim17ROCPRIM_400000_NS6detail17trampoline_kernelINS0_14default_configENS1_22reduce_config_selectorIiEEZNS1_11reduce_implILb1ES3_PiS7_iN6hipcub16HIPCUB_304000_NS6detail34convert_binary_result_type_wrapperINS9_3SumENS9_22TransformInputIteratorIbN2at6native12_GLOBAL__N_19NonZeroOpIdEEPKdlEEiEEEE10hipError_tPvRmT1_T2_T3_mT4_P12ihipStream_tbEUlT_E0_NS1_11comp_targetILNS1_3genE10ELNS1_11target_archE1201ELNS1_3gpuE5ELNS1_3repE0EEENS1_30default_config_static_selectorELNS0_4arch9wavefront6targetE0EEEvSQ_.has_recursion, 0
	.set _ZN7rocprim17ROCPRIM_400000_NS6detail17trampoline_kernelINS0_14default_configENS1_22reduce_config_selectorIiEEZNS1_11reduce_implILb1ES3_PiS7_iN6hipcub16HIPCUB_304000_NS6detail34convert_binary_result_type_wrapperINS9_3SumENS9_22TransformInputIteratorIbN2at6native12_GLOBAL__N_19NonZeroOpIdEEPKdlEEiEEEE10hipError_tPvRmT1_T2_T3_mT4_P12ihipStream_tbEUlT_E0_NS1_11comp_targetILNS1_3genE10ELNS1_11target_archE1201ELNS1_3gpuE5ELNS1_3repE0EEENS1_30default_config_static_selectorELNS0_4arch9wavefront6targetE0EEEvSQ_.has_indirect_call, 0
	.section	.AMDGPU.csdata,"",@progbits
; Kernel info:
; codeLenInByte = 2448
; TotalNumSgprs: 32
; NumVgprs: 20
; ScratchSize: 0
; MemoryBound: 0
; FloatMode: 240
; IeeeMode: 1
; LDSByteSize: 64 bytes/workgroup (compile time only)
; SGPRBlocks: 0
; VGPRBlocks: 2
; NumSGPRsForWavesPerEU: 32
; NumVGPRsForWavesPerEU: 20
; Occupancy: 16
; WaveLimiterHint : 1
; COMPUTE_PGM_RSRC2:SCRATCH_EN: 0
; COMPUTE_PGM_RSRC2:USER_SGPR: 2
; COMPUTE_PGM_RSRC2:TRAP_HANDLER: 0
; COMPUTE_PGM_RSRC2:TGID_X_EN: 1
; COMPUTE_PGM_RSRC2:TGID_Y_EN: 0
; COMPUTE_PGM_RSRC2:TGID_Z_EN: 0
; COMPUTE_PGM_RSRC2:TIDIG_COMP_CNT: 0
	.section	.text._ZN7rocprim17ROCPRIM_400000_NS6detail17trampoline_kernelINS0_14default_configENS1_22reduce_config_selectorIiEEZNS1_11reduce_implILb1ES3_PiS7_iN6hipcub16HIPCUB_304000_NS6detail34convert_binary_result_type_wrapperINS9_3SumENS9_22TransformInputIteratorIbN2at6native12_GLOBAL__N_19NonZeroOpIdEEPKdlEEiEEEE10hipError_tPvRmT1_T2_T3_mT4_P12ihipStream_tbEUlT_E0_NS1_11comp_targetILNS1_3genE10ELNS1_11target_archE1200ELNS1_3gpuE4ELNS1_3repE0EEENS1_30default_config_static_selectorELNS0_4arch9wavefront6targetE0EEEvSQ_,"axG",@progbits,_ZN7rocprim17ROCPRIM_400000_NS6detail17trampoline_kernelINS0_14default_configENS1_22reduce_config_selectorIiEEZNS1_11reduce_implILb1ES3_PiS7_iN6hipcub16HIPCUB_304000_NS6detail34convert_binary_result_type_wrapperINS9_3SumENS9_22TransformInputIteratorIbN2at6native12_GLOBAL__N_19NonZeroOpIdEEPKdlEEiEEEE10hipError_tPvRmT1_T2_T3_mT4_P12ihipStream_tbEUlT_E0_NS1_11comp_targetILNS1_3genE10ELNS1_11target_archE1200ELNS1_3gpuE4ELNS1_3repE0EEENS1_30default_config_static_selectorELNS0_4arch9wavefront6targetE0EEEvSQ_,comdat
	.globl	_ZN7rocprim17ROCPRIM_400000_NS6detail17trampoline_kernelINS0_14default_configENS1_22reduce_config_selectorIiEEZNS1_11reduce_implILb1ES3_PiS7_iN6hipcub16HIPCUB_304000_NS6detail34convert_binary_result_type_wrapperINS9_3SumENS9_22TransformInputIteratorIbN2at6native12_GLOBAL__N_19NonZeroOpIdEEPKdlEEiEEEE10hipError_tPvRmT1_T2_T3_mT4_P12ihipStream_tbEUlT_E0_NS1_11comp_targetILNS1_3genE10ELNS1_11target_archE1200ELNS1_3gpuE4ELNS1_3repE0EEENS1_30default_config_static_selectorELNS0_4arch9wavefront6targetE0EEEvSQ_ ; -- Begin function _ZN7rocprim17ROCPRIM_400000_NS6detail17trampoline_kernelINS0_14default_configENS1_22reduce_config_selectorIiEEZNS1_11reduce_implILb1ES3_PiS7_iN6hipcub16HIPCUB_304000_NS6detail34convert_binary_result_type_wrapperINS9_3SumENS9_22TransformInputIteratorIbN2at6native12_GLOBAL__N_19NonZeroOpIdEEPKdlEEiEEEE10hipError_tPvRmT1_T2_T3_mT4_P12ihipStream_tbEUlT_E0_NS1_11comp_targetILNS1_3genE10ELNS1_11target_archE1200ELNS1_3gpuE4ELNS1_3repE0EEENS1_30default_config_static_selectorELNS0_4arch9wavefront6targetE0EEEvSQ_
	.p2align	8
	.type	_ZN7rocprim17ROCPRIM_400000_NS6detail17trampoline_kernelINS0_14default_configENS1_22reduce_config_selectorIiEEZNS1_11reduce_implILb1ES3_PiS7_iN6hipcub16HIPCUB_304000_NS6detail34convert_binary_result_type_wrapperINS9_3SumENS9_22TransformInputIteratorIbN2at6native12_GLOBAL__N_19NonZeroOpIdEEPKdlEEiEEEE10hipError_tPvRmT1_T2_T3_mT4_P12ihipStream_tbEUlT_E0_NS1_11comp_targetILNS1_3genE10ELNS1_11target_archE1200ELNS1_3gpuE4ELNS1_3repE0EEENS1_30default_config_static_selectorELNS0_4arch9wavefront6targetE0EEEvSQ_,@function
_ZN7rocprim17ROCPRIM_400000_NS6detail17trampoline_kernelINS0_14default_configENS1_22reduce_config_selectorIiEEZNS1_11reduce_implILb1ES3_PiS7_iN6hipcub16HIPCUB_304000_NS6detail34convert_binary_result_type_wrapperINS9_3SumENS9_22TransformInputIteratorIbN2at6native12_GLOBAL__N_19NonZeroOpIdEEPKdlEEiEEEE10hipError_tPvRmT1_T2_T3_mT4_P12ihipStream_tbEUlT_E0_NS1_11comp_targetILNS1_3genE10ELNS1_11target_archE1200ELNS1_3gpuE4ELNS1_3repE0EEENS1_30default_config_static_selectorELNS0_4arch9wavefront6targetE0EEEvSQ_: ; @_ZN7rocprim17ROCPRIM_400000_NS6detail17trampoline_kernelINS0_14default_configENS1_22reduce_config_selectorIiEEZNS1_11reduce_implILb1ES3_PiS7_iN6hipcub16HIPCUB_304000_NS6detail34convert_binary_result_type_wrapperINS9_3SumENS9_22TransformInputIteratorIbN2at6native12_GLOBAL__N_19NonZeroOpIdEEPKdlEEiEEEE10hipError_tPvRmT1_T2_T3_mT4_P12ihipStream_tbEUlT_E0_NS1_11comp_targetILNS1_3genE10ELNS1_11target_archE1200ELNS1_3gpuE4ELNS1_3repE0EEENS1_30default_config_static_selectorELNS0_4arch9wavefront6targetE0EEEvSQ_
; %bb.0:
	.section	.rodata,"a",@progbits
	.p2align	6, 0x0
	.amdhsa_kernel _ZN7rocprim17ROCPRIM_400000_NS6detail17trampoline_kernelINS0_14default_configENS1_22reduce_config_selectorIiEEZNS1_11reduce_implILb1ES3_PiS7_iN6hipcub16HIPCUB_304000_NS6detail34convert_binary_result_type_wrapperINS9_3SumENS9_22TransformInputIteratorIbN2at6native12_GLOBAL__N_19NonZeroOpIdEEPKdlEEiEEEE10hipError_tPvRmT1_T2_T3_mT4_P12ihipStream_tbEUlT_E0_NS1_11comp_targetILNS1_3genE10ELNS1_11target_archE1200ELNS1_3gpuE4ELNS1_3repE0EEENS1_30default_config_static_selectorELNS0_4arch9wavefront6targetE0EEEvSQ_
		.amdhsa_group_segment_fixed_size 0
		.amdhsa_private_segment_fixed_size 0
		.amdhsa_kernarg_size 56
		.amdhsa_user_sgpr_count 2
		.amdhsa_user_sgpr_dispatch_ptr 0
		.amdhsa_user_sgpr_queue_ptr 0
		.amdhsa_user_sgpr_kernarg_segment_ptr 1
		.amdhsa_user_sgpr_dispatch_id 0
		.amdhsa_user_sgpr_private_segment_size 0
		.amdhsa_wavefront_size32 1
		.amdhsa_uses_dynamic_stack 0
		.amdhsa_enable_private_segment 0
		.amdhsa_system_sgpr_workgroup_id_x 1
		.amdhsa_system_sgpr_workgroup_id_y 0
		.amdhsa_system_sgpr_workgroup_id_z 0
		.amdhsa_system_sgpr_workgroup_info 0
		.amdhsa_system_vgpr_workitem_id 0
		.amdhsa_next_free_vgpr 1
		.amdhsa_next_free_sgpr 1
		.amdhsa_reserve_vcc 0
		.amdhsa_float_round_mode_32 0
		.amdhsa_float_round_mode_16_64 0
		.amdhsa_float_denorm_mode_32 3
		.amdhsa_float_denorm_mode_16_64 3
		.amdhsa_fp16_overflow 0
		.amdhsa_workgroup_processor_mode 1
		.amdhsa_memory_ordered 1
		.amdhsa_forward_progress 1
		.amdhsa_inst_pref_size 0
		.amdhsa_round_robin_scheduling 0
		.amdhsa_exception_fp_ieee_invalid_op 0
		.amdhsa_exception_fp_denorm_src 0
		.amdhsa_exception_fp_ieee_div_zero 0
		.amdhsa_exception_fp_ieee_overflow 0
		.amdhsa_exception_fp_ieee_underflow 0
		.amdhsa_exception_fp_ieee_inexact 0
		.amdhsa_exception_int_div_zero 0
	.end_amdhsa_kernel
	.section	.text._ZN7rocprim17ROCPRIM_400000_NS6detail17trampoline_kernelINS0_14default_configENS1_22reduce_config_selectorIiEEZNS1_11reduce_implILb1ES3_PiS7_iN6hipcub16HIPCUB_304000_NS6detail34convert_binary_result_type_wrapperINS9_3SumENS9_22TransformInputIteratorIbN2at6native12_GLOBAL__N_19NonZeroOpIdEEPKdlEEiEEEE10hipError_tPvRmT1_T2_T3_mT4_P12ihipStream_tbEUlT_E0_NS1_11comp_targetILNS1_3genE10ELNS1_11target_archE1200ELNS1_3gpuE4ELNS1_3repE0EEENS1_30default_config_static_selectorELNS0_4arch9wavefront6targetE0EEEvSQ_,"axG",@progbits,_ZN7rocprim17ROCPRIM_400000_NS6detail17trampoline_kernelINS0_14default_configENS1_22reduce_config_selectorIiEEZNS1_11reduce_implILb1ES3_PiS7_iN6hipcub16HIPCUB_304000_NS6detail34convert_binary_result_type_wrapperINS9_3SumENS9_22TransformInputIteratorIbN2at6native12_GLOBAL__N_19NonZeroOpIdEEPKdlEEiEEEE10hipError_tPvRmT1_T2_T3_mT4_P12ihipStream_tbEUlT_E0_NS1_11comp_targetILNS1_3genE10ELNS1_11target_archE1200ELNS1_3gpuE4ELNS1_3repE0EEENS1_30default_config_static_selectorELNS0_4arch9wavefront6targetE0EEEvSQ_,comdat
.Lfunc_end360:
	.size	_ZN7rocprim17ROCPRIM_400000_NS6detail17trampoline_kernelINS0_14default_configENS1_22reduce_config_selectorIiEEZNS1_11reduce_implILb1ES3_PiS7_iN6hipcub16HIPCUB_304000_NS6detail34convert_binary_result_type_wrapperINS9_3SumENS9_22TransformInputIteratorIbN2at6native12_GLOBAL__N_19NonZeroOpIdEEPKdlEEiEEEE10hipError_tPvRmT1_T2_T3_mT4_P12ihipStream_tbEUlT_E0_NS1_11comp_targetILNS1_3genE10ELNS1_11target_archE1200ELNS1_3gpuE4ELNS1_3repE0EEENS1_30default_config_static_selectorELNS0_4arch9wavefront6targetE0EEEvSQ_, .Lfunc_end360-_ZN7rocprim17ROCPRIM_400000_NS6detail17trampoline_kernelINS0_14default_configENS1_22reduce_config_selectorIiEEZNS1_11reduce_implILb1ES3_PiS7_iN6hipcub16HIPCUB_304000_NS6detail34convert_binary_result_type_wrapperINS9_3SumENS9_22TransformInputIteratorIbN2at6native12_GLOBAL__N_19NonZeroOpIdEEPKdlEEiEEEE10hipError_tPvRmT1_T2_T3_mT4_P12ihipStream_tbEUlT_E0_NS1_11comp_targetILNS1_3genE10ELNS1_11target_archE1200ELNS1_3gpuE4ELNS1_3repE0EEENS1_30default_config_static_selectorELNS0_4arch9wavefront6targetE0EEEvSQ_
                                        ; -- End function
	.set _ZN7rocprim17ROCPRIM_400000_NS6detail17trampoline_kernelINS0_14default_configENS1_22reduce_config_selectorIiEEZNS1_11reduce_implILb1ES3_PiS7_iN6hipcub16HIPCUB_304000_NS6detail34convert_binary_result_type_wrapperINS9_3SumENS9_22TransformInputIteratorIbN2at6native12_GLOBAL__N_19NonZeroOpIdEEPKdlEEiEEEE10hipError_tPvRmT1_T2_T3_mT4_P12ihipStream_tbEUlT_E0_NS1_11comp_targetILNS1_3genE10ELNS1_11target_archE1200ELNS1_3gpuE4ELNS1_3repE0EEENS1_30default_config_static_selectorELNS0_4arch9wavefront6targetE0EEEvSQ_.num_vgpr, 0
	.set _ZN7rocprim17ROCPRIM_400000_NS6detail17trampoline_kernelINS0_14default_configENS1_22reduce_config_selectorIiEEZNS1_11reduce_implILb1ES3_PiS7_iN6hipcub16HIPCUB_304000_NS6detail34convert_binary_result_type_wrapperINS9_3SumENS9_22TransformInputIteratorIbN2at6native12_GLOBAL__N_19NonZeroOpIdEEPKdlEEiEEEE10hipError_tPvRmT1_T2_T3_mT4_P12ihipStream_tbEUlT_E0_NS1_11comp_targetILNS1_3genE10ELNS1_11target_archE1200ELNS1_3gpuE4ELNS1_3repE0EEENS1_30default_config_static_selectorELNS0_4arch9wavefront6targetE0EEEvSQ_.num_agpr, 0
	.set _ZN7rocprim17ROCPRIM_400000_NS6detail17trampoline_kernelINS0_14default_configENS1_22reduce_config_selectorIiEEZNS1_11reduce_implILb1ES3_PiS7_iN6hipcub16HIPCUB_304000_NS6detail34convert_binary_result_type_wrapperINS9_3SumENS9_22TransformInputIteratorIbN2at6native12_GLOBAL__N_19NonZeroOpIdEEPKdlEEiEEEE10hipError_tPvRmT1_T2_T3_mT4_P12ihipStream_tbEUlT_E0_NS1_11comp_targetILNS1_3genE10ELNS1_11target_archE1200ELNS1_3gpuE4ELNS1_3repE0EEENS1_30default_config_static_selectorELNS0_4arch9wavefront6targetE0EEEvSQ_.numbered_sgpr, 0
	.set _ZN7rocprim17ROCPRIM_400000_NS6detail17trampoline_kernelINS0_14default_configENS1_22reduce_config_selectorIiEEZNS1_11reduce_implILb1ES3_PiS7_iN6hipcub16HIPCUB_304000_NS6detail34convert_binary_result_type_wrapperINS9_3SumENS9_22TransformInputIteratorIbN2at6native12_GLOBAL__N_19NonZeroOpIdEEPKdlEEiEEEE10hipError_tPvRmT1_T2_T3_mT4_P12ihipStream_tbEUlT_E0_NS1_11comp_targetILNS1_3genE10ELNS1_11target_archE1200ELNS1_3gpuE4ELNS1_3repE0EEENS1_30default_config_static_selectorELNS0_4arch9wavefront6targetE0EEEvSQ_.num_named_barrier, 0
	.set _ZN7rocprim17ROCPRIM_400000_NS6detail17trampoline_kernelINS0_14default_configENS1_22reduce_config_selectorIiEEZNS1_11reduce_implILb1ES3_PiS7_iN6hipcub16HIPCUB_304000_NS6detail34convert_binary_result_type_wrapperINS9_3SumENS9_22TransformInputIteratorIbN2at6native12_GLOBAL__N_19NonZeroOpIdEEPKdlEEiEEEE10hipError_tPvRmT1_T2_T3_mT4_P12ihipStream_tbEUlT_E0_NS1_11comp_targetILNS1_3genE10ELNS1_11target_archE1200ELNS1_3gpuE4ELNS1_3repE0EEENS1_30default_config_static_selectorELNS0_4arch9wavefront6targetE0EEEvSQ_.private_seg_size, 0
	.set _ZN7rocprim17ROCPRIM_400000_NS6detail17trampoline_kernelINS0_14default_configENS1_22reduce_config_selectorIiEEZNS1_11reduce_implILb1ES3_PiS7_iN6hipcub16HIPCUB_304000_NS6detail34convert_binary_result_type_wrapperINS9_3SumENS9_22TransformInputIteratorIbN2at6native12_GLOBAL__N_19NonZeroOpIdEEPKdlEEiEEEE10hipError_tPvRmT1_T2_T3_mT4_P12ihipStream_tbEUlT_E0_NS1_11comp_targetILNS1_3genE10ELNS1_11target_archE1200ELNS1_3gpuE4ELNS1_3repE0EEENS1_30default_config_static_selectorELNS0_4arch9wavefront6targetE0EEEvSQ_.uses_vcc, 0
	.set _ZN7rocprim17ROCPRIM_400000_NS6detail17trampoline_kernelINS0_14default_configENS1_22reduce_config_selectorIiEEZNS1_11reduce_implILb1ES3_PiS7_iN6hipcub16HIPCUB_304000_NS6detail34convert_binary_result_type_wrapperINS9_3SumENS9_22TransformInputIteratorIbN2at6native12_GLOBAL__N_19NonZeroOpIdEEPKdlEEiEEEE10hipError_tPvRmT1_T2_T3_mT4_P12ihipStream_tbEUlT_E0_NS1_11comp_targetILNS1_3genE10ELNS1_11target_archE1200ELNS1_3gpuE4ELNS1_3repE0EEENS1_30default_config_static_selectorELNS0_4arch9wavefront6targetE0EEEvSQ_.uses_flat_scratch, 0
	.set _ZN7rocprim17ROCPRIM_400000_NS6detail17trampoline_kernelINS0_14default_configENS1_22reduce_config_selectorIiEEZNS1_11reduce_implILb1ES3_PiS7_iN6hipcub16HIPCUB_304000_NS6detail34convert_binary_result_type_wrapperINS9_3SumENS9_22TransformInputIteratorIbN2at6native12_GLOBAL__N_19NonZeroOpIdEEPKdlEEiEEEE10hipError_tPvRmT1_T2_T3_mT4_P12ihipStream_tbEUlT_E0_NS1_11comp_targetILNS1_3genE10ELNS1_11target_archE1200ELNS1_3gpuE4ELNS1_3repE0EEENS1_30default_config_static_selectorELNS0_4arch9wavefront6targetE0EEEvSQ_.has_dyn_sized_stack, 0
	.set _ZN7rocprim17ROCPRIM_400000_NS6detail17trampoline_kernelINS0_14default_configENS1_22reduce_config_selectorIiEEZNS1_11reduce_implILb1ES3_PiS7_iN6hipcub16HIPCUB_304000_NS6detail34convert_binary_result_type_wrapperINS9_3SumENS9_22TransformInputIteratorIbN2at6native12_GLOBAL__N_19NonZeroOpIdEEPKdlEEiEEEE10hipError_tPvRmT1_T2_T3_mT4_P12ihipStream_tbEUlT_E0_NS1_11comp_targetILNS1_3genE10ELNS1_11target_archE1200ELNS1_3gpuE4ELNS1_3repE0EEENS1_30default_config_static_selectorELNS0_4arch9wavefront6targetE0EEEvSQ_.has_recursion, 0
	.set _ZN7rocprim17ROCPRIM_400000_NS6detail17trampoline_kernelINS0_14default_configENS1_22reduce_config_selectorIiEEZNS1_11reduce_implILb1ES3_PiS7_iN6hipcub16HIPCUB_304000_NS6detail34convert_binary_result_type_wrapperINS9_3SumENS9_22TransformInputIteratorIbN2at6native12_GLOBAL__N_19NonZeroOpIdEEPKdlEEiEEEE10hipError_tPvRmT1_T2_T3_mT4_P12ihipStream_tbEUlT_E0_NS1_11comp_targetILNS1_3genE10ELNS1_11target_archE1200ELNS1_3gpuE4ELNS1_3repE0EEENS1_30default_config_static_selectorELNS0_4arch9wavefront6targetE0EEEvSQ_.has_indirect_call, 0
	.section	.AMDGPU.csdata,"",@progbits
; Kernel info:
; codeLenInByte = 0
; TotalNumSgprs: 0
; NumVgprs: 0
; ScratchSize: 0
; MemoryBound: 0
; FloatMode: 240
; IeeeMode: 1
; LDSByteSize: 0 bytes/workgroup (compile time only)
; SGPRBlocks: 0
; VGPRBlocks: 0
; NumSGPRsForWavesPerEU: 1
; NumVGPRsForWavesPerEU: 1
; Occupancy: 16
; WaveLimiterHint : 0
; COMPUTE_PGM_RSRC2:SCRATCH_EN: 0
; COMPUTE_PGM_RSRC2:USER_SGPR: 2
; COMPUTE_PGM_RSRC2:TRAP_HANDLER: 0
; COMPUTE_PGM_RSRC2:TGID_X_EN: 1
; COMPUTE_PGM_RSRC2:TGID_Y_EN: 0
; COMPUTE_PGM_RSRC2:TGID_Z_EN: 0
; COMPUTE_PGM_RSRC2:TIDIG_COMP_CNT: 0
	.section	.text._ZN7rocprim17ROCPRIM_400000_NS6detail17trampoline_kernelINS0_14default_configENS1_22reduce_config_selectorIiEEZNS1_11reduce_implILb1ES3_PiS7_iN6hipcub16HIPCUB_304000_NS6detail34convert_binary_result_type_wrapperINS9_3SumENS9_22TransformInputIteratorIbN2at6native12_GLOBAL__N_19NonZeroOpIdEEPKdlEEiEEEE10hipError_tPvRmT1_T2_T3_mT4_P12ihipStream_tbEUlT_E0_NS1_11comp_targetILNS1_3genE9ELNS1_11target_archE1100ELNS1_3gpuE3ELNS1_3repE0EEENS1_30default_config_static_selectorELNS0_4arch9wavefront6targetE0EEEvSQ_,"axG",@progbits,_ZN7rocprim17ROCPRIM_400000_NS6detail17trampoline_kernelINS0_14default_configENS1_22reduce_config_selectorIiEEZNS1_11reduce_implILb1ES3_PiS7_iN6hipcub16HIPCUB_304000_NS6detail34convert_binary_result_type_wrapperINS9_3SumENS9_22TransformInputIteratorIbN2at6native12_GLOBAL__N_19NonZeroOpIdEEPKdlEEiEEEE10hipError_tPvRmT1_T2_T3_mT4_P12ihipStream_tbEUlT_E0_NS1_11comp_targetILNS1_3genE9ELNS1_11target_archE1100ELNS1_3gpuE3ELNS1_3repE0EEENS1_30default_config_static_selectorELNS0_4arch9wavefront6targetE0EEEvSQ_,comdat
	.globl	_ZN7rocprim17ROCPRIM_400000_NS6detail17trampoline_kernelINS0_14default_configENS1_22reduce_config_selectorIiEEZNS1_11reduce_implILb1ES3_PiS7_iN6hipcub16HIPCUB_304000_NS6detail34convert_binary_result_type_wrapperINS9_3SumENS9_22TransformInputIteratorIbN2at6native12_GLOBAL__N_19NonZeroOpIdEEPKdlEEiEEEE10hipError_tPvRmT1_T2_T3_mT4_P12ihipStream_tbEUlT_E0_NS1_11comp_targetILNS1_3genE9ELNS1_11target_archE1100ELNS1_3gpuE3ELNS1_3repE0EEENS1_30default_config_static_selectorELNS0_4arch9wavefront6targetE0EEEvSQ_ ; -- Begin function _ZN7rocprim17ROCPRIM_400000_NS6detail17trampoline_kernelINS0_14default_configENS1_22reduce_config_selectorIiEEZNS1_11reduce_implILb1ES3_PiS7_iN6hipcub16HIPCUB_304000_NS6detail34convert_binary_result_type_wrapperINS9_3SumENS9_22TransformInputIteratorIbN2at6native12_GLOBAL__N_19NonZeroOpIdEEPKdlEEiEEEE10hipError_tPvRmT1_T2_T3_mT4_P12ihipStream_tbEUlT_E0_NS1_11comp_targetILNS1_3genE9ELNS1_11target_archE1100ELNS1_3gpuE3ELNS1_3repE0EEENS1_30default_config_static_selectorELNS0_4arch9wavefront6targetE0EEEvSQ_
	.p2align	8
	.type	_ZN7rocprim17ROCPRIM_400000_NS6detail17trampoline_kernelINS0_14default_configENS1_22reduce_config_selectorIiEEZNS1_11reduce_implILb1ES3_PiS7_iN6hipcub16HIPCUB_304000_NS6detail34convert_binary_result_type_wrapperINS9_3SumENS9_22TransformInputIteratorIbN2at6native12_GLOBAL__N_19NonZeroOpIdEEPKdlEEiEEEE10hipError_tPvRmT1_T2_T3_mT4_P12ihipStream_tbEUlT_E0_NS1_11comp_targetILNS1_3genE9ELNS1_11target_archE1100ELNS1_3gpuE3ELNS1_3repE0EEENS1_30default_config_static_selectorELNS0_4arch9wavefront6targetE0EEEvSQ_,@function
_ZN7rocprim17ROCPRIM_400000_NS6detail17trampoline_kernelINS0_14default_configENS1_22reduce_config_selectorIiEEZNS1_11reduce_implILb1ES3_PiS7_iN6hipcub16HIPCUB_304000_NS6detail34convert_binary_result_type_wrapperINS9_3SumENS9_22TransformInputIteratorIbN2at6native12_GLOBAL__N_19NonZeroOpIdEEPKdlEEiEEEE10hipError_tPvRmT1_T2_T3_mT4_P12ihipStream_tbEUlT_E0_NS1_11comp_targetILNS1_3genE9ELNS1_11target_archE1100ELNS1_3gpuE3ELNS1_3repE0EEENS1_30default_config_static_selectorELNS0_4arch9wavefront6targetE0EEEvSQ_: ; @_ZN7rocprim17ROCPRIM_400000_NS6detail17trampoline_kernelINS0_14default_configENS1_22reduce_config_selectorIiEEZNS1_11reduce_implILb1ES3_PiS7_iN6hipcub16HIPCUB_304000_NS6detail34convert_binary_result_type_wrapperINS9_3SumENS9_22TransformInputIteratorIbN2at6native12_GLOBAL__N_19NonZeroOpIdEEPKdlEEiEEEE10hipError_tPvRmT1_T2_T3_mT4_P12ihipStream_tbEUlT_E0_NS1_11comp_targetILNS1_3genE9ELNS1_11target_archE1100ELNS1_3gpuE3ELNS1_3repE0EEENS1_30default_config_static_selectorELNS0_4arch9wavefront6targetE0EEEvSQ_
; %bb.0:
	.section	.rodata,"a",@progbits
	.p2align	6, 0x0
	.amdhsa_kernel _ZN7rocprim17ROCPRIM_400000_NS6detail17trampoline_kernelINS0_14default_configENS1_22reduce_config_selectorIiEEZNS1_11reduce_implILb1ES3_PiS7_iN6hipcub16HIPCUB_304000_NS6detail34convert_binary_result_type_wrapperINS9_3SumENS9_22TransformInputIteratorIbN2at6native12_GLOBAL__N_19NonZeroOpIdEEPKdlEEiEEEE10hipError_tPvRmT1_T2_T3_mT4_P12ihipStream_tbEUlT_E0_NS1_11comp_targetILNS1_3genE9ELNS1_11target_archE1100ELNS1_3gpuE3ELNS1_3repE0EEENS1_30default_config_static_selectorELNS0_4arch9wavefront6targetE0EEEvSQ_
		.amdhsa_group_segment_fixed_size 0
		.amdhsa_private_segment_fixed_size 0
		.amdhsa_kernarg_size 56
		.amdhsa_user_sgpr_count 2
		.amdhsa_user_sgpr_dispatch_ptr 0
		.amdhsa_user_sgpr_queue_ptr 0
		.amdhsa_user_sgpr_kernarg_segment_ptr 1
		.amdhsa_user_sgpr_dispatch_id 0
		.amdhsa_user_sgpr_private_segment_size 0
		.amdhsa_wavefront_size32 1
		.amdhsa_uses_dynamic_stack 0
		.amdhsa_enable_private_segment 0
		.amdhsa_system_sgpr_workgroup_id_x 1
		.amdhsa_system_sgpr_workgroup_id_y 0
		.amdhsa_system_sgpr_workgroup_id_z 0
		.amdhsa_system_sgpr_workgroup_info 0
		.amdhsa_system_vgpr_workitem_id 0
		.amdhsa_next_free_vgpr 1
		.amdhsa_next_free_sgpr 1
		.amdhsa_reserve_vcc 0
		.amdhsa_float_round_mode_32 0
		.amdhsa_float_round_mode_16_64 0
		.amdhsa_float_denorm_mode_32 3
		.amdhsa_float_denorm_mode_16_64 3
		.amdhsa_fp16_overflow 0
		.amdhsa_workgroup_processor_mode 1
		.amdhsa_memory_ordered 1
		.amdhsa_forward_progress 1
		.amdhsa_inst_pref_size 0
		.amdhsa_round_robin_scheduling 0
		.amdhsa_exception_fp_ieee_invalid_op 0
		.amdhsa_exception_fp_denorm_src 0
		.amdhsa_exception_fp_ieee_div_zero 0
		.amdhsa_exception_fp_ieee_overflow 0
		.amdhsa_exception_fp_ieee_underflow 0
		.amdhsa_exception_fp_ieee_inexact 0
		.amdhsa_exception_int_div_zero 0
	.end_amdhsa_kernel
	.section	.text._ZN7rocprim17ROCPRIM_400000_NS6detail17trampoline_kernelINS0_14default_configENS1_22reduce_config_selectorIiEEZNS1_11reduce_implILb1ES3_PiS7_iN6hipcub16HIPCUB_304000_NS6detail34convert_binary_result_type_wrapperINS9_3SumENS9_22TransformInputIteratorIbN2at6native12_GLOBAL__N_19NonZeroOpIdEEPKdlEEiEEEE10hipError_tPvRmT1_T2_T3_mT4_P12ihipStream_tbEUlT_E0_NS1_11comp_targetILNS1_3genE9ELNS1_11target_archE1100ELNS1_3gpuE3ELNS1_3repE0EEENS1_30default_config_static_selectorELNS0_4arch9wavefront6targetE0EEEvSQ_,"axG",@progbits,_ZN7rocprim17ROCPRIM_400000_NS6detail17trampoline_kernelINS0_14default_configENS1_22reduce_config_selectorIiEEZNS1_11reduce_implILb1ES3_PiS7_iN6hipcub16HIPCUB_304000_NS6detail34convert_binary_result_type_wrapperINS9_3SumENS9_22TransformInputIteratorIbN2at6native12_GLOBAL__N_19NonZeroOpIdEEPKdlEEiEEEE10hipError_tPvRmT1_T2_T3_mT4_P12ihipStream_tbEUlT_E0_NS1_11comp_targetILNS1_3genE9ELNS1_11target_archE1100ELNS1_3gpuE3ELNS1_3repE0EEENS1_30default_config_static_selectorELNS0_4arch9wavefront6targetE0EEEvSQ_,comdat
.Lfunc_end361:
	.size	_ZN7rocprim17ROCPRIM_400000_NS6detail17trampoline_kernelINS0_14default_configENS1_22reduce_config_selectorIiEEZNS1_11reduce_implILb1ES3_PiS7_iN6hipcub16HIPCUB_304000_NS6detail34convert_binary_result_type_wrapperINS9_3SumENS9_22TransformInputIteratorIbN2at6native12_GLOBAL__N_19NonZeroOpIdEEPKdlEEiEEEE10hipError_tPvRmT1_T2_T3_mT4_P12ihipStream_tbEUlT_E0_NS1_11comp_targetILNS1_3genE9ELNS1_11target_archE1100ELNS1_3gpuE3ELNS1_3repE0EEENS1_30default_config_static_selectorELNS0_4arch9wavefront6targetE0EEEvSQ_, .Lfunc_end361-_ZN7rocprim17ROCPRIM_400000_NS6detail17trampoline_kernelINS0_14default_configENS1_22reduce_config_selectorIiEEZNS1_11reduce_implILb1ES3_PiS7_iN6hipcub16HIPCUB_304000_NS6detail34convert_binary_result_type_wrapperINS9_3SumENS9_22TransformInputIteratorIbN2at6native12_GLOBAL__N_19NonZeroOpIdEEPKdlEEiEEEE10hipError_tPvRmT1_T2_T3_mT4_P12ihipStream_tbEUlT_E0_NS1_11comp_targetILNS1_3genE9ELNS1_11target_archE1100ELNS1_3gpuE3ELNS1_3repE0EEENS1_30default_config_static_selectorELNS0_4arch9wavefront6targetE0EEEvSQ_
                                        ; -- End function
	.set _ZN7rocprim17ROCPRIM_400000_NS6detail17trampoline_kernelINS0_14default_configENS1_22reduce_config_selectorIiEEZNS1_11reduce_implILb1ES3_PiS7_iN6hipcub16HIPCUB_304000_NS6detail34convert_binary_result_type_wrapperINS9_3SumENS9_22TransformInputIteratorIbN2at6native12_GLOBAL__N_19NonZeroOpIdEEPKdlEEiEEEE10hipError_tPvRmT1_T2_T3_mT4_P12ihipStream_tbEUlT_E0_NS1_11comp_targetILNS1_3genE9ELNS1_11target_archE1100ELNS1_3gpuE3ELNS1_3repE0EEENS1_30default_config_static_selectorELNS0_4arch9wavefront6targetE0EEEvSQ_.num_vgpr, 0
	.set _ZN7rocprim17ROCPRIM_400000_NS6detail17trampoline_kernelINS0_14default_configENS1_22reduce_config_selectorIiEEZNS1_11reduce_implILb1ES3_PiS7_iN6hipcub16HIPCUB_304000_NS6detail34convert_binary_result_type_wrapperINS9_3SumENS9_22TransformInputIteratorIbN2at6native12_GLOBAL__N_19NonZeroOpIdEEPKdlEEiEEEE10hipError_tPvRmT1_T2_T3_mT4_P12ihipStream_tbEUlT_E0_NS1_11comp_targetILNS1_3genE9ELNS1_11target_archE1100ELNS1_3gpuE3ELNS1_3repE0EEENS1_30default_config_static_selectorELNS0_4arch9wavefront6targetE0EEEvSQ_.num_agpr, 0
	.set _ZN7rocprim17ROCPRIM_400000_NS6detail17trampoline_kernelINS0_14default_configENS1_22reduce_config_selectorIiEEZNS1_11reduce_implILb1ES3_PiS7_iN6hipcub16HIPCUB_304000_NS6detail34convert_binary_result_type_wrapperINS9_3SumENS9_22TransformInputIteratorIbN2at6native12_GLOBAL__N_19NonZeroOpIdEEPKdlEEiEEEE10hipError_tPvRmT1_T2_T3_mT4_P12ihipStream_tbEUlT_E0_NS1_11comp_targetILNS1_3genE9ELNS1_11target_archE1100ELNS1_3gpuE3ELNS1_3repE0EEENS1_30default_config_static_selectorELNS0_4arch9wavefront6targetE0EEEvSQ_.numbered_sgpr, 0
	.set _ZN7rocprim17ROCPRIM_400000_NS6detail17trampoline_kernelINS0_14default_configENS1_22reduce_config_selectorIiEEZNS1_11reduce_implILb1ES3_PiS7_iN6hipcub16HIPCUB_304000_NS6detail34convert_binary_result_type_wrapperINS9_3SumENS9_22TransformInputIteratorIbN2at6native12_GLOBAL__N_19NonZeroOpIdEEPKdlEEiEEEE10hipError_tPvRmT1_T2_T3_mT4_P12ihipStream_tbEUlT_E0_NS1_11comp_targetILNS1_3genE9ELNS1_11target_archE1100ELNS1_3gpuE3ELNS1_3repE0EEENS1_30default_config_static_selectorELNS0_4arch9wavefront6targetE0EEEvSQ_.num_named_barrier, 0
	.set _ZN7rocprim17ROCPRIM_400000_NS6detail17trampoline_kernelINS0_14default_configENS1_22reduce_config_selectorIiEEZNS1_11reduce_implILb1ES3_PiS7_iN6hipcub16HIPCUB_304000_NS6detail34convert_binary_result_type_wrapperINS9_3SumENS9_22TransformInputIteratorIbN2at6native12_GLOBAL__N_19NonZeroOpIdEEPKdlEEiEEEE10hipError_tPvRmT1_T2_T3_mT4_P12ihipStream_tbEUlT_E0_NS1_11comp_targetILNS1_3genE9ELNS1_11target_archE1100ELNS1_3gpuE3ELNS1_3repE0EEENS1_30default_config_static_selectorELNS0_4arch9wavefront6targetE0EEEvSQ_.private_seg_size, 0
	.set _ZN7rocprim17ROCPRIM_400000_NS6detail17trampoline_kernelINS0_14default_configENS1_22reduce_config_selectorIiEEZNS1_11reduce_implILb1ES3_PiS7_iN6hipcub16HIPCUB_304000_NS6detail34convert_binary_result_type_wrapperINS9_3SumENS9_22TransformInputIteratorIbN2at6native12_GLOBAL__N_19NonZeroOpIdEEPKdlEEiEEEE10hipError_tPvRmT1_T2_T3_mT4_P12ihipStream_tbEUlT_E0_NS1_11comp_targetILNS1_3genE9ELNS1_11target_archE1100ELNS1_3gpuE3ELNS1_3repE0EEENS1_30default_config_static_selectorELNS0_4arch9wavefront6targetE0EEEvSQ_.uses_vcc, 0
	.set _ZN7rocprim17ROCPRIM_400000_NS6detail17trampoline_kernelINS0_14default_configENS1_22reduce_config_selectorIiEEZNS1_11reduce_implILb1ES3_PiS7_iN6hipcub16HIPCUB_304000_NS6detail34convert_binary_result_type_wrapperINS9_3SumENS9_22TransformInputIteratorIbN2at6native12_GLOBAL__N_19NonZeroOpIdEEPKdlEEiEEEE10hipError_tPvRmT1_T2_T3_mT4_P12ihipStream_tbEUlT_E0_NS1_11comp_targetILNS1_3genE9ELNS1_11target_archE1100ELNS1_3gpuE3ELNS1_3repE0EEENS1_30default_config_static_selectorELNS0_4arch9wavefront6targetE0EEEvSQ_.uses_flat_scratch, 0
	.set _ZN7rocprim17ROCPRIM_400000_NS6detail17trampoline_kernelINS0_14default_configENS1_22reduce_config_selectorIiEEZNS1_11reduce_implILb1ES3_PiS7_iN6hipcub16HIPCUB_304000_NS6detail34convert_binary_result_type_wrapperINS9_3SumENS9_22TransformInputIteratorIbN2at6native12_GLOBAL__N_19NonZeroOpIdEEPKdlEEiEEEE10hipError_tPvRmT1_T2_T3_mT4_P12ihipStream_tbEUlT_E0_NS1_11comp_targetILNS1_3genE9ELNS1_11target_archE1100ELNS1_3gpuE3ELNS1_3repE0EEENS1_30default_config_static_selectorELNS0_4arch9wavefront6targetE0EEEvSQ_.has_dyn_sized_stack, 0
	.set _ZN7rocprim17ROCPRIM_400000_NS6detail17trampoline_kernelINS0_14default_configENS1_22reduce_config_selectorIiEEZNS1_11reduce_implILb1ES3_PiS7_iN6hipcub16HIPCUB_304000_NS6detail34convert_binary_result_type_wrapperINS9_3SumENS9_22TransformInputIteratorIbN2at6native12_GLOBAL__N_19NonZeroOpIdEEPKdlEEiEEEE10hipError_tPvRmT1_T2_T3_mT4_P12ihipStream_tbEUlT_E0_NS1_11comp_targetILNS1_3genE9ELNS1_11target_archE1100ELNS1_3gpuE3ELNS1_3repE0EEENS1_30default_config_static_selectorELNS0_4arch9wavefront6targetE0EEEvSQ_.has_recursion, 0
	.set _ZN7rocprim17ROCPRIM_400000_NS6detail17trampoline_kernelINS0_14default_configENS1_22reduce_config_selectorIiEEZNS1_11reduce_implILb1ES3_PiS7_iN6hipcub16HIPCUB_304000_NS6detail34convert_binary_result_type_wrapperINS9_3SumENS9_22TransformInputIteratorIbN2at6native12_GLOBAL__N_19NonZeroOpIdEEPKdlEEiEEEE10hipError_tPvRmT1_T2_T3_mT4_P12ihipStream_tbEUlT_E0_NS1_11comp_targetILNS1_3genE9ELNS1_11target_archE1100ELNS1_3gpuE3ELNS1_3repE0EEENS1_30default_config_static_selectorELNS0_4arch9wavefront6targetE0EEEvSQ_.has_indirect_call, 0
	.section	.AMDGPU.csdata,"",@progbits
; Kernel info:
; codeLenInByte = 0
; TotalNumSgprs: 0
; NumVgprs: 0
; ScratchSize: 0
; MemoryBound: 0
; FloatMode: 240
; IeeeMode: 1
; LDSByteSize: 0 bytes/workgroup (compile time only)
; SGPRBlocks: 0
; VGPRBlocks: 0
; NumSGPRsForWavesPerEU: 1
; NumVGPRsForWavesPerEU: 1
; Occupancy: 16
; WaveLimiterHint : 0
; COMPUTE_PGM_RSRC2:SCRATCH_EN: 0
; COMPUTE_PGM_RSRC2:USER_SGPR: 2
; COMPUTE_PGM_RSRC2:TRAP_HANDLER: 0
; COMPUTE_PGM_RSRC2:TGID_X_EN: 1
; COMPUTE_PGM_RSRC2:TGID_Y_EN: 0
; COMPUTE_PGM_RSRC2:TGID_Z_EN: 0
; COMPUTE_PGM_RSRC2:TIDIG_COMP_CNT: 0
	.section	.text._ZN7rocprim17ROCPRIM_400000_NS6detail17trampoline_kernelINS0_14default_configENS1_22reduce_config_selectorIiEEZNS1_11reduce_implILb1ES3_PiS7_iN6hipcub16HIPCUB_304000_NS6detail34convert_binary_result_type_wrapperINS9_3SumENS9_22TransformInputIteratorIbN2at6native12_GLOBAL__N_19NonZeroOpIdEEPKdlEEiEEEE10hipError_tPvRmT1_T2_T3_mT4_P12ihipStream_tbEUlT_E0_NS1_11comp_targetILNS1_3genE8ELNS1_11target_archE1030ELNS1_3gpuE2ELNS1_3repE0EEENS1_30default_config_static_selectorELNS0_4arch9wavefront6targetE0EEEvSQ_,"axG",@progbits,_ZN7rocprim17ROCPRIM_400000_NS6detail17trampoline_kernelINS0_14default_configENS1_22reduce_config_selectorIiEEZNS1_11reduce_implILb1ES3_PiS7_iN6hipcub16HIPCUB_304000_NS6detail34convert_binary_result_type_wrapperINS9_3SumENS9_22TransformInputIteratorIbN2at6native12_GLOBAL__N_19NonZeroOpIdEEPKdlEEiEEEE10hipError_tPvRmT1_T2_T3_mT4_P12ihipStream_tbEUlT_E0_NS1_11comp_targetILNS1_3genE8ELNS1_11target_archE1030ELNS1_3gpuE2ELNS1_3repE0EEENS1_30default_config_static_selectorELNS0_4arch9wavefront6targetE0EEEvSQ_,comdat
	.globl	_ZN7rocprim17ROCPRIM_400000_NS6detail17trampoline_kernelINS0_14default_configENS1_22reduce_config_selectorIiEEZNS1_11reduce_implILb1ES3_PiS7_iN6hipcub16HIPCUB_304000_NS6detail34convert_binary_result_type_wrapperINS9_3SumENS9_22TransformInputIteratorIbN2at6native12_GLOBAL__N_19NonZeroOpIdEEPKdlEEiEEEE10hipError_tPvRmT1_T2_T3_mT4_P12ihipStream_tbEUlT_E0_NS1_11comp_targetILNS1_3genE8ELNS1_11target_archE1030ELNS1_3gpuE2ELNS1_3repE0EEENS1_30default_config_static_selectorELNS0_4arch9wavefront6targetE0EEEvSQ_ ; -- Begin function _ZN7rocprim17ROCPRIM_400000_NS6detail17trampoline_kernelINS0_14default_configENS1_22reduce_config_selectorIiEEZNS1_11reduce_implILb1ES3_PiS7_iN6hipcub16HIPCUB_304000_NS6detail34convert_binary_result_type_wrapperINS9_3SumENS9_22TransformInputIteratorIbN2at6native12_GLOBAL__N_19NonZeroOpIdEEPKdlEEiEEEE10hipError_tPvRmT1_T2_T3_mT4_P12ihipStream_tbEUlT_E0_NS1_11comp_targetILNS1_3genE8ELNS1_11target_archE1030ELNS1_3gpuE2ELNS1_3repE0EEENS1_30default_config_static_selectorELNS0_4arch9wavefront6targetE0EEEvSQ_
	.p2align	8
	.type	_ZN7rocprim17ROCPRIM_400000_NS6detail17trampoline_kernelINS0_14default_configENS1_22reduce_config_selectorIiEEZNS1_11reduce_implILb1ES3_PiS7_iN6hipcub16HIPCUB_304000_NS6detail34convert_binary_result_type_wrapperINS9_3SumENS9_22TransformInputIteratorIbN2at6native12_GLOBAL__N_19NonZeroOpIdEEPKdlEEiEEEE10hipError_tPvRmT1_T2_T3_mT4_P12ihipStream_tbEUlT_E0_NS1_11comp_targetILNS1_3genE8ELNS1_11target_archE1030ELNS1_3gpuE2ELNS1_3repE0EEENS1_30default_config_static_selectorELNS0_4arch9wavefront6targetE0EEEvSQ_,@function
_ZN7rocprim17ROCPRIM_400000_NS6detail17trampoline_kernelINS0_14default_configENS1_22reduce_config_selectorIiEEZNS1_11reduce_implILb1ES3_PiS7_iN6hipcub16HIPCUB_304000_NS6detail34convert_binary_result_type_wrapperINS9_3SumENS9_22TransformInputIteratorIbN2at6native12_GLOBAL__N_19NonZeroOpIdEEPKdlEEiEEEE10hipError_tPvRmT1_T2_T3_mT4_P12ihipStream_tbEUlT_E0_NS1_11comp_targetILNS1_3genE8ELNS1_11target_archE1030ELNS1_3gpuE2ELNS1_3repE0EEENS1_30default_config_static_selectorELNS0_4arch9wavefront6targetE0EEEvSQ_: ; @_ZN7rocprim17ROCPRIM_400000_NS6detail17trampoline_kernelINS0_14default_configENS1_22reduce_config_selectorIiEEZNS1_11reduce_implILb1ES3_PiS7_iN6hipcub16HIPCUB_304000_NS6detail34convert_binary_result_type_wrapperINS9_3SumENS9_22TransformInputIteratorIbN2at6native12_GLOBAL__N_19NonZeroOpIdEEPKdlEEiEEEE10hipError_tPvRmT1_T2_T3_mT4_P12ihipStream_tbEUlT_E0_NS1_11comp_targetILNS1_3genE8ELNS1_11target_archE1030ELNS1_3gpuE2ELNS1_3repE0EEENS1_30default_config_static_selectorELNS0_4arch9wavefront6targetE0EEEvSQ_
; %bb.0:
	.section	.rodata,"a",@progbits
	.p2align	6, 0x0
	.amdhsa_kernel _ZN7rocprim17ROCPRIM_400000_NS6detail17trampoline_kernelINS0_14default_configENS1_22reduce_config_selectorIiEEZNS1_11reduce_implILb1ES3_PiS7_iN6hipcub16HIPCUB_304000_NS6detail34convert_binary_result_type_wrapperINS9_3SumENS9_22TransformInputIteratorIbN2at6native12_GLOBAL__N_19NonZeroOpIdEEPKdlEEiEEEE10hipError_tPvRmT1_T2_T3_mT4_P12ihipStream_tbEUlT_E0_NS1_11comp_targetILNS1_3genE8ELNS1_11target_archE1030ELNS1_3gpuE2ELNS1_3repE0EEENS1_30default_config_static_selectorELNS0_4arch9wavefront6targetE0EEEvSQ_
		.amdhsa_group_segment_fixed_size 0
		.amdhsa_private_segment_fixed_size 0
		.amdhsa_kernarg_size 56
		.amdhsa_user_sgpr_count 2
		.amdhsa_user_sgpr_dispatch_ptr 0
		.amdhsa_user_sgpr_queue_ptr 0
		.amdhsa_user_sgpr_kernarg_segment_ptr 1
		.amdhsa_user_sgpr_dispatch_id 0
		.amdhsa_user_sgpr_private_segment_size 0
		.amdhsa_wavefront_size32 1
		.amdhsa_uses_dynamic_stack 0
		.amdhsa_enable_private_segment 0
		.amdhsa_system_sgpr_workgroup_id_x 1
		.amdhsa_system_sgpr_workgroup_id_y 0
		.amdhsa_system_sgpr_workgroup_id_z 0
		.amdhsa_system_sgpr_workgroup_info 0
		.amdhsa_system_vgpr_workitem_id 0
		.amdhsa_next_free_vgpr 1
		.amdhsa_next_free_sgpr 1
		.amdhsa_reserve_vcc 0
		.amdhsa_float_round_mode_32 0
		.amdhsa_float_round_mode_16_64 0
		.amdhsa_float_denorm_mode_32 3
		.amdhsa_float_denorm_mode_16_64 3
		.amdhsa_fp16_overflow 0
		.amdhsa_workgroup_processor_mode 1
		.amdhsa_memory_ordered 1
		.amdhsa_forward_progress 1
		.amdhsa_inst_pref_size 0
		.amdhsa_round_robin_scheduling 0
		.amdhsa_exception_fp_ieee_invalid_op 0
		.amdhsa_exception_fp_denorm_src 0
		.amdhsa_exception_fp_ieee_div_zero 0
		.amdhsa_exception_fp_ieee_overflow 0
		.amdhsa_exception_fp_ieee_underflow 0
		.amdhsa_exception_fp_ieee_inexact 0
		.amdhsa_exception_int_div_zero 0
	.end_amdhsa_kernel
	.section	.text._ZN7rocprim17ROCPRIM_400000_NS6detail17trampoline_kernelINS0_14default_configENS1_22reduce_config_selectorIiEEZNS1_11reduce_implILb1ES3_PiS7_iN6hipcub16HIPCUB_304000_NS6detail34convert_binary_result_type_wrapperINS9_3SumENS9_22TransformInputIteratorIbN2at6native12_GLOBAL__N_19NonZeroOpIdEEPKdlEEiEEEE10hipError_tPvRmT1_T2_T3_mT4_P12ihipStream_tbEUlT_E0_NS1_11comp_targetILNS1_3genE8ELNS1_11target_archE1030ELNS1_3gpuE2ELNS1_3repE0EEENS1_30default_config_static_selectorELNS0_4arch9wavefront6targetE0EEEvSQ_,"axG",@progbits,_ZN7rocprim17ROCPRIM_400000_NS6detail17trampoline_kernelINS0_14default_configENS1_22reduce_config_selectorIiEEZNS1_11reduce_implILb1ES3_PiS7_iN6hipcub16HIPCUB_304000_NS6detail34convert_binary_result_type_wrapperINS9_3SumENS9_22TransformInputIteratorIbN2at6native12_GLOBAL__N_19NonZeroOpIdEEPKdlEEiEEEE10hipError_tPvRmT1_T2_T3_mT4_P12ihipStream_tbEUlT_E0_NS1_11comp_targetILNS1_3genE8ELNS1_11target_archE1030ELNS1_3gpuE2ELNS1_3repE0EEENS1_30default_config_static_selectorELNS0_4arch9wavefront6targetE0EEEvSQ_,comdat
.Lfunc_end362:
	.size	_ZN7rocprim17ROCPRIM_400000_NS6detail17trampoline_kernelINS0_14default_configENS1_22reduce_config_selectorIiEEZNS1_11reduce_implILb1ES3_PiS7_iN6hipcub16HIPCUB_304000_NS6detail34convert_binary_result_type_wrapperINS9_3SumENS9_22TransformInputIteratorIbN2at6native12_GLOBAL__N_19NonZeroOpIdEEPKdlEEiEEEE10hipError_tPvRmT1_T2_T3_mT4_P12ihipStream_tbEUlT_E0_NS1_11comp_targetILNS1_3genE8ELNS1_11target_archE1030ELNS1_3gpuE2ELNS1_3repE0EEENS1_30default_config_static_selectorELNS0_4arch9wavefront6targetE0EEEvSQ_, .Lfunc_end362-_ZN7rocprim17ROCPRIM_400000_NS6detail17trampoline_kernelINS0_14default_configENS1_22reduce_config_selectorIiEEZNS1_11reduce_implILb1ES3_PiS7_iN6hipcub16HIPCUB_304000_NS6detail34convert_binary_result_type_wrapperINS9_3SumENS9_22TransformInputIteratorIbN2at6native12_GLOBAL__N_19NonZeroOpIdEEPKdlEEiEEEE10hipError_tPvRmT1_T2_T3_mT4_P12ihipStream_tbEUlT_E0_NS1_11comp_targetILNS1_3genE8ELNS1_11target_archE1030ELNS1_3gpuE2ELNS1_3repE0EEENS1_30default_config_static_selectorELNS0_4arch9wavefront6targetE0EEEvSQ_
                                        ; -- End function
	.set _ZN7rocprim17ROCPRIM_400000_NS6detail17trampoline_kernelINS0_14default_configENS1_22reduce_config_selectorIiEEZNS1_11reduce_implILb1ES3_PiS7_iN6hipcub16HIPCUB_304000_NS6detail34convert_binary_result_type_wrapperINS9_3SumENS9_22TransformInputIteratorIbN2at6native12_GLOBAL__N_19NonZeroOpIdEEPKdlEEiEEEE10hipError_tPvRmT1_T2_T3_mT4_P12ihipStream_tbEUlT_E0_NS1_11comp_targetILNS1_3genE8ELNS1_11target_archE1030ELNS1_3gpuE2ELNS1_3repE0EEENS1_30default_config_static_selectorELNS0_4arch9wavefront6targetE0EEEvSQ_.num_vgpr, 0
	.set _ZN7rocprim17ROCPRIM_400000_NS6detail17trampoline_kernelINS0_14default_configENS1_22reduce_config_selectorIiEEZNS1_11reduce_implILb1ES3_PiS7_iN6hipcub16HIPCUB_304000_NS6detail34convert_binary_result_type_wrapperINS9_3SumENS9_22TransformInputIteratorIbN2at6native12_GLOBAL__N_19NonZeroOpIdEEPKdlEEiEEEE10hipError_tPvRmT1_T2_T3_mT4_P12ihipStream_tbEUlT_E0_NS1_11comp_targetILNS1_3genE8ELNS1_11target_archE1030ELNS1_3gpuE2ELNS1_3repE0EEENS1_30default_config_static_selectorELNS0_4arch9wavefront6targetE0EEEvSQ_.num_agpr, 0
	.set _ZN7rocprim17ROCPRIM_400000_NS6detail17trampoline_kernelINS0_14default_configENS1_22reduce_config_selectorIiEEZNS1_11reduce_implILb1ES3_PiS7_iN6hipcub16HIPCUB_304000_NS6detail34convert_binary_result_type_wrapperINS9_3SumENS9_22TransformInputIteratorIbN2at6native12_GLOBAL__N_19NonZeroOpIdEEPKdlEEiEEEE10hipError_tPvRmT1_T2_T3_mT4_P12ihipStream_tbEUlT_E0_NS1_11comp_targetILNS1_3genE8ELNS1_11target_archE1030ELNS1_3gpuE2ELNS1_3repE0EEENS1_30default_config_static_selectorELNS0_4arch9wavefront6targetE0EEEvSQ_.numbered_sgpr, 0
	.set _ZN7rocprim17ROCPRIM_400000_NS6detail17trampoline_kernelINS0_14default_configENS1_22reduce_config_selectorIiEEZNS1_11reduce_implILb1ES3_PiS7_iN6hipcub16HIPCUB_304000_NS6detail34convert_binary_result_type_wrapperINS9_3SumENS9_22TransformInputIteratorIbN2at6native12_GLOBAL__N_19NonZeroOpIdEEPKdlEEiEEEE10hipError_tPvRmT1_T2_T3_mT4_P12ihipStream_tbEUlT_E0_NS1_11comp_targetILNS1_3genE8ELNS1_11target_archE1030ELNS1_3gpuE2ELNS1_3repE0EEENS1_30default_config_static_selectorELNS0_4arch9wavefront6targetE0EEEvSQ_.num_named_barrier, 0
	.set _ZN7rocprim17ROCPRIM_400000_NS6detail17trampoline_kernelINS0_14default_configENS1_22reduce_config_selectorIiEEZNS1_11reduce_implILb1ES3_PiS7_iN6hipcub16HIPCUB_304000_NS6detail34convert_binary_result_type_wrapperINS9_3SumENS9_22TransformInputIteratorIbN2at6native12_GLOBAL__N_19NonZeroOpIdEEPKdlEEiEEEE10hipError_tPvRmT1_T2_T3_mT4_P12ihipStream_tbEUlT_E0_NS1_11comp_targetILNS1_3genE8ELNS1_11target_archE1030ELNS1_3gpuE2ELNS1_3repE0EEENS1_30default_config_static_selectorELNS0_4arch9wavefront6targetE0EEEvSQ_.private_seg_size, 0
	.set _ZN7rocprim17ROCPRIM_400000_NS6detail17trampoline_kernelINS0_14default_configENS1_22reduce_config_selectorIiEEZNS1_11reduce_implILb1ES3_PiS7_iN6hipcub16HIPCUB_304000_NS6detail34convert_binary_result_type_wrapperINS9_3SumENS9_22TransformInputIteratorIbN2at6native12_GLOBAL__N_19NonZeroOpIdEEPKdlEEiEEEE10hipError_tPvRmT1_T2_T3_mT4_P12ihipStream_tbEUlT_E0_NS1_11comp_targetILNS1_3genE8ELNS1_11target_archE1030ELNS1_3gpuE2ELNS1_3repE0EEENS1_30default_config_static_selectorELNS0_4arch9wavefront6targetE0EEEvSQ_.uses_vcc, 0
	.set _ZN7rocprim17ROCPRIM_400000_NS6detail17trampoline_kernelINS0_14default_configENS1_22reduce_config_selectorIiEEZNS1_11reduce_implILb1ES3_PiS7_iN6hipcub16HIPCUB_304000_NS6detail34convert_binary_result_type_wrapperINS9_3SumENS9_22TransformInputIteratorIbN2at6native12_GLOBAL__N_19NonZeroOpIdEEPKdlEEiEEEE10hipError_tPvRmT1_T2_T3_mT4_P12ihipStream_tbEUlT_E0_NS1_11comp_targetILNS1_3genE8ELNS1_11target_archE1030ELNS1_3gpuE2ELNS1_3repE0EEENS1_30default_config_static_selectorELNS0_4arch9wavefront6targetE0EEEvSQ_.uses_flat_scratch, 0
	.set _ZN7rocprim17ROCPRIM_400000_NS6detail17trampoline_kernelINS0_14default_configENS1_22reduce_config_selectorIiEEZNS1_11reduce_implILb1ES3_PiS7_iN6hipcub16HIPCUB_304000_NS6detail34convert_binary_result_type_wrapperINS9_3SumENS9_22TransformInputIteratorIbN2at6native12_GLOBAL__N_19NonZeroOpIdEEPKdlEEiEEEE10hipError_tPvRmT1_T2_T3_mT4_P12ihipStream_tbEUlT_E0_NS1_11comp_targetILNS1_3genE8ELNS1_11target_archE1030ELNS1_3gpuE2ELNS1_3repE0EEENS1_30default_config_static_selectorELNS0_4arch9wavefront6targetE0EEEvSQ_.has_dyn_sized_stack, 0
	.set _ZN7rocprim17ROCPRIM_400000_NS6detail17trampoline_kernelINS0_14default_configENS1_22reduce_config_selectorIiEEZNS1_11reduce_implILb1ES3_PiS7_iN6hipcub16HIPCUB_304000_NS6detail34convert_binary_result_type_wrapperINS9_3SumENS9_22TransformInputIteratorIbN2at6native12_GLOBAL__N_19NonZeroOpIdEEPKdlEEiEEEE10hipError_tPvRmT1_T2_T3_mT4_P12ihipStream_tbEUlT_E0_NS1_11comp_targetILNS1_3genE8ELNS1_11target_archE1030ELNS1_3gpuE2ELNS1_3repE0EEENS1_30default_config_static_selectorELNS0_4arch9wavefront6targetE0EEEvSQ_.has_recursion, 0
	.set _ZN7rocprim17ROCPRIM_400000_NS6detail17trampoline_kernelINS0_14default_configENS1_22reduce_config_selectorIiEEZNS1_11reduce_implILb1ES3_PiS7_iN6hipcub16HIPCUB_304000_NS6detail34convert_binary_result_type_wrapperINS9_3SumENS9_22TransformInputIteratorIbN2at6native12_GLOBAL__N_19NonZeroOpIdEEPKdlEEiEEEE10hipError_tPvRmT1_T2_T3_mT4_P12ihipStream_tbEUlT_E0_NS1_11comp_targetILNS1_3genE8ELNS1_11target_archE1030ELNS1_3gpuE2ELNS1_3repE0EEENS1_30default_config_static_selectorELNS0_4arch9wavefront6targetE0EEEvSQ_.has_indirect_call, 0
	.section	.AMDGPU.csdata,"",@progbits
; Kernel info:
; codeLenInByte = 0
; TotalNumSgprs: 0
; NumVgprs: 0
; ScratchSize: 0
; MemoryBound: 0
; FloatMode: 240
; IeeeMode: 1
; LDSByteSize: 0 bytes/workgroup (compile time only)
; SGPRBlocks: 0
; VGPRBlocks: 0
; NumSGPRsForWavesPerEU: 1
; NumVGPRsForWavesPerEU: 1
; Occupancy: 16
; WaveLimiterHint : 0
; COMPUTE_PGM_RSRC2:SCRATCH_EN: 0
; COMPUTE_PGM_RSRC2:USER_SGPR: 2
; COMPUTE_PGM_RSRC2:TRAP_HANDLER: 0
; COMPUTE_PGM_RSRC2:TGID_X_EN: 1
; COMPUTE_PGM_RSRC2:TGID_Y_EN: 0
; COMPUTE_PGM_RSRC2:TGID_Z_EN: 0
; COMPUTE_PGM_RSRC2:TIDIG_COMP_CNT: 0
	.section	.text._ZN7rocprim17ROCPRIM_400000_NS6detail17trampoline_kernelINS0_14default_configENS1_22reduce_config_selectorIiEEZNS1_11reduce_implILb1ES3_PiS7_iN6hipcub16HIPCUB_304000_NS6detail34convert_binary_result_type_wrapperINS9_3SumENS9_22TransformInputIteratorIbN2at6native12_GLOBAL__N_19NonZeroOpIdEEPKdlEEiEEEE10hipError_tPvRmT1_T2_T3_mT4_P12ihipStream_tbEUlT_E1_NS1_11comp_targetILNS1_3genE0ELNS1_11target_archE4294967295ELNS1_3gpuE0ELNS1_3repE0EEENS1_30default_config_static_selectorELNS0_4arch9wavefront6targetE0EEEvSQ_,"axG",@progbits,_ZN7rocprim17ROCPRIM_400000_NS6detail17trampoline_kernelINS0_14default_configENS1_22reduce_config_selectorIiEEZNS1_11reduce_implILb1ES3_PiS7_iN6hipcub16HIPCUB_304000_NS6detail34convert_binary_result_type_wrapperINS9_3SumENS9_22TransformInputIteratorIbN2at6native12_GLOBAL__N_19NonZeroOpIdEEPKdlEEiEEEE10hipError_tPvRmT1_T2_T3_mT4_P12ihipStream_tbEUlT_E1_NS1_11comp_targetILNS1_3genE0ELNS1_11target_archE4294967295ELNS1_3gpuE0ELNS1_3repE0EEENS1_30default_config_static_selectorELNS0_4arch9wavefront6targetE0EEEvSQ_,comdat
	.globl	_ZN7rocprim17ROCPRIM_400000_NS6detail17trampoline_kernelINS0_14default_configENS1_22reduce_config_selectorIiEEZNS1_11reduce_implILb1ES3_PiS7_iN6hipcub16HIPCUB_304000_NS6detail34convert_binary_result_type_wrapperINS9_3SumENS9_22TransformInputIteratorIbN2at6native12_GLOBAL__N_19NonZeroOpIdEEPKdlEEiEEEE10hipError_tPvRmT1_T2_T3_mT4_P12ihipStream_tbEUlT_E1_NS1_11comp_targetILNS1_3genE0ELNS1_11target_archE4294967295ELNS1_3gpuE0ELNS1_3repE0EEENS1_30default_config_static_selectorELNS0_4arch9wavefront6targetE0EEEvSQ_ ; -- Begin function _ZN7rocprim17ROCPRIM_400000_NS6detail17trampoline_kernelINS0_14default_configENS1_22reduce_config_selectorIiEEZNS1_11reduce_implILb1ES3_PiS7_iN6hipcub16HIPCUB_304000_NS6detail34convert_binary_result_type_wrapperINS9_3SumENS9_22TransformInputIteratorIbN2at6native12_GLOBAL__N_19NonZeroOpIdEEPKdlEEiEEEE10hipError_tPvRmT1_T2_T3_mT4_P12ihipStream_tbEUlT_E1_NS1_11comp_targetILNS1_3genE0ELNS1_11target_archE4294967295ELNS1_3gpuE0ELNS1_3repE0EEENS1_30default_config_static_selectorELNS0_4arch9wavefront6targetE0EEEvSQ_
	.p2align	8
	.type	_ZN7rocprim17ROCPRIM_400000_NS6detail17trampoline_kernelINS0_14default_configENS1_22reduce_config_selectorIiEEZNS1_11reduce_implILb1ES3_PiS7_iN6hipcub16HIPCUB_304000_NS6detail34convert_binary_result_type_wrapperINS9_3SumENS9_22TransformInputIteratorIbN2at6native12_GLOBAL__N_19NonZeroOpIdEEPKdlEEiEEEE10hipError_tPvRmT1_T2_T3_mT4_P12ihipStream_tbEUlT_E1_NS1_11comp_targetILNS1_3genE0ELNS1_11target_archE4294967295ELNS1_3gpuE0ELNS1_3repE0EEENS1_30default_config_static_selectorELNS0_4arch9wavefront6targetE0EEEvSQ_,@function
_ZN7rocprim17ROCPRIM_400000_NS6detail17trampoline_kernelINS0_14default_configENS1_22reduce_config_selectorIiEEZNS1_11reduce_implILb1ES3_PiS7_iN6hipcub16HIPCUB_304000_NS6detail34convert_binary_result_type_wrapperINS9_3SumENS9_22TransformInputIteratorIbN2at6native12_GLOBAL__N_19NonZeroOpIdEEPKdlEEiEEEE10hipError_tPvRmT1_T2_T3_mT4_P12ihipStream_tbEUlT_E1_NS1_11comp_targetILNS1_3genE0ELNS1_11target_archE4294967295ELNS1_3gpuE0ELNS1_3repE0EEENS1_30default_config_static_selectorELNS0_4arch9wavefront6targetE0EEEvSQ_: ; @_ZN7rocprim17ROCPRIM_400000_NS6detail17trampoline_kernelINS0_14default_configENS1_22reduce_config_selectorIiEEZNS1_11reduce_implILb1ES3_PiS7_iN6hipcub16HIPCUB_304000_NS6detail34convert_binary_result_type_wrapperINS9_3SumENS9_22TransformInputIteratorIbN2at6native12_GLOBAL__N_19NonZeroOpIdEEPKdlEEiEEEE10hipError_tPvRmT1_T2_T3_mT4_P12ihipStream_tbEUlT_E1_NS1_11comp_targetILNS1_3genE0ELNS1_11target_archE4294967295ELNS1_3gpuE0ELNS1_3repE0EEENS1_30default_config_static_selectorELNS0_4arch9wavefront6targetE0EEEvSQ_
; %bb.0:
	.section	.rodata,"a",@progbits
	.p2align	6, 0x0
	.amdhsa_kernel _ZN7rocprim17ROCPRIM_400000_NS6detail17trampoline_kernelINS0_14default_configENS1_22reduce_config_selectorIiEEZNS1_11reduce_implILb1ES3_PiS7_iN6hipcub16HIPCUB_304000_NS6detail34convert_binary_result_type_wrapperINS9_3SumENS9_22TransformInputIteratorIbN2at6native12_GLOBAL__N_19NonZeroOpIdEEPKdlEEiEEEE10hipError_tPvRmT1_T2_T3_mT4_P12ihipStream_tbEUlT_E1_NS1_11comp_targetILNS1_3genE0ELNS1_11target_archE4294967295ELNS1_3gpuE0ELNS1_3repE0EEENS1_30default_config_static_selectorELNS0_4arch9wavefront6targetE0EEEvSQ_
		.amdhsa_group_segment_fixed_size 0
		.amdhsa_private_segment_fixed_size 0
		.amdhsa_kernarg_size 40
		.amdhsa_user_sgpr_count 2
		.amdhsa_user_sgpr_dispatch_ptr 0
		.amdhsa_user_sgpr_queue_ptr 0
		.amdhsa_user_sgpr_kernarg_segment_ptr 1
		.amdhsa_user_sgpr_dispatch_id 0
		.amdhsa_user_sgpr_private_segment_size 0
		.amdhsa_wavefront_size32 1
		.amdhsa_uses_dynamic_stack 0
		.amdhsa_enable_private_segment 0
		.amdhsa_system_sgpr_workgroup_id_x 1
		.amdhsa_system_sgpr_workgroup_id_y 0
		.amdhsa_system_sgpr_workgroup_id_z 0
		.amdhsa_system_sgpr_workgroup_info 0
		.amdhsa_system_vgpr_workitem_id 0
		.amdhsa_next_free_vgpr 1
		.amdhsa_next_free_sgpr 1
		.amdhsa_reserve_vcc 0
		.amdhsa_float_round_mode_32 0
		.amdhsa_float_round_mode_16_64 0
		.amdhsa_float_denorm_mode_32 3
		.amdhsa_float_denorm_mode_16_64 3
		.amdhsa_fp16_overflow 0
		.amdhsa_workgroup_processor_mode 1
		.amdhsa_memory_ordered 1
		.amdhsa_forward_progress 1
		.amdhsa_inst_pref_size 0
		.amdhsa_round_robin_scheduling 0
		.amdhsa_exception_fp_ieee_invalid_op 0
		.amdhsa_exception_fp_denorm_src 0
		.amdhsa_exception_fp_ieee_div_zero 0
		.amdhsa_exception_fp_ieee_overflow 0
		.amdhsa_exception_fp_ieee_underflow 0
		.amdhsa_exception_fp_ieee_inexact 0
		.amdhsa_exception_int_div_zero 0
	.end_amdhsa_kernel
	.section	.text._ZN7rocprim17ROCPRIM_400000_NS6detail17trampoline_kernelINS0_14default_configENS1_22reduce_config_selectorIiEEZNS1_11reduce_implILb1ES3_PiS7_iN6hipcub16HIPCUB_304000_NS6detail34convert_binary_result_type_wrapperINS9_3SumENS9_22TransformInputIteratorIbN2at6native12_GLOBAL__N_19NonZeroOpIdEEPKdlEEiEEEE10hipError_tPvRmT1_T2_T3_mT4_P12ihipStream_tbEUlT_E1_NS1_11comp_targetILNS1_3genE0ELNS1_11target_archE4294967295ELNS1_3gpuE0ELNS1_3repE0EEENS1_30default_config_static_selectorELNS0_4arch9wavefront6targetE0EEEvSQ_,"axG",@progbits,_ZN7rocprim17ROCPRIM_400000_NS6detail17trampoline_kernelINS0_14default_configENS1_22reduce_config_selectorIiEEZNS1_11reduce_implILb1ES3_PiS7_iN6hipcub16HIPCUB_304000_NS6detail34convert_binary_result_type_wrapperINS9_3SumENS9_22TransformInputIteratorIbN2at6native12_GLOBAL__N_19NonZeroOpIdEEPKdlEEiEEEE10hipError_tPvRmT1_T2_T3_mT4_P12ihipStream_tbEUlT_E1_NS1_11comp_targetILNS1_3genE0ELNS1_11target_archE4294967295ELNS1_3gpuE0ELNS1_3repE0EEENS1_30default_config_static_selectorELNS0_4arch9wavefront6targetE0EEEvSQ_,comdat
.Lfunc_end363:
	.size	_ZN7rocprim17ROCPRIM_400000_NS6detail17trampoline_kernelINS0_14default_configENS1_22reduce_config_selectorIiEEZNS1_11reduce_implILb1ES3_PiS7_iN6hipcub16HIPCUB_304000_NS6detail34convert_binary_result_type_wrapperINS9_3SumENS9_22TransformInputIteratorIbN2at6native12_GLOBAL__N_19NonZeroOpIdEEPKdlEEiEEEE10hipError_tPvRmT1_T2_T3_mT4_P12ihipStream_tbEUlT_E1_NS1_11comp_targetILNS1_3genE0ELNS1_11target_archE4294967295ELNS1_3gpuE0ELNS1_3repE0EEENS1_30default_config_static_selectorELNS0_4arch9wavefront6targetE0EEEvSQ_, .Lfunc_end363-_ZN7rocprim17ROCPRIM_400000_NS6detail17trampoline_kernelINS0_14default_configENS1_22reduce_config_selectorIiEEZNS1_11reduce_implILb1ES3_PiS7_iN6hipcub16HIPCUB_304000_NS6detail34convert_binary_result_type_wrapperINS9_3SumENS9_22TransformInputIteratorIbN2at6native12_GLOBAL__N_19NonZeroOpIdEEPKdlEEiEEEE10hipError_tPvRmT1_T2_T3_mT4_P12ihipStream_tbEUlT_E1_NS1_11comp_targetILNS1_3genE0ELNS1_11target_archE4294967295ELNS1_3gpuE0ELNS1_3repE0EEENS1_30default_config_static_selectorELNS0_4arch9wavefront6targetE0EEEvSQ_
                                        ; -- End function
	.set _ZN7rocprim17ROCPRIM_400000_NS6detail17trampoline_kernelINS0_14default_configENS1_22reduce_config_selectorIiEEZNS1_11reduce_implILb1ES3_PiS7_iN6hipcub16HIPCUB_304000_NS6detail34convert_binary_result_type_wrapperINS9_3SumENS9_22TransformInputIteratorIbN2at6native12_GLOBAL__N_19NonZeroOpIdEEPKdlEEiEEEE10hipError_tPvRmT1_T2_T3_mT4_P12ihipStream_tbEUlT_E1_NS1_11comp_targetILNS1_3genE0ELNS1_11target_archE4294967295ELNS1_3gpuE0ELNS1_3repE0EEENS1_30default_config_static_selectorELNS0_4arch9wavefront6targetE0EEEvSQ_.num_vgpr, 0
	.set _ZN7rocprim17ROCPRIM_400000_NS6detail17trampoline_kernelINS0_14default_configENS1_22reduce_config_selectorIiEEZNS1_11reduce_implILb1ES3_PiS7_iN6hipcub16HIPCUB_304000_NS6detail34convert_binary_result_type_wrapperINS9_3SumENS9_22TransformInputIteratorIbN2at6native12_GLOBAL__N_19NonZeroOpIdEEPKdlEEiEEEE10hipError_tPvRmT1_T2_T3_mT4_P12ihipStream_tbEUlT_E1_NS1_11comp_targetILNS1_3genE0ELNS1_11target_archE4294967295ELNS1_3gpuE0ELNS1_3repE0EEENS1_30default_config_static_selectorELNS0_4arch9wavefront6targetE0EEEvSQ_.num_agpr, 0
	.set _ZN7rocprim17ROCPRIM_400000_NS6detail17trampoline_kernelINS0_14default_configENS1_22reduce_config_selectorIiEEZNS1_11reduce_implILb1ES3_PiS7_iN6hipcub16HIPCUB_304000_NS6detail34convert_binary_result_type_wrapperINS9_3SumENS9_22TransformInputIteratorIbN2at6native12_GLOBAL__N_19NonZeroOpIdEEPKdlEEiEEEE10hipError_tPvRmT1_T2_T3_mT4_P12ihipStream_tbEUlT_E1_NS1_11comp_targetILNS1_3genE0ELNS1_11target_archE4294967295ELNS1_3gpuE0ELNS1_3repE0EEENS1_30default_config_static_selectorELNS0_4arch9wavefront6targetE0EEEvSQ_.numbered_sgpr, 0
	.set _ZN7rocprim17ROCPRIM_400000_NS6detail17trampoline_kernelINS0_14default_configENS1_22reduce_config_selectorIiEEZNS1_11reduce_implILb1ES3_PiS7_iN6hipcub16HIPCUB_304000_NS6detail34convert_binary_result_type_wrapperINS9_3SumENS9_22TransformInputIteratorIbN2at6native12_GLOBAL__N_19NonZeroOpIdEEPKdlEEiEEEE10hipError_tPvRmT1_T2_T3_mT4_P12ihipStream_tbEUlT_E1_NS1_11comp_targetILNS1_3genE0ELNS1_11target_archE4294967295ELNS1_3gpuE0ELNS1_3repE0EEENS1_30default_config_static_selectorELNS0_4arch9wavefront6targetE0EEEvSQ_.num_named_barrier, 0
	.set _ZN7rocprim17ROCPRIM_400000_NS6detail17trampoline_kernelINS0_14default_configENS1_22reduce_config_selectorIiEEZNS1_11reduce_implILb1ES3_PiS7_iN6hipcub16HIPCUB_304000_NS6detail34convert_binary_result_type_wrapperINS9_3SumENS9_22TransformInputIteratorIbN2at6native12_GLOBAL__N_19NonZeroOpIdEEPKdlEEiEEEE10hipError_tPvRmT1_T2_T3_mT4_P12ihipStream_tbEUlT_E1_NS1_11comp_targetILNS1_3genE0ELNS1_11target_archE4294967295ELNS1_3gpuE0ELNS1_3repE0EEENS1_30default_config_static_selectorELNS0_4arch9wavefront6targetE0EEEvSQ_.private_seg_size, 0
	.set _ZN7rocprim17ROCPRIM_400000_NS6detail17trampoline_kernelINS0_14default_configENS1_22reduce_config_selectorIiEEZNS1_11reduce_implILb1ES3_PiS7_iN6hipcub16HIPCUB_304000_NS6detail34convert_binary_result_type_wrapperINS9_3SumENS9_22TransformInputIteratorIbN2at6native12_GLOBAL__N_19NonZeroOpIdEEPKdlEEiEEEE10hipError_tPvRmT1_T2_T3_mT4_P12ihipStream_tbEUlT_E1_NS1_11comp_targetILNS1_3genE0ELNS1_11target_archE4294967295ELNS1_3gpuE0ELNS1_3repE0EEENS1_30default_config_static_selectorELNS0_4arch9wavefront6targetE0EEEvSQ_.uses_vcc, 0
	.set _ZN7rocprim17ROCPRIM_400000_NS6detail17trampoline_kernelINS0_14default_configENS1_22reduce_config_selectorIiEEZNS1_11reduce_implILb1ES3_PiS7_iN6hipcub16HIPCUB_304000_NS6detail34convert_binary_result_type_wrapperINS9_3SumENS9_22TransformInputIteratorIbN2at6native12_GLOBAL__N_19NonZeroOpIdEEPKdlEEiEEEE10hipError_tPvRmT1_T2_T3_mT4_P12ihipStream_tbEUlT_E1_NS1_11comp_targetILNS1_3genE0ELNS1_11target_archE4294967295ELNS1_3gpuE0ELNS1_3repE0EEENS1_30default_config_static_selectorELNS0_4arch9wavefront6targetE0EEEvSQ_.uses_flat_scratch, 0
	.set _ZN7rocprim17ROCPRIM_400000_NS6detail17trampoline_kernelINS0_14default_configENS1_22reduce_config_selectorIiEEZNS1_11reduce_implILb1ES3_PiS7_iN6hipcub16HIPCUB_304000_NS6detail34convert_binary_result_type_wrapperINS9_3SumENS9_22TransformInputIteratorIbN2at6native12_GLOBAL__N_19NonZeroOpIdEEPKdlEEiEEEE10hipError_tPvRmT1_T2_T3_mT4_P12ihipStream_tbEUlT_E1_NS1_11comp_targetILNS1_3genE0ELNS1_11target_archE4294967295ELNS1_3gpuE0ELNS1_3repE0EEENS1_30default_config_static_selectorELNS0_4arch9wavefront6targetE0EEEvSQ_.has_dyn_sized_stack, 0
	.set _ZN7rocprim17ROCPRIM_400000_NS6detail17trampoline_kernelINS0_14default_configENS1_22reduce_config_selectorIiEEZNS1_11reduce_implILb1ES3_PiS7_iN6hipcub16HIPCUB_304000_NS6detail34convert_binary_result_type_wrapperINS9_3SumENS9_22TransformInputIteratorIbN2at6native12_GLOBAL__N_19NonZeroOpIdEEPKdlEEiEEEE10hipError_tPvRmT1_T2_T3_mT4_P12ihipStream_tbEUlT_E1_NS1_11comp_targetILNS1_3genE0ELNS1_11target_archE4294967295ELNS1_3gpuE0ELNS1_3repE0EEENS1_30default_config_static_selectorELNS0_4arch9wavefront6targetE0EEEvSQ_.has_recursion, 0
	.set _ZN7rocprim17ROCPRIM_400000_NS6detail17trampoline_kernelINS0_14default_configENS1_22reduce_config_selectorIiEEZNS1_11reduce_implILb1ES3_PiS7_iN6hipcub16HIPCUB_304000_NS6detail34convert_binary_result_type_wrapperINS9_3SumENS9_22TransformInputIteratorIbN2at6native12_GLOBAL__N_19NonZeroOpIdEEPKdlEEiEEEE10hipError_tPvRmT1_T2_T3_mT4_P12ihipStream_tbEUlT_E1_NS1_11comp_targetILNS1_3genE0ELNS1_11target_archE4294967295ELNS1_3gpuE0ELNS1_3repE0EEENS1_30default_config_static_selectorELNS0_4arch9wavefront6targetE0EEEvSQ_.has_indirect_call, 0
	.section	.AMDGPU.csdata,"",@progbits
; Kernel info:
; codeLenInByte = 0
; TotalNumSgprs: 0
; NumVgprs: 0
; ScratchSize: 0
; MemoryBound: 0
; FloatMode: 240
; IeeeMode: 1
; LDSByteSize: 0 bytes/workgroup (compile time only)
; SGPRBlocks: 0
; VGPRBlocks: 0
; NumSGPRsForWavesPerEU: 1
; NumVGPRsForWavesPerEU: 1
; Occupancy: 16
; WaveLimiterHint : 0
; COMPUTE_PGM_RSRC2:SCRATCH_EN: 0
; COMPUTE_PGM_RSRC2:USER_SGPR: 2
; COMPUTE_PGM_RSRC2:TRAP_HANDLER: 0
; COMPUTE_PGM_RSRC2:TGID_X_EN: 1
; COMPUTE_PGM_RSRC2:TGID_Y_EN: 0
; COMPUTE_PGM_RSRC2:TGID_Z_EN: 0
; COMPUTE_PGM_RSRC2:TIDIG_COMP_CNT: 0
	.section	.text._ZN7rocprim17ROCPRIM_400000_NS6detail17trampoline_kernelINS0_14default_configENS1_22reduce_config_selectorIiEEZNS1_11reduce_implILb1ES3_PiS7_iN6hipcub16HIPCUB_304000_NS6detail34convert_binary_result_type_wrapperINS9_3SumENS9_22TransformInputIteratorIbN2at6native12_GLOBAL__N_19NonZeroOpIdEEPKdlEEiEEEE10hipError_tPvRmT1_T2_T3_mT4_P12ihipStream_tbEUlT_E1_NS1_11comp_targetILNS1_3genE5ELNS1_11target_archE942ELNS1_3gpuE9ELNS1_3repE0EEENS1_30default_config_static_selectorELNS0_4arch9wavefront6targetE0EEEvSQ_,"axG",@progbits,_ZN7rocprim17ROCPRIM_400000_NS6detail17trampoline_kernelINS0_14default_configENS1_22reduce_config_selectorIiEEZNS1_11reduce_implILb1ES3_PiS7_iN6hipcub16HIPCUB_304000_NS6detail34convert_binary_result_type_wrapperINS9_3SumENS9_22TransformInputIteratorIbN2at6native12_GLOBAL__N_19NonZeroOpIdEEPKdlEEiEEEE10hipError_tPvRmT1_T2_T3_mT4_P12ihipStream_tbEUlT_E1_NS1_11comp_targetILNS1_3genE5ELNS1_11target_archE942ELNS1_3gpuE9ELNS1_3repE0EEENS1_30default_config_static_selectorELNS0_4arch9wavefront6targetE0EEEvSQ_,comdat
	.globl	_ZN7rocprim17ROCPRIM_400000_NS6detail17trampoline_kernelINS0_14default_configENS1_22reduce_config_selectorIiEEZNS1_11reduce_implILb1ES3_PiS7_iN6hipcub16HIPCUB_304000_NS6detail34convert_binary_result_type_wrapperINS9_3SumENS9_22TransformInputIteratorIbN2at6native12_GLOBAL__N_19NonZeroOpIdEEPKdlEEiEEEE10hipError_tPvRmT1_T2_T3_mT4_P12ihipStream_tbEUlT_E1_NS1_11comp_targetILNS1_3genE5ELNS1_11target_archE942ELNS1_3gpuE9ELNS1_3repE0EEENS1_30default_config_static_selectorELNS0_4arch9wavefront6targetE0EEEvSQ_ ; -- Begin function _ZN7rocprim17ROCPRIM_400000_NS6detail17trampoline_kernelINS0_14default_configENS1_22reduce_config_selectorIiEEZNS1_11reduce_implILb1ES3_PiS7_iN6hipcub16HIPCUB_304000_NS6detail34convert_binary_result_type_wrapperINS9_3SumENS9_22TransformInputIteratorIbN2at6native12_GLOBAL__N_19NonZeroOpIdEEPKdlEEiEEEE10hipError_tPvRmT1_T2_T3_mT4_P12ihipStream_tbEUlT_E1_NS1_11comp_targetILNS1_3genE5ELNS1_11target_archE942ELNS1_3gpuE9ELNS1_3repE0EEENS1_30default_config_static_selectorELNS0_4arch9wavefront6targetE0EEEvSQ_
	.p2align	8
	.type	_ZN7rocprim17ROCPRIM_400000_NS6detail17trampoline_kernelINS0_14default_configENS1_22reduce_config_selectorIiEEZNS1_11reduce_implILb1ES3_PiS7_iN6hipcub16HIPCUB_304000_NS6detail34convert_binary_result_type_wrapperINS9_3SumENS9_22TransformInputIteratorIbN2at6native12_GLOBAL__N_19NonZeroOpIdEEPKdlEEiEEEE10hipError_tPvRmT1_T2_T3_mT4_P12ihipStream_tbEUlT_E1_NS1_11comp_targetILNS1_3genE5ELNS1_11target_archE942ELNS1_3gpuE9ELNS1_3repE0EEENS1_30default_config_static_selectorELNS0_4arch9wavefront6targetE0EEEvSQ_,@function
_ZN7rocprim17ROCPRIM_400000_NS6detail17trampoline_kernelINS0_14default_configENS1_22reduce_config_selectorIiEEZNS1_11reduce_implILb1ES3_PiS7_iN6hipcub16HIPCUB_304000_NS6detail34convert_binary_result_type_wrapperINS9_3SumENS9_22TransformInputIteratorIbN2at6native12_GLOBAL__N_19NonZeroOpIdEEPKdlEEiEEEE10hipError_tPvRmT1_T2_T3_mT4_P12ihipStream_tbEUlT_E1_NS1_11comp_targetILNS1_3genE5ELNS1_11target_archE942ELNS1_3gpuE9ELNS1_3repE0EEENS1_30default_config_static_selectorELNS0_4arch9wavefront6targetE0EEEvSQ_: ; @_ZN7rocprim17ROCPRIM_400000_NS6detail17trampoline_kernelINS0_14default_configENS1_22reduce_config_selectorIiEEZNS1_11reduce_implILb1ES3_PiS7_iN6hipcub16HIPCUB_304000_NS6detail34convert_binary_result_type_wrapperINS9_3SumENS9_22TransformInputIteratorIbN2at6native12_GLOBAL__N_19NonZeroOpIdEEPKdlEEiEEEE10hipError_tPvRmT1_T2_T3_mT4_P12ihipStream_tbEUlT_E1_NS1_11comp_targetILNS1_3genE5ELNS1_11target_archE942ELNS1_3gpuE9ELNS1_3repE0EEENS1_30default_config_static_selectorELNS0_4arch9wavefront6targetE0EEEvSQ_
; %bb.0:
	.section	.rodata,"a",@progbits
	.p2align	6, 0x0
	.amdhsa_kernel _ZN7rocprim17ROCPRIM_400000_NS6detail17trampoline_kernelINS0_14default_configENS1_22reduce_config_selectorIiEEZNS1_11reduce_implILb1ES3_PiS7_iN6hipcub16HIPCUB_304000_NS6detail34convert_binary_result_type_wrapperINS9_3SumENS9_22TransformInputIteratorIbN2at6native12_GLOBAL__N_19NonZeroOpIdEEPKdlEEiEEEE10hipError_tPvRmT1_T2_T3_mT4_P12ihipStream_tbEUlT_E1_NS1_11comp_targetILNS1_3genE5ELNS1_11target_archE942ELNS1_3gpuE9ELNS1_3repE0EEENS1_30default_config_static_selectorELNS0_4arch9wavefront6targetE0EEEvSQ_
		.amdhsa_group_segment_fixed_size 0
		.amdhsa_private_segment_fixed_size 0
		.amdhsa_kernarg_size 40
		.amdhsa_user_sgpr_count 2
		.amdhsa_user_sgpr_dispatch_ptr 0
		.amdhsa_user_sgpr_queue_ptr 0
		.amdhsa_user_sgpr_kernarg_segment_ptr 1
		.amdhsa_user_sgpr_dispatch_id 0
		.amdhsa_user_sgpr_private_segment_size 0
		.amdhsa_wavefront_size32 1
		.amdhsa_uses_dynamic_stack 0
		.amdhsa_enable_private_segment 0
		.amdhsa_system_sgpr_workgroup_id_x 1
		.amdhsa_system_sgpr_workgroup_id_y 0
		.amdhsa_system_sgpr_workgroup_id_z 0
		.amdhsa_system_sgpr_workgroup_info 0
		.amdhsa_system_vgpr_workitem_id 0
		.amdhsa_next_free_vgpr 1
		.amdhsa_next_free_sgpr 1
		.amdhsa_reserve_vcc 0
		.amdhsa_float_round_mode_32 0
		.amdhsa_float_round_mode_16_64 0
		.amdhsa_float_denorm_mode_32 3
		.amdhsa_float_denorm_mode_16_64 3
		.amdhsa_fp16_overflow 0
		.amdhsa_workgroup_processor_mode 1
		.amdhsa_memory_ordered 1
		.amdhsa_forward_progress 1
		.amdhsa_inst_pref_size 0
		.amdhsa_round_robin_scheduling 0
		.amdhsa_exception_fp_ieee_invalid_op 0
		.amdhsa_exception_fp_denorm_src 0
		.amdhsa_exception_fp_ieee_div_zero 0
		.amdhsa_exception_fp_ieee_overflow 0
		.amdhsa_exception_fp_ieee_underflow 0
		.amdhsa_exception_fp_ieee_inexact 0
		.amdhsa_exception_int_div_zero 0
	.end_amdhsa_kernel
	.section	.text._ZN7rocprim17ROCPRIM_400000_NS6detail17trampoline_kernelINS0_14default_configENS1_22reduce_config_selectorIiEEZNS1_11reduce_implILb1ES3_PiS7_iN6hipcub16HIPCUB_304000_NS6detail34convert_binary_result_type_wrapperINS9_3SumENS9_22TransformInputIteratorIbN2at6native12_GLOBAL__N_19NonZeroOpIdEEPKdlEEiEEEE10hipError_tPvRmT1_T2_T3_mT4_P12ihipStream_tbEUlT_E1_NS1_11comp_targetILNS1_3genE5ELNS1_11target_archE942ELNS1_3gpuE9ELNS1_3repE0EEENS1_30default_config_static_selectorELNS0_4arch9wavefront6targetE0EEEvSQ_,"axG",@progbits,_ZN7rocprim17ROCPRIM_400000_NS6detail17trampoline_kernelINS0_14default_configENS1_22reduce_config_selectorIiEEZNS1_11reduce_implILb1ES3_PiS7_iN6hipcub16HIPCUB_304000_NS6detail34convert_binary_result_type_wrapperINS9_3SumENS9_22TransformInputIteratorIbN2at6native12_GLOBAL__N_19NonZeroOpIdEEPKdlEEiEEEE10hipError_tPvRmT1_T2_T3_mT4_P12ihipStream_tbEUlT_E1_NS1_11comp_targetILNS1_3genE5ELNS1_11target_archE942ELNS1_3gpuE9ELNS1_3repE0EEENS1_30default_config_static_selectorELNS0_4arch9wavefront6targetE0EEEvSQ_,comdat
.Lfunc_end364:
	.size	_ZN7rocprim17ROCPRIM_400000_NS6detail17trampoline_kernelINS0_14default_configENS1_22reduce_config_selectorIiEEZNS1_11reduce_implILb1ES3_PiS7_iN6hipcub16HIPCUB_304000_NS6detail34convert_binary_result_type_wrapperINS9_3SumENS9_22TransformInputIteratorIbN2at6native12_GLOBAL__N_19NonZeroOpIdEEPKdlEEiEEEE10hipError_tPvRmT1_T2_T3_mT4_P12ihipStream_tbEUlT_E1_NS1_11comp_targetILNS1_3genE5ELNS1_11target_archE942ELNS1_3gpuE9ELNS1_3repE0EEENS1_30default_config_static_selectorELNS0_4arch9wavefront6targetE0EEEvSQ_, .Lfunc_end364-_ZN7rocprim17ROCPRIM_400000_NS6detail17trampoline_kernelINS0_14default_configENS1_22reduce_config_selectorIiEEZNS1_11reduce_implILb1ES3_PiS7_iN6hipcub16HIPCUB_304000_NS6detail34convert_binary_result_type_wrapperINS9_3SumENS9_22TransformInputIteratorIbN2at6native12_GLOBAL__N_19NonZeroOpIdEEPKdlEEiEEEE10hipError_tPvRmT1_T2_T3_mT4_P12ihipStream_tbEUlT_E1_NS1_11comp_targetILNS1_3genE5ELNS1_11target_archE942ELNS1_3gpuE9ELNS1_3repE0EEENS1_30default_config_static_selectorELNS0_4arch9wavefront6targetE0EEEvSQ_
                                        ; -- End function
	.set _ZN7rocprim17ROCPRIM_400000_NS6detail17trampoline_kernelINS0_14default_configENS1_22reduce_config_selectorIiEEZNS1_11reduce_implILb1ES3_PiS7_iN6hipcub16HIPCUB_304000_NS6detail34convert_binary_result_type_wrapperINS9_3SumENS9_22TransformInputIteratorIbN2at6native12_GLOBAL__N_19NonZeroOpIdEEPKdlEEiEEEE10hipError_tPvRmT1_T2_T3_mT4_P12ihipStream_tbEUlT_E1_NS1_11comp_targetILNS1_3genE5ELNS1_11target_archE942ELNS1_3gpuE9ELNS1_3repE0EEENS1_30default_config_static_selectorELNS0_4arch9wavefront6targetE0EEEvSQ_.num_vgpr, 0
	.set _ZN7rocprim17ROCPRIM_400000_NS6detail17trampoline_kernelINS0_14default_configENS1_22reduce_config_selectorIiEEZNS1_11reduce_implILb1ES3_PiS7_iN6hipcub16HIPCUB_304000_NS6detail34convert_binary_result_type_wrapperINS9_3SumENS9_22TransformInputIteratorIbN2at6native12_GLOBAL__N_19NonZeroOpIdEEPKdlEEiEEEE10hipError_tPvRmT1_T2_T3_mT4_P12ihipStream_tbEUlT_E1_NS1_11comp_targetILNS1_3genE5ELNS1_11target_archE942ELNS1_3gpuE9ELNS1_3repE0EEENS1_30default_config_static_selectorELNS0_4arch9wavefront6targetE0EEEvSQ_.num_agpr, 0
	.set _ZN7rocprim17ROCPRIM_400000_NS6detail17trampoline_kernelINS0_14default_configENS1_22reduce_config_selectorIiEEZNS1_11reduce_implILb1ES3_PiS7_iN6hipcub16HIPCUB_304000_NS6detail34convert_binary_result_type_wrapperINS9_3SumENS9_22TransformInputIteratorIbN2at6native12_GLOBAL__N_19NonZeroOpIdEEPKdlEEiEEEE10hipError_tPvRmT1_T2_T3_mT4_P12ihipStream_tbEUlT_E1_NS1_11comp_targetILNS1_3genE5ELNS1_11target_archE942ELNS1_3gpuE9ELNS1_3repE0EEENS1_30default_config_static_selectorELNS0_4arch9wavefront6targetE0EEEvSQ_.numbered_sgpr, 0
	.set _ZN7rocprim17ROCPRIM_400000_NS6detail17trampoline_kernelINS0_14default_configENS1_22reduce_config_selectorIiEEZNS1_11reduce_implILb1ES3_PiS7_iN6hipcub16HIPCUB_304000_NS6detail34convert_binary_result_type_wrapperINS9_3SumENS9_22TransformInputIteratorIbN2at6native12_GLOBAL__N_19NonZeroOpIdEEPKdlEEiEEEE10hipError_tPvRmT1_T2_T3_mT4_P12ihipStream_tbEUlT_E1_NS1_11comp_targetILNS1_3genE5ELNS1_11target_archE942ELNS1_3gpuE9ELNS1_3repE0EEENS1_30default_config_static_selectorELNS0_4arch9wavefront6targetE0EEEvSQ_.num_named_barrier, 0
	.set _ZN7rocprim17ROCPRIM_400000_NS6detail17trampoline_kernelINS0_14default_configENS1_22reduce_config_selectorIiEEZNS1_11reduce_implILb1ES3_PiS7_iN6hipcub16HIPCUB_304000_NS6detail34convert_binary_result_type_wrapperINS9_3SumENS9_22TransformInputIteratorIbN2at6native12_GLOBAL__N_19NonZeroOpIdEEPKdlEEiEEEE10hipError_tPvRmT1_T2_T3_mT4_P12ihipStream_tbEUlT_E1_NS1_11comp_targetILNS1_3genE5ELNS1_11target_archE942ELNS1_3gpuE9ELNS1_3repE0EEENS1_30default_config_static_selectorELNS0_4arch9wavefront6targetE0EEEvSQ_.private_seg_size, 0
	.set _ZN7rocprim17ROCPRIM_400000_NS6detail17trampoline_kernelINS0_14default_configENS1_22reduce_config_selectorIiEEZNS1_11reduce_implILb1ES3_PiS7_iN6hipcub16HIPCUB_304000_NS6detail34convert_binary_result_type_wrapperINS9_3SumENS9_22TransformInputIteratorIbN2at6native12_GLOBAL__N_19NonZeroOpIdEEPKdlEEiEEEE10hipError_tPvRmT1_T2_T3_mT4_P12ihipStream_tbEUlT_E1_NS1_11comp_targetILNS1_3genE5ELNS1_11target_archE942ELNS1_3gpuE9ELNS1_3repE0EEENS1_30default_config_static_selectorELNS0_4arch9wavefront6targetE0EEEvSQ_.uses_vcc, 0
	.set _ZN7rocprim17ROCPRIM_400000_NS6detail17trampoline_kernelINS0_14default_configENS1_22reduce_config_selectorIiEEZNS1_11reduce_implILb1ES3_PiS7_iN6hipcub16HIPCUB_304000_NS6detail34convert_binary_result_type_wrapperINS9_3SumENS9_22TransformInputIteratorIbN2at6native12_GLOBAL__N_19NonZeroOpIdEEPKdlEEiEEEE10hipError_tPvRmT1_T2_T3_mT4_P12ihipStream_tbEUlT_E1_NS1_11comp_targetILNS1_3genE5ELNS1_11target_archE942ELNS1_3gpuE9ELNS1_3repE0EEENS1_30default_config_static_selectorELNS0_4arch9wavefront6targetE0EEEvSQ_.uses_flat_scratch, 0
	.set _ZN7rocprim17ROCPRIM_400000_NS6detail17trampoline_kernelINS0_14default_configENS1_22reduce_config_selectorIiEEZNS1_11reduce_implILb1ES3_PiS7_iN6hipcub16HIPCUB_304000_NS6detail34convert_binary_result_type_wrapperINS9_3SumENS9_22TransformInputIteratorIbN2at6native12_GLOBAL__N_19NonZeroOpIdEEPKdlEEiEEEE10hipError_tPvRmT1_T2_T3_mT4_P12ihipStream_tbEUlT_E1_NS1_11comp_targetILNS1_3genE5ELNS1_11target_archE942ELNS1_3gpuE9ELNS1_3repE0EEENS1_30default_config_static_selectorELNS0_4arch9wavefront6targetE0EEEvSQ_.has_dyn_sized_stack, 0
	.set _ZN7rocprim17ROCPRIM_400000_NS6detail17trampoline_kernelINS0_14default_configENS1_22reduce_config_selectorIiEEZNS1_11reduce_implILb1ES3_PiS7_iN6hipcub16HIPCUB_304000_NS6detail34convert_binary_result_type_wrapperINS9_3SumENS9_22TransformInputIteratorIbN2at6native12_GLOBAL__N_19NonZeroOpIdEEPKdlEEiEEEE10hipError_tPvRmT1_T2_T3_mT4_P12ihipStream_tbEUlT_E1_NS1_11comp_targetILNS1_3genE5ELNS1_11target_archE942ELNS1_3gpuE9ELNS1_3repE0EEENS1_30default_config_static_selectorELNS0_4arch9wavefront6targetE0EEEvSQ_.has_recursion, 0
	.set _ZN7rocprim17ROCPRIM_400000_NS6detail17trampoline_kernelINS0_14default_configENS1_22reduce_config_selectorIiEEZNS1_11reduce_implILb1ES3_PiS7_iN6hipcub16HIPCUB_304000_NS6detail34convert_binary_result_type_wrapperINS9_3SumENS9_22TransformInputIteratorIbN2at6native12_GLOBAL__N_19NonZeroOpIdEEPKdlEEiEEEE10hipError_tPvRmT1_T2_T3_mT4_P12ihipStream_tbEUlT_E1_NS1_11comp_targetILNS1_3genE5ELNS1_11target_archE942ELNS1_3gpuE9ELNS1_3repE0EEENS1_30default_config_static_selectorELNS0_4arch9wavefront6targetE0EEEvSQ_.has_indirect_call, 0
	.section	.AMDGPU.csdata,"",@progbits
; Kernel info:
; codeLenInByte = 0
; TotalNumSgprs: 0
; NumVgprs: 0
; ScratchSize: 0
; MemoryBound: 0
; FloatMode: 240
; IeeeMode: 1
; LDSByteSize: 0 bytes/workgroup (compile time only)
; SGPRBlocks: 0
; VGPRBlocks: 0
; NumSGPRsForWavesPerEU: 1
; NumVGPRsForWavesPerEU: 1
; Occupancy: 16
; WaveLimiterHint : 0
; COMPUTE_PGM_RSRC2:SCRATCH_EN: 0
; COMPUTE_PGM_RSRC2:USER_SGPR: 2
; COMPUTE_PGM_RSRC2:TRAP_HANDLER: 0
; COMPUTE_PGM_RSRC2:TGID_X_EN: 1
; COMPUTE_PGM_RSRC2:TGID_Y_EN: 0
; COMPUTE_PGM_RSRC2:TGID_Z_EN: 0
; COMPUTE_PGM_RSRC2:TIDIG_COMP_CNT: 0
	.section	.text._ZN7rocprim17ROCPRIM_400000_NS6detail17trampoline_kernelINS0_14default_configENS1_22reduce_config_selectorIiEEZNS1_11reduce_implILb1ES3_PiS7_iN6hipcub16HIPCUB_304000_NS6detail34convert_binary_result_type_wrapperINS9_3SumENS9_22TransformInputIteratorIbN2at6native12_GLOBAL__N_19NonZeroOpIdEEPKdlEEiEEEE10hipError_tPvRmT1_T2_T3_mT4_P12ihipStream_tbEUlT_E1_NS1_11comp_targetILNS1_3genE4ELNS1_11target_archE910ELNS1_3gpuE8ELNS1_3repE0EEENS1_30default_config_static_selectorELNS0_4arch9wavefront6targetE0EEEvSQ_,"axG",@progbits,_ZN7rocprim17ROCPRIM_400000_NS6detail17trampoline_kernelINS0_14default_configENS1_22reduce_config_selectorIiEEZNS1_11reduce_implILb1ES3_PiS7_iN6hipcub16HIPCUB_304000_NS6detail34convert_binary_result_type_wrapperINS9_3SumENS9_22TransformInputIteratorIbN2at6native12_GLOBAL__N_19NonZeroOpIdEEPKdlEEiEEEE10hipError_tPvRmT1_T2_T3_mT4_P12ihipStream_tbEUlT_E1_NS1_11comp_targetILNS1_3genE4ELNS1_11target_archE910ELNS1_3gpuE8ELNS1_3repE0EEENS1_30default_config_static_selectorELNS0_4arch9wavefront6targetE0EEEvSQ_,comdat
	.globl	_ZN7rocprim17ROCPRIM_400000_NS6detail17trampoline_kernelINS0_14default_configENS1_22reduce_config_selectorIiEEZNS1_11reduce_implILb1ES3_PiS7_iN6hipcub16HIPCUB_304000_NS6detail34convert_binary_result_type_wrapperINS9_3SumENS9_22TransformInputIteratorIbN2at6native12_GLOBAL__N_19NonZeroOpIdEEPKdlEEiEEEE10hipError_tPvRmT1_T2_T3_mT4_P12ihipStream_tbEUlT_E1_NS1_11comp_targetILNS1_3genE4ELNS1_11target_archE910ELNS1_3gpuE8ELNS1_3repE0EEENS1_30default_config_static_selectorELNS0_4arch9wavefront6targetE0EEEvSQ_ ; -- Begin function _ZN7rocprim17ROCPRIM_400000_NS6detail17trampoline_kernelINS0_14default_configENS1_22reduce_config_selectorIiEEZNS1_11reduce_implILb1ES3_PiS7_iN6hipcub16HIPCUB_304000_NS6detail34convert_binary_result_type_wrapperINS9_3SumENS9_22TransformInputIteratorIbN2at6native12_GLOBAL__N_19NonZeroOpIdEEPKdlEEiEEEE10hipError_tPvRmT1_T2_T3_mT4_P12ihipStream_tbEUlT_E1_NS1_11comp_targetILNS1_3genE4ELNS1_11target_archE910ELNS1_3gpuE8ELNS1_3repE0EEENS1_30default_config_static_selectorELNS0_4arch9wavefront6targetE0EEEvSQ_
	.p2align	8
	.type	_ZN7rocprim17ROCPRIM_400000_NS6detail17trampoline_kernelINS0_14default_configENS1_22reduce_config_selectorIiEEZNS1_11reduce_implILb1ES3_PiS7_iN6hipcub16HIPCUB_304000_NS6detail34convert_binary_result_type_wrapperINS9_3SumENS9_22TransformInputIteratorIbN2at6native12_GLOBAL__N_19NonZeroOpIdEEPKdlEEiEEEE10hipError_tPvRmT1_T2_T3_mT4_P12ihipStream_tbEUlT_E1_NS1_11comp_targetILNS1_3genE4ELNS1_11target_archE910ELNS1_3gpuE8ELNS1_3repE0EEENS1_30default_config_static_selectorELNS0_4arch9wavefront6targetE0EEEvSQ_,@function
_ZN7rocprim17ROCPRIM_400000_NS6detail17trampoline_kernelINS0_14default_configENS1_22reduce_config_selectorIiEEZNS1_11reduce_implILb1ES3_PiS7_iN6hipcub16HIPCUB_304000_NS6detail34convert_binary_result_type_wrapperINS9_3SumENS9_22TransformInputIteratorIbN2at6native12_GLOBAL__N_19NonZeroOpIdEEPKdlEEiEEEE10hipError_tPvRmT1_T2_T3_mT4_P12ihipStream_tbEUlT_E1_NS1_11comp_targetILNS1_3genE4ELNS1_11target_archE910ELNS1_3gpuE8ELNS1_3repE0EEENS1_30default_config_static_selectorELNS0_4arch9wavefront6targetE0EEEvSQ_: ; @_ZN7rocprim17ROCPRIM_400000_NS6detail17trampoline_kernelINS0_14default_configENS1_22reduce_config_selectorIiEEZNS1_11reduce_implILb1ES3_PiS7_iN6hipcub16HIPCUB_304000_NS6detail34convert_binary_result_type_wrapperINS9_3SumENS9_22TransformInputIteratorIbN2at6native12_GLOBAL__N_19NonZeroOpIdEEPKdlEEiEEEE10hipError_tPvRmT1_T2_T3_mT4_P12ihipStream_tbEUlT_E1_NS1_11comp_targetILNS1_3genE4ELNS1_11target_archE910ELNS1_3gpuE8ELNS1_3repE0EEENS1_30default_config_static_selectorELNS0_4arch9wavefront6targetE0EEEvSQ_
; %bb.0:
	.section	.rodata,"a",@progbits
	.p2align	6, 0x0
	.amdhsa_kernel _ZN7rocprim17ROCPRIM_400000_NS6detail17trampoline_kernelINS0_14default_configENS1_22reduce_config_selectorIiEEZNS1_11reduce_implILb1ES3_PiS7_iN6hipcub16HIPCUB_304000_NS6detail34convert_binary_result_type_wrapperINS9_3SumENS9_22TransformInputIteratorIbN2at6native12_GLOBAL__N_19NonZeroOpIdEEPKdlEEiEEEE10hipError_tPvRmT1_T2_T3_mT4_P12ihipStream_tbEUlT_E1_NS1_11comp_targetILNS1_3genE4ELNS1_11target_archE910ELNS1_3gpuE8ELNS1_3repE0EEENS1_30default_config_static_selectorELNS0_4arch9wavefront6targetE0EEEvSQ_
		.amdhsa_group_segment_fixed_size 0
		.amdhsa_private_segment_fixed_size 0
		.amdhsa_kernarg_size 40
		.amdhsa_user_sgpr_count 2
		.amdhsa_user_sgpr_dispatch_ptr 0
		.amdhsa_user_sgpr_queue_ptr 0
		.amdhsa_user_sgpr_kernarg_segment_ptr 1
		.amdhsa_user_sgpr_dispatch_id 0
		.amdhsa_user_sgpr_private_segment_size 0
		.amdhsa_wavefront_size32 1
		.amdhsa_uses_dynamic_stack 0
		.amdhsa_enable_private_segment 0
		.amdhsa_system_sgpr_workgroup_id_x 1
		.amdhsa_system_sgpr_workgroup_id_y 0
		.amdhsa_system_sgpr_workgroup_id_z 0
		.amdhsa_system_sgpr_workgroup_info 0
		.amdhsa_system_vgpr_workitem_id 0
		.amdhsa_next_free_vgpr 1
		.amdhsa_next_free_sgpr 1
		.amdhsa_reserve_vcc 0
		.amdhsa_float_round_mode_32 0
		.amdhsa_float_round_mode_16_64 0
		.amdhsa_float_denorm_mode_32 3
		.amdhsa_float_denorm_mode_16_64 3
		.amdhsa_fp16_overflow 0
		.amdhsa_workgroup_processor_mode 1
		.amdhsa_memory_ordered 1
		.amdhsa_forward_progress 1
		.amdhsa_inst_pref_size 0
		.amdhsa_round_robin_scheduling 0
		.amdhsa_exception_fp_ieee_invalid_op 0
		.amdhsa_exception_fp_denorm_src 0
		.amdhsa_exception_fp_ieee_div_zero 0
		.amdhsa_exception_fp_ieee_overflow 0
		.amdhsa_exception_fp_ieee_underflow 0
		.amdhsa_exception_fp_ieee_inexact 0
		.amdhsa_exception_int_div_zero 0
	.end_amdhsa_kernel
	.section	.text._ZN7rocprim17ROCPRIM_400000_NS6detail17trampoline_kernelINS0_14default_configENS1_22reduce_config_selectorIiEEZNS1_11reduce_implILb1ES3_PiS7_iN6hipcub16HIPCUB_304000_NS6detail34convert_binary_result_type_wrapperINS9_3SumENS9_22TransformInputIteratorIbN2at6native12_GLOBAL__N_19NonZeroOpIdEEPKdlEEiEEEE10hipError_tPvRmT1_T2_T3_mT4_P12ihipStream_tbEUlT_E1_NS1_11comp_targetILNS1_3genE4ELNS1_11target_archE910ELNS1_3gpuE8ELNS1_3repE0EEENS1_30default_config_static_selectorELNS0_4arch9wavefront6targetE0EEEvSQ_,"axG",@progbits,_ZN7rocprim17ROCPRIM_400000_NS6detail17trampoline_kernelINS0_14default_configENS1_22reduce_config_selectorIiEEZNS1_11reduce_implILb1ES3_PiS7_iN6hipcub16HIPCUB_304000_NS6detail34convert_binary_result_type_wrapperINS9_3SumENS9_22TransformInputIteratorIbN2at6native12_GLOBAL__N_19NonZeroOpIdEEPKdlEEiEEEE10hipError_tPvRmT1_T2_T3_mT4_P12ihipStream_tbEUlT_E1_NS1_11comp_targetILNS1_3genE4ELNS1_11target_archE910ELNS1_3gpuE8ELNS1_3repE0EEENS1_30default_config_static_selectorELNS0_4arch9wavefront6targetE0EEEvSQ_,comdat
.Lfunc_end365:
	.size	_ZN7rocprim17ROCPRIM_400000_NS6detail17trampoline_kernelINS0_14default_configENS1_22reduce_config_selectorIiEEZNS1_11reduce_implILb1ES3_PiS7_iN6hipcub16HIPCUB_304000_NS6detail34convert_binary_result_type_wrapperINS9_3SumENS9_22TransformInputIteratorIbN2at6native12_GLOBAL__N_19NonZeroOpIdEEPKdlEEiEEEE10hipError_tPvRmT1_T2_T3_mT4_P12ihipStream_tbEUlT_E1_NS1_11comp_targetILNS1_3genE4ELNS1_11target_archE910ELNS1_3gpuE8ELNS1_3repE0EEENS1_30default_config_static_selectorELNS0_4arch9wavefront6targetE0EEEvSQ_, .Lfunc_end365-_ZN7rocprim17ROCPRIM_400000_NS6detail17trampoline_kernelINS0_14default_configENS1_22reduce_config_selectorIiEEZNS1_11reduce_implILb1ES3_PiS7_iN6hipcub16HIPCUB_304000_NS6detail34convert_binary_result_type_wrapperINS9_3SumENS9_22TransformInputIteratorIbN2at6native12_GLOBAL__N_19NonZeroOpIdEEPKdlEEiEEEE10hipError_tPvRmT1_T2_T3_mT4_P12ihipStream_tbEUlT_E1_NS1_11comp_targetILNS1_3genE4ELNS1_11target_archE910ELNS1_3gpuE8ELNS1_3repE0EEENS1_30default_config_static_selectorELNS0_4arch9wavefront6targetE0EEEvSQ_
                                        ; -- End function
	.set _ZN7rocprim17ROCPRIM_400000_NS6detail17trampoline_kernelINS0_14default_configENS1_22reduce_config_selectorIiEEZNS1_11reduce_implILb1ES3_PiS7_iN6hipcub16HIPCUB_304000_NS6detail34convert_binary_result_type_wrapperINS9_3SumENS9_22TransformInputIteratorIbN2at6native12_GLOBAL__N_19NonZeroOpIdEEPKdlEEiEEEE10hipError_tPvRmT1_T2_T3_mT4_P12ihipStream_tbEUlT_E1_NS1_11comp_targetILNS1_3genE4ELNS1_11target_archE910ELNS1_3gpuE8ELNS1_3repE0EEENS1_30default_config_static_selectorELNS0_4arch9wavefront6targetE0EEEvSQ_.num_vgpr, 0
	.set _ZN7rocprim17ROCPRIM_400000_NS6detail17trampoline_kernelINS0_14default_configENS1_22reduce_config_selectorIiEEZNS1_11reduce_implILb1ES3_PiS7_iN6hipcub16HIPCUB_304000_NS6detail34convert_binary_result_type_wrapperINS9_3SumENS9_22TransformInputIteratorIbN2at6native12_GLOBAL__N_19NonZeroOpIdEEPKdlEEiEEEE10hipError_tPvRmT1_T2_T3_mT4_P12ihipStream_tbEUlT_E1_NS1_11comp_targetILNS1_3genE4ELNS1_11target_archE910ELNS1_3gpuE8ELNS1_3repE0EEENS1_30default_config_static_selectorELNS0_4arch9wavefront6targetE0EEEvSQ_.num_agpr, 0
	.set _ZN7rocprim17ROCPRIM_400000_NS6detail17trampoline_kernelINS0_14default_configENS1_22reduce_config_selectorIiEEZNS1_11reduce_implILb1ES3_PiS7_iN6hipcub16HIPCUB_304000_NS6detail34convert_binary_result_type_wrapperINS9_3SumENS9_22TransformInputIteratorIbN2at6native12_GLOBAL__N_19NonZeroOpIdEEPKdlEEiEEEE10hipError_tPvRmT1_T2_T3_mT4_P12ihipStream_tbEUlT_E1_NS1_11comp_targetILNS1_3genE4ELNS1_11target_archE910ELNS1_3gpuE8ELNS1_3repE0EEENS1_30default_config_static_selectorELNS0_4arch9wavefront6targetE0EEEvSQ_.numbered_sgpr, 0
	.set _ZN7rocprim17ROCPRIM_400000_NS6detail17trampoline_kernelINS0_14default_configENS1_22reduce_config_selectorIiEEZNS1_11reduce_implILb1ES3_PiS7_iN6hipcub16HIPCUB_304000_NS6detail34convert_binary_result_type_wrapperINS9_3SumENS9_22TransformInputIteratorIbN2at6native12_GLOBAL__N_19NonZeroOpIdEEPKdlEEiEEEE10hipError_tPvRmT1_T2_T3_mT4_P12ihipStream_tbEUlT_E1_NS1_11comp_targetILNS1_3genE4ELNS1_11target_archE910ELNS1_3gpuE8ELNS1_3repE0EEENS1_30default_config_static_selectorELNS0_4arch9wavefront6targetE0EEEvSQ_.num_named_barrier, 0
	.set _ZN7rocprim17ROCPRIM_400000_NS6detail17trampoline_kernelINS0_14default_configENS1_22reduce_config_selectorIiEEZNS1_11reduce_implILb1ES3_PiS7_iN6hipcub16HIPCUB_304000_NS6detail34convert_binary_result_type_wrapperINS9_3SumENS9_22TransformInputIteratorIbN2at6native12_GLOBAL__N_19NonZeroOpIdEEPKdlEEiEEEE10hipError_tPvRmT1_T2_T3_mT4_P12ihipStream_tbEUlT_E1_NS1_11comp_targetILNS1_3genE4ELNS1_11target_archE910ELNS1_3gpuE8ELNS1_3repE0EEENS1_30default_config_static_selectorELNS0_4arch9wavefront6targetE0EEEvSQ_.private_seg_size, 0
	.set _ZN7rocprim17ROCPRIM_400000_NS6detail17trampoline_kernelINS0_14default_configENS1_22reduce_config_selectorIiEEZNS1_11reduce_implILb1ES3_PiS7_iN6hipcub16HIPCUB_304000_NS6detail34convert_binary_result_type_wrapperINS9_3SumENS9_22TransformInputIteratorIbN2at6native12_GLOBAL__N_19NonZeroOpIdEEPKdlEEiEEEE10hipError_tPvRmT1_T2_T3_mT4_P12ihipStream_tbEUlT_E1_NS1_11comp_targetILNS1_3genE4ELNS1_11target_archE910ELNS1_3gpuE8ELNS1_3repE0EEENS1_30default_config_static_selectorELNS0_4arch9wavefront6targetE0EEEvSQ_.uses_vcc, 0
	.set _ZN7rocprim17ROCPRIM_400000_NS6detail17trampoline_kernelINS0_14default_configENS1_22reduce_config_selectorIiEEZNS1_11reduce_implILb1ES3_PiS7_iN6hipcub16HIPCUB_304000_NS6detail34convert_binary_result_type_wrapperINS9_3SumENS9_22TransformInputIteratorIbN2at6native12_GLOBAL__N_19NonZeroOpIdEEPKdlEEiEEEE10hipError_tPvRmT1_T2_T3_mT4_P12ihipStream_tbEUlT_E1_NS1_11comp_targetILNS1_3genE4ELNS1_11target_archE910ELNS1_3gpuE8ELNS1_3repE0EEENS1_30default_config_static_selectorELNS0_4arch9wavefront6targetE0EEEvSQ_.uses_flat_scratch, 0
	.set _ZN7rocprim17ROCPRIM_400000_NS6detail17trampoline_kernelINS0_14default_configENS1_22reduce_config_selectorIiEEZNS1_11reduce_implILb1ES3_PiS7_iN6hipcub16HIPCUB_304000_NS6detail34convert_binary_result_type_wrapperINS9_3SumENS9_22TransformInputIteratorIbN2at6native12_GLOBAL__N_19NonZeroOpIdEEPKdlEEiEEEE10hipError_tPvRmT1_T2_T3_mT4_P12ihipStream_tbEUlT_E1_NS1_11comp_targetILNS1_3genE4ELNS1_11target_archE910ELNS1_3gpuE8ELNS1_3repE0EEENS1_30default_config_static_selectorELNS0_4arch9wavefront6targetE0EEEvSQ_.has_dyn_sized_stack, 0
	.set _ZN7rocprim17ROCPRIM_400000_NS6detail17trampoline_kernelINS0_14default_configENS1_22reduce_config_selectorIiEEZNS1_11reduce_implILb1ES3_PiS7_iN6hipcub16HIPCUB_304000_NS6detail34convert_binary_result_type_wrapperINS9_3SumENS9_22TransformInputIteratorIbN2at6native12_GLOBAL__N_19NonZeroOpIdEEPKdlEEiEEEE10hipError_tPvRmT1_T2_T3_mT4_P12ihipStream_tbEUlT_E1_NS1_11comp_targetILNS1_3genE4ELNS1_11target_archE910ELNS1_3gpuE8ELNS1_3repE0EEENS1_30default_config_static_selectorELNS0_4arch9wavefront6targetE0EEEvSQ_.has_recursion, 0
	.set _ZN7rocprim17ROCPRIM_400000_NS6detail17trampoline_kernelINS0_14default_configENS1_22reduce_config_selectorIiEEZNS1_11reduce_implILb1ES3_PiS7_iN6hipcub16HIPCUB_304000_NS6detail34convert_binary_result_type_wrapperINS9_3SumENS9_22TransformInputIteratorIbN2at6native12_GLOBAL__N_19NonZeroOpIdEEPKdlEEiEEEE10hipError_tPvRmT1_T2_T3_mT4_P12ihipStream_tbEUlT_E1_NS1_11comp_targetILNS1_3genE4ELNS1_11target_archE910ELNS1_3gpuE8ELNS1_3repE0EEENS1_30default_config_static_selectorELNS0_4arch9wavefront6targetE0EEEvSQ_.has_indirect_call, 0
	.section	.AMDGPU.csdata,"",@progbits
; Kernel info:
; codeLenInByte = 0
; TotalNumSgprs: 0
; NumVgprs: 0
; ScratchSize: 0
; MemoryBound: 0
; FloatMode: 240
; IeeeMode: 1
; LDSByteSize: 0 bytes/workgroup (compile time only)
; SGPRBlocks: 0
; VGPRBlocks: 0
; NumSGPRsForWavesPerEU: 1
; NumVGPRsForWavesPerEU: 1
; Occupancy: 16
; WaveLimiterHint : 0
; COMPUTE_PGM_RSRC2:SCRATCH_EN: 0
; COMPUTE_PGM_RSRC2:USER_SGPR: 2
; COMPUTE_PGM_RSRC2:TRAP_HANDLER: 0
; COMPUTE_PGM_RSRC2:TGID_X_EN: 1
; COMPUTE_PGM_RSRC2:TGID_Y_EN: 0
; COMPUTE_PGM_RSRC2:TGID_Z_EN: 0
; COMPUTE_PGM_RSRC2:TIDIG_COMP_CNT: 0
	.section	.text._ZN7rocprim17ROCPRIM_400000_NS6detail17trampoline_kernelINS0_14default_configENS1_22reduce_config_selectorIiEEZNS1_11reduce_implILb1ES3_PiS7_iN6hipcub16HIPCUB_304000_NS6detail34convert_binary_result_type_wrapperINS9_3SumENS9_22TransformInputIteratorIbN2at6native12_GLOBAL__N_19NonZeroOpIdEEPKdlEEiEEEE10hipError_tPvRmT1_T2_T3_mT4_P12ihipStream_tbEUlT_E1_NS1_11comp_targetILNS1_3genE3ELNS1_11target_archE908ELNS1_3gpuE7ELNS1_3repE0EEENS1_30default_config_static_selectorELNS0_4arch9wavefront6targetE0EEEvSQ_,"axG",@progbits,_ZN7rocprim17ROCPRIM_400000_NS6detail17trampoline_kernelINS0_14default_configENS1_22reduce_config_selectorIiEEZNS1_11reduce_implILb1ES3_PiS7_iN6hipcub16HIPCUB_304000_NS6detail34convert_binary_result_type_wrapperINS9_3SumENS9_22TransformInputIteratorIbN2at6native12_GLOBAL__N_19NonZeroOpIdEEPKdlEEiEEEE10hipError_tPvRmT1_T2_T3_mT4_P12ihipStream_tbEUlT_E1_NS1_11comp_targetILNS1_3genE3ELNS1_11target_archE908ELNS1_3gpuE7ELNS1_3repE0EEENS1_30default_config_static_selectorELNS0_4arch9wavefront6targetE0EEEvSQ_,comdat
	.globl	_ZN7rocprim17ROCPRIM_400000_NS6detail17trampoline_kernelINS0_14default_configENS1_22reduce_config_selectorIiEEZNS1_11reduce_implILb1ES3_PiS7_iN6hipcub16HIPCUB_304000_NS6detail34convert_binary_result_type_wrapperINS9_3SumENS9_22TransformInputIteratorIbN2at6native12_GLOBAL__N_19NonZeroOpIdEEPKdlEEiEEEE10hipError_tPvRmT1_T2_T3_mT4_P12ihipStream_tbEUlT_E1_NS1_11comp_targetILNS1_3genE3ELNS1_11target_archE908ELNS1_3gpuE7ELNS1_3repE0EEENS1_30default_config_static_selectorELNS0_4arch9wavefront6targetE0EEEvSQ_ ; -- Begin function _ZN7rocprim17ROCPRIM_400000_NS6detail17trampoline_kernelINS0_14default_configENS1_22reduce_config_selectorIiEEZNS1_11reduce_implILb1ES3_PiS7_iN6hipcub16HIPCUB_304000_NS6detail34convert_binary_result_type_wrapperINS9_3SumENS9_22TransformInputIteratorIbN2at6native12_GLOBAL__N_19NonZeroOpIdEEPKdlEEiEEEE10hipError_tPvRmT1_T2_T3_mT4_P12ihipStream_tbEUlT_E1_NS1_11comp_targetILNS1_3genE3ELNS1_11target_archE908ELNS1_3gpuE7ELNS1_3repE0EEENS1_30default_config_static_selectorELNS0_4arch9wavefront6targetE0EEEvSQ_
	.p2align	8
	.type	_ZN7rocprim17ROCPRIM_400000_NS6detail17trampoline_kernelINS0_14default_configENS1_22reduce_config_selectorIiEEZNS1_11reduce_implILb1ES3_PiS7_iN6hipcub16HIPCUB_304000_NS6detail34convert_binary_result_type_wrapperINS9_3SumENS9_22TransformInputIteratorIbN2at6native12_GLOBAL__N_19NonZeroOpIdEEPKdlEEiEEEE10hipError_tPvRmT1_T2_T3_mT4_P12ihipStream_tbEUlT_E1_NS1_11comp_targetILNS1_3genE3ELNS1_11target_archE908ELNS1_3gpuE7ELNS1_3repE0EEENS1_30default_config_static_selectorELNS0_4arch9wavefront6targetE0EEEvSQ_,@function
_ZN7rocprim17ROCPRIM_400000_NS6detail17trampoline_kernelINS0_14default_configENS1_22reduce_config_selectorIiEEZNS1_11reduce_implILb1ES3_PiS7_iN6hipcub16HIPCUB_304000_NS6detail34convert_binary_result_type_wrapperINS9_3SumENS9_22TransformInputIteratorIbN2at6native12_GLOBAL__N_19NonZeroOpIdEEPKdlEEiEEEE10hipError_tPvRmT1_T2_T3_mT4_P12ihipStream_tbEUlT_E1_NS1_11comp_targetILNS1_3genE3ELNS1_11target_archE908ELNS1_3gpuE7ELNS1_3repE0EEENS1_30default_config_static_selectorELNS0_4arch9wavefront6targetE0EEEvSQ_: ; @_ZN7rocprim17ROCPRIM_400000_NS6detail17trampoline_kernelINS0_14default_configENS1_22reduce_config_selectorIiEEZNS1_11reduce_implILb1ES3_PiS7_iN6hipcub16HIPCUB_304000_NS6detail34convert_binary_result_type_wrapperINS9_3SumENS9_22TransformInputIteratorIbN2at6native12_GLOBAL__N_19NonZeroOpIdEEPKdlEEiEEEE10hipError_tPvRmT1_T2_T3_mT4_P12ihipStream_tbEUlT_E1_NS1_11comp_targetILNS1_3genE3ELNS1_11target_archE908ELNS1_3gpuE7ELNS1_3repE0EEENS1_30default_config_static_selectorELNS0_4arch9wavefront6targetE0EEEvSQ_
; %bb.0:
	.section	.rodata,"a",@progbits
	.p2align	6, 0x0
	.amdhsa_kernel _ZN7rocprim17ROCPRIM_400000_NS6detail17trampoline_kernelINS0_14default_configENS1_22reduce_config_selectorIiEEZNS1_11reduce_implILb1ES3_PiS7_iN6hipcub16HIPCUB_304000_NS6detail34convert_binary_result_type_wrapperINS9_3SumENS9_22TransformInputIteratorIbN2at6native12_GLOBAL__N_19NonZeroOpIdEEPKdlEEiEEEE10hipError_tPvRmT1_T2_T3_mT4_P12ihipStream_tbEUlT_E1_NS1_11comp_targetILNS1_3genE3ELNS1_11target_archE908ELNS1_3gpuE7ELNS1_3repE0EEENS1_30default_config_static_selectorELNS0_4arch9wavefront6targetE0EEEvSQ_
		.amdhsa_group_segment_fixed_size 0
		.amdhsa_private_segment_fixed_size 0
		.amdhsa_kernarg_size 40
		.amdhsa_user_sgpr_count 2
		.amdhsa_user_sgpr_dispatch_ptr 0
		.amdhsa_user_sgpr_queue_ptr 0
		.amdhsa_user_sgpr_kernarg_segment_ptr 1
		.amdhsa_user_sgpr_dispatch_id 0
		.amdhsa_user_sgpr_private_segment_size 0
		.amdhsa_wavefront_size32 1
		.amdhsa_uses_dynamic_stack 0
		.amdhsa_enable_private_segment 0
		.amdhsa_system_sgpr_workgroup_id_x 1
		.amdhsa_system_sgpr_workgroup_id_y 0
		.amdhsa_system_sgpr_workgroup_id_z 0
		.amdhsa_system_sgpr_workgroup_info 0
		.amdhsa_system_vgpr_workitem_id 0
		.amdhsa_next_free_vgpr 1
		.amdhsa_next_free_sgpr 1
		.amdhsa_reserve_vcc 0
		.amdhsa_float_round_mode_32 0
		.amdhsa_float_round_mode_16_64 0
		.amdhsa_float_denorm_mode_32 3
		.amdhsa_float_denorm_mode_16_64 3
		.amdhsa_fp16_overflow 0
		.amdhsa_workgroup_processor_mode 1
		.amdhsa_memory_ordered 1
		.amdhsa_forward_progress 1
		.amdhsa_inst_pref_size 0
		.amdhsa_round_robin_scheduling 0
		.amdhsa_exception_fp_ieee_invalid_op 0
		.amdhsa_exception_fp_denorm_src 0
		.amdhsa_exception_fp_ieee_div_zero 0
		.amdhsa_exception_fp_ieee_overflow 0
		.amdhsa_exception_fp_ieee_underflow 0
		.amdhsa_exception_fp_ieee_inexact 0
		.amdhsa_exception_int_div_zero 0
	.end_amdhsa_kernel
	.section	.text._ZN7rocprim17ROCPRIM_400000_NS6detail17trampoline_kernelINS0_14default_configENS1_22reduce_config_selectorIiEEZNS1_11reduce_implILb1ES3_PiS7_iN6hipcub16HIPCUB_304000_NS6detail34convert_binary_result_type_wrapperINS9_3SumENS9_22TransformInputIteratorIbN2at6native12_GLOBAL__N_19NonZeroOpIdEEPKdlEEiEEEE10hipError_tPvRmT1_T2_T3_mT4_P12ihipStream_tbEUlT_E1_NS1_11comp_targetILNS1_3genE3ELNS1_11target_archE908ELNS1_3gpuE7ELNS1_3repE0EEENS1_30default_config_static_selectorELNS0_4arch9wavefront6targetE0EEEvSQ_,"axG",@progbits,_ZN7rocprim17ROCPRIM_400000_NS6detail17trampoline_kernelINS0_14default_configENS1_22reduce_config_selectorIiEEZNS1_11reduce_implILb1ES3_PiS7_iN6hipcub16HIPCUB_304000_NS6detail34convert_binary_result_type_wrapperINS9_3SumENS9_22TransformInputIteratorIbN2at6native12_GLOBAL__N_19NonZeroOpIdEEPKdlEEiEEEE10hipError_tPvRmT1_T2_T3_mT4_P12ihipStream_tbEUlT_E1_NS1_11comp_targetILNS1_3genE3ELNS1_11target_archE908ELNS1_3gpuE7ELNS1_3repE0EEENS1_30default_config_static_selectorELNS0_4arch9wavefront6targetE0EEEvSQ_,comdat
.Lfunc_end366:
	.size	_ZN7rocprim17ROCPRIM_400000_NS6detail17trampoline_kernelINS0_14default_configENS1_22reduce_config_selectorIiEEZNS1_11reduce_implILb1ES3_PiS7_iN6hipcub16HIPCUB_304000_NS6detail34convert_binary_result_type_wrapperINS9_3SumENS9_22TransformInputIteratorIbN2at6native12_GLOBAL__N_19NonZeroOpIdEEPKdlEEiEEEE10hipError_tPvRmT1_T2_T3_mT4_P12ihipStream_tbEUlT_E1_NS1_11comp_targetILNS1_3genE3ELNS1_11target_archE908ELNS1_3gpuE7ELNS1_3repE0EEENS1_30default_config_static_selectorELNS0_4arch9wavefront6targetE0EEEvSQ_, .Lfunc_end366-_ZN7rocprim17ROCPRIM_400000_NS6detail17trampoline_kernelINS0_14default_configENS1_22reduce_config_selectorIiEEZNS1_11reduce_implILb1ES3_PiS7_iN6hipcub16HIPCUB_304000_NS6detail34convert_binary_result_type_wrapperINS9_3SumENS9_22TransformInputIteratorIbN2at6native12_GLOBAL__N_19NonZeroOpIdEEPKdlEEiEEEE10hipError_tPvRmT1_T2_T3_mT4_P12ihipStream_tbEUlT_E1_NS1_11comp_targetILNS1_3genE3ELNS1_11target_archE908ELNS1_3gpuE7ELNS1_3repE0EEENS1_30default_config_static_selectorELNS0_4arch9wavefront6targetE0EEEvSQ_
                                        ; -- End function
	.set _ZN7rocprim17ROCPRIM_400000_NS6detail17trampoline_kernelINS0_14default_configENS1_22reduce_config_selectorIiEEZNS1_11reduce_implILb1ES3_PiS7_iN6hipcub16HIPCUB_304000_NS6detail34convert_binary_result_type_wrapperINS9_3SumENS9_22TransformInputIteratorIbN2at6native12_GLOBAL__N_19NonZeroOpIdEEPKdlEEiEEEE10hipError_tPvRmT1_T2_T3_mT4_P12ihipStream_tbEUlT_E1_NS1_11comp_targetILNS1_3genE3ELNS1_11target_archE908ELNS1_3gpuE7ELNS1_3repE0EEENS1_30default_config_static_selectorELNS0_4arch9wavefront6targetE0EEEvSQ_.num_vgpr, 0
	.set _ZN7rocprim17ROCPRIM_400000_NS6detail17trampoline_kernelINS0_14default_configENS1_22reduce_config_selectorIiEEZNS1_11reduce_implILb1ES3_PiS7_iN6hipcub16HIPCUB_304000_NS6detail34convert_binary_result_type_wrapperINS9_3SumENS9_22TransformInputIteratorIbN2at6native12_GLOBAL__N_19NonZeroOpIdEEPKdlEEiEEEE10hipError_tPvRmT1_T2_T3_mT4_P12ihipStream_tbEUlT_E1_NS1_11comp_targetILNS1_3genE3ELNS1_11target_archE908ELNS1_3gpuE7ELNS1_3repE0EEENS1_30default_config_static_selectorELNS0_4arch9wavefront6targetE0EEEvSQ_.num_agpr, 0
	.set _ZN7rocprim17ROCPRIM_400000_NS6detail17trampoline_kernelINS0_14default_configENS1_22reduce_config_selectorIiEEZNS1_11reduce_implILb1ES3_PiS7_iN6hipcub16HIPCUB_304000_NS6detail34convert_binary_result_type_wrapperINS9_3SumENS9_22TransformInputIteratorIbN2at6native12_GLOBAL__N_19NonZeroOpIdEEPKdlEEiEEEE10hipError_tPvRmT1_T2_T3_mT4_P12ihipStream_tbEUlT_E1_NS1_11comp_targetILNS1_3genE3ELNS1_11target_archE908ELNS1_3gpuE7ELNS1_3repE0EEENS1_30default_config_static_selectorELNS0_4arch9wavefront6targetE0EEEvSQ_.numbered_sgpr, 0
	.set _ZN7rocprim17ROCPRIM_400000_NS6detail17trampoline_kernelINS0_14default_configENS1_22reduce_config_selectorIiEEZNS1_11reduce_implILb1ES3_PiS7_iN6hipcub16HIPCUB_304000_NS6detail34convert_binary_result_type_wrapperINS9_3SumENS9_22TransformInputIteratorIbN2at6native12_GLOBAL__N_19NonZeroOpIdEEPKdlEEiEEEE10hipError_tPvRmT1_T2_T3_mT4_P12ihipStream_tbEUlT_E1_NS1_11comp_targetILNS1_3genE3ELNS1_11target_archE908ELNS1_3gpuE7ELNS1_3repE0EEENS1_30default_config_static_selectorELNS0_4arch9wavefront6targetE0EEEvSQ_.num_named_barrier, 0
	.set _ZN7rocprim17ROCPRIM_400000_NS6detail17trampoline_kernelINS0_14default_configENS1_22reduce_config_selectorIiEEZNS1_11reduce_implILb1ES3_PiS7_iN6hipcub16HIPCUB_304000_NS6detail34convert_binary_result_type_wrapperINS9_3SumENS9_22TransformInputIteratorIbN2at6native12_GLOBAL__N_19NonZeroOpIdEEPKdlEEiEEEE10hipError_tPvRmT1_T2_T3_mT4_P12ihipStream_tbEUlT_E1_NS1_11comp_targetILNS1_3genE3ELNS1_11target_archE908ELNS1_3gpuE7ELNS1_3repE0EEENS1_30default_config_static_selectorELNS0_4arch9wavefront6targetE0EEEvSQ_.private_seg_size, 0
	.set _ZN7rocprim17ROCPRIM_400000_NS6detail17trampoline_kernelINS0_14default_configENS1_22reduce_config_selectorIiEEZNS1_11reduce_implILb1ES3_PiS7_iN6hipcub16HIPCUB_304000_NS6detail34convert_binary_result_type_wrapperINS9_3SumENS9_22TransformInputIteratorIbN2at6native12_GLOBAL__N_19NonZeroOpIdEEPKdlEEiEEEE10hipError_tPvRmT1_T2_T3_mT4_P12ihipStream_tbEUlT_E1_NS1_11comp_targetILNS1_3genE3ELNS1_11target_archE908ELNS1_3gpuE7ELNS1_3repE0EEENS1_30default_config_static_selectorELNS0_4arch9wavefront6targetE0EEEvSQ_.uses_vcc, 0
	.set _ZN7rocprim17ROCPRIM_400000_NS6detail17trampoline_kernelINS0_14default_configENS1_22reduce_config_selectorIiEEZNS1_11reduce_implILb1ES3_PiS7_iN6hipcub16HIPCUB_304000_NS6detail34convert_binary_result_type_wrapperINS9_3SumENS9_22TransformInputIteratorIbN2at6native12_GLOBAL__N_19NonZeroOpIdEEPKdlEEiEEEE10hipError_tPvRmT1_T2_T3_mT4_P12ihipStream_tbEUlT_E1_NS1_11comp_targetILNS1_3genE3ELNS1_11target_archE908ELNS1_3gpuE7ELNS1_3repE0EEENS1_30default_config_static_selectorELNS0_4arch9wavefront6targetE0EEEvSQ_.uses_flat_scratch, 0
	.set _ZN7rocprim17ROCPRIM_400000_NS6detail17trampoline_kernelINS0_14default_configENS1_22reduce_config_selectorIiEEZNS1_11reduce_implILb1ES3_PiS7_iN6hipcub16HIPCUB_304000_NS6detail34convert_binary_result_type_wrapperINS9_3SumENS9_22TransformInputIteratorIbN2at6native12_GLOBAL__N_19NonZeroOpIdEEPKdlEEiEEEE10hipError_tPvRmT1_T2_T3_mT4_P12ihipStream_tbEUlT_E1_NS1_11comp_targetILNS1_3genE3ELNS1_11target_archE908ELNS1_3gpuE7ELNS1_3repE0EEENS1_30default_config_static_selectorELNS0_4arch9wavefront6targetE0EEEvSQ_.has_dyn_sized_stack, 0
	.set _ZN7rocprim17ROCPRIM_400000_NS6detail17trampoline_kernelINS0_14default_configENS1_22reduce_config_selectorIiEEZNS1_11reduce_implILb1ES3_PiS7_iN6hipcub16HIPCUB_304000_NS6detail34convert_binary_result_type_wrapperINS9_3SumENS9_22TransformInputIteratorIbN2at6native12_GLOBAL__N_19NonZeroOpIdEEPKdlEEiEEEE10hipError_tPvRmT1_T2_T3_mT4_P12ihipStream_tbEUlT_E1_NS1_11comp_targetILNS1_3genE3ELNS1_11target_archE908ELNS1_3gpuE7ELNS1_3repE0EEENS1_30default_config_static_selectorELNS0_4arch9wavefront6targetE0EEEvSQ_.has_recursion, 0
	.set _ZN7rocprim17ROCPRIM_400000_NS6detail17trampoline_kernelINS0_14default_configENS1_22reduce_config_selectorIiEEZNS1_11reduce_implILb1ES3_PiS7_iN6hipcub16HIPCUB_304000_NS6detail34convert_binary_result_type_wrapperINS9_3SumENS9_22TransformInputIteratorIbN2at6native12_GLOBAL__N_19NonZeroOpIdEEPKdlEEiEEEE10hipError_tPvRmT1_T2_T3_mT4_P12ihipStream_tbEUlT_E1_NS1_11comp_targetILNS1_3genE3ELNS1_11target_archE908ELNS1_3gpuE7ELNS1_3repE0EEENS1_30default_config_static_selectorELNS0_4arch9wavefront6targetE0EEEvSQ_.has_indirect_call, 0
	.section	.AMDGPU.csdata,"",@progbits
; Kernel info:
; codeLenInByte = 0
; TotalNumSgprs: 0
; NumVgprs: 0
; ScratchSize: 0
; MemoryBound: 0
; FloatMode: 240
; IeeeMode: 1
; LDSByteSize: 0 bytes/workgroup (compile time only)
; SGPRBlocks: 0
; VGPRBlocks: 0
; NumSGPRsForWavesPerEU: 1
; NumVGPRsForWavesPerEU: 1
; Occupancy: 16
; WaveLimiterHint : 0
; COMPUTE_PGM_RSRC2:SCRATCH_EN: 0
; COMPUTE_PGM_RSRC2:USER_SGPR: 2
; COMPUTE_PGM_RSRC2:TRAP_HANDLER: 0
; COMPUTE_PGM_RSRC2:TGID_X_EN: 1
; COMPUTE_PGM_RSRC2:TGID_Y_EN: 0
; COMPUTE_PGM_RSRC2:TGID_Z_EN: 0
; COMPUTE_PGM_RSRC2:TIDIG_COMP_CNT: 0
	.section	.text._ZN7rocprim17ROCPRIM_400000_NS6detail17trampoline_kernelINS0_14default_configENS1_22reduce_config_selectorIiEEZNS1_11reduce_implILb1ES3_PiS7_iN6hipcub16HIPCUB_304000_NS6detail34convert_binary_result_type_wrapperINS9_3SumENS9_22TransformInputIteratorIbN2at6native12_GLOBAL__N_19NonZeroOpIdEEPKdlEEiEEEE10hipError_tPvRmT1_T2_T3_mT4_P12ihipStream_tbEUlT_E1_NS1_11comp_targetILNS1_3genE2ELNS1_11target_archE906ELNS1_3gpuE6ELNS1_3repE0EEENS1_30default_config_static_selectorELNS0_4arch9wavefront6targetE0EEEvSQ_,"axG",@progbits,_ZN7rocprim17ROCPRIM_400000_NS6detail17trampoline_kernelINS0_14default_configENS1_22reduce_config_selectorIiEEZNS1_11reduce_implILb1ES3_PiS7_iN6hipcub16HIPCUB_304000_NS6detail34convert_binary_result_type_wrapperINS9_3SumENS9_22TransformInputIteratorIbN2at6native12_GLOBAL__N_19NonZeroOpIdEEPKdlEEiEEEE10hipError_tPvRmT1_T2_T3_mT4_P12ihipStream_tbEUlT_E1_NS1_11comp_targetILNS1_3genE2ELNS1_11target_archE906ELNS1_3gpuE6ELNS1_3repE0EEENS1_30default_config_static_selectorELNS0_4arch9wavefront6targetE0EEEvSQ_,comdat
	.globl	_ZN7rocprim17ROCPRIM_400000_NS6detail17trampoline_kernelINS0_14default_configENS1_22reduce_config_selectorIiEEZNS1_11reduce_implILb1ES3_PiS7_iN6hipcub16HIPCUB_304000_NS6detail34convert_binary_result_type_wrapperINS9_3SumENS9_22TransformInputIteratorIbN2at6native12_GLOBAL__N_19NonZeroOpIdEEPKdlEEiEEEE10hipError_tPvRmT1_T2_T3_mT4_P12ihipStream_tbEUlT_E1_NS1_11comp_targetILNS1_3genE2ELNS1_11target_archE906ELNS1_3gpuE6ELNS1_3repE0EEENS1_30default_config_static_selectorELNS0_4arch9wavefront6targetE0EEEvSQ_ ; -- Begin function _ZN7rocprim17ROCPRIM_400000_NS6detail17trampoline_kernelINS0_14default_configENS1_22reduce_config_selectorIiEEZNS1_11reduce_implILb1ES3_PiS7_iN6hipcub16HIPCUB_304000_NS6detail34convert_binary_result_type_wrapperINS9_3SumENS9_22TransformInputIteratorIbN2at6native12_GLOBAL__N_19NonZeroOpIdEEPKdlEEiEEEE10hipError_tPvRmT1_T2_T3_mT4_P12ihipStream_tbEUlT_E1_NS1_11comp_targetILNS1_3genE2ELNS1_11target_archE906ELNS1_3gpuE6ELNS1_3repE0EEENS1_30default_config_static_selectorELNS0_4arch9wavefront6targetE0EEEvSQ_
	.p2align	8
	.type	_ZN7rocprim17ROCPRIM_400000_NS6detail17trampoline_kernelINS0_14default_configENS1_22reduce_config_selectorIiEEZNS1_11reduce_implILb1ES3_PiS7_iN6hipcub16HIPCUB_304000_NS6detail34convert_binary_result_type_wrapperINS9_3SumENS9_22TransformInputIteratorIbN2at6native12_GLOBAL__N_19NonZeroOpIdEEPKdlEEiEEEE10hipError_tPvRmT1_T2_T3_mT4_P12ihipStream_tbEUlT_E1_NS1_11comp_targetILNS1_3genE2ELNS1_11target_archE906ELNS1_3gpuE6ELNS1_3repE0EEENS1_30default_config_static_selectorELNS0_4arch9wavefront6targetE0EEEvSQ_,@function
_ZN7rocprim17ROCPRIM_400000_NS6detail17trampoline_kernelINS0_14default_configENS1_22reduce_config_selectorIiEEZNS1_11reduce_implILb1ES3_PiS7_iN6hipcub16HIPCUB_304000_NS6detail34convert_binary_result_type_wrapperINS9_3SumENS9_22TransformInputIteratorIbN2at6native12_GLOBAL__N_19NonZeroOpIdEEPKdlEEiEEEE10hipError_tPvRmT1_T2_T3_mT4_P12ihipStream_tbEUlT_E1_NS1_11comp_targetILNS1_3genE2ELNS1_11target_archE906ELNS1_3gpuE6ELNS1_3repE0EEENS1_30default_config_static_selectorELNS0_4arch9wavefront6targetE0EEEvSQ_: ; @_ZN7rocprim17ROCPRIM_400000_NS6detail17trampoline_kernelINS0_14default_configENS1_22reduce_config_selectorIiEEZNS1_11reduce_implILb1ES3_PiS7_iN6hipcub16HIPCUB_304000_NS6detail34convert_binary_result_type_wrapperINS9_3SumENS9_22TransformInputIteratorIbN2at6native12_GLOBAL__N_19NonZeroOpIdEEPKdlEEiEEEE10hipError_tPvRmT1_T2_T3_mT4_P12ihipStream_tbEUlT_E1_NS1_11comp_targetILNS1_3genE2ELNS1_11target_archE906ELNS1_3gpuE6ELNS1_3repE0EEENS1_30default_config_static_selectorELNS0_4arch9wavefront6targetE0EEEvSQ_
; %bb.0:
	.section	.rodata,"a",@progbits
	.p2align	6, 0x0
	.amdhsa_kernel _ZN7rocprim17ROCPRIM_400000_NS6detail17trampoline_kernelINS0_14default_configENS1_22reduce_config_selectorIiEEZNS1_11reduce_implILb1ES3_PiS7_iN6hipcub16HIPCUB_304000_NS6detail34convert_binary_result_type_wrapperINS9_3SumENS9_22TransformInputIteratorIbN2at6native12_GLOBAL__N_19NonZeroOpIdEEPKdlEEiEEEE10hipError_tPvRmT1_T2_T3_mT4_P12ihipStream_tbEUlT_E1_NS1_11comp_targetILNS1_3genE2ELNS1_11target_archE906ELNS1_3gpuE6ELNS1_3repE0EEENS1_30default_config_static_selectorELNS0_4arch9wavefront6targetE0EEEvSQ_
		.amdhsa_group_segment_fixed_size 0
		.amdhsa_private_segment_fixed_size 0
		.amdhsa_kernarg_size 40
		.amdhsa_user_sgpr_count 2
		.amdhsa_user_sgpr_dispatch_ptr 0
		.amdhsa_user_sgpr_queue_ptr 0
		.amdhsa_user_sgpr_kernarg_segment_ptr 1
		.amdhsa_user_sgpr_dispatch_id 0
		.amdhsa_user_sgpr_private_segment_size 0
		.amdhsa_wavefront_size32 1
		.amdhsa_uses_dynamic_stack 0
		.amdhsa_enable_private_segment 0
		.amdhsa_system_sgpr_workgroup_id_x 1
		.amdhsa_system_sgpr_workgroup_id_y 0
		.amdhsa_system_sgpr_workgroup_id_z 0
		.amdhsa_system_sgpr_workgroup_info 0
		.amdhsa_system_vgpr_workitem_id 0
		.amdhsa_next_free_vgpr 1
		.amdhsa_next_free_sgpr 1
		.amdhsa_reserve_vcc 0
		.amdhsa_float_round_mode_32 0
		.amdhsa_float_round_mode_16_64 0
		.amdhsa_float_denorm_mode_32 3
		.amdhsa_float_denorm_mode_16_64 3
		.amdhsa_fp16_overflow 0
		.amdhsa_workgroup_processor_mode 1
		.amdhsa_memory_ordered 1
		.amdhsa_forward_progress 1
		.amdhsa_inst_pref_size 0
		.amdhsa_round_robin_scheduling 0
		.amdhsa_exception_fp_ieee_invalid_op 0
		.amdhsa_exception_fp_denorm_src 0
		.amdhsa_exception_fp_ieee_div_zero 0
		.amdhsa_exception_fp_ieee_overflow 0
		.amdhsa_exception_fp_ieee_underflow 0
		.amdhsa_exception_fp_ieee_inexact 0
		.amdhsa_exception_int_div_zero 0
	.end_amdhsa_kernel
	.section	.text._ZN7rocprim17ROCPRIM_400000_NS6detail17trampoline_kernelINS0_14default_configENS1_22reduce_config_selectorIiEEZNS1_11reduce_implILb1ES3_PiS7_iN6hipcub16HIPCUB_304000_NS6detail34convert_binary_result_type_wrapperINS9_3SumENS9_22TransformInputIteratorIbN2at6native12_GLOBAL__N_19NonZeroOpIdEEPKdlEEiEEEE10hipError_tPvRmT1_T2_T3_mT4_P12ihipStream_tbEUlT_E1_NS1_11comp_targetILNS1_3genE2ELNS1_11target_archE906ELNS1_3gpuE6ELNS1_3repE0EEENS1_30default_config_static_selectorELNS0_4arch9wavefront6targetE0EEEvSQ_,"axG",@progbits,_ZN7rocprim17ROCPRIM_400000_NS6detail17trampoline_kernelINS0_14default_configENS1_22reduce_config_selectorIiEEZNS1_11reduce_implILb1ES3_PiS7_iN6hipcub16HIPCUB_304000_NS6detail34convert_binary_result_type_wrapperINS9_3SumENS9_22TransformInputIteratorIbN2at6native12_GLOBAL__N_19NonZeroOpIdEEPKdlEEiEEEE10hipError_tPvRmT1_T2_T3_mT4_P12ihipStream_tbEUlT_E1_NS1_11comp_targetILNS1_3genE2ELNS1_11target_archE906ELNS1_3gpuE6ELNS1_3repE0EEENS1_30default_config_static_selectorELNS0_4arch9wavefront6targetE0EEEvSQ_,comdat
.Lfunc_end367:
	.size	_ZN7rocprim17ROCPRIM_400000_NS6detail17trampoline_kernelINS0_14default_configENS1_22reduce_config_selectorIiEEZNS1_11reduce_implILb1ES3_PiS7_iN6hipcub16HIPCUB_304000_NS6detail34convert_binary_result_type_wrapperINS9_3SumENS9_22TransformInputIteratorIbN2at6native12_GLOBAL__N_19NonZeroOpIdEEPKdlEEiEEEE10hipError_tPvRmT1_T2_T3_mT4_P12ihipStream_tbEUlT_E1_NS1_11comp_targetILNS1_3genE2ELNS1_11target_archE906ELNS1_3gpuE6ELNS1_3repE0EEENS1_30default_config_static_selectorELNS0_4arch9wavefront6targetE0EEEvSQ_, .Lfunc_end367-_ZN7rocprim17ROCPRIM_400000_NS6detail17trampoline_kernelINS0_14default_configENS1_22reduce_config_selectorIiEEZNS1_11reduce_implILb1ES3_PiS7_iN6hipcub16HIPCUB_304000_NS6detail34convert_binary_result_type_wrapperINS9_3SumENS9_22TransformInputIteratorIbN2at6native12_GLOBAL__N_19NonZeroOpIdEEPKdlEEiEEEE10hipError_tPvRmT1_T2_T3_mT4_P12ihipStream_tbEUlT_E1_NS1_11comp_targetILNS1_3genE2ELNS1_11target_archE906ELNS1_3gpuE6ELNS1_3repE0EEENS1_30default_config_static_selectorELNS0_4arch9wavefront6targetE0EEEvSQ_
                                        ; -- End function
	.set _ZN7rocprim17ROCPRIM_400000_NS6detail17trampoline_kernelINS0_14default_configENS1_22reduce_config_selectorIiEEZNS1_11reduce_implILb1ES3_PiS7_iN6hipcub16HIPCUB_304000_NS6detail34convert_binary_result_type_wrapperINS9_3SumENS9_22TransformInputIteratorIbN2at6native12_GLOBAL__N_19NonZeroOpIdEEPKdlEEiEEEE10hipError_tPvRmT1_T2_T3_mT4_P12ihipStream_tbEUlT_E1_NS1_11comp_targetILNS1_3genE2ELNS1_11target_archE906ELNS1_3gpuE6ELNS1_3repE0EEENS1_30default_config_static_selectorELNS0_4arch9wavefront6targetE0EEEvSQ_.num_vgpr, 0
	.set _ZN7rocprim17ROCPRIM_400000_NS6detail17trampoline_kernelINS0_14default_configENS1_22reduce_config_selectorIiEEZNS1_11reduce_implILb1ES3_PiS7_iN6hipcub16HIPCUB_304000_NS6detail34convert_binary_result_type_wrapperINS9_3SumENS9_22TransformInputIteratorIbN2at6native12_GLOBAL__N_19NonZeroOpIdEEPKdlEEiEEEE10hipError_tPvRmT1_T2_T3_mT4_P12ihipStream_tbEUlT_E1_NS1_11comp_targetILNS1_3genE2ELNS1_11target_archE906ELNS1_3gpuE6ELNS1_3repE0EEENS1_30default_config_static_selectorELNS0_4arch9wavefront6targetE0EEEvSQ_.num_agpr, 0
	.set _ZN7rocprim17ROCPRIM_400000_NS6detail17trampoline_kernelINS0_14default_configENS1_22reduce_config_selectorIiEEZNS1_11reduce_implILb1ES3_PiS7_iN6hipcub16HIPCUB_304000_NS6detail34convert_binary_result_type_wrapperINS9_3SumENS9_22TransformInputIteratorIbN2at6native12_GLOBAL__N_19NonZeroOpIdEEPKdlEEiEEEE10hipError_tPvRmT1_T2_T3_mT4_P12ihipStream_tbEUlT_E1_NS1_11comp_targetILNS1_3genE2ELNS1_11target_archE906ELNS1_3gpuE6ELNS1_3repE0EEENS1_30default_config_static_selectorELNS0_4arch9wavefront6targetE0EEEvSQ_.numbered_sgpr, 0
	.set _ZN7rocprim17ROCPRIM_400000_NS6detail17trampoline_kernelINS0_14default_configENS1_22reduce_config_selectorIiEEZNS1_11reduce_implILb1ES3_PiS7_iN6hipcub16HIPCUB_304000_NS6detail34convert_binary_result_type_wrapperINS9_3SumENS9_22TransformInputIteratorIbN2at6native12_GLOBAL__N_19NonZeroOpIdEEPKdlEEiEEEE10hipError_tPvRmT1_T2_T3_mT4_P12ihipStream_tbEUlT_E1_NS1_11comp_targetILNS1_3genE2ELNS1_11target_archE906ELNS1_3gpuE6ELNS1_3repE0EEENS1_30default_config_static_selectorELNS0_4arch9wavefront6targetE0EEEvSQ_.num_named_barrier, 0
	.set _ZN7rocprim17ROCPRIM_400000_NS6detail17trampoline_kernelINS0_14default_configENS1_22reduce_config_selectorIiEEZNS1_11reduce_implILb1ES3_PiS7_iN6hipcub16HIPCUB_304000_NS6detail34convert_binary_result_type_wrapperINS9_3SumENS9_22TransformInputIteratorIbN2at6native12_GLOBAL__N_19NonZeroOpIdEEPKdlEEiEEEE10hipError_tPvRmT1_T2_T3_mT4_P12ihipStream_tbEUlT_E1_NS1_11comp_targetILNS1_3genE2ELNS1_11target_archE906ELNS1_3gpuE6ELNS1_3repE0EEENS1_30default_config_static_selectorELNS0_4arch9wavefront6targetE0EEEvSQ_.private_seg_size, 0
	.set _ZN7rocprim17ROCPRIM_400000_NS6detail17trampoline_kernelINS0_14default_configENS1_22reduce_config_selectorIiEEZNS1_11reduce_implILb1ES3_PiS7_iN6hipcub16HIPCUB_304000_NS6detail34convert_binary_result_type_wrapperINS9_3SumENS9_22TransformInputIteratorIbN2at6native12_GLOBAL__N_19NonZeroOpIdEEPKdlEEiEEEE10hipError_tPvRmT1_T2_T3_mT4_P12ihipStream_tbEUlT_E1_NS1_11comp_targetILNS1_3genE2ELNS1_11target_archE906ELNS1_3gpuE6ELNS1_3repE0EEENS1_30default_config_static_selectorELNS0_4arch9wavefront6targetE0EEEvSQ_.uses_vcc, 0
	.set _ZN7rocprim17ROCPRIM_400000_NS6detail17trampoline_kernelINS0_14default_configENS1_22reduce_config_selectorIiEEZNS1_11reduce_implILb1ES3_PiS7_iN6hipcub16HIPCUB_304000_NS6detail34convert_binary_result_type_wrapperINS9_3SumENS9_22TransformInputIteratorIbN2at6native12_GLOBAL__N_19NonZeroOpIdEEPKdlEEiEEEE10hipError_tPvRmT1_T2_T3_mT4_P12ihipStream_tbEUlT_E1_NS1_11comp_targetILNS1_3genE2ELNS1_11target_archE906ELNS1_3gpuE6ELNS1_3repE0EEENS1_30default_config_static_selectorELNS0_4arch9wavefront6targetE0EEEvSQ_.uses_flat_scratch, 0
	.set _ZN7rocprim17ROCPRIM_400000_NS6detail17trampoline_kernelINS0_14default_configENS1_22reduce_config_selectorIiEEZNS1_11reduce_implILb1ES3_PiS7_iN6hipcub16HIPCUB_304000_NS6detail34convert_binary_result_type_wrapperINS9_3SumENS9_22TransformInputIteratorIbN2at6native12_GLOBAL__N_19NonZeroOpIdEEPKdlEEiEEEE10hipError_tPvRmT1_T2_T3_mT4_P12ihipStream_tbEUlT_E1_NS1_11comp_targetILNS1_3genE2ELNS1_11target_archE906ELNS1_3gpuE6ELNS1_3repE0EEENS1_30default_config_static_selectorELNS0_4arch9wavefront6targetE0EEEvSQ_.has_dyn_sized_stack, 0
	.set _ZN7rocprim17ROCPRIM_400000_NS6detail17trampoline_kernelINS0_14default_configENS1_22reduce_config_selectorIiEEZNS1_11reduce_implILb1ES3_PiS7_iN6hipcub16HIPCUB_304000_NS6detail34convert_binary_result_type_wrapperINS9_3SumENS9_22TransformInputIteratorIbN2at6native12_GLOBAL__N_19NonZeroOpIdEEPKdlEEiEEEE10hipError_tPvRmT1_T2_T3_mT4_P12ihipStream_tbEUlT_E1_NS1_11comp_targetILNS1_3genE2ELNS1_11target_archE906ELNS1_3gpuE6ELNS1_3repE0EEENS1_30default_config_static_selectorELNS0_4arch9wavefront6targetE0EEEvSQ_.has_recursion, 0
	.set _ZN7rocprim17ROCPRIM_400000_NS6detail17trampoline_kernelINS0_14default_configENS1_22reduce_config_selectorIiEEZNS1_11reduce_implILb1ES3_PiS7_iN6hipcub16HIPCUB_304000_NS6detail34convert_binary_result_type_wrapperINS9_3SumENS9_22TransformInputIteratorIbN2at6native12_GLOBAL__N_19NonZeroOpIdEEPKdlEEiEEEE10hipError_tPvRmT1_T2_T3_mT4_P12ihipStream_tbEUlT_E1_NS1_11comp_targetILNS1_3genE2ELNS1_11target_archE906ELNS1_3gpuE6ELNS1_3repE0EEENS1_30default_config_static_selectorELNS0_4arch9wavefront6targetE0EEEvSQ_.has_indirect_call, 0
	.section	.AMDGPU.csdata,"",@progbits
; Kernel info:
; codeLenInByte = 0
; TotalNumSgprs: 0
; NumVgprs: 0
; ScratchSize: 0
; MemoryBound: 0
; FloatMode: 240
; IeeeMode: 1
; LDSByteSize: 0 bytes/workgroup (compile time only)
; SGPRBlocks: 0
; VGPRBlocks: 0
; NumSGPRsForWavesPerEU: 1
; NumVGPRsForWavesPerEU: 1
; Occupancy: 16
; WaveLimiterHint : 0
; COMPUTE_PGM_RSRC2:SCRATCH_EN: 0
; COMPUTE_PGM_RSRC2:USER_SGPR: 2
; COMPUTE_PGM_RSRC2:TRAP_HANDLER: 0
; COMPUTE_PGM_RSRC2:TGID_X_EN: 1
; COMPUTE_PGM_RSRC2:TGID_Y_EN: 0
; COMPUTE_PGM_RSRC2:TGID_Z_EN: 0
; COMPUTE_PGM_RSRC2:TIDIG_COMP_CNT: 0
	.section	.text._ZN7rocprim17ROCPRIM_400000_NS6detail17trampoline_kernelINS0_14default_configENS1_22reduce_config_selectorIiEEZNS1_11reduce_implILb1ES3_PiS7_iN6hipcub16HIPCUB_304000_NS6detail34convert_binary_result_type_wrapperINS9_3SumENS9_22TransformInputIteratorIbN2at6native12_GLOBAL__N_19NonZeroOpIdEEPKdlEEiEEEE10hipError_tPvRmT1_T2_T3_mT4_P12ihipStream_tbEUlT_E1_NS1_11comp_targetILNS1_3genE10ELNS1_11target_archE1201ELNS1_3gpuE5ELNS1_3repE0EEENS1_30default_config_static_selectorELNS0_4arch9wavefront6targetE0EEEvSQ_,"axG",@progbits,_ZN7rocprim17ROCPRIM_400000_NS6detail17trampoline_kernelINS0_14default_configENS1_22reduce_config_selectorIiEEZNS1_11reduce_implILb1ES3_PiS7_iN6hipcub16HIPCUB_304000_NS6detail34convert_binary_result_type_wrapperINS9_3SumENS9_22TransformInputIteratorIbN2at6native12_GLOBAL__N_19NonZeroOpIdEEPKdlEEiEEEE10hipError_tPvRmT1_T2_T3_mT4_P12ihipStream_tbEUlT_E1_NS1_11comp_targetILNS1_3genE10ELNS1_11target_archE1201ELNS1_3gpuE5ELNS1_3repE0EEENS1_30default_config_static_selectorELNS0_4arch9wavefront6targetE0EEEvSQ_,comdat
	.globl	_ZN7rocprim17ROCPRIM_400000_NS6detail17trampoline_kernelINS0_14default_configENS1_22reduce_config_selectorIiEEZNS1_11reduce_implILb1ES3_PiS7_iN6hipcub16HIPCUB_304000_NS6detail34convert_binary_result_type_wrapperINS9_3SumENS9_22TransformInputIteratorIbN2at6native12_GLOBAL__N_19NonZeroOpIdEEPKdlEEiEEEE10hipError_tPvRmT1_T2_T3_mT4_P12ihipStream_tbEUlT_E1_NS1_11comp_targetILNS1_3genE10ELNS1_11target_archE1201ELNS1_3gpuE5ELNS1_3repE0EEENS1_30default_config_static_selectorELNS0_4arch9wavefront6targetE0EEEvSQ_ ; -- Begin function _ZN7rocprim17ROCPRIM_400000_NS6detail17trampoline_kernelINS0_14default_configENS1_22reduce_config_selectorIiEEZNS1_11reduce_implILb1ES3_PiS7_iN6hipcub16HIPCUB_304000_NS6detail34convert_binary_result_type_wrapperINS9_3SumENS9_22TransformInputIteratorIbN2at6native12_GLOBAL__N_19NonZeroOpIdEEPKdlEEiEEEE10hipError_tPvRmT1_T2_T3_mT4_P12ihipStream_tbEUlT_E1_NS1_11comp_targetILNS1_3genE10ELNS1_11target_archE1201ELNS1_3gpuE5ELNS1_3repE0EEENS1_30default_config_static_selectorELNS0_4arch9wavefront6targetE0EEEvSQ_
	.p2align	8
	.type	_ZN7rocprim17ROCPRIM_400000_NS6detail17trampoline_kernelINS0_14default_configENS1_22reduce_config_selectorIiEEZNS1_11reduce_implILb1ES3_PiS7_iN6hipcub16HIPCUB_304000_NS6detail34convert_binary_result_type_wrapperINS9_3SumENS9_22TransformInputIteratorIbN2at6native12_GLOBAL__N_19NonZeroOpIdEEPKdlEEiEEEE10hipError_tPvRmT1_T2_T3_mT4_P12ihipStream_tbEUlT_E1_NS1_11comp_targetILNS1_3genE10ELNS1_11target_archE1201ELNS1_3gpuE5ELNS1_3repE0EEENS1_30default_config_static_selectorELNS0_4arch9wavefront6targetE0EEEvSQ_,@function
_ZN7rocprim17ROCPRIM_400000_NS6detail17trampoline_kernelINS0_14default_configENS1_22reduce_config_selectorIiEEZNS1_11reduce_implILb1ES3_PiS7_iN6hipcub16HIPCUB_304000_NS6detail34convert_binary_result_type_wrapperINS9_3SumENS9_22TransformInputIteratorIbN2at6native12_GLOBAL__N_19NonZeroOpIdEEPKdlEEiEEEE10hipError_tPvRmT1_T2_T3_mT4_P12ihipStream_tbEUlT_E1_NS1_11comp_targetILNS1_3genE10ELNS1_11target_archE1201ELNS1_3gpuE5ELNS1_3repE0EEENS1_30default_config_static_selectorELNS0_4arch9wavefront6targetE0EEEvSQ_: ; @_ZN7rocprim17ROCPRIM_400000_NS6detail17trampoline_kernelINS0_14default_configENS1_22reduce_config_selectorIiEEZNS1_11reduce_implILb1ES3_PiS7_iN6hipcub16HIPCUB_304000_NS6detail34convert_binary_result_type_wrapperINS9_3SumENS9_22TransformInputIteratorIbN2at6native12_GLOBAL__N_19NonZeroOpIdEEPKdlEEiEEEE10hipError_tPvRmT1_T2_T3_mT4_P12ihipStream_tbEUlT_E1_NS1_11comp_targetILNS1_3genE10ELNS1_11target_archE1201ELNS1_3gpuE5ELNS1_3repE0EEENS1_30default_config_static_selectorELNS0_4arch9wavefront6targetE0EEEvSQ_
; %bb.0:
	s_clause 0x1
	s_load_b32 s33, s[0:1], 0x4
	s_load_b128 s[36:39], s[0:1], 0x8
	s_mov_b32 s34, ttmp9
	s_wait_kmcnt 0x0
	s_cmp_lt_i32 s33, 8
	s_cbranch_scc1 .LBB368_11
; %bb.1:
	s_cmp_gt_i32 s33, 15
	s_cbranch_scc0 .LBB368_12
; %bb.2:
	s_cmp_gt_i32 s33, 31
	s_cbranch_scc0 .LBB368_13
; %bb.3:
	s_cmp_eq_u32 s33, 32
	s_mov_b32 s42, 0
	s_cbranch_scc0 .LBB368_14
; %bb.4:
	s_mov_b32 s35, 0
	s_lshl_b32 s2, s34, 13
	s_mov_b32 s3, s35
	s_lshr_b64 s[4:5], s[38:39], 13
	s_lshl_b64 s[6:7], s[2:3], 2
	s_cmp_lg_u64 s[4:5], s[34:35]
	s_add_nc_u64 s[40:41], s[36:37], s[6:7]
	s_cbranch_scc0 .LBB368_23
; %bb.5:
	v_lshlrev_b32_e32 v1, 2, v0
	s_mov_b32 s3, exec_lo
	s_clause 0x1f
	global_load_b32 v2, v1, s[40:41]
	global_load_b32 v3, v1, s[40:41] offset:1024
	global_load_b32 v4, v1, s[40:41] offset:2048
	;; [unrolled: 1-line block ×31, first 2 shown]
	s_wait_loadcnt 0x1e
	v_add_nc_u32_e32 v2, v3, v2
	s_wait_loadcnt 0x1c
	s_delay_alu instid0(VALU_DEP_1) | instskip(SKIP_1) | instid1(VALU_DEP_1)
	v_add3_u32 v2, v2, v4, v5
	s_wait_loadcnt 0x1a
	v_add3_u32 v2, v2, v6, v7
	s_wait_loadcnt 0x18
	s_delay_alu instid0(VALU_DEP_1) | instskip(SKIP_1) | instid1(VALU_DEP_1)
	v_add3_u32 v2, v2, v8, v9
	s_wait_loadcnt 0x16
	v_add3_u32 v2, v2, v10, v11
	;; [unrolled: 5-line block ×7, first 2 shown]
	s_wait_loadcnt 0x0
	s_delay_alu instid0(VALU_DEP_1) | instskip(NEXT) | instid1(VALU_DEP_1)
	v_add3_u32 v1, v2, v32, v1
	v_mov_b32_dpp v2, v1 quad_perm:[1,0,3,2] row_mask:0xf bank_mask:0xf
	s_delay_alu instid0(VALU_DEP_1) | instskip(NEXT) | instid1(VALU_DEP_1)
	v_add_nc_u32_e32 v1, v2, v1
	v_mov_b32_dpp v2, v1 quad_perm:[2,3,0,1] row_mask:0xf bank_mask:0xf
	s_delay_alu instid0(VALU_DEP_1) | instskip(NEXT) | instid1(VALU_DEP_1)
	v_add_nc_u32_e32 v1, v1, v2
	v_mov_b32_dpp v2, v1 row_ror:4 row_mask:0xf bank_mask:0xf
	s_delay_alu instid0(VALU_DEP_1) | instskip(NEXT) | instid1(VALU_DEP_1)
	v_add_nc_u32_e32 v1, v1, v2
	v_mov_b32_dpp v2, v1 row_ror:8 row_mask:0xf bank_mask:0xf
	s_delay_alu instid0(VALU_DEP_1)
	v_add_nc_u32_e32 v1, v1, v2
	ds_swizzle_b32 v2, v1 offset:swizzle(BROADCAST,32,15)
	s_wait_dscnt 0x0
	v_dual_mov_b32 v2, 0 :: v_dual_add_nc_u32 v1, v1, v2
	ds_bpermute_b32 v1, v2, v1 offset:124
	v_mbcnt_lo_u32_b32 v2, -1, 0
	s_delay_alu instid0(VALU_DEP_1)
	v_cmpx_eq_u32_e32 0, v2
	s_cbranch_execz .LBB368_7
; %bb.6:
	v_lshrrev_b32_e32 v3, 3, v0
	s_delay_alu instid0(VALU_DEP_1)
	v_and_b32_e32 v3, 28, v3
	s_wait_dscnt 0x0
	ds_store_b32 v3, v1 offset:96
.LBB368_7:
	s_or_b32 exec_lo, exec_lo, s3
	s_delay_alu instid0(SALU_CYCLE_1)
	s_mov_b32 s3, exec_lo
	s_wait_dscnt 0x0
	s_barrier_signal -1
	s_barrier_wait -1
	global_inv scope:SCOPE_SE
	v_cmpx_gt_u32_e32 32, v0
	s_cbranch_execz .LBB368_9
; %bb.8:
	v_lshl_or_b32 v1, v2, 2, 0x60
	v_and_b32_e32 v3, 7, v2
	ds_load_b32 v1, v1
	v_cmp_ne_u32_e32 vcc_lo, 7, v3
	v_add_co_ci_u32_e64 v4, null, 0, v2, vcc_lo
	v_cmp_gt_u32_e32 vcc_lo, 6, v3
	s_delay_alu instid0(VALU_DEP_2) | instskip(SKIP_2) | instid1(VALU_DEP_1)
	v_lshlrev_b32_e32 v4, 2, v4
	s_wait_alu 0xfffd
	v_cndmask_b32_e64 v3, 0, 2, vcc_lo
	v_add_lshl_u32 v3, v3, v2, 2
	v_lshlrev_b32_e32 v2, 2, v2
	s_wait_dscnt 0x0
	ds_bpermute_b32 v4, v4, v1
	v_or_b32_e32 v2, 16, v2
	s_wait_dscnt 0x0
	v_add_nc_u32_e32 v1, v4, v1
	ds_bpermute_b32 v3, v3, v1
	s_wait_dscnt 0x0
	v_add_nc_u32_e32 v1, v3, v1
	ds_bpermute_b32 v2, v2, v1
	s_wait_dscnt 0x0
	v_add_nc_u32_e32 v1, v2, v1
.LBB368_9:
	s_or_b32 exec_lo, exec_lo, s3
.LBB368_10:
	v_cmp_eq_u32_e64 s2, 0, v0
	s_and_b32 vcc_lo, exec_lo, s42
	s_wait_alu 0xfffe
	s_cbranch_vccnz .LBB368_15
	s_branch .LBB368_93
.LBB368_11:
	s_mov_b32 s2, 0
                                        ; implicit-def: $vgpr1
	s_cbranch_execnz .LBB368_166
	s_branch .LBB368_224
.LBB368_12:
	s_mov_b32 s2, 0
                                        ; implicit-def: $vgpr1
	s_cbranch_execnz .LBB368_134
	s_branch .LBB368_142
.LBB368_13:
	s_mov_b32 s42, -1
.LBB368_14:
	s_mov_b32 s2, 0
                                        ; implicit-def: $vgpr1
	s_and_b32 vcc_lo, exec_lo, s42
	s_cbranch_vccz .LBB368_93
.LBB368_15:
	s_cmp_eq_u32 s33, 16
	s_cbranch_scc0 .LBB368_22
; %bb.16:
	s_mov_b32 s35, 0
	s_lshl_b32 s2, s34, 12
	s_mov_b32 s3, s35
	s_lshr_b64 s[4:5], s[38:39], 12
	s_wait_alu 0xfffe
	s_lshl_b64 s[6:7], s[2:3], 2
	s_cmp_lg_u64 s[4:5], s[34:35]
	s_wait_alu 0xfffe
	s_add_nc_u64 s[16:17], s[36:37], s[6:7]
	s_cbranch_scc0 .LBB368_94
; %bb.17:
	v_lshlrev_b32_e32 v1, 2, v0
	s_mov_b32 s3, exec_lo
	s_clause 0xf
	global_load_b32 v2, v1, s[16:17]
	global_load_b32 v3, v1, s[16:17] offset:1024
	global_load_b32 v4, v1, s[16:17] offset:2048
	;; [unrolled: 1-line block ×15, first 2 shown]
	s_wait_loadcnt 0xe
	v_add_nc_u32_e32 v2, v3, v2
	s_wait_loadcnt 0xc
	s_delay_alu instid0(VALU_DEP_1) | instskip(SKIP_1) | instid1(VALU_DEP_1)
	v_add3_u32 v2, v2, v4, v5
	s_wait_loadcnt 0xa
	v_add3_u32 v2, v2, v6, v7
	s_wait_loadcnt 0x8
	s_delay_alu instid0(VALU_DEP_1) | instskip(SKIP_1) | instid1(VALU_DEP_1)
	v_add3_u32 v2, v2, v8, v9
	s_wait_loadcnt 0x6
	v_add3_u32 v2, v2, v10, v11
	s_wait_loadcnt 0x4
	s_delay_alu instid0(VALU_DEP_1) | instskip(SKIP_1) | instid1(VALU_DEP_1)
	v_add3_u32 v2, v2, v12, v13
	s_wait_loadcnt 0x2
	v_add3_u32 v2, v2, v14, v15
	s_wait_loadcnt 0x0
	s_delay_alu instid0(VALU_DEP_1) | instskip(NEXT) | instid1(VALU_DEP_1)
	v_add3_u32 v1, v2, v16, v1
	v_mov_b32_dpp v2, v1 quad_perm:[1,0,3,2] row_mask:0xf bank_mask:0xf
	s_delay_alu instid0(VALU_DEP_1) | instskip(NEXT) | instid1(VALU_DEP_1)
	v_add_nc_u32_e32 v1, v2, v1
	v_mov_b32_dpp v2, v1 quad_perm:[2,3,0,1] row_mask:0xf bank_mask:0xf
	s_delay_alu instid0(VALU_DEP_1) | instskip(NEXT) | instid1(VALU_DEP_1)
	v_add_nc_u32_e32 v1, v1, v2
	v_mov_b32_dpp v2, v1 row_ror:4 row_mask:0xf bank_mask:0xf
	s_delay_alu instid0(VALU_DEP_1) | instskip(NEXT) | instid1(VALU_DEP_1)
	v_add_nc_u32_e32 v1, v1, v2
	v_mov_b32_dpp v2, v1 row_ror:8 row_mask:0xf bank_mask:0xf
	s_delay_alu instid0(VALU_DEP_1)
	v_add_nc_u32_e32 v1, v1, v2
	ds_swizzle_b32 v2, v1 offset:swizzle(BROADCAST,32,15)
	s_wait_dscnt 0x0
	v_dual_mov_b32 v2, 0 :: v_dual_add_nc_u32 v1, v1, v2
	ds_bpermute_b32 v1, v2, v1 offset:124
	v_mbcnt_lo_u32_b32 v2, -1, 0
	s_delay_alu instid0(VALU_DEP_1)
	v_cmpx_eq_u32_e32 0, v2
	s_cbranch_execz .LBB368_19
; %bb.18:
	v_lshrrev_b32_e32 v3, 3, v0
	s_delay_alu instid0(VALU_DEP_1)
	v_and_b32_e32 v3, 28, v3
	s_wait_dscnt 0x0
	ds_store_b32 v3, v1
.LBB368_19:
	s_wait_alu 0xfffe
	s_or_b32 exec_lo, exec_lo, s3
	s_delay_alu instid0(SALU_CYCLE_1)
	s_mov_b32 s3, exec_lo
	s_wait_dscnt 0x0
	s_barrier_signal -1
	s_barrier_wait -1
	global_inv scope:SCOPE_SE
	v_cmpx_gt_u32_e32 32, v0
	s_cbranch_execz .LBB368_21
; %bb.20:
	v_and_b32_e32 v1, 7, v2
	s_delay_alu instid0(VALU_DEP_1)
	v_lshlrev_b32_e32 v3, 2, v1
	v_cmp_ne_u32_e32 vcc_lo, 7, v1
	ds_load_b32 v3, v3
	s_wait_alu 0xfffd
	v_add_co_ci_u32_e64 v4, null, 0, v2, vcc_lo
	v_cmp_gt_u32_e32 vcc_lo, 6, v1
	s_delay_alu instid0(VALU_DEP_2) | instskip(SKIP_2) | instid1(VALU_DEP_1)
	v_lshlrev_b32_e32 v4, 2, v4
	s_wait_alu 0xfffd
	v_cndmask_b32_e64 v1, 0, 2, vcc_lo
	v_add_lshl_u32 v1, v1, v2, 2
	v_lshlrev_b32_e32 v2, 2, v2
	s_delay_alu instid0(VALU_DEP_1)
	v_or_b32_e32 v2, 16, v2
	s_wait_dscnt 0x0
	ds_bpermute_b32 v4, v4, v3
	s_wait_dscnt 0x0
	v_add_nc_u32_e32 v3, v4, v3
	ds_bpermute_b32 v1, v1, v3
	s_wait_dscnt 0x0
	v_add_nc_u32_e32 v1, v1, v3
	;; [unrolled: 3-line block ×3, first 2 shown]
.LBB368_21:
	s_wait_alu 0xfffe
	s_or_b32 exec_lo, exec_lo, s3
	s_mov_b32 s3, 0
	s_branch .LBB368_95
.LBB368_22:
                                        ; implicit-def: $vgpr1
	s_branch .LBB368_142
.LBB368_23:
                                        ; implicit-def: $vgpr1
	s_cbranch_execz .LBB368_10
; %bb.24:
	v_mov_b32_e32 v1, 0
	s_sub_co_i32 s43, s38, s2
	s_delay_alu instid0(SALU_CYCLE_1) | instskip(NEXT) | instid1(VALU_DEP_2)
	v_cmp_gt_u32_e32 vcc_lo, s43, v0
	v_dual_mov_b32 v2, v1 :: v_dual_mov_b32 v3, v1
	v_dual_mov_b32 v4, v1 :: v_dual_mov_b32 v5, v1
	;; [unrolled: 1-line block ×15, first 2 shown]
	v_mov_b32_e32 v32, v1
	s_and_saveexec_b32 s2, vcc_lo
	s_cbranch_execz .LBB368_26
; %bb.25:
	v_dual_mov_b32 v3, v1 :: v_dual_lshlrev_b32 v2, 2, v0
	v_dual_mov_b32 v32, v1 :: v_dual_mov_b32 v33, v1
	v_dual_mov_b32 v4, v1 :: v_dual_mov_b32 v5, v1
	global_load_b32 v2, v2, s[40:41]
	v_dual_mov_b32 v6, v1 :: v_dual_mov_b32 v7, v1
	v_dual_mov_b32 v8, v1 :: v_dual_mov_b32 v9, v1
	v_dual_mov_b32 v10, v1 :: v_dual_mov_b32 v11, v1
	v_dual_mov_b32 v12, v1 :: v_dual_mov_b32 v13, v1
	v_dual_mov_b32 v14, v1 :: v_dual_mov_b32 v15, v1
	v_dual_mov_b32 v16, v1 :: v_dual_mov_b32 v17, v1
	v_dual_mov_b32 v18, v1 :: v_dual_mov_b32 v19, v1
	v_dual_mov_b32 v20, v1 :: v_dual_mov_b32 v21, v1
	v_dual_mov_b32 v22, v1 :: v_dual_mov_b32 v23, v1
	v_dual_mov_b32 v24, v1 :: v_dual_mov_b32 v25, v1
	v_dual_mov_b32 v26, v1 :: v_dual_mov_b32 v27, v1
	v_dual_mov_b32 v28, v1 :: v_dual_mov_b32 v29, v1
	v_dual_mov_b32 v30, v1 :: v_dual_mov_b32 v31, v1
	s_wait_loadcnt 0x0
	v_mov_b32_e32 v1, v2
	v_mov_b32_e32 v2, v3
	;; [unrolled: 1-line block ×32, first 2 shown]
.LBB368_26:
	s_or_b32 exec_lo, exec_lo, s2
	v_or_b32_e32 v33, 0x100, v0
	s_delay_alu instid0(VALU_DEP_1)
	v_cmp_gt_u32_e32 vcc_lo, s43, v33
	s_and_saveexec_b32 s2, vcc_lo
	s_cbranch_execz .LBB368_28
; %bb.27:
	v_lshlrev_b32_e32 v2, 2, v0
	global_load_b32 v2, v2, s[40:41] offset:1024
.LBB368_28:
	s_or_b32 exec_lo, exec_lo, s2
	v_or_b32_e32 v33, 0x200, v0
	s_delay_alu instid0(VALU_DEP_1)
	v_cmp_gt_u32_e64 s2, s43, v33
	s_and_saveexec_b32 s3, s2
	s_cbranch_execz .LBB368_30
; %bb.29:
	v_lshlrev_b32_e32 v3, 2, v0
	global_load_b32 v3, v3, s[40:41] offset:2048
.LBB368_30:
	s_or_b32 exec_lo, exec_lo, s3
	v_or_b32_e32 v33, 0x300, v0
	s_delay_alu instid0(VALU_DEP_1)
	v_cmp_gt_u32_e64 s3, s43, v33
	s_and_saveexec_b32 s4, s3
	;; [unrolled: 10-line block ×30, first 2 shown]
	s_cbranch_execz .LBB368_88
; %bb.87:
	v_lshlrev_b32_e32 v32, 2, v0
	global_load_b32 v32, v32, s[40:41] offset:31744
.LBB368_88:
	s_or_b32 exec_lo, exec_lo, s44
	s_wait_loadcnt 0x0
	v_cndmask_b32_e32 v2, 0, v2, vcc_lo
	v_cndmask_b32_e64 v3, 0, v3, s2
	v_cndmask_b32_e64 v4, 0, v4, s3
	s_min_u32 s2, s43, 0x100
	s_mov_b32 s3, exec_lo
	v_add_nc_u32_e32 v1, v2, v1
	v_cndmask_b32_e64 v2, 0, v5, s4
	v_cndmask_b32_e64 v5, 0, v6, s5
	;; [unrolled: 1-line block ×3, first 2 shown]
	s_delay_alu instid0(VALU_DEP_4) | instskip(SKIP_3) | instid1(VALU_DEP_4)
	v_add3_u32 v1, v1, v3, v4
	v_cndmask_b32_e64 v3, 0, v7, s6
	v_cndmask_b32_e64 v4, 0, v8, s7
	;; [unrolled: 1-line block ×3, first 2 shown]
	v_add3_u32 v1, v1, v2, v5
	v_cndmask_b32_e64 v2, 0, v9, s8
	v_cndmask_b32_e64 v5, 0, v10, s9
	s_delay_alu instid0(VALU_DEP_3) | instskip(SKIP_2) | instid1(VALU_DEP_3)
	v_add3_u32 v1, v1, v3, v4
	v_cndmask_b32_e64 v3, 0, v11, s10
	v_cndmask_b32_e64 v4, 0, v12, s11
	v_add3_u32 v1, v1, v2, v5
	v_cndmask_b32_e64 v2, 0, v13, s12
	v_cndmask_b32_e64 v5, 0, v14, s13
	s_delay_alu instid0(VALU_DEP_3) | instskip(SKIP_2) | instid1(VALU_DEP_3)
	v_add3_u32 v1, v1, v3, v4
	v_cndmask_b32_e64 v3, 0, v15, s14
	v_cndmask_b32_e64 v4, 0, v16, s15
	;; [unrolled: 7-line block ×5, first 2 shown]
	v_add3_u32 v1, v1, v2, v5
	v_mbcnt_lo_u32_b32 v2, -1, 0
	v_cndmask_b32_e64 v5, 0, v29, s28
	s_delay_alu instid0(VALU_DEP_3) | instskip(NEXT) | instid1(VALU_DEP_3)
	v_add3_u32 v1, v1, v3, v4
	v_cmp_ne_u32_e32 vcc_lo, 31, v2
	v_cndmask_b32_e64 v3, 0, v32, s31
	s_delay_alu instid0(VALU_DEP_3)
	v_add3_u32 v1, v1, v5, v6
	s_wait_alu 0xfffd
	v_add_co_ci_u32_e64 v4, null, 0, v2, vcc_lo
	v_add_nc_u32_e32 v5, 1, v2
	v_cmp_gt_u32_e32 vcc_lo, 30, v2
	v_add3_u32 v1, v1, v7, v3
	s_delay_alu instid0(VALU_DEP_4)
	v_lshlrev_b32_e32 v4, 2, v4
	s_wait_alu 0xfffd
	v_cndmask_b32_e64 v6, 0, 2, vcc_lo
	ds_bpermute_b32 v3, v4, v1
	v_and_b32_e32 v4, 0xe0, v0
	s_wait_alu 0xfffe
	s_delay_alu instid0(VALU_DEP_1) | instskip(NEXT) | instid1(VALU_DEP_1)
	v_sub_nc_u32_e64 v4, s2, v4 clamp
	v_cmp_lt_u32_e32 vcc_lo, v5, v4
	v_add_lshl_u32 v5, v6, v2, 2
	s_wait_dscnt 0x0
	s_wait_alu 0xfffd
	v_cndmask_b32_e32 v3, 0, v3, vcc_lo
	v_cmp_gt_u32_e32 vcc_lo, 28, v2
	s_delay_alu instid0(VALU_DEP_2) | instskip(SKIP_4) | instid1(VALU_DEP_1)
	v_add_nc_u32_e32 v1, v1, v3
	s_wait_alu 0xfffd
	v_cndmask_b32_e64 v6, 0, 4, vcc_lo
	ds_bpermute_b32 v3, v5, v1
	v_add_nc_u32_e32 v5, 2, v2
	v_cmp_lt_u32_e32 vcc_lo, v5, v4
	v_add_lshl_u32 v5, v6, v2, 2
	s_wait_dscnt 0x0
	s_wait_alu 0xfffd
	v_cndmask_b32_e32 v3, 0, v3, vcc_lo
	v_cmp_gt_u32_e32 vcc_lo, 24, v2
	s_delay_alu instid0(VALU_DEP_2) | instskip(SKIP_4) | instid1(VALU_DEP_1)
	v_add_nc_u32_e32 v1, v1, v3
	s_wait_alu 0xfffd
	v_cndmask_b32_e64 v6, 0, 8, vcc_lo
	ds_bpermute_b32 v3, v5, v1
	v_add_nc_u32_e32 v5, 4, v2
	v_cmp_lt_u32_e32 vcc_lo, v5, v4
	v_add_lshl_u32 v5, v6, v2, 2
	s_wait_dscnt 0x0
	s_wait_alu 0xfffd
	v_cndmask_b32_e32 v3, 0, v3, vcc_lo
	s_delay_alu instid0(VALU_DEP_1) | instskip(SKIP_3) | instid1(VALU_DEP_1)
	v_add_nc_u32_e32 v1, v1, v3
	v_lshlrev_b32_e32 v3, 2, v2
	ds_bpermute_b32 v5, v5, v1
	v_add_nc_u32_e32 v6, 8, v2
	v_cmp_lt_u32_e32 vcc_lo, v6, v4
	v_or_b32_e32 v6, 64, v3
	s_wait_dscnt 0x0
	s_wait_alu 0xfffd
	v_cndmask_b32_e32 v5, 0, v5, vcc_lo
	s_delay_alu instid0(VALU_DEP_1) | instskip(SKIP_2) | instid1(VALU_DEP_1)
	v_add_nc_u32_e32 v1, v1, v5
	ds_bpermute_b32 v5, v6, v1
	v_add_nc_u32_e32 v6, 16, v2
	v_cmp_lt_u32_e32 vcc_lo, v6, v4
	s_wait_dscnt 0x0
	s_wait_alu 0xfffd
	v_cndmask_b32_e32 v4, 0, v5, vcc_lo
	s_delay_alu instid0(VALU_DEP_1)
	v_add_nc_u32_e32 v1, v1, v4
	v_cmpx_eq_u32_e32 0, v2
; %bb.89:
	v_lshrrev_b32_e32 v4, 3, v0
	s_delay_alu instid0(VALU_DEP_1)
	v_and_b32_e32 v4, 28, v4
	ds_store_b32 v4, v1 offset:192
; %bb.90:
	s_or_b32 exec_lo, exec_lo, s3
	s_delay_alu instid0(SALU_CYCLE_1)
	s_mov_b32 s3, exec_lo
	s_wait_dscnt 0x0
	s_barrier_signal -1
	s_barrier_wait -1
	global_inv scope:SCOPE_SE
	v_cmpx_gt_u32_e32 8, v0
	s_cbranch_execz .LBB368_92
; %bb.91:
	ds_load_b32 v1, v3 offset:192
	v_and_b32_e32 v4, 7, v2
	s_add_co_i32 s2, s2, 31
	s_wait_alu 0xfffe
	s_lshr_b32 s2, s2, 5
	s_delay_alu instid0(VALU_DEP_1) | instskip(SKIP_4) | instid1(VALU_DEP_2)
	v_cmp_ne_u32_e32 vcc_lo, 7, v4
	v_add_nc_u32_e32 v6, 1, v4
	s_wait_alu 0xfffd
	v_add_co_ci_u32_e64 v5, null, 0, v2, vcc_lo
	v_cmp_gt_u32_e32 vcc_lo, 6, v4
	v_lshlrev_b32_e32 v5, 2, v5
	s_wait_alu 0xfffd
	v_cndmask_b32_e64 v7, 0, 2, vcc_lo
	s_wait_alu 0xfffe
	v_cmp_gt_u32_e32 vcc_lo, s2, v6
	s_wait_dscnt 0x0
	ds_bpermute_b32 v5, v5, v1
	v_add_lshl_u32 v2, v7, v2, 2
	s_wait_dscnt 0x0
	s_wait_alu 0xfffd
	v_cndmask_b32_e32 v5, 0, v5, vcc_lo
	s_delay_alu instid0(VALU_DEP_1)
	v_add_nc_u32_e32 v1, v5, v1
	v_add_nc_u32_e32 v5, 2, v4
	ds_bpermute_b32 v2, v2, v1
	v_cmp_gt_u32_e32 vcc_lo, s2, v5
	s_wait_dscnt 0x0
	s_wait_alu 0xfffd
	v_cndmask_b32_e32 v2, 0, v2, vcc_lo
	s_delay_alu instid0(VALU_DEP_1)
	v_add_nc_u32_e32 v1, v1, v2
	v_or_b32_e32 v2, 16, v3
	v_add_nc_u32_e32 v3, 4, v4
	ds_bpermute_b32 v2, v2, v1
	v_cmp_gt_u32_e32 vcc_lo, s2, v3
	s_wait_dscnt 0x0
	s_wait_alu 0xfffd
	v_cndmask_b32_e32 v2, 0, v2, vcc_lo
	s_delay_alu instid0(VALU_DEP_1)
	v_add_nc_u32_e32 v1, v1, v2
.LBB368_92:
	s_wait_alu 0xfffe
	s_or_b32 exec_lo, exec_lo, s3
	v_cmp_eq_u32_e64 s2, 0, v0
	s_and_b32 vcc_lo, exec_lo, s42
	s_wait_alu 0xfffe
	s_cbranch_vccnz .LBB368_15
.LBB368_93:
	s_branch .LBB368_142
.LBB368_94:
	s_mov_b32 s3, -1
                                        ; implicit-def: $vgpr1
.LBB368_95:
	s_wait_alu 0xfffe
	s_and_b32 vcc_lo, exec_lo, s3
	s_wait_alu 0xfffe
	s_cbranch_vccz .LBB368_133
; %bb.96:
	v_mov_b32_e32 v1, 0
	s_sub_co_i32 s18, s38, s2
	s_mov_b32 s2, exec_lo
	s_delay_alu instid0(VALU_DEP_1)
	v_dual_mov_b32 v2, v1 :: v_dual_mov_b32 v3, v1
	v_dual_mov_b32 v4, v1 :: v_dual_mov_b32 v5, v1
	;; [unrolled: 1-line block ×7, first 2 shown]
	v_mov_b32_e32 v16, v1
	s_wait_alu 0xfffe
	v_cmpx_gt_u32_e64 s18, v0
	s_cbranch_execz .LBB368_98
; %bb.97:
	v_dual_mov_b32 v3, v1 :: v_dual_lshlrev_b32 v2, 2, v0
	v_dual_mov_b32 v16, v1 :: v_dual_mov_b32 v17, v1
	v_dual_mov_b32 v4, v1 :: v_dual_mov_b32 v5, v1
	global_load_b32 v2, v2, s[16:17]
	v_dual_mov_b32 v6, v1 :: v_dual_mov_b32 v7, v1
	v_dual_mov_b32 v8, v1 :: v_dual_mov_b32 v9, v1
	;; [unrolled: 1-line block ×5, first 2 shown]
	s_wait_loadcnt 0x0
	v_mov_b32_e32 v1, v2
	v_mov_b32_e32 v2, v3
	;; [unrolled: 1-line block ×16, first 2 shown]
.LBB368_98:
	s_or_b32 exec_lo, exec_lo, s2
	v_or_b32_e32 v17, 0x100, v0
	s_delay_alu instid0(VALU_DEP_1)
	v_cmp_gt_u32_e32 vcc_lo, s18, v17
	s_and_saveexec_b32 s2, vcc_lo
	s_cbranch_execz .LBB368_100
; %bb.99:
	v_lshlrev_b32_e32 v2, 2, v0
	global_load_b32 v2, v2, s[16:17] offset:1024
.LBB368_100:
	s_wait_alu 0xfffe
	s_or_b32 exec_lo, exec_lo, s2
	v_or_b32_e32 v17, 0x200, v0
	s_delay_alu instid0(VALU_DEP_1)
	v_cmp_gt_u32_e64 s2, s18, v17
	s_and_saveexec_b32 s3, s2
	s_cbranch_execz .LBB368_102
; %bb.101:
	v_lshlrev_b32_e32 v3, 2, v0
	global_load_b32 v3, v3, s[16:17] offset:2048
.LBB368_102:
	s_wait_alu 0xfffe
	s_or_b32 exec_lo, exec_lo, s3
	v_or_b32_e32 v17, 0x300, v0
	s_delay_alu instid0(VALU_DEP_1)
	v_cmp_gt_u32_e64 s3, s18, v17
	s_and_saveexec_b32 s4, s3
	;; [unrolled: 11-line block ×14, first 2 shown]
	s_cbranch_execz .LBB368_128
; %bb.127:
	v_lshlrev_b32_e32 v16, 2, v0
	global_load_b32 v16, v16, s[16:17] offset:15360
.LBB368_128:
	s_wait_alu 0xfffe
	s_or_b32 exec_lo, exec_lo, s19
	s_wait_loadcnt 0x0
	v_cndmask_b32_e32 v2, 0, v2, vcc_lo
	v_cndmask_b32_e64 v3, 0, v3, s2
	v_cndmask_b32_e64 v4, 0, v4, s3
	s_min_u32 s2, s18, 0x100
	s_mov_b32 s3, exec_lo
	v_add_nc_u32_e32 v1, v2, v1
	v_cndmask_b32_e64 v2, 0, v5, s4
	v_cndmask_b32_e64 v5, 0, v6, s5
	;; [unrolled: 1-line block ×3, first 2 shown]
	s_delay_alu instid0(VALU_DEP_4) | instskip(SKIP_3) | instid1(VALU_DEP_4)
	v_add3_u32 v1, v1, v3, v4
	v_cndmask_b32_e64 v3, 0, v7, s6
	v_cndmask_b32_e64 v4, 0, v8, s7
	;; [unrolled: 1-line block ×3, first 2 shown]
	v_add3_u32 v1, v1, v2, v5
	v_cndmask_b32_e64 v2, 0, v9, s8
	v_cndmask_b32_e64 v5, 0, v10, s9
	s_delay_alu instid0(VALU_DEP_3) | instskip(SKIP_2) | instid1(VALU_DEP_3)
	v_add3_u32 v1, v1, v3, v4
	v_cndmask_b32_e64 v3, 0, v11, s10
	v_cndmask_b32_e64 v4, 0, v12, s11
	v_add3_u32 v1, v1, v2, v5
	v_mbcnt_lo_u32_b32 v2, -1, 0
	v_cndmask_b32_e64 v5, 0, v13, s12
	s_delay_alu instid0(VALU_DEP_3) | instskip(NEXT) | instid1(VALU_DEP_3)
	v_add3_u32 v1, v1, v3, v4
	v_cmp_ne_u32_e32 vcc_lo, 31, v2
	v_cndmask_b32_e64 v3, 0, v16, s15
	s_delay_alu instid0(VALU_DEP_3)
	v_add3_u32 v1, v1, v5, v6
	s_wait_alu 0xfffd
	v_add_co_ci_u32_e64 v4, null, 0, v2, vcc_lo
	v_add_nc_u32_e32 v5, 1, v2
	v_cmp_gt_u32_e32 vcc_lo, 30, v2
	v_add3_u32 v1, v1, v7, v3
	s_delay_alu instid0(VALU_DEP_4)
	v_lshlrev_b32_e32 v4, 2, v4
	s_wait_alu 0xfffd
	v_cndmask_b32_e64 v6, 0, 2, vcc_lo
	ds_bpermute_b32 v3, v4, v1
	v_and_b32_e32 v4, 0xe0, v0
	s_wait_alu 0xfffe
	s_delay_alu instid0(VALU_DEP_1) | instskip(NEXT) | instid1(VALU_DEP_1)
	v_sub_nc_u32_e64 v4, s2, v4 clamp
	v_cmp_lt_u32_e32 vcc_lo, v5, v4
	v_add_lshl_u32 v5, v6, v2, 2
	s_wait_dscnt 0x0
	s_wait_alu 0xfffd
	v_cndmask_b32_e32 v3, 0, v3, vcc_lo
	v_cmp_gt_u32_e32 vcc_lo, 28, v2
	s_delay_alu instid0(VALU_DEP_2) | instskip(SKIP_4) | instid1(VALU_DEP_1)
	v_add_nc_u32_e32 v1, v1, v3
	s_wait_alu 0xfffd
	v_cndmask_b32_e64 v6, 0, 4, vcc_lo
	ds_bpermute_b32 v3, v5, v1
	v_add_nc_u32_e32 v5, 2, v2
	v_cmp_lt_u32_e32 vcc_lo, v5, v4
	v_add_lshl_u32 v5, v6, v2, 2
	s_wait_dscnt 0x0
	s_wait_alu 0xfffd
	v_cndmask_b32_e32 v3, 0, v3, vcc_lo
	v_cmp_gt_u32_e32 vcc_lo, 24, v2
	s_delay_alu instid0(VALU_DEP_2) | instskip(SKIP_4) | instid1(VALU_DEP_1)
	v_add_nc_u32_e32 v1, v1, v3
	s_wait_alu 0xfffd
	v_cndmask_b32_e64 v6, 0, 8, vcc_lo
	ds_bpermute_b32 v3, v5, v1
	v_add_nc_u32_e32 v5, 4, v2
	v_cmp_lt_u32_e32 vcc_lo, v5, v4
	v_add_lshl_u32 v5, v6, v2, 2
	s_wait_dscnt 0x0
	s_wait_alu 0xfffd
	v_cndmask_b32_e32 v3, 0, v3, vcc_lo
	s_delay_alu instid0(VALU_DEP_1) | instskip(SKIP_3) | instid1(VALU_DEP_1)
	v_add_nc_u32_e32 v1, v1, v3
	v_lshlrev_b32_e32 v3, 2, v2
	ds_bpermute_b32 v5, v5, v1
	v_add_nc_u32_e32 v6, 8, v2
	v_cmp_lt_u32_e32 vcc_lo, v6, v4
	v_or_b32_e32 v6, 64, v3
	s_wait_dscnt 0x0
	s_wait_alu 0xfffd
	v_cndmask_b32_e32 v5, 0, v5, vcc_lo
	s_delay_alu instid0(VALU_DEP_1) | instskip(SKIP_2) | instid1(VALU_DEP_1)
	v_add_nc_u32_e32 v1, v1, v5
	ds_bpermute_b32 v5, v6, v1
	v_add_nc_u32_e32 v6, 16, v2
	v_cmp_lt_u32_e32 vcc_lo, v6, v4
	s_wait_dscnt 0x0
	s_wait_alu 0xfffd
	v_cndmask_b32_e32 v4, 0, v5, vcc_lo
	s_delay_alu instid0(VALU_DEP_1)
	v_add_nc_u32_e32 v1, v1, v4
	v_cmpx_eq_u32_e32 0, v2
; %bb.129:
	v_lshrrev_b32_e32 v4, 3, v0
	s_delay_alu instid0(VALU_DEP_1)
	v_and_b32_e32 v4, 28, v4
	ds_store_b32 v4, v1 offset:192
; %bb.130:
	s_or_b32 exec_lo, exec_lo, s3
	s_delay_alu instid0(SALU_CYCLE_1)
	s_mov_b32 s3, exec_lo
	s_wait_dscnt 0x0
	s_barrier_signal -1
	s_barrier_wait -1
	global_inv scope:SCOPE_SE
	v_cmpx_gt_u32_e32 8, v0
	s_cbranch_execz .LBB368_132
; %bb.131:
	ds_load_b32 v1, v3 offset:192
	v_and_b32_e32 v4, 7, v2
	s_add_co_i32 s2, s2, 31
	s_wait_alu 0xfffe
	s_lshr_b32 s2, s2, 5
	s_delay_alu instid0(VALU_DEP_1) | instskip(SKIP_4) | instid1(VALU_DEP_2)
	v_cmp_ne_u32_e32 vcc_lo, 7, v4
	v_add_nc_u32_e32 v6, 1, v4
	s_wait_alu 0xfffd
	v_add_co_ci_u32_e64 v5, null, 0, v2, vcc_lo
	v_cmp_gt_u32_e32 vcc_lo, 6, v4
	v_lshlrev_b32_e32 v5, 2, v5
	s_wait_alu 0xfffd
	v_cndmask_b32_e64 v7, 0, 2, vcc_lo
	s_wait_alu 0xfffe
	v_cmp_gt_u32_e32 vcc_lo, s2, v6
	s_wait_dscnt 0x0
	ds_bpermute_b32 v5, v5, v1
	v_add_lshl_u32 v2, v7, v2, 2
	s_wait_dscnt 0x0
	s_wait_alu 0xfffd
	v_cndmask_b32_e32 v5, 0, v5, vcc_lo
	s_delay_alu instid0(VALU_DEP_1)
	v_add_nc_u32_e32 v1, v5, v1
	v_add_nc_u32_e32 v5, 2, v4
	ds_bpermute_b32 v2, v2, v1
	v_cmp_gt_u32_e32 vcc_lo, s2, v5
	s_wait_dscnt 0x0
	s_wait_alu 0xfffd
	v_cndmask_b32_e32 v2, 0, v2, vcc_lo
	s_delay_alu instid0(VALU_DEP_1)
	v_add_nc_u32_e32 v1, v1, v2
	v_or_b32_e32 v2, 16, v3
	v_add_nc_u32_e32 v3, 4, v4
	ds_bpermute_b32 v2, v2, v1
	v_cmp_gt_u32_e32 vcc_lo, s2, v3
	s_wait_dscnt 0x0
	s_wait_alu 0xfffd
	v_cndmask_b32_e32 v2, 0, v2, vcc_lo
	s_delay_alu instid0(VALU_DEP_1)
	v_add_nc_u32_e32 v1, v1, v2
.LBB368_132:
	s_wait_alu 0xfffe
	s_or_b32 exec_lo, exec_lo, s3
.LBB368_133:
	v_cmp_eq_u32_e64 s2, 0, v0
	s_branch .LBB368_142
.LBB368_134:
	s_cmp_eq_u32 s33, 8
	s_cbranch_scc0 .LBB368_141
; %bb.135:
	s_mov_b32 s35, 0
	s_lshl_b32 s2, s34, 11
	s_mov_b32 s3, s35
	s_lshr_b64 s[4:5], s[38:39], 11
	s_lshl_b64 s[6:7], s[2:3], 2
	s_cmp_lg_u64 s[4:5], s[34:35]
	s_add_nc_u64 s[8:9], s[36:37], s[6:7]
	s_cbranch_scc0 .LBB368_143
; %bb.136:
	v_lshlrev_b32_e32 v1, 2, v0
	s_mov_b32 s3, exec_lo
	s_clause 0x7
	global_load_b32 v2, v1, s[8:9]
	global_load_b32 v3, v1, s[8:9] offset:1024
	global_load_b32 v4, v1, s[8:9] offset:2048
	global_load_b32 v5, v1, s[8:9] offset:3072
	global_load_b32 v6, v1, s[8:9] offset:4096
	global_load_b32 v7, v1, s[8:9] offset:5120
	global_load_b32 v8, v1, s[8:9] offset:6144
	global_load_b32 v1, v1, s[8:9] offset:7168
	s_wait_loadcnt 0x6
	v_add_nc_u32_e32 v2, v3, v2
	s_wait_loadcnt 0x4
	s_delay_alu instid0(VALU_DEP_1) | instskip(SKIP_1) | instid1(VALU_DEP_1)
	v_add3_u32 v2, v2, v4, v5
	s_wait_loadcnt 0x2
	v_add3_u32 v2, v2, v6, v7
	s_wait_loadcnt 0x0
	s_delay_alu instid0(VALU_DEP_1) | instskip(NEXT) | instid1(VALU_DEP_1)
	v_add3_u32 v1, v2, v8, v1
	v_mov_b32_dpp v2, v1 quad_perm:[1,0,3,2] row_mask:0xf bank_mask:0xf
	s_delay_alu instid0(VALU_DEP_1) | instskip(NEXT) | instid1(VALU_DEP_1)
	v_add_nc_u32_e32 v1, v2, v1
	v_mov_b32_dpp v2, v1 quad_perm:[2,3,0,1] row_mask:0xf bank_mask:0xf
	s_delay_alu instid0(VALU_DEP_1) | instskip(NEXT) | instid1(VALU_DEP_1)
	v_add_nc_u32_e32 v1, v1, v2
	v_mov_b32_dpp v2, v1 row_ror:4 row_mask:0xf bank_mask:0xf
	s_delay_alu instid0(VALU_DEP_1) | instskip(NEXT) | instid1(VALU_DEP_1)
	v_add_nc_u32_e32 v1, v1, v2
	v_mov_b32_dpp v2, v1 row_ror:8 row_mask:0xf bank_mask:0xf
	s_delay_alu instid0(VALU_DEP_1)
	v_add_nc_u32_e32 v1, v1, v2
	ds_swizzle_b32 v2, v1 offset:swizzle(BROADCAST,32,15)
	s_wait_dscnt 0x0
	v_dual_mov_b32 v2, 0 :: v_dual_add_nc_u32 v1, v1, v2
	ds_bpermute_b32 v1, v2, v1 offset:124
	v_mbcnt_lo_u32_b32 v2, -1, 0
	s_delay_alu instid0(VALU_DEP_1)
	v_cmpx_eq_u32_e32 0, v2
	s_cbranch_execz .LBB368_138
; %bb.137:
	v_lshrrev_b32_e32 v3, 3, v0
	s_delay_alu instid0(VALU_DEP_1)
	v_and_b32_e32 v3, 28, v3
	s_wait_dscnt 0x0
	ds_store_b32 v3, v1 offset:160
.LBB368_138:
	s_or_b32 exec_lo, exec_lo, s3
	s_delay_alu instid0(SALU_CYCLE_1)
	s_mov_b32 s3, exec_lo
	s_wait_dscnt 0x0
	s_barrier_signal -1
	s_barrier_wait -1
	global_inv scope:SCOPE_SE
	v_cmpx_gt_u32_e32 32, v0
	s_cbranch_execz .LBB368_140
; %bb.139:
	v_and_b32_e32 v1, 7, v2
	s_delay_alu instid0(VALU_DEP_1) | instskip(SKIP_4) | instid1(VALU_DEP_2)
	v_lshlrev_b32_e32 v3, 2, v1
	v_cmp_ne_u32_e32 vcc_lo, 7, v1
	ds_load_b32 v3, v3 offset:160
	v_add_co_ci_u32_e64 v4, null, 0, v2, vcc_lo
	v_cmp_gt_u32_e32 vcc_lo, 6, v1
	v_lshlrev_b32_e32 v4, 2, v4
	s_wait_alu 0xfffd
	v_cndmask_b32_e64 v1, 0, 2, vcc_lo
	s_delay_alu instid0(VALU_DEP_1) | instskip(SKIP_1) | instid1(VALU_DEP_1)
	v_add_lshl_u32 v1, v1, v2, 2
	v_lshlrev_b32_e32 v2, 2, v2
	v_or_b32_e32 v2, 16, v2
	s_wait_dscnt 0x0
	ds_bpermute_b32 v4, v4, v3
	s_wait_dscnt 0x0
	v_add_nc_u32_e32 v3, v4, v3
	ds_bpermute_b32 v1, v1, v3
	s_wait_dscnt 0x0
	v_add_nc_u32_e32 v1, v1, v3
	;; [unrolled: 3-line block ×3, first 2 shown]
.LBB368_140:
	s_or_b32 exec_lo, exec_lo, s3
	s_branch .LBB368_165
.LBB368_141:
                                        ; implicit-def: $vgpr1
.LBB368_142:
	s_branch .LBB368_224
.LBB368_143:
                                        ; implicit-def: $vgpr1
	s_cbranch_execz .LBB368_165
; %bb.144:
	v_mov_b32_e32 v1, 0
	s_sub_co_i32 s10, s38, s2
	s_mov_b32 s2, exec_lo
	s_delay_alu instid0(VALU_DEP_1)
	v_dual_mov_b32 v2, v1 :: v_dual_mov_b32 v3, v1
	v_dual_mov_b32 v4, v1 :: v_dual_mov_b32 v5, v1
	;; [unrolled: 1-line block ×3, first 2 shown]
	v_mov_b32_e32 v8, v1
	v_cmpx_gt_u32_e64 s10, v0
	s_cbranch_execz .LBB368_146
; %bb.145:
	v_dual_mov_b32 v3, v1 :: v_dual_lshlrev_b32 v2, 2, v0
	v_dual_mov_b32 v8, v1 :: v_dual_mov_b32 v9, v1
	v_dual_mov_b32 v4, v1 :: v_dual_mov_b32 v5, v1
	global_load_b32 v2, v2, s[8:9]
	v_dual_mov_b32 v6, v1 :: v_dual_mov_b32 v7, v1
	s_wait_loadcnt 0x0
	v_mov_b32_e32 v1, v2
	v_mov_b32_e32 v2, v3
	;; [unrolled: 1-line block ×8, first 2 shown]
.LBB368_146:
	s_or_b32 exec_lo, exec_lo, s2
	v_or_b32_e32 v9, 0x100, v0
	s_delay_alu instid0(VALU_DEP_1)
	v_cmp_gt_u32_e32 vcc_lo, s10, v9
	s_and_saveexec_b32 s2, vcc_lo
	s_cbranch_execz .LBB368_148
; %bb.147:
	v_lshlrev_b32_e32 v2, 2, v0
	global_load_b32 v2, v2, s[8:9] offset:1024
.LBB368_148:
	s_or_b32 exec_lo, exec_lo, s2
	v_or_b32_e32 v9, 0x200, v0
	s_delay_alu instid0(VALU_DEP_1)
	v_cmp_gt_u32_e64 s2, s10, v9
	s_and_saveexec_b32 s3, s2
	s_cbranch_execz .LBB368_150
; %bb.149:
	v_lshlrev_b32_e32 v3, 2, v0
	global_load_b32 v3, v3, s[8:9] offset:2048
.LBB368_150:
	s_or_b32 exec_lo, exec_lo, s3
	v_or_b32_e32 v9, 0x300, v0
	s_delay_alu instid0(VALU_DEP_1)
	v_cmp_gt_u32_e64 s3, s10, v9
	s_and_saveexec_b32 s4, s3
	;; [unrolled: 10-line block ×6, first 2 shown]
	s_cbranch_execz .LBB368_160
; %bb.159:
	v_lshlrev_b32_e32 v8, 2, v0
	global_load_b32 v8, v8, s[8:9] offset:7168
.LBB368_160:
	s_wait_alu 0xfffe
	s_or_b32 exec_lo, exec_lo, s11
	s_wait_loadcnt 0x0
	v_cndmask_b32_e32 v2, 0, v2, vcc_lo
	v_cndmask_b32_e64 v3, 0, v3, s2
	v_cndmask_b32_e64 v4, 0, v4, s3
	v_cndmask_b32_e64 v5, 0, v5, s4
	v_cndmask_b32_e64 v6, 0, v6, s5
	v_add_nc_u32_e32 v1, v2, v1
	v_mbcnt_lo_u32_b32 v2, -1, 0
	v_cndmask_b32_e64 v7, 0, v7, s6
	s_min_u32 s2, s10, 0x100
	s_mov_b32 s3, exec_lo
	v_add3_u32 v1, v1, v3, v4
	v_cmp_ne_u32_e32 vcc_lo, 31, v2
	v_cndmask_b32_e64 v3, 0, v8, s7
	s_delay_alu instid0(VALU_DEP_3)
	v_add3_u32 v1, v1, v5, v6
	s_wait_alu 0xfffd
	v_add_co_ci_u32_e64 v4, null, 0, v2, vcc_lo
	v_add_nc_u32_e32 v5, 1, v2
	v_cmp_gt_u32_e32 vcc_lo, 30, v2
	v_add3_u32 v1, v1, v7, v3
	s_delay_alu instid0(VALU_DEP_4)
	v_lshlrev_b32_e32 v4, 2, v4
	s_wait_alu 0xfffd
	v_cndmask_b32_e64 v6, 0, 2, vcc_lo
	ds_bpermute_b32 v3, v4, v1
	v_and_b32_e32 v4, 0xe0, v0
	s_wait_alu 0xfffe
	s_delay_alu instid0(VALU_DEP_1) | instskip(NEXT) | instid1(VALU_DEP_1)
	v_sub_nc_u32_e64 v4, s2, v4 clamp
	v_cmp_lt_u32_e32 vcc_lo, v5, v4
	v_add_lshl_u32 v5, v6, v2, 2
	s_wait_dscnt 0x0
	s_wait_alu 0xfffd
	v_cndmask_b32_e32 v3, 0, v3, vcc_lo
	v_cmp_gt_u32_e32 vcc_lo, 28, v2
	s_delay_alu instid0(VALU_DEP_2) | instskip(SKIP_4) | instid1(VALU_DEP_1)
	v_add_nc_u32_e32 v1, v1, v3
	s_wait_alu 0xfffd
	v_cndmask_b32_e64 v6, 0, 4, vcc_lo
	ds_bpermute_b32 v3, v5, v1
	v_add_nc_u32_e32 v5, 2, v2
	v_cmp_lt_u32_e32 vcc_lo, v5, v4
	v_add_lshl_u32 v5, v6, v2, 2
	s_wait_dscnt 0x0
	s_wait_alu 0xfffd
	v_cndmask_b32_e32 v3, 0, v3, vcc_lo
	v_cmp_gt_u32_e32 vcc_lo, 24, v2
	s_delay_alu instid0(VALU_DEP_2) | instskip(SKIP_4) | instid1(VALU_DEP_1)
	v_add_nc_u32_e32 v1, v1, v3
	s_wait_alu 0xfffd
	v_cndmask_b32_e64 v6, 0, 8, vcc_lo
	ds_bpermute_b32 v3, v5, v1
	v_add_nc_u32_e32 v5, 4, v2
	v_cmp_lt_u32_e32 vcc_lo, v5, v4
	v_add_lshl_u32 v5, v6, v2, 2
	s_wait_dscnt 0x0
	s_wait_alu 0xfffd
	v_cndmask_b32_e32 v3, 0, v3, vcc_lo
	s_delay_alu instid0(VALU_DEP_1) | instskip(SKIP_3) | instid1(VALU_DEP_1)
	v_add_nc_u32_e32 v1, v1, v3
	v_lshlrev_b32_e32 v3, 2, v2
	ds_bpermute_b32 v5, v5, v1
	v_add_nc_u32_e32 v6, 8, v2
	v_cmp_lt_u32_e32 vcc_lo, v6, v4
	v_or_b32_e32 v6, 64, v3
	s_wait_dscnt 0x0
	s_wait_alu 0xfffd
	v_cndmask_b32_e32 v5, 0, v5, vcc_lo
	s_delay_alu instid0(VALU_DEP_1) | instskip(SKIP_2) | instid1(VALU_DEP_1)
	v_add_nc_u32_e32 v1, v1, v5
	ds_bpermute_b32 v5, v6, v1
	v_add_nc_u32_e32 v6, 16, v2
	v_cmp_lt_u32_e32 vcc_lo, v6, v4
	s_wait_dscnt 0x0
	s_wait_alu 0xfffd
	v_cndmask_b32_e32 v4, 0, v5, vcc_lo
	s_delay_alu instid0(VALU_DEP_1)
	v_add_nc_u32_e32 v1, v1, v4
	v_cmpx_eq_u32_e32 0, v2
; %bb.161:
	v_lshrrev_b32_e32 v4, 3, v0
	s_delay_alu instid0(VALU_DEP_1)
	v_and_b32_e32 v4, 28, v4
	ds_store_b32 v4, v1 offset:192
; %bb.162:
	s_or_b32 exec_lo, exec_lo, s3
	s_delay_alu instid0(SALU_CYCLE_1)
	s_mov_b32 s3, exec_lo
	s_wait_dscnt 0x0
	s_barrier_signal -1
	s_barrier_wait -1
	global_inv scope:SCOPE_SE
	v_cmpx_gt_u32_e32 8, v0
	s_cbranch_execz .LBB368_164
; %bb.163:
	ds_load_b32 v1, v3 offset:192
	v_and_b32_e32 v4, 7, v2
	s_add_co_i32 s2, s2, 31
	s_wait_alu 0xfffe
	s_lshr_b32 s2, s2, 5
	s_delay_alu instid0(VALU_DEP_1) | instskip(SKIP_4) | instid1(VALU_DEP_2)
	v_cmp_ne_u32_e32 vcc_lo, 7, v4
	v_add_nc_u32_e32 v6, 1, v4
	s_wait_alu 0xfffd
	v_add_co_ci_u32_e64 v5, null, 0, v2, vcc_lo
	v_cmp_gt_u32_e32 vcc_lo, 6, v4
	v_lshlrev_b32_e32 v5, 2, v5
	s_wait_alu 0xfffd
	v_cndmask_b32_e64 v7, 0, 2, vcc_lo
	s_wait_alu 0xfffe
	v_cmp_gt_u32_e32 vcc_lo, s2, v6
	s_wait_dscnt 0x0
	ds_bpermute_b32 v5, v5, v1
	v_add_lshl_u32 v2, v7, v2, 2
	s_wait_dscnt 0x0
	s_wait_alu 0xfffd
	v_cndmask_b32_e32 v5, 0, v5, vcc_lo
	s_delay_alu instid0(VALU_DEP_1)
	v_add_nc_u32_e32 v1, v5, v1
	v_add_nc_u32_e32 v5, 2, v4
	ds_bpermute_b32 v2, v2, v1
	v_cmp_gt_u32_e32 vcc_lo, s2, v5
	s_wait_dscnt 0x0
	s_wait_alu 0xfffd
	v_cndmask_b32_e32 v2, 0, v2, vcc_lo
	s_delay_alu instid0(VALU_DEP_1)
	v_add_nc_u32_e32 v1, v1, v2
	v_or_b32_e32 v2, 16, v3
	v_add_nc_u32_e32 v3, 4, v4
	ds_bpermute_b32 v2, v2, v1
	v_cmp_gt_u32_e32 vcc_lo, s2, v3
	s_wait_dscnt 0x0
	s_wait_alu 0xfffd
	v_cndmask_b32_e32 v2, 0, v2, vcc_lo
	s_delay_alu instid0(VALU_DEP_1)
	v_add_nc_u32_e32 v1, v1, v2
.LBB368_164:
	s_wait_alu 0xfffe
	s_or_b32 exec_lo, exec_lo, s3
.LBB368_165:
	v_cmp_eq_u32_e64 s2, 0, v0
	s_branch .LBB368_224
.LBB368_166:
	s_cmp_gt_i32 s33, 1
	s_cbranch_scc0 .LBB368_175
; %bb.167:
	s_cmp_gt_i32 s33, 3
	s_cbranch_scc0 .LBB368_176
; %bb.168:
	s_cmp_eq_u32 s33, 4
	s_cbranch_scc0 .LBB368_177
; %bb.169:
	s_mov_b32 s35, 0
	s_lshl_b32 s2, s34, 10
	s_mov_b32 s3, s35
	s_lshr_b64 s[4:5], s[38:39], 10
	s_lshl_b64 s[6:7], s[2:3], 2
	s_cmp_lg_u64 s[4:5], s[34:35]
	s_add_nc_u64 s[4:5], s[36:37], s[6:7]
	s_cbranch_scc0 .LBB368_179
; %bb.170:
	v_lshlrev_b32_e32 v1, 2, v0
	s_mov_b32 s3, exec_lo
	s_clause 0x3
	global_load_b32 v2, v1, s[4:5]
	global_load_b32 v3, v1, s[4:5] offset:1024
	global_load_b32 v4, v1, s[4:5] offset:2048
	;; [unrolled: 1-line block ×3, first 2 shown]
	s_wait_loadcnt 0x2
	v_add_nc_u32_e32 v2, v3, v2
	s_wait_loadcnt 0x0
	s_delay_alu instid0(VALU_DEP_1) | instskip(NEXT) | instid1(VALU_DEP_1)
	v_add3_u32 v1, v2, v4, v1
	v_mov_b32_dpp v2, v1 quad_perm:[1,0,3,2] row_mask:0xf bank_mask:0xf
	s_delay_alu instid0(VALU_DEP_1) | instskip(NEXT) | instid1(VALU_DEP_1)
	v_add_nc_u32_e32 v1, v2, v1
	v_mov_b32_dpp v2, v1 quad_perm:[2,3,0,1] row_mask:0xf bank_mask:0xf
	s_delay_alu instid0(VALU_DEP_1) | instskip(NEXT) | instid1(VALU_DEP_1)
	v_add_nc_u32_e32 v1, v1, v2
	v_mov_b32_dpp v2, v1 row_ror:4 row_mask:0xf bank_mask:0xf
	s_delay_alu instid0(VALU_DEP_1) | instskip(NEXT) | instid1(VALU_DEP_1)
	v_add_nc_u32_e32 v1, v1, v2
	v_mov_b32_dpp v2, v1 row_ror:8 row_mask:0xf bank_mask:0xf
	s_delay_alu instid0(VALU_DEP_1)
	v_add_nc_u32_e32 v1, v1, v2
	ds_swizzle_b32 v2, v1 offset:swizzle(BROADCAST,32,15)
	s_wait_dscnt 0x0
	v_dual_mov_b32 v2, 0 :: v_dual_add_nc_u32 v1, v1, v2
	ds_bpermute_b32 v1, v2, v1 offset:124
	v_mbcnt_lo_u32_b32 v2, -1, 0
	s_delay_alu instid0(VALU_DEP_1)
	v_cmpx_eq_u32_e32 0, v2
	s_cbranch_execz .LBB368_172
; %bb.171:
	v_lshrrev_b32_e32 v3, 3, v0
	s_delay_alu instid0(VALU_DEP_1)
	v_and_b32_e32 v3, 28, v3
	s_wait_dscnt 0x0
	ds_store_b32 v3, v1 offset:128
.LBB368_172:
	s_or_b32 exec_lo, exec_lo, s3
	s_delay_alu instid0(SALU_CYCLE_1)
	s_mov_b32 s3, exec_lo
	s_wait_dscnt 0x0
	s_barrier_signal -1
	s_barrier_wait -1
	global_inv scope:SCOPE_SE
	v_cmpx_gt_u32_e32 32, v0
	s_cbranch_execz .LBB368_174
; %bb.173:
	v_and_b32_e32 v1, 7, v2
	s_delay_alu instid0(VALU_DEP_1) | instskip(SKIP_4) | instid1(VALU_DEP_2)
	v_lshlrev_b32_e32 v3, 2, v1
	v_cmp_ne_u32_e32 vcc_lo, 7, v1
	ds_load_b32 v3, v3 offset:128
	v_add_co_ci_u32_e64 v4, null, 0, v2, vcc_lo
	v_cmp_gt_u32_e32 vcc_lo, 6, v1
	v_lshlrev_b32_e32 v4, 2, v4
	s_wait_alu 0xfffd
	v_cndmask_b32_e64 v1, 0, 2, vcc_lo
	s_delay_alu instid0(VALU_DEP_1) | instskip(SKIP_1) | instid1(VALU_DEP_1)
	v_add_lshl_u32 v1, v1, v2, 2
	v_lshlrev_b32_e32 v2, 2, v2
	v_or_b32_e32 v2, 16, v2
	s_wait_dscnt 0x0
	ds_bpermute_b32 v4, v4, v3
	s_wait_dscnt 0x0
	v_add_nc_u32_e32 v3, v4, v3
	ds_bpermute_b32 v1, v1, v3
	s_wait_dscnt 0x0
	v_add_nc_u32_e32 v1, v1, v3
	;; [unrolled: 3-line block ×3, first 2 shown]
.LBB368_174:
	s_or_b32 exec_lo, exec_lo, s3
	s_mov_b32 s3, 0
	s_branch .LBB368_180
.LBB368_175:
                                        ; implicit-def: $vgpr1
	s_cbranch_execnz .LBB368_215
	s_branch .LBB368_224
.LBB368_176:
                                        ; implicit-def: $vgpr1
	s_cbranch_execz .LBB368_178
	s_branch .LBB368_195
.LBB368_177:
                                        ; implicit-def: $vgpr1
.LBB368_178:
	s_branch .LBB368_224
.LBB368_179:
	s_mov_b32 s3, -1
                                        ; implicit-def: $vgpr1
.LBB368_180:
	s_delay_alu instid0(SALU_CYCLE_1)
	s_and_b32 vcc_lo, exec_lo, s3
	s_wait_alu 0xfffe
	s_cbranch_vccz .LBB368_194
; %bb.181:
	v_mov_b32_e32 v1, 0
	s_sub_co_i32 s6, s38, s2
	s_mov_b32 s2, exec_lo
	s_delay_alu instid0(VALU_DEP_1)
	v_dual_mov_b32 v2, v1 :: v_dual_mov_b32 v3, v1
	v_mov_b32_e32 v4, v1
	v_cmpx_gt_u32_e64 s6, v0
	s_cbranch_execz .LBB368_183
; %bb.182:
	v_dual_mov_b32 v3, v1 :: v_dual_lshlrev_b32 v2, 2, v0
	v_dual_mov_b32 v4, v1 :: v_dual_mov_b32 v5, v1
	global_load_b32 v2, v2, s[4:5]
	s_wait_loadcnt 0x0
	v_mov_b32_e32 v1, v2
	v_mov_b32_e32 v2, v3
	;; [unrolled: 1-line block ×4, first 2 shown]
.LBB368_183:
	s_or_b32 exec_lo, exec_lo, s2
	v_or_b32_e32 v5, 0x100, v0
	s_delay_alu instid0(VALU_DEP_1)
	v_cmp_gt_u32_e32 vcc_lo, s6, v5
	s_and_saveexec_b32 s2, vcc_lo
	s_cbranch_execz .LBB368_185
; %bb.184:
	v_lshlrev_b32_e32 v2, 2, v0
	global_load_b32 v2, v2, s[4:5] offset:1024
.LBB368_185:
	s_or_b32 exec_lo, exec_lo, s2
	v_or_b32_e32 v5, 0x200, v0
	s_delay_alu instid0(VALU_DEP_1)
	v_cmp_gt_u32_e64 s2, s6, v5
	s_and_saveexec_b32 s3, s2
	s_cbranch_execz .LBB368_187
; %bb.186:
	v_lshlrev_b32_e32 v3, 2, v0
	global_load_b32 v3, v3, s[4:5] offset:2048
.LBB368_187:
	s_or_b32 exec_lo, exec_lo, s3
	v_or_b32_e32 v5, 0x300, v0
	s_delay_alu instid0(VALU_DEP_1)
	v_cmp_gt_u32_e64 s3, s6, v5
	s_and_saveexec_b32 s7, s3
	s_cbranch_execz .LBB368_189
; %bb.188:
	v_lshlrev_b32_e32 v4, 2, v0
	global_load_b32 v4, v4, s[4:5] offset:3072
.LBB368_189:
	s_wait_alu 0xfffe
	s_or_b32 exec_lo, exec_lo, s7
	s_wait_loadcnt 0x0
	v_cndmask_b32_e32 v5, 0, v2, vcc_lo
	v_mbcnt_lo_u32_b32 v2, -1, 0
	v_cndmask_b32_e64 v3, 0, v3, s2
	v_cndmask_b32_e64 v4, 0, v4, s3
	s_min_u32 s2, s6, 0x100
	v_add_nc_u32_e32 v1, v5, v1
	v_cmp_ne_u32_e32 vcc_lo, 31, v2
	s_mov_b32 s3, exec_lo
	s_delay_alu instid0(VALU_DEP_2) | instskip(SKIP_4) | instid1(VALU_DEP_3)
	v_add3_u32 v1, v1, v3, v4
	s_wait_alu 0xfffd
	v_add_co_ci_u32_e64 v5, null, 0, v2, vcc_lo
	v_and_b32_e32 v4, 0xe0, v0
	v_cmp_gt_u32_e32 vcc_lo, 30, v2
	v_lshlrev_b32_e32 v3, 2, v5
	v_add_nc_u32_e32 v5, 1, v2
	s_wait_alu 0xfffe
	v_sub_nc_u32_e64 v4, s2, v4 clamp
	s_wait_alu 0xfffd
	v_cndmask_b32_e64 v6, 0, 2, vcc_lo
	ds_bpermute_b32 v3, v3, v1
	v_cmp_lt_u32_e32 vcc_lo, v5, v4
	v_add_lshl_u32 v5, v6, v2, 2
	s_wait_dscnt 0x0
	s_wait_alu 0xfffd
	v_cndmask_b32_e32 v3, 0, v3, vcc_lo
	v_cmp_gt_u32_e32 vcc_lo, 28, v2
	s_delay_alu instid0(VALU_DEP_2) | instskip(SKIP_4) | instid1(VALU_DEP_1)
	v_add_nc_u32_e32 v1, v3, v1
	s_wait_alu 0xfffd
	v_cndmask_b32_e64 v6, 0, 4, vcc_lo
	ds_bpermute_b32 v3, v5, v1
	v_add_nc_u32_e32 v5, 2, v2
	v_cmp_lt_u32_e32 vcc_lo, v5, v4
	v_add_lshl_u32 v5, v6, v2, 2
	s_wait_dscnt 0x0
	s_wait_alu 0xfffd
	v_cndmask_b32_e32 v3, 0, v3, vcc_lo
	v_cmp_gt_u32_e32 vcc_lo, 24, v2
	s_delay_alu instid0(VALU_DEP_2) | instskip(SKIP_4) | instid1(VALU_DEP_1)
	v_add_nc_u32_e32 v1, v1, v3
	s_wait_alu 0xfffd
	v_cndmask_b32_e64 v6, 0, 8, vcc_lo
	ds_bpermute_b32 v3, v5, v1
	v_add_nc_u32_e32 v5, 4, v2
	v_cmp_lt_u32_e32 vcc_lo, v5, v4
	v_add_lshl_u32 v5, v6, v2, 2
	s_wait_dscnt 0x0
	s_wait_alu 0xfffd
	v_dual_cndmask_b32 v3, 0, v3 :: v_dual_add_nc_u32 v6, 8, v2
	s_delay_alu instid0(VALU_DEP_1) | instskip(NEXT) | instid1(VALU_DEP_2)
	v_cmp_lt_u32_e32 vcc_lo, v6, v4
	v_add_nc_u32_e32 v1, v1, v3
	v_lshlrev_b32_e32 v3, 2, v2
	ds_bpermute_b32 v5, v5, v1
	v_or_b32_e32 v6, 64, v3
	s_wait_dscnt 0x0
	s_wait_alu 0xfffd
	v_cndmask_b32_e32 v5, 0, v5, vcc_lo
	s_delay_alu instid0(VALU_DEP_1) | instskip(SKIP_2) | instid1(VALU_DEP_1)
	v_add_nc_u32_e32 v1, v1, v5
	ds_bpermute_b32 v5, v6, v1
	v_add_nc_u32_e32 v6, 16, v2
	v_cmp_lt_u32_e32 vcc_lo, v6, v4
	s_wait_dscnt 0x0
	s_wait_alu 0xfffd
	v_cndmask_b32_e32 v4, 0, v5, vcc_lo
	s_delay_alu instid0(VALU_DEP_1)
	v_add_nc_u32_e32 v1, v1, v4
	v_cmpx_eq_u32_e32 0, v2
; %bb.190:
	v_lshrrev_b32_e32 v4, 3, v0
	s_delay_alu instid0(VALU_DEP_1)
	v_and_b32_e32 v4, 28, v4
	ds_store_b32 v4, v1 offset:192
; %bb.191:
	s_or_b32 exec_lo, exec_lo, s3
	s_delay_alu instid0(SALU_CYCLE_1)
	s_mov_b32 s3, exec_lo
	s_wait_dscnt 0x0
	s_barrier_signal -1
	s_barrier_wait -1
	global_inv scope:SCOPE_SE
	v_cmpx_gt_u32_e32 8, v0
	s_cbranch_execz .LBB368_193
; %bb.192:
	ds_load_b32 v1, v3 offset:192
	v_and_b32_e32 v4, 7, v2
	s_add_co_i32 s2, s2, 31
	s_wait_alu 0xfffe
	s_lshr_b32 s2, s2, 5
	s_delay_alu instid0(VALU_DEP_1) | instskip(SKIP_4) | instid1(VALU_DEP_2)
	v_cmp_ne_u32_e32 vcc_lo, 7, v4
	v_add_nc_u32_e32 v6, 1, v4
	s_wait_alu 0xfffd
	v_add_co_ci_u32_e64 v5, null, 0, v2, vcc_lo
	v_cmp_gt_u32_e32 vcc_lo, 6, v4
	v_lshlrev_b32_e32 v5, 2, v5
	s_wait_alu 0xfffd
	v_cndmask_b32_e64 v7, 0, 2, vcc_lo
	s_wait_alu 0xfffe
	v_cmp_gt_u32_e32 vcc_lo, s2, v6
	s_wait_dscnt 0x0
	ds_bpermute_b32 v5, v5, v1
	v_add_lshl_u32 v2, v7, v2, 2
	s_wait_dscnt 0x0
	s_wait_alu 0xfffd
	v_cndmask_b32_e32 v5, 0, v5, vcc_lo
	s_delay_alu instid0(VALU_DEP_1)
	v_add_nc_u32_e32 v1, v5, v1
	v_add_nc_u32_e32 v5, 2, v4
	ds_bpermute_b32 v2, v2, v1
	v_cmp_gt_u32_e32 vcc_lo, s2, v5
	s_wait_dscnt 0x0
	s_wait_alu 0xfffd
	v_cndmask_b32_e32 v2, 0, v2, vcc_lo
	s_delay_alu instid0(VALU_DEP_1)
	v_add_nc_u32_e32 v1, v1, v2
	v_or_b32_e32 v2, 16, v3
	v_add_nc_u32_e32 v3, 4, v4
	ds_bpermute_b32 v2, v2, v1
	v_cmp_gt_u32_e32 vcc_lo, s2, v3
	s_wait_dscnt 0x0
	s_wait_alu 0xfffd
	v_cndmask_b32_e32 v2, 0, v2, vcc_lo
	s_delay_alu instid0(VALU_DEP_1)
	v_add_nc_u32_e32 v1, v1, v2
.LBB368_193:
	s_wait_alu 0xfffe
	s_or_b32 exec_lo, exec_lo, s3
.LBB368_194:
	v_cmp_eq_u32_e64 s2, 0, v0
	s_branch .LBB368_178
.LBB368_195:
	s_cmp_eq_u32 s33, 2
	s_cbranch_scc0 .LBB368_202
; %bb.196:
	s_mov_b32 s35, 0
	s_lshl_b32 s4, s34, 9
	s_mov_b32 s5, s35
	s_lshr_b64 s[2:3], s[38:39], 9
	s_lshl_b64 s[6:7], s[4:5], 2
	s_cmp_lg_u64 s[2:3], s[34:35]
	s_add_nc_u64 s[2:3], s[36:37], s[6:7]
	s_cbranch_scc0 .LBB368_203
; %bb.197:
	v_lshlrev_b32_e32 v1, 2, v0
	s_mov_b32 s5, exec_lo
	s_clause 0x1
	global_load_b32 v2, v1, s[2:3]
	global_load_b32 v1, v1, s[2:3] offset:1024
	s_wait_loadcnt 0x0
	v_add_nc_u32_e32 v1, v1, v2
	s_delay_alu instid0(VALU_DEP_1) | instskip(NEXT) | instid1(VALU_DEP_1)
	v_mov_b32_dpp v2, v1 quad_perm:[1,0,3,2] row_mask:0xf bank_mask:0xf
	v_add_nc_u32_e32 v1, v2, v1
	s_delay_alu instid0(VALU_DEP_1) | instskip(NEXT) | instid1(VALU_DEP_1)
	v_mov_b32_dpp v2, v1 quad_perm:[2,3,0,1] row_mask:0xf bank_mask:0xf
	v_add_nc_u32_e32 v1, v1, v2
	s_delay_alu instid0(VALU_DEP_1) | instskip(NEXT) | instid1(VALU_DEP_1)
	v_mov_b32_dpp v2, v1 row_ror:4 row_mask:0xf bank_mask:0xf
	v_add_nc_u32_e32 v1, v1, v2
	s_delay_alu instid0(VALU_DEP_1) | instskip(NEXT) | instid1(VALU_DEP_1)
	v_mov_b32_dpp v2, v1 row_ror:8 row_mask:0xf bank_mask:0xf
	v_add_nc_u32_e32 v1, v1, v2
	ds_swizzle_b32 v2, v1 offset:swizzle(BROADCAST,32,15)
	s_wait_dscnt 0x0
	v_dual_mov_b32 v2, 0 :: v_dual_add_nc_u32 v1, v1, v2
	ds_bpermute_b32 v1, v2, v1 offset:124
	v_mbcnt_lo_u32_b32 v2, -1, 0
	s_delay_alu instid0(VALU_DEP_1)
	v_cmpx_eq_u32_e32 0, v2
	s_cbranch_execz .LBB368_199
; %bb.198:
	v_lshrrev_b32_e32 v3, 3, v0
	s_delay_alu instid0(VALU_DEP_1)
	v_and_b32_e32 v3, 28, v3
	s_wait_dscnt 0x0
	ds_store_b32 v3, v1 offset:64
.LBB368_199:
	s_or_b32 exec_lo, exec_lo, s5
	s_delay_alu instid0(SALU_CYCLE_1)
	s_mov_b32 s5, exec_lo
	s_wait_dscnt 0x0
	s_barrier_signal -1
	s_barrier_wait -1
	global_inv scope:SCOPE_SE
	v_cmpx_gt_u32_e32 32, v0
	s_cbranch_execz .LBB368_201
; %bb.200:
	v_and_b32_e32 v1, 7, v2
	s_delay_alu instid0(VALU_DEP_1) | instskip(SKIP_4) | instid1(VALU_DEP_2)
	v_lshlrev_b32_e32 v3, 2, v1
	v_cmp_ne_u32_e32 vcc_lo, 7, v1
	ds_load_b32 v3, v3 offset:64
	v_add_co_ci_u32_e64 v4, null, 0, v2, vcc_lo
	v_cmp_gt_u32_e32 vcc_lo, 6, v1
	v_lshlrev_b32_e32 v4, 2, v4
	s_wait_alu 0xfffd
	v_cndmask_b32_e64 v1, 0, 2, vcc_lo
	s_delay_alu instid0(VALU_DEP_1) | instskip(SKIP_1) | instid1(VALU_DEP_1)
	v_add_lshl_u32 v1, v1, v2, 2
	v_lshlrev_b32_e32 v2, 2, v2
	v_or_b32_e32 v2, 16, v2
	s_wait_dscnt 0x0
	ds_bpermute_b32 v4, v4, v3
	s_wait_dscnt 0x0
	v_add_nc_u32_e32 v3, v4, v3
	ds_bpermute_b32 v1, v1, v3
	s_wait_dscnt 0x0
	v_add_nc_u32_e32 v1, v1, v3
	;; [unrolled: 3-line block ×3, first 2 shown]
.LBB368_201:
	s_or_b32 exec_lo, exec_lo, s5
	s_mov_b32 s5, 0
	s_branch .LBB368_204
.LBB368_202:
                                        ; implicit-def: $vgpr1
	s_branch .LBB368_224
.LBB368_203:
	s_mov_b32 s5, -1
                                        ; implicit-def: $vgpr1
.LBB368_204:
	s_delay_alu instid0(SALU_CYCLE_1)
	s_and_b32 vcc_lo, exec_lo, s5
	s_wait_alu 0xfffe
	s_cbranch_vccz .LBB368_214
; %bb.205:
	v_mov_b32_e32 v1, 0
	s_sub_co_i32 s4, s38, s4
	s_mov_b32 s5, exec_lo
	s_delay_alu instid0(VALU_DEP_1)
	v_mov_b32_e32 v2, v1
	v_cmpx_gt_u32_e64 s4, v0
	s_cbranch_execz .LBB368_207
; %bb.206:
	v_dual_mov_b32 v3, v1 :: v_dual_lshlrev_b32 v2, 2, v0
	global_load_b32 v2, v2, s[2:3]
	s_wait_loadcnt 0x0
	v_mov_b32_e32 v1, v2
	v_mov_b32_e32 v2, v3
.LBB368_207:
	s_or_b32 exec_lo, exec_lo, s5
	v_or_b32_e32 v3, 0x100, v0
	s_delay_alu instid0(VALU_DEP_1)
	v_cmp_gt_u32_e32 vcc_lo, s4, v3
	s_and_saveexec_b32 s5, vcc_lo
	s_cbranch_execz .LBB368_209
; %bb.208:
	v_lshlrev_b32_e32 v2, 2, v0
	global_load_b32 v2, v2, s[2:3] offset:1024
.LBB368_209:
	s_wait_alu 0xfffe
	s_or_b32 exec_lo, exec_lo, s5
	v_mbcnt_lo_u32_b32 v3, -1, 0
	s_wait_loadcnt 0x0
	v_cndmask_b32_e32 v2, 0, v2, vcc_lo
	s_min_u32 s2, s4, 0x100
	s_mov_b32 s3, exec_lo
	v_cmp_ne_u32_e32 vcc_lo, 31, v3
	v_add_nc_u32_e32 v5, 1, v3
	v_add_nc_u32_e32 v1, v2, v1
	s_wait_alu 0xfffd
	v_add_co_ci_u32_e64 v4, null, 0, v3, vcc_lo
	v_cmp_gt_u32_e32 vcc_lo, 30, v3
	s_delay_alu instid0(VALU_DEP_2)
	v_lshlrev_b32_e32 v2, 2, v4
	v_and_b32_e32 v4, 0xe0, v0
	s_wait_alu 0xfffd
	v_cndmask_b32_e64 v6, 0, 2, vcc_lo
	ds_bpermute_b32 v2, v2, v1
	v_sub_nc_u32_e64 v4, s2, v4 clamp
	s_delay_alu instid0(VALU_DEP_1)
	v_cmp_lt_u32_e32 vcc_lo, v5, v4
	v_add_lshl_u32 v5, v6, v3, 2
	s_wait_dscnt 0x0
	s_wait_alu 0xfffd
	v_cndmask_b32_e32 v2, 0, v2, vcc_lo
	v_cmp_gt_u32_e32 vcc_lo, 28, v3
	s_delay_alu instid0(VALU_DEP_2) | instskip(SKIP_4) | instid1(VALU_DEP_1)
	v_add_nc_u32_e32 v1, v2, v1
	s_wait_alu 0xfffd
	v_cndmask_b32_e64 v6, 0, 4, vcc_lo
	ds_bpermute_b32 v2, v5, v1
	v_add_nc_u32_e32 v5, 2, v3
	v_cmp_lt_u32_e32 vcc_lo, v5, v4
	v_add_lshl_u32 v5, v6, v3, 2
	s_wait_dscnt 0x0
	s_wait_alu 0xfffd
	v_cndmask_b32_e32 v2, 0, v2, vcc_lo
	v_cmp_gt_u32_e32 vcc_lo, 24, v3
	s_delay_alu instid0(VALU_DEP_2) | instskip(SKIP_4) | instid1(VALU_DEP_1)
	v_add_nc_u32_e32 v1, v1, v2
	s_wait_alu 0xfffd
	v_cndmask_b32_e64 v6, 0, 8, vcc_lo
	ds_bpermute_b32 v2, v5, v1
	v_add_nc_u32_e32 v5, 4, v3
	v_cmp_lt_u32_e32 vcc_lo, v5, v4
	v_add_lshl_u32 v5, v6, v3, 2
	v_add_nc_u32_e32 v6, 8, v3
	s_wait_dscnt 0x0
	s_wait_alu 0xfffd
	v_cndmask_b32_e32 v2, 0, v2, vcc_lo
	s_delay_alu instid0(VALU_DEP_2) | instskip(NEXT) | instid1(VALU_DEP_2)
	v_cmp_lt_u32_e32 vcc_lo, v6, v4
	v_add_nc_u32_e32 v1, v1, v2
	v_lshlrev_b32_e32 v2, 2, v3
	ds_bpermute_b32 v5, v5, v1
	v_or_b32_e32 v6, 64, v2
	s_wait_dscnt 0x0
	s_wait_alu 0xfffd
	v_cndmask_b32_e32 v5, 0, v5, vcc_lo
	s_delay_alu instid0(VALU_DEP_1) | instskip(SKIP_2) | instid1(VALU_DEP_1)
	v_add_nc_u32_e32 v1, v1, v5
	ds_bpermute_b32 v5, v6, v1
	v_add_nc_u32_e32 v6, 16, v3
	v_cmp_lt_u32_e32 vcc_lo, v6, v4
	s_wait_dscnt 0x0
	s_wait_alu 0xfffd
	v_cndmask_b32_e32 v4, 0, v5, vcc_lo
	s_delay_alu instid0(VALU_DEP_1)
	v_add_nc_u32_e32 v1, v1, v4
	v_cmpx_eq_u32_e32 0, v3
; %bb.210:
	v_lshrrev_b32_e32 v4, 3, v0
	s_delay_alu instid0(VALU_DEP_1)
	v_and_b32_e32 v4, 28, v4
	ds_store_b32 v4, v1 offset:192
; %bb.211:
	s_or_b32 exec_lo, exec_lo, s3
	s_delay_alu instid0(SALU_CYCLE_1)
	s_mov_b32 s3, exec_lo
	s_wait_dscnt 0x0
	s_barrier_signal -1
	s_barrier_wait -1
	global_inv scope:SCOPE_SE
	v_cmpx_gt_u32_e32 8, v0
	s_cbranch_execz .LBB368_213
; %bb.212:
	ds_load_b32 v1, v2 offset:192
	v_and_b32_e32 v4, 7, v3
	s_add_co_i32 s2, s2, 31
	v_or_b32_e32 v2, 16, v2
	s_wait_alu 0xfffe
	s_lshr_b32 s2, s2, 5
	v_cmp_ne_u32_e32 vcc_lo, 7, v4
	v_add_nc_u32_e32 v6, 1, v4
	s_wait_alu 0xfffd
	v_add_co_ci_u32_e64 v5, null, 0, v3, vcc_lo
	v_cmp_gt_u32_e32 vcc_lo, 6, v4
	s_delay_alu instid0(VALU_DEP_2)
	v_lshlrev_b32_e32 v5, 2, v5
	s_wait_alu 0xfffd
	v_cndmask_b32_e64 v7, 0, 2, vcc_lo
	s_wait_alu 0xfffe
	v_cmp_gt_u32_e32 vcc_lo, s2, v6
	s_wait_dscnt 0x0
	ds_bpermute_b32 v5, v5, v1
	v_add_lshl_u32 v3, v7, v3, 2
	s_wait_dscnt 0x0
	s_wait_alu 0xfffd
	v_cndmask_b32_e32 v5, 0, v5, vcc_lo
	s_delay_alu instid0(VALU_DEP_1)
	v_add_nc_u32_e32 v1, v5, v1
	v_add_nc_u32_e32 v5, 2, v4
	ds_bpermute_b32 v3, v3, v1
	v_cmp_gt_u32_e32 vcc_lo, s2, v5
	s_wait_dscnt 0x0
	s_wait_alu 0xfffd
	v_cndmask_b32_e32 v3, 0, v3, vcc_lo
	s_delay_alu instid0(VALU_DEP_1)
	v_add_nc_u32_e32 v1, v1, v3
	v_add_nc_u32_e32 v3, 4, v4
	ds_bpermute_b32 v2, v2, v1
	v_cmp_gt_u32_e32 vcc_lo, s2, v3
	s_wait_dscnt 0x0
	s_wait_alu 0xfffd
	v_cndmask_b32_e32 v2, 0, v2, vcc_lo
	s_delay_alu instid0(VALU_DEP_1)
	v_add_nc_u32_e32 v1, v1, v2
.LBB368_213:
	s_wait_alu 0xfffe
	s_or_b32 exec_lo, exec_lo, s3
.LBB368_214:
	v_cmp_eq_u32_e64 s2, 0, v0
	s_branch .LBB368_224
.LBB368_215:
	s_cmp_eq_u32 s33, 1
	s_cbranch_scc0 .LBB368_223
; %bb.216:
	s_mov_b32 s3, 0
	v_mbcnt_lo_u32_b32 v2, -1, 0
	s_lshr_b64 s[4:5], s[38:39], 8
	s_mov_b32 s35, s3
	s_lshl_b32 s2, s34, 8
	s_cmp_lg_u64 s[4:5], s[34:35]
	s_cbranch_scc0 .LBB368_227
; %bb.217:
	v_lshlrev_b32_e32 v1, 2, v0
	s_lshl_b64 s[4:5], s[2:3], 2
	s_delay_alu instid0(SALU_CYCLE_1) | instskip(SKIP_4) | instid1(VALU_DEP_1)
	s_add_nc_u64 s[4:5], s[36:37], s[4:5]
	global_load_b32 v1, v1, s[4:5]
	s_mov_b32 s4, exec_lo
	s_wait_loadcnt 0x0
	v_mov_b32_dpp v3, v1 quad_perm:[1,0,3,2] row_mask:0xf bank_mask:0xf
	v_add_nc_u32_e32 v1, v3, v1
	s_delay_alu instid0(VALU_DEP_1) | instskip(NEXT) | instid1(VALU_DEP_1)
	v_mov_b32_dpp v3, v1 quad_perm:[2,3,0,1] row_mask:0xf bank_mask:0xf
	v_add_nc_u32_e32 v1, v1, v3
	s_delay_alu instid0(VALU_DEP_1) | instskip(NEXT) | instid1(VALU_DEP_1)
	v_mov_b32_dpp v3, v1 row_ror:4 row_mask:0xf bank_mask:0xf
	v_add_nc_u32_e32 v1, v1, v3
	s_delay_alu instid0(VALU_DEP_1) | instskip(NEXT) | instid1(VALU_DEP_1)
	v_mov_b32_dpp v3, v1 row_ror:8 row_mask:0xf bank_mask:0xf
	v_add_nc_u32_e32 v1, v1, v3
	ds_swizzle_b32 v3, v1 offset:swizzle(BROADCAST,32,15)
	s_wait_dscnt 0x0
	v_add_nc_u32_e32 v1, v1, v3
	v_mov_b32_e32 v3, 0
	ds_bpermute_b32 v1, v3, v1 offset:124
	v_cmpx_eq_u32_e32 0, v2
	s_cbranch_execz .LBB368_219
; %bb.218:
	v_lshrrev_b32_e32 v3, 3, v0
	s_delay_alu instid0(VALU_DEP_1)
	v_and_b32_e32 v3, 28, v3
	s_wait_dscnt 0x0
	ds_store_b32 v3, v1 offset:32
.LBB368_219:
	s_or_b32 exec_lo, exec_lo, s4
	s_delay_alu instid0(SALU_CYCLE_1)
	s_mov_b32 s4, exec_lo
	s_wait_dscnt 0x0
	s_barrier_signal -1
	s_barrier_wait -1
	global_inv scope:SCOPE_SE
	v_cmpx_gt_u32_e32 32, v0
	s_cbranch_execz .LBB368_221
; %bb.220:
	v_and_b32_e32 v1, 7, v2
	s_delay_alu instid0(VALU_DEP_1) | instskip(SKIP_4) | instid1(VALU_DEP_2)
	v_lshlrev_b32_e32 v3, 2, v1
	v_cmp_ne_u32_e32 vcc_lo, 7, v1
	ds_load_b32 v3, v3 offset:32
	v_add_co_ci_u32_e64 v4, null, 0, v2, vcc_lo
	v_cmp_gt_u32_e32 vcc_lo, 6, v1
	v_lshlrev_b32_e32 v4, 2, v4
	s_wait_alu 0xfffd
	v_cndmask_b32_e64 v1, 0, 2, vcc_lo
	s_delay_alu instid0(VALU_DEP_1)
	v_add_lshl_u32 v1, v1, v2, 2
	s_wait_dscnt 0x0
	ds_bpermute_b32 v4, v4, v3
	s_wait_dscnt 0x0
	v_add_nc_u32_e32 v3, v4, v3
	v_lshlrev_b32_e32 v4, 2, v2
	ds_bpermute_b32 v1, v1, v3
	s_wait_dscnt 0x0
	v_add_nc_u32_e32 v1, v1, v3
	v_or_b32_e32 v3, 16, v4
	ds_bpermute_b32 v3, v3, v1
	s_wait_dscnt 0x0
	v_add_nc_u32_e32 v1, v3, v1
.LBB368_221:
	s_or_b32 exec_lo, exec_lo, s4
.LBB368_222:
	v_cmp_eq_u32_e64 s2, 0, v0
	s_and_saveexec_b32 s3, s2
	s_cbranch_execnz .LBB368_225
	s_branch .LBB368_226
.LBB368_223:
                                        ; implicit-def: $vgpr1
                                        ; implicit-def: $sgpr34_sgpr35
.LBB368_224:
	s_delay_alu instid0(VALU_DEP_1)
	s_and_saveexec_b32 s3, s2
	s_cbranch_execz .LBB368_226
.LBB368_225:
	s_load_b96 s[0:2], s[0:1], 0x18
	s_lshl_b64 s[4:5], s[34:35], 2
	s_cmp_lg_u64 s[38:39], 0
	s_cselect_b32 vcc_lo, -1, 0
	s_wait_alu 0xfffe
	v_dual_cndmask_b32 v0, 0, v1 :: v_dual_mov_b32 v1, 0
	s_wait_kmcnt 0x0
	s_delay_alu instid0(VALU_DEP_1)
	v_add_nc_u32_e32 v0, s2, v0
	s_add_nc_u64 s[0:1], s[0:1], s[4:5]
	global_store_b32 v1, v0, s[0:1]
.LBB368_226:
	s_endpgm
.LBB368_227:
                                        ; implicit-def: $vgpr1
	s_cbranch_execz .LBB368_222
; %bb.228:
	s_sub_co_i32 s4, s38, s2
	s_mov_b32 s5, exec_lo
                                        ; implicit-def: $vgpr1
	v_cmpx_gt_u32_e64 s4, v0
	s_cbranch_execz .LBB368_230
; %bb.229:
	v_lshlrev_b32_e32 v1, 2, v0
	s_lshl_b64 s[2:3], s[2:3], 2
	s_delay_alu instid0(SALU_CYCLE_1)
	s_add_nc_u64 s[2:3], s[36:37], s[2:3]
	global_load_b32 v1, v1, s[2:3]
.LBB368_230:
	s_or_b32 exec_lo, exec_lo, s5
	v_cmp_ne_u32_e32 vcc_lo, 31, v2
	s_min_u32 s2, s4, 0x100
	v_add_nc_u32_e32 v5, 1, v2
	s_mov_b32 s3, exec_lo
	v_add_co_ci_u32_e64 v3, null, 0, v2, vcc_lo
	v_cmp_gt_u32_e32 vcc_lo, 30, v2
	s_delay_alu instid0(VALU_DEP_2)
	v_lshlrev_b32_e32 v3, 2, v3
	s_wait_alu 0xfffd
	v_cndmask_b32_e64 v6, 0, 2, vcc_lo
	s_wait_loadcnt 0x0
	ds_bpermute_b32 v3, v3, v1
	v_and_b32_e32 v4, 0xe0, v0
	s_delay_alu instid0(VALU_DEP_1) | instskip(NEXT) | instid1(VALU_DEP_1)
	v_sub_nc_u32_e64 v4, s2, v4 clamp
	v_cmp_lt_u32_e32 vcc_lo, v5, v4
	v_add_lshl_u32 v5, v6, v2, 2
	s_wait_dscnt 0x0
	s_wait_alu 0xfffd
	v_cndmask_b32_e32 v3, 0, v3, vcc_lo
	v_cmp_gt_u32_e32 vcc_lo, 28, v2
	s_delay_alu instid0(VALU_DEP_2) | instskip(SKIP_4) | instid1(VALU_DEP_1)
	v_add_nc_u32_e32 v1, v3, v1
	s_wait_alu 0xfffd
	v_cndmask_b32_e64 v6, 0, 4, vcc_lo
	ds_bpermute_b32 v3, v5, v1
	v_add_nc_u32_e32 v5, 2, v2
	v_cmp_lt_u32_e32 vcc_lo, v5, v4
	v_add_lshl_u32 v5, v6, v2, 2
	s_wait_dscnt 0x0
	s_wait_alu 0xfffd
	v_cndmask_b32_e32 v3, 0, v3, vcc_lo
	v_cmp_gt_u32_e32 vcc_lo, 24, v2
	s_delay_alu instid0(VALU_DEP_2) | instskip(SKIP_4) | instid1(VALU_DEP_1)
	v_add_nc_u32_e32 v1, v1, v3
	s_wait_alu 0xfffd
	v_cndmask_b32_e64 v6, 0, 8, vcc_lo
	ds_bpermute_b32 v3, v5, v1
	v_add_nc_u32_e32 v5, 4, v2
	v_cmp_lt_u32_e32 vcc_lo, v5, v4
	v_add_lshl_u32 v5, v6, v2, 2
	s_wait_dscnt 0x0
	s_wait_alu 0xfffd
	v_dual_cndmask_b32 v3, 0, v3 :: v_dual_add_nc_u32 v6, 8, v2
	s_delay_alu instid0(VALU_DEP_1) | instskip(NEXT) | instid1(VALU_DEP_2)
	v_cmp_lt_u32_e32 vcc_lo, v6, v4
	v_add_nc_u32_e32 v1, v1, v3
	v_lshlrev_b32_e32 v3, 2, v2
	ds_bpermute_b32 v5, v5, v1
	v_or_b32_e32 v6, 64, v3
	s_wait_dscnt 0x0
	s_wait_alu 0xfffd
	v_cndmask_b32_e32 v5, 0, v5, vcc_lo
	s_delay_alu instid0(VALU_DEP_1) | instskip(SKIP_2) | instid1(VALU_DEP_1)
	v_add_nc_u32_e32 v1, v1, v5
	ds_bpermute_b32 v5, v6, v1
	v_add_nc_u32_e32 v6, 16, v2
	v_cmp_lt_u32_e32 vcc_lo, v6, v4
	s_wait_dscnt 0x0
	s_wait_alu 0xfffd
	v_cndmask_b32_e32 v4, 0, v5, vcc_lo
	s_delay_alu instid0(VALU_DEP_1)
	v_add_nc_u32_e32 v1, v1, v4
	v_cmpx_eq_u32_e32 0, v2
; %bb.231:
	v_lshrrev_b32_e32 v4, 3, v0
	s_delay_alu instid0(VALU_DEP_1)
	v_and_b32_e32 v4, 28, v4
	ds_store_b32 v4, v1 offset:192
; %bb.232:
	s_or_b32 exec_lo, exec_lo, s3
	s_delay_alu instid0(SALU_CYCLE_1)
	s_mov_b32 s3, exec_lo
	s_wait_dscnt 0x0
	s_barrier_signal -1
	s_barrier_wait -1
	global_inv scope:SCOPE_SE
	v_cmpx_gt_u32_e32 8, v0
	s_cbranch_execz .LBB368_234
; %bb.233:
	ds_load_b32 v1, v3 offset:192
	v_and_b32_e32 v4, 7, v2
	s_add_co_i32 s2, s2, 31
	s_wait_alu 0xfffe
	s_lshr_b32 s2, s2, 5
	s_delay_alu instid0(VALU_DEP_1) | instskip(SKIP_4) | instid1(VALU_DEP_2)
	v_cmp_ne_u32_e32 vcc_lo, 7, v4
	v_add_nc_u32_e32 v6, 1, v4
	s_wait_alu 0xfffd
	v_add_co_ci_u32_e64 v5, null, 0, v2, vcc_lo
	v_cmp_gt_u32_e32 vcc_lo, 6, v4
	v_lshlrev_b32_e32 v5, 2, v5
	s_wait_alu 0xfffd
	v_cndmask_b32_e64 v7, 0, 2, vcc_lo
	s_wait_alu 0xfffe
	v_cmp_gt_u32_e32 vcc_lo, s2, v6
	s_wait_dscnt 0x0
	ds_bpermute_b32 v5, v5, v1
	v_add_lshl_u32 v2, v7, v2, 2
	s_wait_dscnt 0x0
	s_wait_alu 0xfffd
	v_cndmask_b32_e32 v5, 0, v5, vcc_lo
	s_delay_alu instid0(VALU_DEP_1)
	v_add_nc_u32_e32 v1, v5, v1
	v_add_nc_u32_e32 v5, 2, v4
	ds_bpermute_b32 v2, v2, v1
	v_cmp_gt_u32_e32 vcc_lo, s2, v5
	s_wait_dscnt 0x0
	s_wait_alu 0xfffd
	v_cndmask_b32_e32 v2, 0, v2, vcc_lo
	s_delay_alu instid0(VALU_DEP_1)
	v_add_nc_u32_e32 v1, v1, v2
	v_or_b32_e32 v2, 16, v3
	v_add_nc_u32_e32 v3, 4, v4
	ds_bpermute_b32 v2, v2, v1
	v_cmp_gt_u32_e32 vcc_lo, s2, v3
	s_wait_dscnt 0x0
	s_wait_alu 0xfffd
	v_cndmask_b32_e32 v2, 0, v2, vcc_lo
	s_delay_alu instid0(VALU_DEP_1)
	v_add_nc_u32_e32 v1, v1, v2
.LBB368_234:
	s_wait_alu 0xfffe
	s_or_b32 exec_lo, exec_lo, s3
	v_cmp_eq_u32_e64 s2, 0, v0
	s_and_saveexec_b32 s3, s2
	s_cbranch_execnz .LBB368_225
	s_branch .LBB368_226
	.section	.rodata,"a",@progbits
	.p2align	6, 0x0
	.amdhsa_kernel _ZN7rocprim17ROCPRIM_400000_NS6detail17trampoline_kernelINS0_14default_configENS1_22reduce_config_selectorIiEEZNS1_11reduce_implILb1ES3_PiS7_iN6hipcub16HIPCUB_304000_NS6detail34convert_binary_result_type_wrapperINS9_3SumENS9_22TransformInputIteratorIbN2at6native12_GLOBAL__N_19NonZeroOpIdEEPKdlEEiEEEE10hipError_tPvRmT1_T2_T3_mT4_P12ihipStream_tbEUlT_E1_NS1_11comp_targetILNS1_3genE10ELNS1_11target_archE1201ELNS1_3gpuE5ELNS1_3repE0EEENS1_30default_config_static_selectorELNS0_4arch9wavefront6targetE0EEEvSQ_
		.amdhsa_group_segment_fixed_size 224
		.amdhsa_private_segment_fixed_size 0
		.amdhsa_kernarg_size 40
		.amdhsa_user_sgpr_count 2
		.amdhsa_user_sgpr_dispatch_ptr 0
		.amdhsa_user_sgpr_queue_ptr 0
		.amdhsa_user_sgpr_kernarg_segment_ptr 1
		.amdhsa_user_sgpr_dispatch_id 0
		.amdhsa_user_sgpr_private_segment_size 0
		.amdhsa_wavefront_size32 1
		.amdhsa_uses_dynamic_stack 0
		.amdhsa_enable_private_segment 0
		.amdhsa_system_sgpr_workgroup_id_x 1
		.amdhsa_system_sgpr_workgroup_id_y 0
		.amdhsa_system_sgpr_workgroup_id_z 0
		.amdhsa_system_sgpr_workgroup_info 0
		.amdhsa_system_vgpr_workitem_id 0
		.amdhsa_next_free_vgpr 34
		.amdhsa_next_free_sgpr 45
		.amdhsa_reserve_vcc 1
		.amdhsa_float_round_mode_32 0
		.amdhsa_float_round_mode_16_64 0
		.amdhsa_float_denorm_mode_32 3
		.amdhsa_float_denorm_mode_16_64 3
		.amdhsa_fp16_overflow 0
		.amdhsa_workgroup_processor_mode 1
		.amdhsa_memory_ordered 1
		.amdhsa_forward_progress 1
		.amdhsa_inst_pref_size 93
		.amdhsa_round_robin_scheduling 0
		.amdhsa_exception_fp_ieee_invalid_op 0
		.amdhsa_exception_fp_denorm_src 0
		.amdhsa_exception_fp_ieee_div_zero 0
		.amdhsa_exception_fp_ieee_overflow 0
		.amdhsa_exception_fp_ieee_underflow 0
		.amdhsa_exception_fp_ieee_inexact 0
		.amdhsa_exception_int_div_zero 0
	.end_amdhsa_kernel
	.section	.text._ZN7rocprim17ROCPRIM_400000_NS6detail17trampoline_kernelINS0_14default_configENS1_22reduce_config_selectorIiEEZNS1_11reduce_implILb1ES3_PiS7_iN6hipcub16HIPCUB_304000_NS6detail34convert_binary_result_type_wrapperINS9_3SumENS9_22TransformInputIteratorIbN2at6native12_GLOBAL__N_19NonZeroOpIdEEPKdlEEiEEEE10hipError_tPvRmT1_T2_T3_mT4_P12ihipStream_tbEUlT_E1_NS1_11comp_targetILNS1_3genE10ELNS1_11target_archE1201ELNS1_3gpuE5ELNS1_3repE0EEENS1_30default_config_static_selectorELNS0_4arch9wavefront6targetE0EEEvSQ_,"axG",@progbits,_ZN7rocprim17ROCPRIM_400000_NS6detail17trampoline_kernelINS0_14default_configENS1_22reduce_config_selectorIiEEZNS1_11reduce_implILb1ES3_PiS7_iN6hipcub16HIPCUB_304000_NS6detail34convert_binary_result_type_wrapperINS9_3SumENS9_22TransformInputIteratorIbN2at6native12_GLOBAL__N_19NonZeroOpIdEEPKdlEEiEEEE10hipError_tPvRmT1_T2_T3_mT4_P12ihipStream_tbEUlT_E1_NS1_11comp_targetILNS1_3genE10ELNS1_11target_archE1201ELNS1_3gpuE5ELNS1_3repE0EEENS1_30default_config_static_selectorELNS0_4arch9wavefront6targetE0EEEvSQ_,comdat
.Lfunc_end368:
	.size	_ZN7rocprim17ROCPRIM_400000_NS6detail17trampoline_kernelINS0_14default_configENS1_22reduce_config_selectorIiEEZNS1_11reduce_implILb1ES3_PiS7_iN6hipcub16HIPCUB_304000_NS6detail34convert_binary_result_type_wrapperINS9_3SumENS9_22TransformInputIteratorIbN2at6native12_GLOBAL__N_19NonZeroOpIdEEPKdlEEiEEEE10hipError_tPvRmT1_T2_T3_mT4_P12ihipStream_tbEUlT_E1_NS1_11comp_targetILNS1_3genE10ELNS1_11target_archE1201ELNS1_3gpuE5ELNS1_3repE0EEENS1_30default_config_static_selectorELNS0_4arch9wavefront6targetE0EEEvSQ_, .Lfunc_end368-_ZN7rocprim17ROCPRIM_400000_NS6detail17trampoline_kernelINS0_14default_configENS1_22reduce_config_selectorIiEEZNS1_11reduce_implILb1ES3_PiS7_iN6hipcub16HIPCUB_304000_NS6detail34convert_binary_result_type_wrapperINS9_3SumENS9_22TransformInputIteratorIbN2at6native12_GLOBAL__N_19NonZeroOpIdEEPKdlEEiEEEE10hipError_tPvRmT1_T2_T3_mT4_P12ihipStream_tbEUlT_E1_NS1_11comp_targetILNS1_3genE10ELNS1_11target_archE1201ELNS1_3gpuE5ELNS1_3repE0EEENS1_30default_config_static_selectorELNS0_4arch9wavefront6targetE0EEEvSQ_
                                        ; -- End function
	.set _ZN7rocprim17ROCPRIM_400000_NS6detail17trampoline_kernelINS0_14default_configENS1_22reduce_config_selectorIiEEZNS1_11reduce_implILb1ES3_PiS7_iN6hipcub16HIPCUB_304000_NS6detail34convert_binary_result_type_wrapperINS9_3SumENS9_22TransformInputIteratorIbN2at6native12_GLOBAL__N_19NonZeroOpIdEEPKdlEEiEEEE10hipError_tPvRmT1_T2_T3_mT4_P12ihipStream_tbEUlT_E1_NS1_11comp_targetILNS1_3genE10ELNS1_11target_archE1201ELNS1_3gpuE5ELNS1_3repE0EEENS1_30default_config_static_selectorELNS0_4arch9wavefront6targetE0EEEvSQ_.num_vgpr, 34
	.set _ZN7rocprim17ROCPRIM_400000_NS6detail17trampoline_kernelINS0_14default_configENS1_22reduce_config_selectorIiEEZNS1_11reduce_implILb1ES3_PiS7_iN6hipcub16HIPCUB_304000_NS6detail34convert_binary_result_type_wrapperINS9_3SumENS9_22TransformInputIteratorIbN2at6native12_GLOBAL__N_19NonZeroOpIdEEPKdlEEiEEEE10hipError_tPvRmT1_T2_T3_mT4_P12ihipStream_tbEUlT_E1_NS1_11comp_targetILNS1_3genE10ELNS1_11target_archE1201ELNS1_3gpuE5ELNS1_3repE0EEENS1_30default_config_static_selectorELNS0_4arch9wavefront6targetE0EEEvSQ_.num_agpr, 0
	.set _ZN7rocprim17ROCPRIM_400000_NS6detail17trampoline_kernelINS0_14default_configENS1_22reduce_config_selectorIiEEZNS1_11reduce_implILb1ES3_PiS7_iN6hipcub16HIPCUB_304000_NS6detail34convert_binary_result_type_wrapperINS9_3SumENS9_22TransformInputIteratorIbN2at6native12_GLOBAL__N_19NonZeroOpIdEEPKdlEEiEEEE10hipError_tPvRmT1_T2_T3_mT4_P12ihipStream_tbEUlT_E1_NS1_11comp_targetILNS1_3genE10ELNS1_11target_archE1201ELNS1_3gpuE5ELNS1_3repE0EEENS1_30default_config_static_selectorELNS0_4arch9wavefront6targetE0EEEvSQ_.numbered_sgpr, 45
	.set _ZN7rocprim17ROCPRIM_400000_NS6detail17trampoline_kernelINS0_14default_configENS1_22reduce_config_selectorIiEEZNS1_11reduce_implILb1ES3_PiS7_iN6hipcub16HIPCUB_304000_NS6detail34convert_binary_result_type_wrapperINS9_3SumENS9_22TransformInputIteratorIbN2at6native12_GLOBAL__N_19NonZeroOpIdEEPKdlEEiEEEE10hipError_tPvRmT1_T2_T3_mT4_P12ihipStream_tbEUlT_E1_NS1_11comp_targetILNS1_3genE10ELNS1_11target_archE1201ELNS1_3gpuE5ELNS1_3repE0EEENS1_30default_config_static_selectorELNS0_4arch9wavefront6targetE0EEEvSQ_.num_named_barrier, 0
	.set _ZN7rocprim17ROCPRIM_400000_NS6detail17trampoline_kernelINS0_14default_configENS1_22reduce_config_selectorIiEEZNS1_11reduce_implILb1ES3_PiS7_iN6hipcub16HIPCUB_304000_NS6detail34convert_binary_result_type_wrapperINS9_3SumENS9_22TransformInputIteratorIbN2at6native12_GLOBAL__N_19NonZeroOpIdEEPKdlEEiEEEE10hipError_tPvRmT1_T2_T3_mT4_P12ihipStream_tbEUlT_E1_NS1_11comp_targetILNS1_3genE10ELNS1_11target_archE1201ELNS1_3gpuE5ELNS1_3repE0EEENS1_30default_config_static_selectorELNS0_4arch9wavefront6targetE0EEEvSQ_.private_seg_size, 0
	.set _ZN7rocprim17ROCPRIM_400000_NS6detail17trampoline_kernelINS0_14default_configENS1_22reduce_config_selectorIiEEZNS1_11reduce_implILb1ES3_PiS7_iN6hipcub16HIPCUB_304000_NS6detail34convert_binary_result_type_wrapperINS9_3SumENS9_22TransformInputIteratorIbN2at6native12_GLOBAL__N_19NonZeroOpIdEEPKdlEEiEEEE10hipError_tPvRmT1_T2_T3_mT4_P12ihipStream_tbEUlT_E1_NS1_11comp_targetILNS1_3genE10ELNS1_11target_archE1201ELNS1_3gpuE5ELNS1_3repE0EEENS1_30default_config_static_selectorELNS0_4arch9wavefront6targetE0EEEvSQ_.uses_vcc, 1
	.set _ZN7rocprim17ROCPRIM_400000_NS6detail17trampoline_kernelINS0_14default_configENS1_22reduce_config_selectorIiEEZNS1_11reduce_implILb1ES3_PiS7_iN6hipcub16HIPCUB_304000_NS6detail34convert_binary_result_type_wrapperINS9_3SumENS9_22TransformInputIteratorIbN2at6native12_GLOBAL__N_19NonZeroOpIdEEPKdlEEiEEEE10hipError_tPvRmT1_T2_T3_mT4_P12ihipStream_tbEUlT_E1_NS1_11comp_targetILNS1_3genE10ELNS1_11target_archE1201ELNS1_3gpuE5ELNS1_3repE0EEENS1_30default_config_static_selectorELNS0_4arch9wavefront6targetE0EEEvSQ_.uses_flat_scratch, 0
	.set _ZN7rocprim17ROCPRIM_400000_NS6detail17trampoline_kernelINS0_14default_configENS1_22reduce_config_selectorIiEEZNS1_11reduce_implILb1ES3_PiS7_iN6hipcub16HIPCUB_304000_NS6detail34convert_binary_result_type_wrapperINS9_3SumENS9_22TransformInputIteratorIbN2at6native12_GLOBAL__N_19NonZeroOpIdEEPKdlEEiEEEE10hipError_tPvRmT1_T2_T3_mT4_P12ihipStream_tbEUlT_E1_NS1_11comp_targetILNS1_3genE10ELNS1_11target_archE1201ELNS1_3gpuE5ELNS1_3repE0EEENS1_30default_config_static_selectorELNS0_4arch9wavefront6targetE0EEEvSQ_.has_dyn_sized_stack, 0
	.set _ZN7rocprim17ROCPRIM_400000_NS6detail17trampoline_kernelINS0_14default_configENS1_22reduce_config_selectorIiEEZNS1_11reduce_implILb1ES3_PiS7_iN6hipcub16HIPCUB_304000_NS6detail34convert_binary_result_type_wrapperINS9_3SumENS9_22TransformInputIteratorIbN2at6native12_GLOBAL__N_19NonZeroOpIdEEPKdlEEiEEEE10hipError_tPvRmT1_T2_T3_mT4_P12ihipStream_tbEUlT_E1_NS1_11comp_targetILNS1_3genE10ELNS1_11target_archE1201ELNS1_3gpuE5ELNS1_3repE0EEENS1_30default_config_static_selectorELNS0_4arch9wavefront6targetE0EEEvSQ_.has_recursion, 0
	.set _ZN7rocprim17ROCPRIM_400000_NS6detail17trampoline_kernelINS0_14default_configENS1_22reduce_config_selectorIiEEZNS1_11reduce_implILb1ES3_PiS7_iN6hipcub16HIPCUB_304000_NS6detail34convert_binary_result_type_wrapperINS9_3SumENS9_22TransformInputIteratorIbN2at6native12_GLOBAL__N_19NonZeroOpIdEEPKdlEEiEEEE10hipError_tPvRmT1_T2_T3_mT4_P12ihipStream_tbEUlT_E1_NS1_11comp_targetILNS1_3genE10ELNS1_11target_archE1201ELNS1_3gpuE5ELNS1_3repE0EEENS1_30default_config_static_selectorELNS0_4arch9wavefront6targetE0EEEvSQ_.has_indirect_call, 0
	.section	.AMDGPU.csdata,"",@progbits
; Kernel info:
; codeLenInByte = 11904
; TotalNumSgprs: 47
; NumVgprs: 34
; ScratchSize: 0
; MemoryBound: 0
; FloatMode: 240
; IeeeMode: 1
; LDSByteSize: 224 bytes/workgroup (compile time only)
; SGPRBlocks: 0
; VGPRBlocks: 4
; NumSGPRsForWavesPerEU: 47
; NumVGPRsForWavesPerEU: 34
; Occupancy: 16
; WaveLimiterHint : 1
; COMPUTE_PGM_RSRC2:SCRATCH_EN: 0
; COMPUTE_PGM_RSRC2:USER_SGPR: 2
; COMPUTE_PGM_RSRC2:TRAP_HANDLER: 0
; COMPUTE_PGM_RSRC2:TGID_X_EN: 1
; COMPUTE_PGM_RSRC2:TGID_Y_EN: 0
; COMPUTE_PGM_RSRC2:TGID_Z_EN: 0
; COMPUTE_PGM_RSRC2:TIDIG_COMP_CNT: 0
	.section	.text._ZN7rocprim17ROCPRIM_400000_NS6detail17trampoline_kernelINS0_14default_configENS1_22reduce_config_selectorIiEEZNS1_11reduce_implILb1ES3_PiS7_iN6hipcub16HIPCUB_304000_NS6detail34convert_binary_result_type_wrapperINS9_3SumENS9_22TransformInputIteratorIbN2at6native12_GLOBAL__N_19NonZeroOpIdEEPKdlEEiEEEE10hipError_tPvRmT1_T2_T3_mT4_P12ihipStream_tbEUlT_E1_NS1_11comp_targetILNS1_3genE10ELNS1_11target_archE1200ELNS1_3gpuE4ELNS1_3repE0EEENS1_30default_config_static_selectorELNS0_4arch9wavefront6targetE0EEEvSQ_,"axG",@progbits,_ZN7rocprim17ROCPRIM_400000_NS6detail17trampoline_kernelINS0_14default_configENS1_22reduce_config_selectorIiEEZNS1_11reduce_implILb1ES3_PiS7_iN6hipcub16HIPCUB_304000_NS6detail34convert_binary_result_type_wrapperINS9_3SumENS9_22TransformInputIteratorIbN2at6native12_GLOBAL__N_19NonZeroOpIdEEPKdlEEiEEEE10hipError_tPvRmT1_T2_T3_mT4_P12ihipStream_tbEUlT_E1_NS1_11comp_targetILNS1_3genE10ELNS1_11target_archE1200ELNS1_3gpuE4ELNS1_3repE0EEENS1_30default_config_static_selectorELNS0_4arch9wavefront6targetE0EEEvSQ_,comdat
	.globl	_ZN7rocprim17ROCPRIM_400000_NS6detail17trampoline_kernelINS0_14default_configENS1_22reduce_config_selectorIiEEZNS1_11reduce_implILb1ES3_PiS7_iN6hipcub16HIPCUB_304000_NS6detail34convert_binary_result_type_wrapperINS9_3SumENS9_22TransformInputIteratorIbN2at6native12_GLOBAL__N_19NonZeroOpIdEEPKdlEEiEEEE10hipError_tPvRmT1_T2_T3_mT4_P12ihipStream_tbEUlT_E1_NS1_11comp_targetILNS1_3genE10ELNS1_11target_archE1200ELNS1_3gpuE4ELNS1_3repE0EEENS1_30default_config_static_selectorELNS0_4arch9wavefront6targetE0EEEvSQ_ ; -- Begin function _ZN7rocprim17ROCPRIM_400000_NS6detail17trampoline_kernelINS0_14default_configENS1_22reduce_config_selectorIiEEZNS1_11reduce_implILb1ES3_PiS7_iN6hipcub16HIPCUB_304000_NS6detail34convert_binary_result_type_wrapperINS9_3SumENS9_22TransformInputIteratorIbN2at6native12_GLOBAL__N_19NonZeroOpIdEEPKdlEEiEEEE10hipError_tPvRmT1_T2_T3_mT4_P12ihipStream_tbEUlT_E1_NS1_11comp_targetILNS1_3genE10ELNS1_11target_archE1200ELNS1_3gpuE4ELNS1_3repE0EEENS1_30default_config_static_selectorELNS0_4arch9wavefront6targetE0EEEvSQ_
	.p2align	8
	.type	_ZN7rocprim17ROCPRIM_400000_NS6detail17trampoline_kernelINS0_14default_configENS1_22reduce_config_selectorIiEEZNS1_11reduce_implILb1ES3_PiS7_iN6hipcub16HIPCUB_304000_NS6detail34convert_binary_result_type_wrapperINS9_3SumENS9_22TransformInputIteratorIbN2at6native12_GLOBAL__N_19NonZeroOpIdEEPKdlEEiEEEE10hipError_tPvRmT1_T2_T3_mT4_P12ihipStream_tbEUlT_E1_NS1_11comp_targetILNS1_3genE10ELNS1_11target_archE1200ELNS1_3gpuE4ELNS1_3repE0EEENS1_30default_config_static_selectorELNS0_4arch9wavefront6targetE0EEEvSQ_,@function
_ZN7rocprim17ROCPRIM_400000_NS6detail17trampoline_kernelINS0_14default_configENS1_22reduce_config_selectorIiEEZNS1_11reduce_implILb1ES3_PiS7_iN6hipcub16HIPCUB_304000_NS6detail34convert_binary_result_type_wrapperINS9_3SumENS9_22TransformInputIteratorIbN2at6native12_GLOBAL__N_19NonZeroOpIdEEPKdlEEiEEEE10hipError_tPvRmT1_T2_T3_mT4_P12ihipStream_tbEUlT_E1_NS1_11comp_targetILNS1_3genE10ELNS1_11target_archE1200ELNS1_3gpuE4ELNS1_3repE0EEENS1_30default_config_static_selectorELNS0_4arch9wavefront6targetE0EEEvSQ_: ; @_ZN7rocprim17ROCPRIM_400000_NS6detail17trampoline_kernelINS0_14default_configENS1_22reduce_config_selectorIiEEZNS1_11reduce_implILb1ES3_PiS7_iN6hipcub16HIPCUB_304000_NS6detail34convert_binary_result_type_wrapperINS9_3SumENS9_22TransformInputIteratorIbN2at6native12_GLOBAL__N_19NonZeroOpIdEEPKdlEEiEEEE10hipError_tPvRmT1_T2_T3_mT4_P12ihipStream_tbEUlT_E1_NS1_11comp_targetILNS1_3genE10ELNS1_11target_archE1200ELNS1_3gpuE4ELNS1_3repE0EEENS1_30default_config_static_selectorELNS0_4arch9wavefront6targetE0EEEvSQ_
; %bb.0:
	.section	.rodata,"a",@progbits
	.p2align	6, 0x0
	.amdhsa_kernel _ZN7rocprim17ROCPRIM_400000_NS6detail17trampoline_kernelINS0_14default_configENS1_22reduce_config_selectorIiEEZNS1_11reduce_implILb1ES3_PiS7_iN6hipcub16HIPCUB_304000_NS6detail34convert_binary_result_type_wrapperINS9_3SumENS9_22TransformInputIteratorIbN2at6native12_GLOBAL__N_19NonZeroOpIdEEPKdlEEiEEEE10hipError_tPvRmT1_T2_T3_mT4_P12ihipStream_tbEUlT_E1_NS1_11comp_targetILNS1_3genE10ELNS1_11target_archE1200ELNS1_3gpuE4ELNS1_3repE0EEENS1_30default_config_static_selectorELNS0_4arch9wavefront6targetE0EEEvSQ_
		.amdhsa_group_segment_fixed_size 0
		.amdhsa_private_segment_fixed_size 0
		.amdhsa_kernarg_size 40
		.amdhsa_user_sgpr_count 2
		.amdhsa_user_sgpr_dispatch_ptr 0
		.amdhsa_user_sgpr_queue_ptr 0
		.amdhsa_user_sgpr_kernarg_segment_ptr 1
		.amdhsa_user_sgpr_dispatch_id 0
		.amdhsa_user_sgpr_private_segment_size 0
		.amdhsa_wavefront_size32 1
		.amdhsa_uses_dynamic_stack 0
		.amdhsa_enable_private_segment 0
		.amdhsa_system_sgpr_workgroup_id_x 1
		.amdhsa_system_sgpr_workgroup_id_y 0
		.amdhsa_system_sgpr_workgroup_id_z 0
		.amdhsa_system_sgpr_workgroup_info 0
		.amdhsa_system_vgpr_workitem_id 0
		.amdhsa_next_free_vgpr 1
		.amdhsa_next_free_sgpr 1
		.amdhsa_reserve_vcc 0
		.amdhsa_float_round_mode_32 0
		.amdhsa_float_round_mode_16_64 0
		.amdhsa_float_denorm_mode_32 3
		.amdhsa_float_denorm_mode_16_64 3
		.amdhsa_fp16_overflow 0
		.amdhsa_workgroup_processor_mode 1
		.amdhsa_memory_ordered 1
		.amdhsa_forward_progress 1
		.amdhsa_inst_pref_size 0
		.amdhsa_round_robin_scheduling 0
		.amdhsa_exception_fp_ieee_invalid_op 0
		.amdhsa_exception_fp_denorm_src 0
		.amdhsa_exception_fp_ieee_div_zero 0
		.amdhsa_exception_fp_ieee_overflow 0
		.amdhsa_exception_fp_ieee_underflow 0
		.amdhsa_exception_fp_ieee_inexact 0
		.amdhsa_exception_int_div_zero 0
	.end_amdhsa_kernel
	.section	.text._ZN7rocprim17ROCPRIM_400000_NS6detail17trampoline_kernelINS0_14default_configENS1_22reduce_config_selectorIiEEZNS1_11reduce_implILb1ES3_PiS7_iN6hipcub16HIPCUB_304000_NS6detail34convert_binary_result_type_wrapperINS9_3SumENS9_22TransformInputIteratorIbN2at6native12_GLOBAL__N_19NonZeroOpIdEEPKdlEEiEEEE10hipError_tPvRmT1_T2_T3_mT4_P12ihipStream_tbEUlT_E1_NS1_11comp_targetILNS1_3genE10ELNS1_11target_archE1200ELNS1_3gpuE4ELNS1_3repE0EEENS1_30default_config_static_selectorELNS0_4arch9wavefront6targetE0EEEvSQ_,"axG",@progbits,_ZN7rocprim17ROCPRIM_400000_NS6detail17trampoline_kernelINS0_14default_configENS1_22reduce_config_selectorIiEEZNS1_11reduce_implILb1ES3_PiS7_iN6hipcub16HIPCUB_304000_NS6detail34convert_binary_result_type_wrapperINS9_3SumENS9_22TransformInputIteratorIbN2at6native12_GLOBAL__N_19NonZeroOpIdEEPKdlEEiEEEE10hipError_tPvRmT1_T2_T3_mT4_P12ihipStream_tbEUlT_E1_NS1_11comp_targetILNS1_3genE10ELNS1_11target_archE1200ELNS1_3gpuE4ELNS1_3repE0EEENS1_30default_config_static_selectorELNS0_4arch9wavefront6targetE0EEEvSQ_,comdat
.Lfunc_end369:
	.size	_ZN7rocprim17ROCPRIM_400000_NS6detail17trampoline_kernelINS0_14default_configENS1_22reduce_config_selectorIiEEZNS1_11reduce_implILb1ES3_PiS7_iN6hipcub16HIPCUB_304000_NS6detail34convert_binary_result_type_wrapperINS9_3SumENS9_22TransformInputIteratorIbN2at6native12_GLOBAL__N_19NonZeroOpIdEEPKdlEEiEEEE10hipError_tPvRmT1_T2_T3_mT4_P12ihipStream_tbEUlT_E1_NS1_11comp_targetILNS1_3genE10ELNS1_11target_archE1200ELNS1_3gpuE4ELNS1_3repE0EEENS1_30default_config_static_selectorELNS0_4arch9wavefront6targetE0EEEvSQ_, .Lfunc_end369-_ZN7rocprim17ROCPRIM_400000_NS6detail17trampoline_kernelINS0_14default_configENS1_22reduce_config_selectorIiEEZNS1_11reduce_implILb1ES3_PiS7_iN6hipcub16HIPCUB_304000_NS6detail34convert_binary_result_type_wrapperINS9_3SumENS9_22TransformInputIteratorIbN2at6native12_GLOBAL__N_19NonZeroOpIdEEPKdlEEiEEEE10hipError_tPvRmT1_T2_T3_mT4_P12ihipStream_tbEUlT_E1_NS1_11comp_targetILNS1_3genE10ELNS1_11target_archE1200ELNS1_3gpuE4ELNS1_3repE0EEENS1_30default_config_static_selectorELNS0_4arch9wavefront6targetE0EEEvSQ_
                                        ; -- End function
	.set _ZN7rocprim17ROCPRIM_400000_NS6detail17trampoline_kernelINS0_14default_configENS1_22reduce_config_selectorIiEEZNS1_11reduce_implILb1ES3_PiS7_iN6hipcub16HIPCUB_304000_NS6detail34convert_binary_result_type_wrapperINS9_3SumENS9_22TransformInputIteratorIbN2at6native12_GLOBAL__N_19NonZeroOpIdEEPKdlEEiEEEE10hipError_tPvRmT1_T2_T3_mT4_P12ihipStream_tbEUlT_E1_NS1_11comp_targetILNS1_3genE10ELNS1_11target_archE1200ELNS1_3gpuE4ELNS1_3repE0EEENS1_30default_config_static_selectorELNS0_4arch9wavefront6targetE0EEEvSQ_.num_vgpr, 0
	.set _ZN7rocprim17ROCPRIM_400000_NS6detail17trampoline_kernelINS0_14default_configENS1_22reduce_config_selectorIiEEZNS1_11reduce_implILb1ES3_PiS7_iN6hipcub16HIPCUB_304000_NS6detail34convert_binary_result_type_wrapperINS9_3SumENS9_22TransformInputIteratorIbN2at6native12_GLOBAL__N_19NonZeroOpIdEEPKdlEEiEEEE10hipError_tPvRmT1_T2_T3_mT4_P12ihipStream_tbEUlT_E1_NS1_11comp_targetILNS1_3genE10ELNS1_11target_archE1200ELNS1_3gpuE4ELNS1_3repE0EEENS1_30default_config_static_selectorELNS0_4arch9wavefront6targetE0EEEvSQ_.num_agpr, 0
	.set _ZN7rocprim17ROCPRIM_400000_NS6detail17trampoline_kernelINS0_14default_configENS1_22reduce_config_selectorIiEEZNS1_11reduce_implILb1ES3_PiS7_iN6hipcub16HIPCUB_304000_NS6detail34convert_binary_result_type_wrapperINS9_3SumENS9_22TransformInputIteratorIbN2at6native12_GLOBAL__N_19NonZeroOpIdEEPKdlEEiEEEE10hipError_tPvRmT1_T2_T3_mT4_P12ihipStream_tbEUlT_E1_NS1_11comp_targetILNS1_3genE10ELNS1_11target_archE1200ELNS1_3gpuE4ELNS1_3repE0EEENS1_30default_config_static_selectorELNS0_4arch9wavefront6targetE0EEEvSQ_.numbered_sgpr, 0
	.set _ZN7rocprim17ROCPRIM_400000_NS6detail17trampoline_kernelINS0_14default_configENS1_22reduce_config_selectorIiEEZNS1_11reduce_implILb1ES3_PiS7_iN6hipcub16HIPCUB_304000_NS6detail34convert_binary_result_type_wrapperINS9_3SumENS9_22TransformInputIteratorIbN2at6native12_GLOBAL__N_19NonZeroOpIdEEPKdlEEiEEEE10hipError_tPvRmT1_T2_T3_mT4_P12ihipStream_tbEUlT_E1_NS1_11comp_targetILNS1_3genE10ELNS1_11target_archE1200ELNS1_3gpuE4ELNS1_3repE0EEENS1_30default_config_static_selectorELNS0_4arch9wavefront6targetE0EEEvSQ_.num_named_barrier, 0
	.set _ZN7rocprim17ROCPRIM_400000_NS6detail17trampoline_kernelINS0_14default_configENS1_22reduce_config_selectorIiEEZNS1_11reduce_implILb1ES3_PiS7_iN6hipcub16HIPCUB_304000_NS6detail34convert_binary_result_type_wrapperINS9_3SumENS9_22TransformInputIteratorIbN2at6native12_GLOBAL__N_19NonZeroOpIdEEPKdlEEiEEEE10hipError_tPvRmT1_T2_T3_mT4_P12ihipStream_tbEUlT_E1_NS1_11comp_targetILNS1_3genE10ELNS1_11target_archE1200ELNS1_3gpuE4ELNS1_3repE0EEENS1_30default_config_static_selectorELNS0_4arch9wavefront6targetE0EEEvSQ_.private_seg_size, 0
	.set _ZN7rocprim17ROCPRIM_400000_NS6detail17trampoline_kernelINS0_14default_configENS1_22reduce_config_selectorIiEEZNS1_11reduce_implILb1ES3_PiS7_iN6hipcub16HIPCUB_304000_NS6detail34convert_binary_result_type_wrapperINS9_3SumENS9_22TransformInputIteratorIbN2at6native12_GLOBAL__N_19NonZeroOpIdEEPKdlEEiEEEE10hipError_tPvRmT1_T2_T3_mT4_P12ihipStream_tbEUlT_E1_NS1_11comp_targetILNS1_3genE10ELNS1_11target_archE1200ELNS1_3gpuE4ELNS1_3repE0EEENS1_30default_config_static_selectorELNS0_4arch9wavefront6targetE0EEEvSQ_.uses_vcc, 0
	.set _ZN7rocprim17ROCPRIM_400000_NS6detail17trampoline_kernelINS0_14default_configENS1_22reduce_config_selectorIiEEZNS1_11reduce_implILb1ES3_PiS7_iN6hipcub16HIPCUB_304000_NS6detail34convert_binary_result_type_wrapperINS9_3SumENS9_22TransformInputIteratorIbN2at6native12_GLOBAL__N_19NonZeroOpIdEEPKdlEEiEEEE10hipError_tPvRmT1_T2_T3_mT4_P12ihipStream_tbEUlT_E1_NS1_11comp_targetILNS1_3genE10ELNS1_11target_archE1200ELNS1_3gpuE4ELNS1_3repE0EEENS1_30default_config_static_selectorELNS0_4arch9wavefront6targetE0EEEvSQ_.uses_flat_scratch, 0
	.set _ZN7rocprim17ROCPRIM_400000_NS6detail17trampoline_kernelINS0_14default_configENS1_22reduce_config_selectorIiEEZNS1_11reduce_implILb1ES3_PiS7_iN6hipcub16HIPCUB_304000_NS6detail34convert_binary_result_type_wrapperINS9_3SumENS9_22TransformInputIteratorIbN2at6native12_GLOBAL__N_19NonZeroOpIdEEPKdlEEiEEEE10hipError_tPvRmT1_T2_T3_mT4_P12ihipStream_tbEUlT_E1_NS1_11comp_targetILNS1_3genE10ELNS1_11target_archE1200ELNS1_3gpuE4ELNS1_3repE0EEENS1_30default_config_static_selectorELNS0_4arch9wavefront6targetE0EEEvSQ_.has_dyn_sized_stack, 0
	.set _ZN7rocprim17ROCPRIM_400000_NS6detail17trampoline_kernelINS0_14default_configENS1_22reduce_config_selectorIiEEZNS1_11reduce_implILb1ES3_PiS7_iN6hipcub16HIPCUB_304000_NS6detail34convert_binary_result_type_wrapperINS9_3SumENS9_22TransformInputIteratorIbN2at6native12_GLOBAL__N_19NonZeroOpIdEEPKdlEEiEEEE10hipError_tPvRmT1_T2_T3_mT4_P12ihipStream_tbEUlT_E1_NS1_11comp_targetILNS1_3genE10ELNS1_11target_archE1200ELNS1_3gpuE4ELNS1_3repE0EEENS1_30default_config_static_selectorELNS0_4arch9wavefront6targetE0EEEvSQ_.has_recursion, 0
	.set _ZN7rocprim17ROCPRIM_400000_NS6detail17trampoline_kernelINS0_14default_configENS1_22reduce_config_selectorIiEEZNS1_11reduce_implILb1ES3_PiS7_iN6hipcub16HIPCUB_304000_NS6detail34convert_binary_result_type_wrapperINS9_3SumENS9_22TransformInputIteratorIbN2at6native12_GLOBAL__N_19NonZeroOpIdEEPKdlEEiEEEE10hipError_tPvRmT1_T2_T3_mT4_P12ihipStream_tbEUlT_E1_NS1_11comp_targetILNS1_3genE10ELNS1_11target_archE1200ELNS1_3gpuE4ELNS1_3repE0EEENS1_30default_config_static_selectorELNS0_4arch9wavefront6targetE0EEEvSQ_.has_indirect_call, 0
	.section	.AMDGPU.csdata,"",@progbits
; Kernel info:
; codeLenInByte = 0
; TotalNumSgprs: 0
; NumVgprs: 0
; ScratchSize: 0
; MemoryBound: 0
; FloatMode: 240
; IeeeMode: 1
; LDSByteSize: 0 bytes/workgroup (compile time only)
; SGPRBlocks: 0
; VGPRBlocks: 0
; NumSGPRsForWavesPerEU: 1
; NumVGPRsForWavesPerEU: 1
; Occupancy: 16
; WaveLimiterHint : 0
; COMPUTE_PGM_RSRC2:SCRATCH_EN: 0
; COMPUTE_PGM_RSRC2:USER_SGPR: 2
; COMPUTE_PGM_RSRC2:TRAP_HANDLER: 0
; COMPUTE_PGM_RSRC2:TGID_X_EN: 1
; COMPUTE_PGM_RSRC2:TGID_Y_EN: 0
; COMPUTE_PGM_RSRC2:TGID_Z_EN: 0
; COMPUTE_PGM_RSRC2:TIDIG_COMP_CNT: 0
	.section	.text._ZN7rocprim17ROCPRIM_400000_NS6detail17trampoline_kernelINS0_14default_configENS1_22reduce_config_selectorIiEEZNS1_11reduce_implILb1ES3_PiS7_iN6hipcub16HIPCUB_304000_NS6detail34convert_binary_result_type_wrapperINS9_3SumENS9_22TransformInputIteratorIbN2at6native12_GLOBAL__N_19NonZeroOpIdEEPKdlEEiEEEE10hipError_tPvRmT1_T2_T3_mT4_P12ihipStream_tbEUlT_E1_NS1_11comp_targetILNS1_3genE9ELNS1_11target_archE1100ELNS1_3gpuE3ELNS1_3repE0EEENS1_30default_config_static_selectorELNS0_4arch9wavefront6targetE0EEEvSQ_,"axG",@progbits,_ZN7rocprim17ROCPRIM_400000_NS6detail17trampoline_kernelINS0_14default_configENS1_22reduce_config_selectorIiEEZNS1_11reduce_implILb1ES3_PiS7_iN6hipcub16HIPCUB_304000_NS6detail34convert_binary_result_type_wrapperINS9_3SumENS9_22TransformInputIteratorIbN2at6native12_GLOBAL__N_19NonZeroOpIdEEPKdlEEiEEEE10hipError_tPvRmT1_T2_T3_mT4_P12ihipStream_tbEUlT_E1_NS1_11comp_targetILNS1_3genE9ELNS1_11target_archE1100ELNS1_3gpuE3ELNS1_3repE0EEENS1_30default_config_static_selectorELNS0_4arch9wavefront6targetE0EEEvSQ_,comdat
	.globl	_ZN7rocprim17ROCPRIM_400000_NS6detail17trampoline_kernelINS0_14default_configENS1_22reduce_config_selectorIiEEZNS1_11reduce_implILb1ES3_PiS7_iN6hipcub16HIPCUB_304000_NS6detail34convert_binary_result_type_wrapperINS9_3SumENS9_22TransformInputIteratorIbN2at6native12_GLOBAL__N_19NonZeroOpIdEEPKdlEEiEEEE10hipError_tPvRmT1_T2_T3_mT4_P12ihipStream_tbEUlT_E1_NS1_11comp_targetILNS1_3genE9ELNS1_11target_archE1100ELNS1_3gpuE3ELNS1_3repE0EEENS1_30default_config_static_selectorELNS0_4arch9wavefront6targetE0EEEvSQ_ ; -- Begin function _ZN7rocprim17ROCPRIM_400000_NS6detail17trampoline_kernelINS0_14default_configENS1_22reduce_config_selectorIiEEZNS1_11reduce_implILb1ES3_PiS7_iN6hipcub16HIPCUB_304000_NS6detail34convert_binary_result_type_wrapperINS9_3SumENS9_22TransformInputIteratorIbN2at6native12_GLOBAL__N_19NonZeroOpIdEEPKdlEEiEEEE10hipError_tPvRmT1_T2_T3_mT4_P12ihipStream_tbEUlT_E1_NS1_11comp_targetILNS1_3genE9ELNS1_11target_archE1100ELNS1_3gpuE3ELNS1_3repE0EEENS1_30default_config_static_selectorELNS0_4arch9wavefront6targetE0EEEvSQ_
	.p2align	8
	.type	_ZN7rocprim17ROCPRIM_400000_NS6detail17trampoline_kernelINS0_14default_configENS1_22reduce_config_selectorIiEEZNS1_11reduce_implILb1ES3_PiS7_iN6hipcub16HIPCUB_304000_NS6detail34convert_binary_result_type_wrapperINS9_3SumENS9_22TransformInputIteratorIbN2at6native12_GLOBAL__N_19NonZeroOpIdEEPKdlEEiEEEE10hipError_tPvRmT1_T2_T3_mT4_P12ihipStream_tbEUlT_E1_NS1_11comp_targetILNS1_3genE9ELNS1_11target_archE1100ELNS1_3gpuE3ELNS1_3repE0EEENS1_30default_config_static_selectorELNS0_4arch9wavefront6targetE0EEEvSQ_,@function
_ZN7rocprim17ROCPRIM_400000_NS6detail17trampoline_kernelINS0_14default_configENS1_22reduce_config_selectorIiEEZNS1_11reduce_implILb1ES3_PiS7_iN6hipcub16HIPCUB_304000_NS6detail34convert_binary_result_type_wrapperINS9_3SumENS9_22TransformInputIteratorIbN2at6native12_GLOBAL__N_19NonZeroOpIdEEPKdlEEiEEEE10hipError_tPvRmT1_T2_T3_mT4_P12ihipStream_tbEUlT_E1_NS1_11comp_targetILNS1_3genE9ELNS1_11target_archE1100ELNS1_3gpuE3ELNS1_3repE0EEENS1_30default_config_static_selectorELNS0_4arch9wavefront6targetE0EEEvSQ_: ; @_ZN7rocprim17ROCPRIM_400000_NS6detail17trampoline_kernelINS0_14default_configENS1_22reduce_config_selectorIiEEZNS1_11reduce_implILb1ES3_PiS7_iN6hipcub16HIPCUB_304000_NS6detail34convert_binary_result_type_wrapperINS9_3SumENS9_22TransformInputIteratorIbN2at6native12_GLOBAL__N_19NonZeroOpIdEEPKdlEEiEEEE10hipError_tPvRmT1_T2_T3_mT4_P12ihipStream_tbEUlT_E1_NS1_11comp_targetILNS1_3genE9ELNS1_11target_archE1100ELNS1_3gpuE3ELNS1_3repE0EEENS1_30default_config_static_selectorELNS0_4arch9wavefront6targetE0EEEvSQ_
; %bb.0:
	.section	.rodata,"a",@progbits
	.p2align	6, 0x0
	.amdhsa_kernel _ZN7rocprim17ROCPRIM_400000_NS6detail17trampoline_kernelINS0_14default_configENS1_22reduce_config_selectorIiEEZNS1_11reduce_implILb1ES3_PiS7_iN6hipcub16HIPCUB_304000_NS6detail34convert_binary_result_type_wrapperINS9_3SumENS9_22TransformInputIteratorIbN2at6native12_GLOBAL__N_19NonZeroOpIdEEPKdlEEiEEEE10hipError_tPvRmT1_T2_T3_mT4_P12ihipStream_tbEUlT_E1_NS1_11comp_targetILNS1_3genE9ELNS1_11target_archE1100ELNS1_3gpuE3ELNS1_3repE0EEENS1_30default_config_static_selectorELNS0_4arch9wavefront6targetE0EEEvSQ_
		.amdhsa_group_segment_fixed_size 0
		.amdhsa_private_segment_fixed_size 0
		.amdhsa_kernarg_size 40
		.amdhsa_user_sgpr_count 2
		.amdhsa_user_sgpr_dispatch_ptr 0
		.amdhsa_user_sgpr_queue_ptr 0
		.amdhsa_user_sgpr_kernarg_segment_ptr 1
		.amdhsa_user_sgpr_dispatch_id 0
		.amdhsa_user_sgpr_private_segment_size 0
		.amdhsa_wavefront_size32 1
		.amdhsa_uses_dynamic_stack 0
		.amdhsa_enable_private_segment 0
		.amdhsa_system_sgpr_workgroup_id_x 1
		.amdhsa_system_sgpr_workgroup_id_y 0
		.amdhsa_system_sgpr_workgroup_id_z 0
		.amdhsa_system_sgpr_workgroup_info 0
		.amdhsa_system_vgpr_workitem_id 0
		.amdhsa_next_free_vgpr 1
		.amdhsa_next_free_sgpr 1
		.amdhsa_reserve_vcc 0
		.amdhsa_float_round_mode_32 0
		.amdhsa_float_round_mode_16_64 0
		.amdhsa_float_denorm_mode_32 3
		.amdhsa_float_denorm_mode_16_64 3
		.amdhsa_fp16_overflow 0
		.amdhsa_workgroup_processor_mode 1
		.amdhsa_memory_ordered 1
		.amdhsa_forward_progress 1
		.amdhsa_inst_pref_size 0
		.amdhsa_round_robin_scheduling 0
		.amdhsa_exception_fp_ieee_invalid_op 0
		.amdhsa_exception_fp_denorm_src 0
		.amdhsa_exception_fp_ieee_div_zero 0
		.amdhsa_exception_fp_ieee_overflow 0
		.amdhsa_exception_fp_ieee_underflow 0
		.amdhsa_exception_fp_ieee_inexact 0
		.amdhsa_exception_int_div_zero 0
	.end_amdhsa_kernel
	.section	.text._ZN7rocprim17ROCPRIM_400000_NS6detail17trampoline_kernelINS0_14default_configENS1_22reduce_config_selectorIiEEZNS1_11reduce_implILb1ES3_PiS7_iN6hipcub16HIPCUB_304000_NS6detail34convert_binary_result_type_wrapperINS9_3SumENS9_22TransformInputIteratorIbN2at6native12_GLOBAL__N_19NonZeroOpIdEEPKdlEEiEEEE10hipError_tPvRmT1_T2_T3_mT4_P12ihipStream_tbEUlT_E1_NS1_11comp_targetILNS1_3genE9ELNS1_11target_archE1100ELNS1_3gpuE3ELNS1_3repE0EEENS1_30default_config_static_selectorELNS0_4arch9wavefront6targetE0EEEvSQ_,"axG",@progbits,_ZN7rocprim17ROCPRIM_400000_NS6detail17trampoline_kernelINS0_14default_configENS1_22reduce_config_selectorIiEEZNS1_11reduce_implILb1ES3_PiS7_iN6hipcub16HIPCUB_304000_NS6detail34convert_binary_result_type_wrapperINS9_3SumENS9_22TransformInputIteratorIbN2at6native12_GLOBAL__N_19NonZeroOpIdEEPKdlEEiEEEE10hipError_tPvRmT1_T2_T3_mT4_P12ihipStream_tbEUlT_E1_NS1_11comp_targetILNS1_3genE9ELNS1_11target_archE1100ELNS1_3gpuE3ELNS1_3repE0EEENS1_30default_config_static_selectorELNS0_4arch9wavefront6targetE0EEEvSQ_,comdat
.Lfunc_end370:
	.size	_ZN7rocprim17ROCPRIM_400000_NS6detail17trampoline_kernelINS0_14default_configENS1_22reduce_config_selectorIiEEZNS1_11reduce_implILb1ES3_PiS7_iN6hipcub16HIPCUB_304000_NS6detail34convert_binary_result_type_wrapperINS9_3SumENS9_22TransformInputIteratorIbN2at6native12_GLOBAL__N_19NonZeroOpIdEEPKdlEEiEEEE10hipError_tPvRmT1_T2_T3_mT4_P12ihipStream_tbEUlT_E1_NS1_11comp_targetILNS1_3genE9ELNS1_11target_archE1100ELNS1_3gpuE3ELNS1_3repE0EEENS1_30default_config_static_selectorELNS0_4arch9wavefront6targetE0EEEvSQ_, .Lfunc_end370-_ZN7rocprim17ROCPRIM_400000_NS6detail17trampoline_kernelINS0_14default_configENS1_22reduce_config_selectorIiEEZNS1_11reduce_implILb1ES3_PiS7_iN6hipcub16HIPCUB_304000_NS6detail34convert_binary_result_type_wrapperINS9_3SumENS9_22TransformInputIteratorIbN2at6native12_GLOBAL__N_19NonZeroOpIdEEPKdlEEiEEEE10hipError_tPvRmT1_T2_T3_mT4_P12ihipStream_tbEUlT_E1_NS1_11comp_targetILNS1_3genE9ELNS1_11target_archE1100ELNS1_3gpuE3ELNS1_3repE0EEENS1_30default_config_static_selectorELNS0_4arch9wavefront6targetE0EEEvSQ_
                                        ; -- End function
	.set _ZN7rocprim17ROCPRIM_400000_NS6detail17trampoline_kernelINS0_14default_configENS1_22reduce_config_selectorIiEEZNS1_11reduce_implILb1ES3_PiS7_iN6hipcub16HIPCUB_304000_NS6detail34convert_binary_result_type_wrapperINS9_3SumENS9_22TransformInputIteratorIbN2at6native12_GLOBAL__N_19NonZeroOpIdEEPKdlEEiEEEE10hipError_tPvRmT1_T2_T3_mT4_P12ihipStream_tbEUlT_E1_NS1_11comp_targetILNS1_3genE9ELNS1_11target_archE1100ELNS1_3gpuE3ELNS1_3repE0EEENS1_30default_config_static_selectorELNS0_4arch9wavefront6targetE0EEEvSQ_.num_vgpr, 0
	.set _ZN7rocprim17ROCPRIM_400000_NS6detail17trampoline_kernelINS0_14default_configENS1_22reduce_config_selectorIiEEZNS1_11reduce_implILb1ES3_PiS7_iN6hipcub16HIPCUB_304000_NS6detail34convert_binary_result_type_wrapperINS9_3SumENS9_22TransformInputIteratorIbN2at6native12_GLOBAL__N_19NonZeroOpIdEEPKdlEEiEEEE10hipError_tPvRmT1_T2_T3_mT4_P12ihipStream_tbEUlT_E1_NS1_11comp_targetILNS1_3genE9ELNS1_11target_archE1100ELNS1_3gpuE3ELNS1_3repE0EEENS1_30default_config_static_selectorELNS0_4arch9wavefront6targetE0EEEvSQ_.num_agpr, 0
	.set _ZN7rocprim17ROCPRIM_400000_NS6detail17trampoline_kernelINS0_14default_configENS1_22reduce_config_selectorIiEEZNS1_11reduce_implILb1ES3_PiS7_iN6hipcub16HIPCUB_304000_NS6detail34convert_binary_result_type_wrapperINS9_3SumENS9_22TransformInputIteratorIbN2at6native12_GLOBAL__N_19NonZeroOpIdEEPKdlEEiEEEE10hipError_tPvRmT1_T2_T3_mT4_P12ihipStream_tbEUlT_E1_NS1_11comp_targetILNS1_3genE9ELNS1_11target_archE1100ELNS1_3gpuE3ELNS1_3repE0EEENS1_30default_config_static_selectorELNS0_4arch9wavefront6targetE0EEEvSQ_.numbered_sgpr, 0
	.set _ZN7rocprim17ROCPRIM_400000_NS6detail17trampoline_kernelINS0_14default_configENS1_22reduce_config_selectorIiEEZNS1_11reduce_implILb1ES3_PiS7_iN6hipcub16HIPCUB_304000_NS6detail34convert_binary_result_type_wrapperINS9_3SumENS9_22TransformInputIteratorIbN2at6native12_GLOBAL__N_19NonZeroOpIdEEPKdlEEiEEEE10hipError_tPvRmT1_T2_T3_mT4_P12ihipStream_tbEUlT_E1_NS1_11comp_targetILNS1_3genE9ELNS1_11target_archE1100ELNS1_3gpuE3ELNS1_3repE0EEENS1_30default_config_static_selectorELNS0_4arch9wavefront6targetE0EEEvSQ_.num_named_barrier, 0
	.set _ZN7rocprim17ROCPRIM_400000_NS6detail17trampoline_kernelINS0_14default_configENS1_22reduce_config_selectorIiEEZNS1_11reduce_implILb1ES3_PiS7_iN6hipcub16HIPCUB_304000_NS6detail34convert_binary_result_type_wrapperINS9_3SumENS9_22TransformInputIteratorIbN2at6native12_GLOBAL__N_19NonZeroOpIdEEPKdlEEiEEEE10hipError_tPvRmT1_T2_T3_mT4_P12ihipStream_tbEUlT_E1_NS1_11comp_targetILNS1_3genE9ELNS1_11target_archE1100ELNS1_3gpuE3ELNS1_3repE0EEENS1_30default_config_static_selectorELNS0_4arch9wavefront6targetE0EEEvSQ_.private_seg_size, 0
	.set _ZN7rocprim17ROCPRIM_400000_NS6detail17trampoline_kernelINS0_14default_configENS1_22reduce_config_selectorIiEEZNS1_11reduce_implILb1ES3_PiS7_iN6hipcub16HIPCUB_304000_NS6detail34convert_binary_result_type_wrapperINS9_3SumENS9_22TransformInputIteratorIbN2at6native12_GLOBAL__N_19NonZeroOpIdEEPKdlEEiEEEE10hipError_tPvRmT1_T2_T3_mT4_P12ihipStream_tbEUlT_E1_NS1_11comp_targetILNS1_3genE9ELNS1_11target_archE1100ELNS1_3gpuE3ELNS1_3repE0EEENS1_30default_config_static_selectorELNS0_4arch9wavefront6targetE0EEEvSQ_.uses_vcc, 0
	.set _ZN7rocprim17ROCPRIM_400000_NS6detail17trampoline_kernelINS0_14default_configENS1_22reduce_config_selectorIiEEZNS1_11reduce_implILb1ES3_PiS7_iN6hipcub16HIPCUB_304000_NS6detail34convert_binary_result_type_wrapperINS9_3SumENS9_22TransformInputIteratorIbN2at6native12_GLOBAL__N_19NonZeroOpIdEEPKdlEEiEEEE10hipError_tPvRmT1_T2_T3_mT4_P12ihipStream_tbEUlT_E1_NS1_11comp_targetILNS1_3genE9ELNS1_11target_archE1100ELNS1_3gpuE3ELNS1_3repE0EEENS1_30default_config_static_selectorELNS0_4arch9wavefront6targetE0EEEvSQ_.uses_flat_scratch, 0
	.set _ZN7rocprim17ROCPRIM_400000_NS6detail17trampoline_kernelINS0_14default_configENS1_22reduce_config_selectorIiEEZNS1_11reduce_implILb1ES3_PiS7_iN6hipcub16HIPCUB_304000_NS6detail34convert_binary_result_type_wrapperINS9_3SumENS9_22TransformInputIteratorIbN2at6native12_GLOBAL__N_19NonZeroOpIdEEPKdlEEiEEEE10hipError_tPvRmT1_T2_T3_mT4_P12ihipStream_tbEUlT_E1_NS1_11comp_targetILNS1_3genE9ELNS1_11target_archE1100ELNS1_3gpuE3ELNS1_3repE0EEENS1_30default_config_static_selectorELNS0_4arch9wavefront6targetE0EEEvSQ_.has_dyn_sized_stack, 0
	.set _ZN7rocprim17ROCPRIM_400000_NS6detail17trampoline_kernelINS0_14default_configENS1_22reduce_config_selectorIiEEZNS1_11reduce_implILb1ES3_PiS7_iN6hipcub16HIPCUB_304000_NS6detail34convert_binary_result_type_wrapperINS9_3SumENS9_22TransformInputIteratorIbN2at6native12_GLOBAL__N_19NonZeroOpIdEEPKdlEEiEEEE10hipError_tPvRmT1_T2_T3_mT4_P12ihipStream_tbEUlT_E1_NS1_11comp_targetILNS1_3genE9ELNS1_11target_archE1100ELNS1_3gpuE3ELNS1_3repE0EEENS1_30default_config_static_selectorELNS0_4arch9wavefront6targetE0EEEvSQ_.has_recursion, 0
	.set _ZN7rocprim17ROCPRIM_400000_NS6detail17trampoline_kernelINS0_14default_configENS1_22reduce_config_selectorIiEEZNS1_11reduce_implILb1ES3_PiS7_iN6hipcub16HIPCUB_304000_NS6detail34convert_binary_result_type_wrapperINS9_3SumENS9_22TransformInputIteratorIbN2at6native12_GLOBAL__N_19NonZeroOpIdEEPKdlEEiEEEE10hipError_tPvRmT1_T2_T3_mT4_P12ihipStream_tbEUlT_E1_NS1_11comp_targetILNS1_3genE9ELNS1_11target_archE1100ELNS1_3gpuE3ELNS1_3repE0EEENS1_30default_config_static_selectorELNS0_4arch9wavefront6targetE0EEEvSQ_.has_indirect_call, 0
	.section	.AMDGPU.csdata,"",@progbits
; Kernel info:
; codeLenInByte = 0
; TotalNumSgprs: 0
; NumVgprs: 0
; ScratchSize: 0
; MemoryBound: 0
; FloatMode: 240
; IeeeMode: 1
; LDSByteSize: 0 bytes/workgroup (compile time only)
; SGPRBlocks: 0
; VGPRBlocks: 0
; NumSGPRsForWavesPerEU: 1
; NumVGPRsForWavesPerEU: 1
; Occupancy: 16
; WaveLimiterHint : 0
; COMPUTE_PGM_RSRC2:SCRATCH_EN: 0
; COMPUTE_PGM_RSRC2:USER_SGPR: 2
; COMPUTE_PGM_RSRC2:TRAP_HANDLER: 0
; COMPUTE_PGM_RSRC2:TGID_X_EN: 1
; COMPUTE_PGM_RSRC2:TGID_Y_EN: 0
; COMPUTE_PGM_RSRC2:TGID_Z_EN: 0
; COMPUTE_PGM_RSRC2:TIDIG_COMP_CNT: 0
	.section	.text._ZN7rocprim17ROCPRIM_400000_NS6detail17trampoline_kernelINS0_14default_configENS1_22reduce_config_selectorIiEEZNS1_11reduce_implILb1ES3_PiS7_iN6hipcub16HIPCUB_304000_NS6detail34convert_binary_result_type_wrapperINS9_3SumENS9_22TransformInputIteratorIbN2at6native12_GLOBAL__N_19NonZeroOpIdEEPKdlEEiEEEE10hipError_tPvRmT1_T2_T3_mT4_P12ihipStream_tbEUlT_E1_NS1_11comp_targetILNS1_3genE8ELNS1_11target_archE1030ELNS1_3gpuE2ELNS1_3repE0EEENS1_30default_config_static_selectorELNS0_4arch9wavefront6targetE0EEEvSQ_,"axG",@progbits,_ZN7rocprim17ROCPRIM_400000_NS6detail17trampoline_kernelINS0_14default_configENS1_22reduce_config_selectorIiEEZNS1_11reduce_implILb1ES3_PiS7_iN6hipcub16HIPCUB_304000_NS6detail34convert_binary_result_type_wrapperINS9_3SumENS9_22TransformInputIteratorIbN2at6native12_GLOBAL__N_19NonZeroOpIdEEPKdlEEiEEEE10hipError_tPvRmT1_T2_T3_mT4_P12ihipStream_tbEUlT_E1_NS1_11comp_targetILNS1_3genE8ELNS1_11target_archE1030ELNS1_3gpuE2ELNS1_3repE0EEENS1_30default_config_static_selectorELNS0_4arch9wavefront6targetE0EEEvSQ_,comdat
	.globl	_ZN7rocprim17ROCPRIM_400000_NS6detail17trampoline_kernelINS0_14default_configENS1_22reduce_config_selectorIiEEZNS1_11reduce_implILb1ES3_PiS7_iN6hipcub16HIPCUB_304000_NS6detail34convert_binary_result_type_wrapperINS9_3SumENS9_22TransformInputIteratorIbN2at6native12_GLOBAL__N_19NonZeroOpIdEEPKdlEEiEEEE10hipError_tPvRmT1_T2_T3_mT4_P12ihipStream_tbEUlT_E1_NS1_11comp_targetILNS1_3genE8ELNS1_11target_archE1030ELNS1_3gpuE2ELNS1_3repE0EEENS1_30default_config_static_selectorELNS0_4arch9wavefront6targetE0EEEvSQ_ ; -- Begin function _ZN7rocprim17ROCPRIM_400000_NS6detail17trampoline_kernelINS0_14default_configENS1_22reduce_config_selectorIiEEZNS1_11reduce_implILb1ES3_PiS7_iN6hipcub16HIPCUB_304000_NS6detail34convert_binary_result_type_wrapperINS9_3SumENS9_22TransformInputIteratorIbN2at6native12_GLOBAL__N_19NonZeroOpIdEEPKdlEEiEEEE10hipError_tPvRmT1_T2_T3_mT4_P12ihipStream_tbEUlT_E1_NS1_11comp_targetILNS1_3genE8ELNS1_11target_archE1030ELNS1_3gpuE2ELNS1_3repE0EEENS1_30default_config_static_selectorELNS0_4arch9wavefront6targetE0EEEvSQ_
	.p2align	8
	.type	_ZN7rocprim17ROCPRIM_400000_NS6detail17trampoline_kernelINS0_14default_configENS1_22reduce_config_selectorIiEEZNS1_11reduce_implILb1ES3_PiS7_iN6hipcub16HIPCUB_304000_NS6detail34convert_binary_result_type_wrapperINS9_3SumENS9_22TransformInputIteratorIbN2at6native12_GLOBAL__N_19NonZeroOpIdEEPKdlEEiEEEE10hipError_tPvRmT1_T2_T3_mT4_P12ihipStream_tbEUlT_E1_NS1_11comp_targetILNS1_3genE8ELNS1_11target_archE1030ELNS1_3gpuE2ELNS1_3repE0EEENS1_30default_config_static_selectorELNS0_4arch9wavefront6targetE0EEEvSQ_,@function
_ZN7rocprim17ROCPRIM_400000_NS6detail17trampoline_kernelINS0_14default_configENS1_22reduce_config_selectorIiEEZNS1_11reduce_implILb1ES3_PiS7_iN6hipcub16HIPCUB_304000_NS6detail34convert_binary_result_type_wrapperINS9_3SumENS9_22TransformInputIteratorIbN2at6native12_GLOBAL__N_19NonZeroOpIdEEPKdlEEiEEEE10hipError_tPvRmT1_T2_T3_mT4_P12ihipStream_tbEUlT_E1_NS1_11comp_targetILNS1_3genE8ELNS1_11target_archE1030ELNS1_3gpuE2ELNS1_3repE0EEENS1_30default_config_static_selectorELNS0_4arch9wavefront6targetE0EEEvSQ_: ; @_ZN7rocprim17ROCPRIM_400000_NS6detail17trampoline_kernelINS0_14default_configENS1_22reduce_config_selectorIiEEZNS1_11reduce_implILb1ES3_PiS7_iN6hipcub16HIPCUB_304000_NS6detail34convert_binary_result_type_wrapperINS9_3SumENS9_22TransformInputIteratorIbN2at6native12_GLOBAL__N_19NonZeroOpIdEEPKdlEEiEEEE10hipError_tPvRmT1_T2_T3_mT4_P12ihipStream_tbEUlT_E1_NS1_11comp_targetILNS1_3genE8ELNS1_11target_archE1030ELNS1_3gpuE2ELNS1_3repE0EEENS1_30default_config_static_selectorELNS0_4arch9wavefront6targetE0EEEvSQ_
; %bb.0:
	.section	.rodata,"a",@progbits
	.p2align	6, 0x0
	.amdhsa_kernel _ZN7rocprim17ROCPRIM_400000_NS6detail17trampoline_kernelINS0_14default_configENS1_22reduce_config_selectorIiEEZNS1_11reduce_implILb1ES3_PiS7_iN6hipcub16HIPCUB_304000_NS6detail34convert_binary_result_type_wrapperINS9_3SumENS9_22TransformInputIteratorIbN2at6native12_GLOBAL__N_19NonZeroOpIdEEPKdlEEiEEEE10hipError_tPvRmT1_T2_T3_mT4_P12ihipStream_tbEUlT_E1_NS1_11comp_targetILNS1_3genE8ELNS1_11target_archE1030ELNS1_3gpuE2ELNS1_3repE0EEENS1_30default_config_static_selectorELNS0_4arch9wavefront6targetE0EEEvSQ_
		.amdhsa_group_segment_fixed_size 0
		.amdhsa_private_segment_fixed_size 0
		.amdhsa_kernarg_size 40
		.amdhsa_user_sgpr_count 2
		.amdhsa_user_sgpr_dispatch_ptr 0
		.amdhsa_user_sgpr_queue_ptr 0
		.amdhsa_user_sgpr_kernarg_segment_ptr 1
		.amdhsa_user_sgpr_dispatch_id 0
		.amdhsa_user_sgpr_private_segment_size 0
		.amdhsa_wavefront_size32 1
		.amdhsa_uses_dynamic_stack 0
		.amdhsa_enable_private_segment 0
		.amdhsa_system_sgpr_workgroup_id_x 1
		.amdhsa_system_sgpr_workgroup_id_y 0
		.amdhsa_system_sgpr_workgroup_id_z 0
		.amdhsa_system_sgpr_workgroup_info 0
		.amdhsa_system_vgpr_workitem_id 0
		.amdhsa_next_free_vgpr 1
		.amdhsa_next_free_sgpr 1
		.amdhsa_reserve_vcc 0
		.amdhsa_float_round_mode_32 0
		.amdhsa_float_round_mode_16_64 0
		.amdhsa_float_denorm_mode_32 3
		.amdhsa_float_denorm_mode_16_64 3
		.amdhsa_fp16_overflow 0
		.amdhsa_workgroup_processor_mode 1
		.amdhsa_memory_ordered 1
		.amdhsa_forward_progress 1
		.amdhsa_inst_pref_size 0
		.amdhsa_round_robin_scheduling 0
		.amdhsa_exception_fp_ieee_invalid_op 0
		.amdhsa_exception_fp_denorm_src 0
		.amdhsa_exception_fp_ieee_div_zero 0
		.amdhsa_exception_fp_ieee_overflow 0
		.amdhsa_exception_fp_ieee_underflow 0
		.amdhsa_exception_fp_ieee_inexact 0
		.amdhsa_exception_int_div_zero 0
	.end_amdhsa_kernel
	.section	.text._ZN7rocprim17ROCPRIM_400000_NS6detail17trampoline_kernelINS0_14default_configENS1_22reduce_config_selectorIiEEZNS1_11reduce_implILb1ES3_PiS7_iN6hipcub16HIPCUB_304000_NS6detail34convert_binary_result_type_wrapperINS9_3SumENS9_22TransformInputIteratorIbN2at6native12_GLOBAL__N_19NonZeroOpIdEEPKdlEEiEEEE10hipError_tPvRmT1_T2_T3_mT4_P12ihipStream_tbEUlT_E1_NS1_11comp_targetILNS1_3genE8ELNS1_11target_archE1030ELNS1_3gpuE2ELNS1_3repE0EEENS1_30default_config_static_selectorELNS0_4arch9wavefront6targetE0EEEvSQ_,"axG",@progbits,_ZN7rocprim17ROCPRIM_400000_NS6detail17trampoline_kernelINS0_14default_configENS1_22reduce_config_selectorIiEEZNS1_11reduce_implILb1ES3_PiS7_iN6hipcub16HIPCUB_304000_NS6detail34convert_binary_result_type_wrapperINS9_3SumENS9_22TransformInputIteratorIbN2at6native12_GLOBAL__N_19NonZeroOpIdEEPKdlEEiEEEE10hipError_tPvRmT1_T2_T3_mT4_P12ihipStream_tbEUlT_E1_NS1_11comp_targetILNS1_3genE8ELNS1_11target_archE1030ELNS1_3gpuE2ELNS1_3repE0EEENS1_30default_config_static_selectorELNS0_4arch9wavefront6targetE0EEEvSQ_,comdat
.Lfunc_end371:
	.size	_ZN7rocprim17ROCPRIM_400000_NS6detail17trampoline_kernelINS0_14default_configENS1_22reduce_config_selectorIiEEZNS1_11reduce_implILb1ES3_PiS7_iN6hipcub16HIPCUB_304000_NS6detail34convert_binary_result_type_wrapperINS9_3SumENS9_22TransformInputIteratorIbN2at6native12_GLOBAL__N_19NonZeroOpIdEEPKdlEEiEEEE10hipError_tPvRmT1_T2_T3_mT4_P12ihipStream_tbEUlT_E1_NS1_11comp_targetILNS1_3genE8ELNS1_11target_archE1030ELNS1_3gpuE2ELNS1_3repE0EEENS1_30default_config_static_selectorELNS0_4arch9wavefront6targetE0EEEvSQ_, .Lfunc_end371-_ZN7rocprim17ROCPRIM_400000_NS6detail17trampoline_kernelINS0_14default_configENS1_22reduce_config_selectorIiEEZNS1_11reduce_implILb1ES3_PiS7_iN6hipcub16HIPCUB_304000_NS6detail34convert_binary_result_type_wrapperINS9_3SumENS9_22TransformInputIteratorIbN2at6native12_GLOBAL__N_19NonZeroOpIdEEPKdlEEiEEEE10hipError_tPvRmT1_T2_T3_mT4_P12ihipStream_tbEUlT_E1_NS1_11comp_targetILNS1_3genE8ELNS1_11target_archE1030ELNS1_3gpuE2ELNS1_3repE0EEENS1_30default_config_static_selectorELNS0_4arch9wavefront6targetE0EEEvSQ_
                                        ; -- End function
	.set _ZN7rocprim17ROCPRIM_400000_NS6detail17trampoline_kernelINS0_14default_configENS1_22reduce_config_selectorIiEEZNS1_11reduce_implILb1ES3_PiS7_iN6hipcub16HIPCUB_304000_NS6detail34convert_binary_result_type_wrapperINS9_3SumENS9_22TransformInputIteratorIbN2at6native12_GLOBAL__N_19NonZeroOpIdEEPKdlEEiEEEE10hipError_tPvRmT1_T2_T3_mT4_P12ihipStream_tbEUlT_E1_NS1_11comp_targetILNS1_3genE8ELNS1_11target_archE1030ELNS1_3gpuE2ELNS1_3repE0EEENS1_30default_config_static_selectorELNS0_4arch9wavefront6targetE0EEEvSQ_.num_vgpr, 0
	.set _ZN7rocprim17ROCPRIM_400000_NS6detail17trampoline_kernelINS0_14default_configENS1_22reduce_config_selectorIiEEZNS1_11reduce_implILb1ES3_PiS7_iN6hipcub16HIPCUB_304000_NS6detail34convert_binary_result_type_wrapperINS9_3SumENS9_22TransformInputIteratorIbN2at6native12_GLOBAL__N_19NonZeroOpIdEEPKdlEEiEEEE10hipError_tPvRmT1_T2_T3_mT4_P12ihipStream_tbEUlT_E1_NS1_11comp_targetILNS1_3genE8ELNS1_11target_archE1030ELNS1_3gpuE2ELNS1_3repE0EEENS1_30default_config_static_selectorELNS0_4arch9wavefront6targetE0EEEvSQ_.num_agpr, 0
	.set _ZN7rocprim17ROCPRIM_400000_NS6detail17trampoline_kernelINS0_14default_configENS1_22reduce_config_selectorIiEEZNS1_11reduce_implILb1ES3_PiS7_iN6hipcub16HIPCUB_304000_NS6detail34convert_binary_result_type_wrapperINS9_3SumENS9_22TransformInputIteratorIbN2at6native12_GLOBAL__N_19NonZeroOpIdEEPKdlEEiEEEE10hipError_tPvRmT1_T2_T3_mT4_P12ihipStream_tbEUlT_E1_NS1_11comp_targetILNS1_3genE8ELNS1_11target_archE1030ELNS1_3gpuE2ELNS1_3repE0EEENS1_30default_config_static_selectorELNS0_4arch9wavefront6targetE0EEEvSQ_.numbered_sgpr, 0
	.set _ZN7rocprim17ROCPRIM_400000_NS6detail17trampoline_kernelINS0_14default_configENS1_22reduce_config_selectorIiEEZNS1_11reduce_implILb1ES3_PiS7_iN6hipcub16HIPCUB_304000_NS6detail34convert_binary_result_type_wrapperINS9_3SumENS9_22TransformInputIteratorIbN2at6native12_GLOBAL__N_19NonZeroOpIdEEPKdlEEiEEEE10hipError_tPvRmT1_T2_T3_mT4_P12ihipStream_tbEUlT_E1_NS1_11comp_targetILNS1_3genE8ELNS1_11target_archE1030ELNS1_3gpuE2ELNS1_3repE0EEENS1_30default_config_static_selectorELNS0_4arch9wavefront6targetE0EEEvSQ_.num_named_barrier, 0
	.set _ZN7rocprim17ROCPRIM_400000_NS6detail17trampoline_kernelINS0_14default_configENS1_22reduce_config_selectorIiEEZNS1_11reduce_implILb1ES3_PiS7_iN6hipcub16HIPCUB_304000_NS6detail34convert_binary_result_type_wrapperINS9_3SumENS9_22TransformInputIteratorIbN2at6native12_GLOBAL__N_19NonZeroOpIdEEPKdlEEiEEEE10hipError_tPvRmT1_T2_T3_mT4_P12ihipStream_tbEUlT_E1_NS1_11comp_targetILNS1_3genE8ELNS1_11target_archE1030ELNS1_3gpuE2ELNS1_3repE0EEENS1_30default_config_static_selectorELNS0_4arch9wavefront6targetE0EEEvSQ_.private_seg_size, 0
	.set _ZN7rocprim17ROCPRIM_400000_NS6detail17trampoline_kernelINS0_14default_configENS1_22reduce_config_selectorIiEEZNS1_11reduce_implILb1ES3_PiS7_iN6hipcub16HIPCUB_304000_NS6detail34convert_binary_result_type_wrapperINS9_3SumENS9_22TransformInputIteratorIbN2at6native12_GLOBAL__N_19NonZeroOpIdEEPKdlEEiEEEE10hipError_tPvRmT1_T2_T3_mT4_P12ihipStream_tbEUlT_E1_NS1_11comp_targetILNS1_3genE8ELNS1_11target_archE1030ELNS1_3gpuE2ELNS1_3repE0EEENS1_30default_config_static_selectorELNS0_4arch9wavefront6targetE0EEEvSQ_.uses_vcc, 0
	.set _ZN7rocprim17ROCPRIM_400000_NS6detail17trampoline_kernelINS0_14default_configENS1_22reduce_config_selectorIiEEZNS1_11reduce_implILb1ES3_PiS7_iN6hipcub16HIPCUB_304000_NS6detail34convert_binary_result_type_wrapperINS9_3SumENS9_22TransformInputIteratorIbN2at6native12_GLOBAL__N_19NonZeroOpIdEEPKdlEEiEEEE10hipError_tPvRmT1_T2_T3_mT4_P12ihipStream_tbEUlT_E1_NS1_11comp_targetILNS1_3genE8ELNS1_11target_archE1030ELNS1_3gpuE2ELNS1_3repE0EEENS1_30default_config_static_selectorELNS0_4arch9wavefront6targetE0EEEvSQ_.uses_flat_scratch, 0
	.set _ZN7rocprim17ROCPRIM_400000_NS6detail17trampoline_kernelINS0_14default_configENS1_22reduce_config_selectorIiEEZNS1_11reduce_implILb1ES3_PiS7_iN6hipcub16HIPCUB_304000_NS6detail34convert_binary_result_type_wrapperINS9_3SumENS9_22TransformInputIteratorIbN2at6native12_GLOBAL__N_19NonZeroOpIdEEPKdlEEiEEEE10hipError_tPvRmT1_T2_T3_mT4_P12ihipStream_tbEUlT_E1_NS1_11comp_targetILNS1_3genE8ELNS1_11target_archE1030ELNS1_3gpuE2ELNS1_3repE0EEENS1_30default_config_static_selectorELNS0_4arch9wavefront6targetE0EEEvSQ_.has_dyn_sized_stack, 0
	.set _ZN7rocprim17ROCPRIM_400000_NS6detail17trampoline_kernelINS0_14default_configENS1_22reduce_config_selectorIiEEZNS1_11reduce_implILb1ES3_PiS7_iN6hipcub16HIPCUB_304000_NS6detail34convert_binary_result_type_wrapperINS9_3SumENS9_22TransformInputIteratorIbN2at6native12_GLOBAL__N_19NonZeroOpIdEEPKdlEEiEEEE10hipError_tPvRmT1_T2_T3_mT4_P12ihipStream_tbEUlT_E1_NS1_11comp_targetILNS1_3genE8ELNS1_11target_archE1030ELNS1_3gpuE2ELNS1_3repE0EEENS1_30default_config_static_selectorELNS0_4arch9wavefront6targetE0EEEvSQ_.has_recursion, 0
	.set _ZN7rocprim17ROCPRIM_400000_NS6detail17trampoline_kernelINS0_14default_configENS1_22reduce_config_selectorIiEEZNS1_11reduce_implILb1ES3_PiS7_iN6hipcub16HIPCUB_304000_NS6detail34convert_binary_result_type_wrapperINS9_3SumENS9_22TransformInputIteratorIbN2at6native12_GLOBAL__N_19NonZeroOpIdEEPKdlEEiEEEE10hipError_tPvRmT1_T2_T3_mT4_P12ihipStream_tbEUlT_E1_NS1_11comp_targetILNS1_3genE8ELNS1_11target_archE1030ELNS1_3gpuE2ELNS1_3repE0EEENS1_30default_config_static_selectorELNS0_4arch9wavefront6targetE0EEEvSQ_.has_indirect_call, 0
	.section	.AMDGPU.csdata,"",@progbits
; Kernel info:
; codeLenInByte = 0
; TotalNumSgprs: 0
; NumVgprs: 0
; ScratchSize: 0
; MemoryBound: 0
; FloatMode: 240
; IeeeMode: 1
; LDSByteSize: 0 bytes/workgroup (compile time only)
; SGPRBlocks: 0
; VGPRBlocks: 0
; NumSGPRsForWavesPerEU: 1
; NumVGPRsForWavesPerEU: 1
; Occupancy: 16
; WaveLimiterHint : 0
; COMPUTE_PGM_RSRC2:SCRATCH_EN: 0
; COMPUTE_PGM_RSRC2:USER_SGPR: 2
; COMPUTE_PGM_RSRC2:TRAP_HANDLER: 0
; COMPUTE_PGM_RSRC2:TGID_X_EN: 1
; COMPUTE_PGM_RSRC2:TGID_Y_EN: 0
; COMPUTE_PGM_RSRC2:TGID_Z_EN: 0
; COMPUTE_PGM_RSRC2:TIDIG_COMP_CNT: 0
	.section	.text._ZN7rocprim17ROCPRIM_400000_NS6detail17trampoline_kernelINS0_14default_configENS1_22reduce_config_selectorIbEEZNS1_11reduce_implILb1ES3_N6hipcub16HIPCUB_304000_NS22TransformInputIteratorIbN2at6native12_GLOBAL__N_19NonZeroOpIdEEPKdlEEPiiNS8_6detail34convert_binary_result_type_wrapperINS8_3SumESH_iEEEE10hipError_tPvRmT1_T2_T3_mT4_P12ihipStream_tbEUlT_E0_NS1_11comp_targetILNS1_3genE0ELNS1_11target_archE4294967295ELNS1_3gpuE0ELNS1_3repE0EEENS1_30default_config_static_selectorELNS0_4arch9wavefront6targetE0EEEvSQ_,"axG",@progbits,_ZN7rocprim17ROCPRIM_400000_NS6detail17trampoline_kernelINS0_14default_configENS1_22reduce_config_selectorIbEEZNS1_11reduce_implILb1ES3_N6hipcub16HIPCUB_304000_NS22TransformInputIteratorIbN2at6native12_GLOBAL__N_19NonZeroOpIdEEPKdlEEPiiNS8_6detail34convert_binary_result_type_wrapperINS8_3SumESH_iEEEE10hipError_tPvRmT1_T2_T3_mT4_P12ihipStream_tbEUlT_E0_NS1_11comp_targetILNS1_3genE0ELNS1_11target_archE4294967295ELNS1_3gpuE0ELNS1_3repE0EEENS1_30default_config_static_selectorELNS0_4arch9wavefront6targetE0EEEvSQ_,comdat
	.globl	_ZN7rocprim17ROCPRIM_400000_NS6detail17trampoline_kernelINS0_14default_configENS1_22reduce_config_selectorIbEEZNS1_11reduce_implILb1ES3_N6hipcub16HIPCUB_304000_NS22TransformInputIteratorIbN2at6native12_GLOBAL__N_19NonZeroOpIdEEPKdlEEPiiNS8_6detail34convert_binary_result_type_wrapperINS8_3SumESH_iEEEE10hipError_tPvRmT1_T2_T3_mT4_P12ihipStream_tbEUlT_E0_NS1_11comp_targetILNS1_3genE0ELNS1_11target_archE4294967295ELNS1_3gpuE0ELNS1_3repE0EEENS1_30default_config_static_selectorELNS0_4arch9wavefront6targetE0EEEvSQ_ ; -- Begin function _ZN7rocprim17ROCPRIM_400000_NS6detail17trampoline_kernelINS0_14default_configENS1_22reduce_config_selectorIbEEZNS1_11reduce_implILb1ES3_N6hipcub16HIPCUB_304000_NS22TransformInputIteratorIbN2at6native12_GLOBAL__N_19NonZeroOpIdEEPKdlEEPiiNS8_6detail34convert_binary_result_type_wrapperINS8_3SumESH_iEEEE10hipError_tPvRmT1_T2_T3_mT4_P12ihipStream_tbEUlT_E0_NS1_11comp_targetILNS1_3genE0ELNS1_11target_archE4294967295ELNS1_3gpuE0ELNS1_3repE0EEENS1_30default_config_static_selectorELNS0_4arch9wavefront6targetE0EEEvSQ_
	.p2align	8
	.type	_ZN7rocprim17ROCPRIM_400000_NS6detail17trampoline_kernelINS0_14default_configENS1_22reduce_config_selectorIbEEZNS1_11reduce_implILb1ES3_N6hipcub16HIPCUB_304000_NS22TransformInputIteratorIbN2at6native12_GLOBAL__N_19NonZeroOpIdEEPKdlEEPiiNS8_6detail34convert_binary_result_type_wrapperINS8_3SumESH_iEEEE10hipError_tPvRmT1_T2_T3_mT4_P12ihipStream_tbEUlT_E0_NS1_11comp_targetILNS1_3genE0ELNS1_11target_archE4294967295ELNS1_3gpuE0ELNS1_3repE0EEENS1_30default_config_static_selectorELNS0_4arch9wavefront6targetE0EEEvSQ_,@function
_ZN7rocprim17ROCPRIM_400000_NS6detail17trampoline_kernelINS0_14default_configENS1_22reduce_config_selectorIbEEZNS1_11reduce_implILb1ES3_N6hipcub16HIPCUB_304000_NS22TransformInputIteratorIbN2at6native12_GLOBAL__N_19NonZeroOpIdEEPKdlEEPiiNS8_6detail34convert_binary_result_type_wrapperINS8_3SumESH_iEEEE10hipError_tPvRmT1_T2_T3_mT4_P12ihipStream_tbEUlT_E0_NS1_11comp_targetILNS1_3genE0ELNS1_11target_archE4294967295ELNS1_3gpuE0ELNS1_3repE0EEENS1_30default_config_static_selectorELNS0_4arch9wavefront6targetE0EEEvSQ_: ; @_ZN7rocprim17ROCPRIM_400000_NS6detail17trampoline_kernelINS0_14default_configENS1_22reduce_config_selectorIbEEZNS1_11reduce_implILb1ES3_N6hipcub16HIPCUB_304000_NS22TransformInputIteratorIbN2at6native12_GLOBAL__N_19NonZeroOpIdEEPKdlEEPiiNS8_6detail34convert_binary_result_type_wrapperINS8_3SumESH_iEEEE10hipError_tPvRmT1_T2_T3_mT4_P12ihipStream_tbEUlT_E0_NS1_11comp_targetILNS1_3genE0ELNS1_11target_archE4294967295ELNS1_3gpuE0ELNS1_3repE0EEENS1_30default_config_static_selectorELNS0_4arch9wavefront6targetE0EEEvSQ_
; %bb.0:
	.section	.rodata,"a",@progbits
	.p2align	6, 0x0
	.amdhsa_kernel _ZN7rocprim17ROCPRIM_400000_NS6detail17trampoline_kernelINS0_14default_configENS1_22reduce_config_selectorIbEEZNS1_11reduce_implILb1ES3_N6hipcub16HIPCUB_304000_NS22TransformInputIteratorIbN2at6native12_GLOBAL__N_19NonZeroOpIdEEPKdlEEPiiNS8_6detail34convert_binary_result_type_wrapperINS8_3SumESH_iEEEE10hipError_tPvRmT1_T2_T3_mT4_P12ihipStream_tbEUlT_E0_NS1_11comp_targetILNS1_3genE0ELNS1_11target_archE4294967295ELNS1_3gpuE0ELNS1_3repE0EEENS1_30default_config_static_selectorELNS0_4arch9wavefront6targetE0EEEvSQ_
		.amdhsa_group_segment_fixed_size 0
		.amdhsa_private_segment_fixed_size 0
		.amdhsa_kernarg_size 64
		.amdhsa_user_sgpr_count 2
		.amdhsa_user_sgpr_dispatch_ptr 0
		.amdhsa_user_sgpr_queue_ptr 0
		.amdhsa_user_sgpr_kernarg_segment_ptr 1
		.amdhsa_user_sgpr_dispatch_id 0
		.amdhsa_user_sgpr_private_segment_size 0
		.amdhsa_wavefront_size32 1
		.amdhsa_uses_dynamic_stack 0
		.amdhsa_enable_private_segment 0
		.amdhsa_system_sgpr_workgroup_id_x 1
		.amdhsa_system_sgpr_workgroup_id_y 0
		.amdhsa_system_sgpr_workgroup_id_z 0
		.amdhsa_system_sgpr_workgroup_info 0
		.amdhsa_system_vgpr_workitem_id 0
		.amdhsa_next_free_vgpr 1
		.amdhsa_next_free_sgpr 1
		.amdhsa_reserve_vcc 0
		.amdhsa_float_round_mode_32 0
		.amdhsa_float_round_mode_16_64 0
		.amdhsa_float_denorm_mode_32 3
		.amdhsa_float_denorm_mode_16_64 3
		.amdhsa_fp16_overflow 0
		.amdhsa_workgroup_processor_mode 1
		.amdhsa_memory_ordered 1
		.amdhsa_forward_progress 1
		.amdhsa_inst_pref_size 0
		.amdhsa_round_robin_scheduling 0
		.amdhsa_exception_fp_ieee_invalid_op 0
		.amdhsa_exception_fp_denorm_src 0
		.amdhsa_exception_fp_ieee_div_zero 0
		.amdhsa_exception_fp_ieee_overflow 0
		.amdhsa_exception_fp_ieee_underflow 0
		.amdhsa_exception_fp_ieee_inexact 0
		.amdhsa_exception_int_div_zero 0
	.end_amdhsa_kernel
	.section	.text._ZN7rocprim17ROCPRIM_400000_NS6detail17trampoline_kernelINS0_14default_configENS1_22reduce_config_selectorIbEEZNS1_11reduce_implILb1ES3_N6hipcub16HIPCUB_304000_NS22TransformInputIteratorIbN2at6native12_GLOBAL__N_19NonZeroOpIdEEPKdlEEPiiNS8_6detail34convert_binary_result_type_wrapperINS8_3SumESH_iEEEE10hipError_tPvRmT1_T2_T3_mT4_P12ihipStream_tbEUlT_E0_NS1_11comp_targetILNS1_3genE0ELNS1_11target_archE4294967295ELNS1_3gpuE0ELNS1_3repE0EEENS1_30default_config_static_selectorELNS0_4arch9wavefront6targetE0EEEvSQ_,"axG",@progbits,_ZN7rocprim17ROCPRIM_400000_NS6detail17trampoline_kernelINS0_14default_configENS1_22reduce_config_selectorIbEEZNS1_11reduce_implILb1ES3_N6hipcub16HIPCUB_304000_NS22TransformInputIteratorIbN2at6native12_GLOBAL__N_19NonZeroOpIdEEPKdlEEPiiNS8_6detail34convert_binary_result_type_wrapperINS8_3SumESH_iEEEE10hipError_tPvRmT1_T2_T3_mT4_P12ihipStream_tbEUlT_E0_NS1_11comp_targetILNS1_3genE0ELNS1_11target_archE4294967295ELNS1_3gpuE0ELNS1_3repE0EEENS1_30default_config_static_selectorELNS0_4arch9wavefront6targetE0EEEvSQ_,comdat
.Lfunc_end372:
	.size	_ZN7rocprim17ROCPRIM_400000_NS6detail17trampoline_kernelINS0_14default_configENS1_22reduce_config_selectorIbEEZNS1_11reduce_implILb1ES3_N6hipcub16HIPCUB_304000_NS22TransformInputIteratorIbN2at6native12_GLOBAL__N_19NonZeroOpIdEEPKdlEEPiiNS8_6detail34convert_binary_result_type_wrapperINS8_3SumESH_iEEEE10hipError_tPvRmT1_T2_T3_mT4_P12ihipStream_tbEUlT_E0_NS1_11comp_targetILNS1_3genE0ELNS1_11target_archE4294967295ELNS1_3gpuE0ELNS1_3repE0EEENS1_30default_config_static_selectorELNS0_4arch9wavefront6targetE0EEEvSQ_, .Lfunc_end372-_ZN7rocprim17ROCPRIM_400000_NS6detail17trampoline_kernelINS0_14default_configENS1_22reduce_config_selectorIbEEZNS1_11reduce_implILb1ES3_N6hipcub16HIPCUB_304000_NS22TransformInputIteratorIbN2at6native12_GLOBAL__N_19NonZeroOpIdEEPKdlEEPiiNS8_6detail34convert_binary_result_type_wrapperINS8_3SumESH_iEEEE10hipError_tPvRmT1_T2_T3_mT4_P12ihipStream_tbEUlT_E0_NS1_11comp_targetILNS1_3genE0ELNS1_11target_archE4294967295ELNS1_3gpuE0ELNS1_3repE0EEENS1_30default_config_static_selectorELNS0_4arch9wavefront6targetE0EEEvSQ_
                                        ; -- End function
	.set _ZN7rocprim17ROCPRIM_400000_NS6detail17trampoline_kernelINS0_14default_configENS1_22reduce_config_selectorIbEEZNS1_11reduce_implILb1ES3_N6hipcub16HIPCUB_304000_NS22TransformInputIteratorIbN2at6native12_GLOBAL__N_19NonZeroOpIdEEPKdlEEPiiNS8_6detail34convert_binary_result_type_wrapperINS8_3SumESH_iEEEE10hipError_tPvRmT1_T2_T3_mT4_P12ihipStream_tbEUlT_E0_NS1_11comp_targetILNS1_3genE0ELNS1_11target_archE4294967295ELNS1_3gpuE0ELNS1_3repE0EEENS1_30default_config_static_selectorELNS0_4arch9wavefront6targetE0EEEvSQ_.num_vgpr, 0
	.set _ZN7rocprim17ROCPRIM_400000_NS6detail17trampoline_kernelINS0_14default_configENS1_22reduce_config_selectorIbEEZNS1_11reduce_implILb1ES3_N6hipcub16HIPCUB_304000_NS22TransformInputIteratorIbN2at6native12_GLOBAL__N_19NonZeroOpIdEEPKdlEEPiiNS8_6detail34convert_binary_result_type_wrapperINS8_3SumESH_iEEEE10hipError_tPvRmT1_T2_T3_mT4_P12ihipStream_tbEUlT_E0_NS1_11comp_targetILNS1_3genE0ELNS1_11target_archE4294967295ELNS1_3gpuE0ELNS1_3repE0EEENS1_30default_config_static_selectorELNS0_4arch9wavefront6targetE0EEEvSQ_.num_agpr, 0
	.set _ZN7rocprim17ROCPRIM_400000_NS6detail17trampoline_kernelINS0_14default_configENS1_22reduce_config_selectorIbEEZNS1_11reduce_implILb1ES3_N6hipcub16HIPCUB_304000_NS22TransformInputIteratorIbN2at6native12_GLOBAL__N_19NonZeroOpIdEEPKdlEEPiiNS8_6detail34convert_binary_result_type_wrapperINS8_3SumESH_iEEEE10hipError_tPvRmT1_T2_T3_mT4_P12ihipStream_tbEUlT_E0_NS1_11comp_targetILNS1_3genE0ELNS1_11target_archE4294967295ELNS1_3gpuE0ELNS1_3repE0EEENS1_30default_config_static_selectorELNS0_4arch9wavefront6targetE0EEEvSQ_.numbered_sgpr, 0
	.set _ZN7rocprim17ROCPRIM_400000_NS6detail17trampoline_kernelINS0_14default_configENS1_22reduce_config_selectorIbEEZNS1_11reduce_implILb1ES3_N6hipcub16HIPCUB_304000_NS22TransformInputIteratorIbN2at6native12_GLOBAL__N_19NonZeroOpIdEEPKdlEEPiiNS8_6detail34convert_binary_result_type_wrapperINS8_3SumESH_iEEEE10hipError_tPvRmT1_T2_T3_mT4_P12ihipStream_tbEUlT_E0_NS1_11comp_targetILNS1_3genE0ELNS1_11target_archE4294967295ELNS1_3gpuE0ELNS1_3repE0EEENS1_30default_config_static_selectorELNS0_4arch9wavefront6targetE0EEEvSQ_.num_named_barrier, 0
	.set _ZN7rocprim17ROCPRIM_400000_NS6detail17trampoline_kernelINS0_14default_configENS1_22reduce_config_selectorIbEEZNS1_11reduce_implILb1ES3_N6hipcub16HIPCUB_304000_NS22TransformInputIteratorIbN2at6native12_GLOBAL__N_19NonZeroOpIdEEPKdlEEPiiNS8_6detail34convert_binary_result_type_wrapperINS8_3SumESH_iEEEE10hipError_tPvRmT1_T2_T3_mT4_P12ihipStream_tbEUlT_E0_NS1_11comp_targetILNS1_3genE0ELNS1_11target_archE4294967295ELNS1_3gpuE0ELNS1_3repE0EEENS1_30default_config_static_selectorELNS0_4arch9wavefront6targetE0EEEvSQ_.private_seg_size, 0
	.set _ZN7rocprim17ROCPRIM_400000_NS6detail17trampoline_kernelINS0_14default_configENS1_22reduce_config_selectorIbEEZNS1_11reduce_implILb1ES3_N6hipcub16HIPCUB_304000_NS22TransformInputIteratorIbN2at6native12_GLOBAL__N_19NonZeroOpIdEEPKdlEEPiiNS8_6detail34convert_binary_result_type_wrapperINS8_3SumESH_iEEEE10hipError_tPvRmT1_T2_T3_mT4_P12ihipStream_tbEUlT_E0_NS1_11comp_targetILNS1_3genE0ELNS1_11target_archE4294967295ELNS1_3gpuE0ELNS1_3repE0EEENS1_30default_config_static_selectorELNS0_4arch9wavefront6targetE0EEEvSQ_.uses_vcc, 0
	.set _ZN7rocprim17ROCPRIM_400000_NS6detail17trampoline_kernelINS0_14default_configENS1_22reduce_config_selectorIbEEZNS1_11reduce_implILb1ES3_N6hipcub16HIPCUB_304000_NS22TransformInputIteratorIbN2at6native12_GLOBAL__N_19NonZeroOpIdEEPKdlEEPiiNS8_6detail34convert_binary_result_type_wrapperINS8_3SumESH_iEEEE10hipError_tPvRmT1_T2_T3_mT4_P12ihipStream_tbEUlT_E0_NS1_11comp_targetILNS1_3genE0ELNS1_11target_archE4294967295ELNS1_3gpuE0ELNS1_3repE0EEENS1_30default_config_static_selectorELNS0_4arch9wavefront6targetE0EEEvSQ_.uses_flat_scratch, 0
	.set _ZN7rocprim17ROCPRIM_400000_NS6detail17trampoline_kernelINS0_14default_configENS1_22reduce_config_selectorIbEEZNS1_11reduce_implILb1ES3_N6hipcub16HIPCUB_304000_NS22TransformInputIteratorIbN2at6native12_GLOBAL__N_19NonZeroOpIdEEPKdlEEPiiNS8_6detail34convert_binary_result_type_wrapperINS8_3SumESH_iEEEE10hipError_tPvRmT1_T2_T3_mT4_P12ihipStream_tbEUlT_E0_NS1_11comp_targetILNS1_3genE0ELNS1_11target_archE4294967295ELNS1_3gpuE0ELNS1_3repE0EEENS1_30default_config_static_selectorELNS0_4arch9wavefront6targetE0EEEvSQ_.has_dyn_sized_stack, 0
	.set _ZN7rocprim17ROCPRIM_400000_NS6detail17trampoline_kernelINS0_14default_configENS1_22reduce_config_selectorIbEEZNS1_11reduce_implILb1ES3_N6hipcub16HIPCUB_304000_NS22TransformInputIteratorIbN2at6native12_GLOBAL__N_19NonZeroOpIdEEPKdlEEPiiNS8_6detail34convert_binary_result_type_wrapperINS8_3SumESH_iEEEE10hipError_tPvRmT1_T2_T3_mT4_P12ihipStream_tbEUlT_E0_NS1_11comp_targetILNS1_3genE0ELNS1_11target_archE4294967295ELNS1_3gpuE0ELNS1_3repE0EEENS1_30default_config_static_selectorELNS0_4arch9wavefront6targetE0EEEvSQ_.has_recursion, 0
	.set _ZN7rocprim17ROCPRIM_400000_NS6detail17trampoline_kernelINS0_14default_configENS1_22reduce_config_selectorIbEEZNS1_11reduce_implILb1ES3_N6hipcub16HIPCUB_304000_NS22TransformInputIteratorIbN2at6native12_GLOBAL__N_19NonZeroOpIdEEPKdlEEPiiNS8_6detail34convert_binary_result_type_wrapperINS8_3SumESH_iEEEE10hipError_tPvRmT1_T2_T3_mT4_P12ihipStream_tbEUlT_E0_NS1_11comp_targetILNS1_3genE0ELNS1_11target_archE4294967295ELNS1_3gpuE0ELNS1_3repE0EEENS1_30default_config_static_selectorELNS0_4arch9wavefront6targetE0EEEvSQ_.has_indirect_call, 0
	.section	.AMDGPU.csdata,"",@progbits
; Kernel info:
; codeLenInByte = 0
; TotalNumSgprs: 0
; NumVgprs: 0
; ScratchSize: 0
; MemoryBound: 0
; FloatMode: 240
; IeeeMode: 1
; LDSByteSize: 0 bytes/workgroup (compile time only)
; SGPRBlocks: 0
; VGPRBlocks: 0
; NumSGPRsForWavesPerEU: 1
; NumVGPRsForWavesPerEU: 1
; Occupancy: 16
; WaveLimiterHint : 0
; COMPUTE_PGM_RSRC2:SCRATCH_EN: 0
; COMPUTE_PGM_RSRC2:USER_SGPR: 2
; COMPUTE_PGM_RSRC2:TRAP_HANDLER: 0
; COMPUTE_PGM_RSRC2:TGID_X_EN: 1
; COMPUTE_PGM_RSRC2:TGID_Y_EN: 0
; COMPUTE_PGM_RSRC2:TGID_Z_EN: 0
; COMPUTE_PGM_RSRC2:TIDIG_COMP_CNT: 0
	.section	.text._ZN7rocprim17ROCPRIM_400000_NS6detail17trampoline_kernelINS0_14default_configENS1_22reduce_config_selectorIbEEZNS1_11reduce_implILb1ES3_N6hipcub16HIPCUB_304000_NS22TransformInputIteratorIbN2at6native12_GLOBAL__N_19NonZeroOpIdEEPKdlEEPiiNS8_6detail34convert_binary_result_type_wrapperINS8_3SumESH_iEEEE10hipError_tPvRmT1_T2_T3_mT4_P12ihipStream_tbEUlT_E0_NS1_11comp_targetILNS1_3genE5ELNS1_11target_archE942ELNS1_3gpuE9ELNS1_3repE0EEENS1_30default_config_static_selectorELNS0_4arch9wavefront6targetE0EEEvSQ_,"axG",@progbits,_ZN7rocprim17ROCPRIM_400000_NS6detail17trampoline_kernelINS0_14default_configENS1_22reduce_config_selectorIbEEZNS1_11reduce_implILb1ES3_N6hipcub16HIPCUB_304000_NS22TransformInputIteratorIbN2at6native12_GLOBAL__N_19NonZeroOpIdEEPKdlEEPiiNS8_6detail34convert_binary_result_type_wrapperINS8_3SumESH_iEEEE10hipError_tPvRmT1_T2_T3_mT4_P12ihipStream_tbEUlT_E0_NS1_11comp_targetILNS1_3genE5ELNS1_11target_archE942ELNS1_3gpuE9ELNS1_3repE0EEENS1_30default_config_static_selectorELNS0_4arch9wavefront6targetE0EEEvSQ_,comdat
	.globl	_ZN7rocprim17ROCPRIM_400000_NS6detail17trampoline_kernelINS0_14default_configENS1_22reduce_config_selectorIbEEZNS1_11reduce_implILb1ES3_N6hipcub16HIPCUB_304000_NS22TransformInputIteratorIbN2at6native12_GLOBAL__N_19NonZeroOpIdEEPKdlEEPiiNS8_6detail34convert_binary_result_type_wrapperINS8_3SumESH_iEEEE10hipError_tPvRmT1_T2_T3_mT4_P12ihipStream_tbEUlT_E0_NS1_11comp_targetILNS1_3genE5ELNS1_11target_archE942ELNS1_3gpuE9ELNS1_3repE0EEENS1_30default_config_static_selectorELNS0_4arch9wavefront6targetE0EEEvSQ_ ; -- Begin function _ZN7rocprim17ROCPRIM_400000_NS6detail17trampoline_kernelINS0_14default_configENS1_22reduce_config_selectorIbEEZNS1_11reduce_implILb1ES3_N6hipcub16HIPCUB_304000_NS22TransformInputIteratorIbN2at6native12_GLOBAL__N_19NonZeroOpIdEEPKdlEEPiiNS8_6detail34convert_binary_result_type_wrapperINS8_3SumESH_iEEEE10hipError_tPvRmT1_T2_T3_mT4_P12ihipStream_tbEUlT_E0_NS1_11comp_targetILNS1_3genE5ELNS1_11target_archE942ELNS1_3gpuE9ELNS1_3repE0EEENS1_30default_config_static_selectorELNS0_4arch9wavefront6targetE0EEEvSQ_
	.p2align	8
	.type	_ZN7rocprim17ROCPRIM_400000_NS6detail17trampoline_kernelINS0_14default_configENS1_22reduce_config_selectorIbEEZNS1_11reduce_implILb1ES3_N6hipcub16HIPCUB_304000_NS22TransformInputIteratorIbN2at6native12_GLOBAL__N_19NonZeroOpIdEEPKdlEEPiiNS8_6detail34convert_binary_result_type_wrapperINS8_3SumESH_iEEEE10hipError_tPvRmT1_T2_T3_mT4_P12ihipStream_tbEUlT_E0_NS1_11comp_targetILNS1_3genE5ELNS1_11target_archE942ELNS1_3gpuE9ELNS1_3repE0EEENS1_30default_config_static_selectorELNS0_4arch9wavefront6targetE0EEEvSQ_,@function
_ZN7rocprim17ROCPRIM_400000_NS6detail17trampoline_kernelINS0_14default_configENS1_22reduce_config_selectorIbEEZNS1_11reduce_implILb1ES3_N6hipcub16HIPCUB_304000_NS22TransformInputIteratorIbN2at6native12_GLOBAL__N_19NonZeroOpIdEEPKdlEEPiiNS8_6detail34convert_binary_result_type_wrapperINS8_3SumESH_iEEEE10hipError_tPvRmT1_T2_T3_mT4_P12ihipStream_tbEUlT_E0_NS1_11comp_targetILNS1_3genE5ELNS1_11target_archE942ELNS1_3gpuE9ELNS1_3repE0EEENS1_30default_config_static_selectorELNS0_4arch9wavefront6targetE0EEEvSQ_: ; @_ZN7rocprim17ROCPRIM_400000_NS6detail17trampoline_kernelINS0_14default_configENS1_22reduce_config_selectorIbEEZNS1_11reduce_implILb1ES3_N6hipcub16HIPCUB_304000_NS22TransformInputIteratorIbN2at6native12_GLOBAL__N_19NonZeroOpIdEEPKdlEEPiiNS8_6detail34convert_binary_result_type_wrapperINS8_3SumESH_iEEEE10hipError_tPvRmT1_T2_T3_mT4_P12ihipStream_tbEUlT_E0_NS1_11comp_targetILNS1_3genE5ELNS1_11target_archE942ELNS1_3gpuE9ELNS1_3repE0EEENS1_30default_config_static_selectorELNS0_4arch9wavefront6targetE0EEEvSQ_
; %bb.0:
	.section	.rodata,"a",@progbits
	.p2align	6, 0x0
	.amdhsa_kernel _ZN7rocprim17ROCPRIM_400000_NS6detail17trampoline_kernelINS0_14default_configENS1_22reduce_config_selectorIbEEZNS1_11reduce_implILb1ES3_N6hipcub16HIPCUB_304000_NS22TransformInputIteratorIbN2at6native12_GLOBAL__N_19NonZeroOpIdEEPKdlEEPiiNS8_6detail34convert_binary_result_type_wrapperINS8_3SumESH_iEEEE10hipError_tPvRmT1_T2_T3_mT4_P12ihipStream_tbEUlT_E0_NS1_11comp_targetILNS1_3genE5ELNS1_11target_archE942ELNS1_3gpuE9ELNS1_3repE0EEENS1_30default_config_static_selectorELNS0_4arch9wavefront6targetE0EEEvSQ_
		.amdhsa_group_segment_fixed_size 0
		.amdhsa_private_segment_fixed_size 0
		.amdhsa_kernarg_size 64
		.amdhsa_user_sgpr_count 2
		.amdhsa_user_sgpr_dispatch_ptr 0
		.amdhsa_user_sgpr_queue_ptr 0
		.amdhsa_user_sgpr_kernarg_segment_ptr 1
		.amdhsa_user_sgpr_dispatch_id 0
		.amdhsa_user_sgpr_private_segment_size 0
		.amdhsa_wavefront_size32 1
		.amdhsa_uses_dynamic_stack 0
		.amdhsa_enable_private_segment 0
		.amdhsa_system_sgpr_workgroup_id_x 1
		.amdhsa_system_sgpr_workgroup_id_y 0
		.amdhsa_system_sgpr_workgroup_id_z 0
		.amdhsa_system_sgpr_workgroup_info 0
		.amdhsa_system_vgpr_workitem_id 0
		.amdhsa_next_free_vgpr 1
		.amdhsa_next_free_sgpr 1
		.amdhsa_reserve_vcc 0
		.amdhsa_float_round_mode_32 0
		.amdhsa_float_round_mode_16_64 0
		.amdhsa_float_denorm_mode_32 3
		.amdhsa_float_denorm_mode_16_64 3
		.amdhsa_fp16_overflow 0
		.amdhsa_workgroup_processor_mode 1
		.amdhsa_memory_ordered 1
		.amdhsa_forward_progress 1
		.amdhsa_inst_pref_size 0
		.amdhsa_round_robin_scheduling 0
		.amdhsa_exception_fp_ieee_invalid_op 0
		.amdhsa_exception_fp_denorm_src 0
		.amdhsa_exception_fp_ieee_div_zero 0
		.amdhsa_exception_fp_ieee_overflow 0
		.amdhsa_exception_fp_ieee_underflow 0
		.amdhsa_exception_fp_ieee_inexact 0
		.amdhsa_exception_int_div_zero 0
	.end_amdhsa_kernel
	.section	.text._ZN7rocprim17ROCPRIM_400000_NS6detail17trampoline_kernelINS0_14default_configENS1_22reduce_config_selectorIbEEZNS1_11reduce_implILb1ES3_N6hipcub16HIPCUB_304000_NS22TransformInputIteratorIbN2at6native12_GLOBAL__N_19NonZeroOpIdEEPKdlEEPiiNS8_6detail34convert_binary_result_type_wrapperINS8_3SumESH_iEEEE10hipError_tPvRmT1_T2_T3_mT4_P12ihipStream_tbEUlT_E0_NS1_11comp_targetILNS1_3genE5ELNS1_11target_archE942ELNS1_3gpuE9ELNS1_3repE0EEENS1_30default_config_static_selectorELNS0_4arch9wavefront6targetE0EEEvSQ_,"axG",@progbits,_ZN7rocprim17ROCPRIM_400000_NS6detail17trampoline_kernelINS0_14default_configENS1_22reduce_config_selectorIbEEZNS1_11reduce_implILb1ES3_N6hipcub16HIPCUB_304000_NS22TransformInputIteratorIbN2at6native12_GLOBAL__N_19NonZeroOpIdEEPKdlEEPiiNS8_6detail34convert_binary_result_type_wrapperINS8_3SumESH_iEEEE10hipError_tPvRmT1_T2_T3_mT4_P12ihipStream_tbEUlT_E0_NS1_11comp_targetILNS1_3genE5ELNS1_11target_archE942ELNS1_3gpuE9ELNS1_3repE0EEENS1_30default_config_static_selectorELNS0_4arch9wavefront6targetE0EEEvSQ_,comdat
.Lfunc_end373:
	.size	_ZN7rocprim17ROCPRIM_400000_NS6detail17trampoline_kernelINS0_14default_configENS1_22reduce_config_selectorIbEEZNS1_11reduce_implILb1ES3_N6hipcub16HIPCUB_304000_NS22TransformInputIteratorIbN2at6native12_GLOBAL__N_19NonZeroOpIdEEPKdlEEPiiNS8_6detail34convert_binary_result_type_wrapperINS8_3SumESH_iEEEE10hipError_tPvRmT1_T2_T3_mT4_P12ihipStream_tbEUlT_E0_NS1_11comp_targetILNS1_3genE5ELNS1_11target_archE942ELNS1_3gpuE9ELNS1_3repE0EEENS1_30default_config_static_selectorELNS0_4arch9wavefront6targetE0EEEvSQ_, .Lfunc_end373-_ZN7rocprim17ROCPRIM_400000_NS6detail17trampoline_kernelINS0_14default_configENS1_22reduce_config_selectorIbEEZNS1_11reduce_implILb1ES3_N6hipcub16HIPCUB_304000_NS22TransformInputIteratorIbN2at6native12_GLOBAL__N_19NonZeroOpIdEEPKdlEEPiiNS8_6detail34convert_binary_result_type_wrapperINS8_3SumESH_iEEEE10hipError_tPvRmT1_T2_T3_mT4_P12ihipStream_tbEUlT_E0_NS1_11comp_targetILNS1_3genE5ELNS1_11target_archE942ELNS1_3gpuE9ELNS1_3repE0EEENS1_30default_config_static_selectorELNS0_4arch9wavefront6targetE0EEEvSQ_
                                        ; -- End function
	.set _ZN7rocprim17ROCPRIM_400000_NS6detail17trampoline_kernelINS0_14default_configENS1_22reduce_config_selectorIbEEZNS1_11reduce_implILb1ES3_N6hipcub16HIPCUB_304000_NS22TransformInputIteratorIbN2at6native12_GLOBAL__N_19NonZeroOpIdEEPKdlEEPiiNS8_6detail34convert_binary_result_type_wrapperINS8_3SumESH_iEEEE10hipError_tPvRmT1_T2_T3_mT4_P12ihipStream_tbEUlT_E0_NS1_11comp_targetILNS1_3genE5ELNS1_11target_archE942ELNS1_3gpuE9ELNS1_3repE0EEENS1_30default_config_static_selectorELNS0_4arch9wavefront6targetE0EEEvSQ_.num_vgpr, 0
	.set _ZN7rocprim17ROCPRIM_400000_NS6detail17trampoline_kernelINS0_14default_configENS1_22reduce_config_selectorIbEEZNS1_11reduce_implILb1ES3_N6hipcub16HIPCUB_304000_NS22TransformInputIteratorIbN2at6native12_GLOBAL__N_19NonZeroOpIdEEPKdlEEPiiNS8_6detail34convert_binary_result_type_wrapperINS8_3SumESH_iEEEE10hipError_tPvRmT1_T2_T3_mT4_P12ihipStream_tbEUlT_E0_NS1_11comp_targetILNS1_3genE5ELNS1_11target_archE942ELNS1_3gpuE9ELNS1_3repE0EEENS1_30default_config_static_selectorELNS0_4arch9wavefront6targetE0EEEvSQ_.num_agpr, 0
	.set _ZN7rocprim17ROCPRIM_400000_NS6detail17trampoline_kernelINS0_14default_configENS1_22reduce_config_selectorIbEEZNS1_11reduce_implILb1ES3_N6hipcub16HIPCUB_304000_NS22TransformInputIteratorIbN2at6native12_GLOBAL__N_19NonZeroOpIdEEPKdlEEPiiNS8_6detail34convert_binary_result_type_wrapperINS8_3SumESH_iEEEE10hipError_tPvRmT1_T2_T3_mT4_P12ihipStream_tbEUlT_E0_NS1_11comp_targetILNS1_3genE5ELNS1_11target_archE942ELNS1_3gpuE9ELNS1_3repE0EEENS1_30default_config_static_selectorELNS0_4arch9wavefront6targetE0EEEvSQ_.numbered_sgpr, 0
	.set _ZN7rocprim17ROCPRIM_400000_NS6detail17trampoline_kernelINS0_14default_configENS1_22reduce_config_selectorIbEEZNS1_11reduce_implILb1ES3_N6hipcub16HIPCUB_304000_NS22TransformInputIteratorIbN2at6native12_GLOBAL__N_19NonZeroOpIdEEPKdlEEPiiNS8_6detail34convert_binary_result_type_wrapperINS8_3SumESH_iEEEE10hipError_tPvRmT1_T2_T3_mT4_P12ihipStream_tbEUlT_E0_NS1_11comp_targetILNS1_3genE5ELNS1_11target_archE942ELNS1_3gpuE9ELNS1_3repE0EEENS1_30default_config_static_selectorELNS0_4arch9wavefront6targetE0EEEvSQ_.num_named_barrier, 0
	.set _ZN7rocprim17ROCPRIM_400000_NS6detail17trampoline_kernelINS0_14default_configENS1_22reduce_config_selectorIbEEZNS1_11reduce_implILb1ES3_N6hipcub16HIPCUB_304000_NS22TransformInputIteratorIbN2at6native12_GLOBAL__N_19NonZeroOpIdEEPKdlEEPiiNS8_6detail34convert_binary_result_type_wrapperINS8_3SumESH_iEEEE10hipError_tPvRmT1_T2_T3_mT4_P12ihipStream_tbEUlT_E0_NS1_11comp_targetILNS1_3genE5ELNS1_11target_archE942ELNS1_3gpuE9ELNS1_3repE0EEENS1_30default_config_static_selectorELNS0_4arch9wavefront6targetE0EEEvSQ_.private_seg_size, 0
	.set _ZN7rocprim17ROCPRIM_400000_NS6detail17trampoline_kernelINS0_14default_configENS1_22reduce_config_selectorIbEEZNS1_11reduce_implILb1ES3_N6hipcub16HIPCUB_304000_NS22TransformInputIteratorIbN2at6native12_GLOBAL__N_19NonZeroOpIdEEPKdlEEPiiNS8_6detail34convert_binary_result_type_wrapperINS8_3SumESH_iEEEE10hipError_tPvRmT1_T2_T3_mT4_P12ihipStream_tbEUlT_E0_NS1_11comp_targetILNS1_3genE5ELNS1_11target_archE942ELNS1_3gpuE9ELNS1_3repE0EEENS1_30default_config_static_selectorELNS0_4arch9wavefront6targetE0EEEvSQ_.uses_vcc, 0
	.set _ZN7rocprim17ROCPRIM_400000_NS6detail17trampoline_kernelINS0_14default_configENS1_22reduce_config_selectorIbEEZNS1_11reduce_implILb1ES3_N6hipcub16HIPCUB_304000_NS22TransformInputIteratorIbN2at6native12_GLOBAL__N_19NonZeroOpIdEEPKdlEEPiiNS8_6detail34convert_binary_result_type_wrapperINS8_3SumESH_iEEEE10hipError_tPvRmT1_T2_T3_mT4_P12ihipStream_tbEUlT_E0_NS1_11comp_targetILNS1_3genE5ELNS1_11target_archE942ELNS1_3gpuE9ELNS1_3repE0EEENS1_30default_config_static_selectorELNS0_4arch9wavefront6targetE0EEEvSQ_.uses_flat_scratch, 0
	.set _ZN7rocprim17ROCPRIM_400000_NS6detail17trampoline_kernelINS0_14default_configENS1_22reduce_config_selectorIbEEZNS1_11reduce_implILb1ES3_N6hipcub16HIPCUB_304000_NS22TransformInputIteratorIbN2at6native12_GLOBAL__N_19NonZeroOpIdEEPKdlEEPiiNS8_6detail34convert_binary_result_type_wrapperINS8_3SumESH_iEEEE10hipError_tPvRmT1_T2_T3_mT4_P12ihipStream_tbEUlT_E0_NS1_11comp_targetILNS1_3genE5ELNS1_11target_archE942ELNS1_3gpuE9ELNS1_3repE0EEENS1_30default_config_static_selectorELNS0_4arch9wavefront6targetE0EEEvSQ_.has_dyn_sized_stack, 0
	.set _ZN7rocprim17ROCPRIM_400000_NS6detail17trampoline_kernelINS0_14default_configENS1_22reduce_config_selectorIbEEZNS1_11reduce_implILb1ES3_N6hipcub16HIPCUB_304000_NS22TransformInputIteratorIbN2at6native12_GLOBAL__N_19NonZeroOpIdEEPKdlEEPiiNS8_6detail34convert_binary_result_type_wrapperINS8_3SumESH_iEEEE10hipError_tPvRmT1_T2_T3_mT4_P12ihipStream_tbEUlT_E0_NS1_11comp_targetILNS1_3genE5ELNS1_11target_archE942ELNS1_3gpuE9ELNS1_3repE0EEENS1_30default_config_static_selectorELNS0_4arch9wavefront6targetE0EEEvSQ_.has_recursion, 0
	.set _ZN7rocprim17ROCPRIM_400000_NS6detail17trampoline_kernelINS0_14default_configENS1_22reduce_config_selectorIbEEZNS1_11reduce_implILb1ES3_N6hipcub16HIPCUB_304000_NS22TransformInputIteratorIbN2at6native12_GLOBAL__N_19NonZeroOpIdEEPKdlEEPiiNS8_6detail34convert_binary_result_type_wrapperINS8_3SumESH_iEEEE10hipError_tPvRmT1_T2_T3_mT4_P12ihipStream_tbEUlT_E0_NS1_11comp_targetILNS1_3genE5ELNS1_11target_archE942ELNS1_3gpuE9ELNS1_3repE0EEENS1_30default_config_static_selectorELNS0_4arch9wavefront6targetE0EEEvSQ_.has_indirect_call, 0
	.section	.AMDGPU.csdata,"",@progbits
; Kernel info:
; codeLenInByte = 0
; TotalNumSgprs: 0
; NumVgprs: 0
; ScratchSize: 0
; MemoryBound: 0
; FloatMode: 240
; IeeeMode: 1
; LDSByteSize: 0 bytes/workgroup (compile time only)
; SGPRBlocks: 0
; VGPRBlocks: 0
; NumSGPRsForWavesPerEU: 1
; NumVGPRsForWavesPerEU: 1
; Occupancy: 16
; WaveLimiterHint : 0
; COMPUTE_PGM_RSRC2:SCRATCH_EN: 0
; COMPUTE_PGM_RSRC2:USER_SGPR: 2
; COMPUTE_PGM_RSRC2:TRAP_HANDLER: 0
; COMPUTE_PGM_RSRC2:TGID_X_EN: 1
; COMPUTE_PGM_RSRC2:TGID_Y_EN: 0
; COMPUTE_PGM_RSRC2:TGID_Z_EN: 0
; COMPUTE_PGM_RSRC2:TIDIG_COMP_CNT: 0
	.section	.text._ZN7rocprim17ROCPRIM_400000_NS6detail17trampoline_kernelINS0_14default_configENS1_22reduce_config_selectorIbEEZNS1_11reduce_implILb1ES3_N6hipcub16HIPCUB_304000_NS22TransformInputIteratorIbN2at6native12_GLOBAL__N_19NonZeroOpIdEEPKdlEEPiiNS8_6detail34convert_binary_result_type_wrapperINS8_3SumESH_iEEEE10hipError_tPvRmT1_T2_T3_mT4_P12ihipStream_tbEUlT_E0_NS1_11comp_targetILNS1_3genE4ELNS1_11target_archE910ELNS1_3gpuE8ELNS1_3repE0EEENS1_30default_config_static_selectorELNS0_4arch9wavefront6targetE0EEEvSQ_,"axG",@progbits,_ZN7rocprim17ROCPRIM_400000_NS6detail17trampoline_kernelINS0_14default_configENS1_22reduce_config_selectorIbEEZNS1_11reduce_implILb1ES3_N6hipcub16HIPCUB_304000_NS22TransformInputIteratorIbN2at6native12_GLOBAL__N_19NonZeroOpIdEEPKdlEEPiiNS8_6detail34convert_binary_result_type_wrapperINS8_3SumESH_iEEEE10hipError_tPvRmT1_T2_T3_mT4_P12ihipStream_tbEUlT_E0_NS1_11comp_targetILNS1_3genE4ELNS1_11target_archE910ELNS1_3gpuE8ELNS1_3repE0EEENS1_30default_config_static_selectorELNS0_4arch9wavefront6targetE0EEEvSQ_,comdat
	.globl	_ZN7rocprim17ROCPRIM_400000_NS6detail17trampoline_kernelINS0_14default_configENS1_22reduce_config_selectorIbEEZNS1_11reduce_implILb1ES3_N6hipcub16HIPCUB_304000_NS22TransformInputIteratorIbN2at6native12_GLOBAL__N_19NonZeroOpIdEEPKdlEEPiiNS8_6detail34convert_binary_result_type_wrapperINS8_3SumESH_iEEEE10hipError_tPvRmT1_T2_T3_mT4_P12ihipStream_tbEUlT_E0_NS1_11comp_targetILNS1_3genE4ELNS1_11target_archE910ELNS1_3gpuE8ELNS1_3repE0EEENS1_30default_config_static_selectorELNS0_4arch9wavefront6targetE0EEEvSQ_ ; -- Begin function _ZN7rocprim17ROCPRIM_400000_NS6detail17trampoline_kernelINS0_14default_configENS1_22reduce_config_selectorIbEEZNS1_11reduce_implILb1ES3_N6hipcub16HIPCUB_304000_NS22TransformInputIteratorIbN2at6native12_GLOBAL__N_19NonZeroOpIdEEPKdlEEPiiNS8_6detail34convert_binary_result_type_wrapperINS8_3SumESH_iEEEE10hipError_tPvRmT1_T2_T3_mT4_P12ihipStream_tbEUlT_E0_NS1_11comp_targetILNS1_3genE4ELNS1_11target_archE910ELNS1_3gpuE8ELNS1_3repE0EEENS1_30default_config_static_selectorELNS0_4arch9wavefront6targetE0EEEvSQ_
	.p2align	8
	.type	_ZN7rocprim17ROCPRIM_400000_NS6detail17trampoline_kernelINS0_14default_configENS1_22reduce_config_selectorIbEEZNS1_11reduce_implILb1ES3_N6hipcub16HIPCUB_304000_NS22TransformInputIteratorIbN2at6native12_GLOBAL__N_19NonZeroOpIdEEPKdlEEPiiNS8_6detail34convert_binary_result_type_wrapperINS8_3SumESH_iEEEE10hipError_tPvRmT1_T2_T3_mT4_P12ihipStream_tbEUlT_E0_NS1_11comp_targetILNS1_3genE4ELNS1_11target_archE910ELNS1_3gpuE8ELNS1_3repE0EEENS1_30default_config_static_selectorELNS0_4arch9wavefront6targetE0EEEvSQ_,@function
_ZN7rocprim17ROCPRIM_400000_NS6detail17trampoline_kernelINS0_14default_configENS1_22reduce_config_selectorIbEEZNS1_11reduce_implILb1ES3_N6hipcub16HIPCUB_304000_NS22TransformInputIteratorIbN2at6native12_GLOBAL__N_19NonZeroOpIdEEPKdlEEPiiNS8_6detail34convert_binary_result_type_wrapperINS8_3SumESH_iEEEE10hipError_tPvRmT1_T2_T3_mT4_P12ihipStream_tbEUlT_E0_NS1_11comp_targetILNS1_3genE4ELNS1_11target_archE910ELNS1_3gpuE8ELNS1_3repE0EEENS1_30default_config_static_selectorELNS0_4arch9wavefront6targetE0EEEvSQ_: ; @_ZN7rocprim17ROCPRIM_400000_NS6detail17trampoline_kernelINS0_14default_configENS1_22reduce_config_selectorIbEEZNS1_11reduce_implILb1ES3_N6hipcub16HIPCUB_304000_NS22TransformInputIteratorIbN2at6native12_GLOBAL__N_19NonZeroOpIdEEPKdlEEPiiNS8_6detail34convert_binary_result_type_wrapperINS8_3SumESH_iEEEE10hipError_tPvRmT1_T2_T3_mT4_P12ihipStream_tbEUlT_E0_NS1_11comp_targetILNS1_3genE4ELNS1_11target_archE910ELNS1_3gpuE8ELNS1_3repE0EEENS1_30default_config_static_selectorELNS0_4arch9wavefront6targetE0EEEvSQ_
; %bb.0:
	.section	.rodata,"a",@progbits
	.p2align	6, 0x0
	.amdhsa_kernel _ZN7rocprim17ROCPRIM_400000_NS6detail17trampoline_kernelINS0_14default_configENS1_22reduce_config_selectorIbEEZNS1_11reduce_implILb1ES3_N6hipcub16HIPCUB_304000_NS22TransformInputIteratorIbN2at6native12_GLOBAL__N_19NonZeroOpIdEEPKdlEEPiiNS8_6detail34convert_binary_result_type_wrapperINS8_3SumESH_iEEEE10hipError_tPvRmT1_T2_T3_mT4_P12ihipStream_tbEUlT_E0_NS1_11comp_targetILNS1_3genE4ELNS1_11target_archE910ELNS1_3gpuE8ELNS1_3repE0EEENS1_30default_config_static_selectorELNS0_4arch9wavefront6targetE0EEEvSQ_
		.amdhsa_group_segment_fixed_size 0
		.amdhsa_private_segment_fixed_size 0
		.amdhsa_kernarg_size 64
		.amdhsa_user_sgpr_count 2
		.amdhsa_user_sgpr_dispatch_ptr 0
		.amdhsa_user_sgpr_queue_ptr 0
		.amdhsa_user_sgpr_kernarg_segment_ptr 1
		.amdhsa_user_sgpr_dispatch_id 0
		.amdhsa_user_sgpr_private_segment_size 0
		.amdhsa_wavefront_size32 1
		.amdhsa_uses_dynamic_stack 0
		.amdhsa_enable_private_segment 0
		.amdhsa_system_sgpr_workgroup_id_x 1
		.amdhsa_system_sgpr_workgroup_id_y 0
		.amdhsa_system_sgpr_workgroup_id_z 0
		.amdhsa_system_sgpr_workgroup_info 0
		.amdhsa_system_vgpr_workitem_id 0
		.amdhsa_next_free_vgpr 1
		.amdhsa_next_free_sgpr 1
		.amdhsa_reserve_vcc 0
		.amdhsa_float_round_mode_32 0
		.amdhsa_float_round_mode_16_64 0
		.amdhsa_float_denorm_mode_32 3
		.amdhsa_float_denorm_mode_16_64 3
		.amdhsa_fp16_overflow 0
		.amdhsa_workgroup_processor_mode 1
		.amdhsa_memory_ordered 1
		.amdhsa_forward_progress 1
		.amdhsa_inst_pref_size 0
		.amdhsa_round_robin_scheduling 0
		.amdhsa_exception_fp_ieee_invalid_op 0
		.amdhsa_exception_fp_denorm_src 0
		.amdhsa_exception_fp_ieee_div_zero 0
		.amdhsa_exception_fp_ieee_overflow 0
		.amdhsa_exception_fp_ieee_underflow 0
		.amdhsa_exception_fp_ieee_inexact 0
		.amdhsa_exception_int_div_zero 0
	.end_amdhsa_kernel
	.section	.text._ZN7rocprim17ROCPRIM_400000_NS6detail17trampoline_kernelINS0_14default_configENS1_22reduce_config_selectorIbEEZNS1_11reduce_implILb1ES3_N6hipcub16HIPCUB_304000_NS22TransformInputIteratorIbN2at6native12_GLOBAL__N_19NonZeroOpIdEEPKdlEEPiiNS8_6detail34convert_binary_result_type_wrapperINS8_3SumESH_iEEEE10hipError_tPvRmT1_T2_T3_mT4_P12ihipStream_tbEUlT_E0_NS1_11comp_targetILNS1_3genE4ELNS1_11target_archE910ELNS1_3gpuE8ELNS1_3repE0EEENS1_30default_config_static_selectorELNS0_4arch9wavefront6targetE0EEEvSQ_,"axG",@progbits,_ZN7rocprim17ROCPRIM_400000_NS6detail17trampoline_kernelINS0_14default_configENS1_22reduce_config_selectorIbEEZNS1_11reduce_implILb1ES3_N6hipcub16HIPCUB_304000_NS22TransformInputIteratorIbN2at6native12_GLOBAL__N_19NonZeroOpIdEEPKdlEEPiiNS8_6detail34convert_binary_result_type_wrapperINS8_3SumESH_iEEEE10hipError_tPvRmT1_T2_T3_mT4_P12ihipStream_tbEUlT_E0_NS1_11comp_targetILNS1_3genE4ELNS1_11target_archE910ELNS1_3gpuE8ELNS1_3repE0EEENS1_30default_config_static_selectorELNS0_4arch9wavefront6targetE0EEEvSQ_,comdat
.Lfunc_end374:
	.size	_ZN7rocprim17ROCPRIM_400000_NS6detail17trampoline_kernelINS0_14default_configENS1_22reduce_config_selectorIbEEZNS1_11reduce_implILb1ES3_N6hipcub16HIPCUB_304000_NS22TransformInputIteratorIbN2at6native12_GLOBAL__N_19NonZeroOpIdEEPKdlEEPiiNS8_6detail34convert_binary_result_type_wrapperINS8_3SumESH_iEEEE10hipError_tPvRmT1_T2_T3_mT4_P12ihipStream_tbEUlT_E0_NS1_11comp_targetILNS1_3genE4ELNS1_11target_archE910ELNS1_3gpuE8ELNS1_3repE0EEENS1_30default_config_static_selectorELNS0_4arch9wavefront6targetE0EEEvSQ_, .Lfunc_end374-_ZN7rocprim17ROCPRIM_400000_NS6detail17trampoline_kernelINS0_14default_configENS1_22reduce_config_selectorIbEEZNS1_11reduce_implILb1ES3_N6hipcub16HIPCUB_304000_NS22TransformInputIteratorIbN2at6native12_GLOBAL__N_19NonZeroOpIdEEPKdlEEPiiNS8_6detail34convert_binary_result_type_wrapperINS8_3SumESH_iEEEE10hipError_tPvRmT1_T2_T3_mT4_P12ihipStream_tbEUlT_E0_NS1_11comp_targetILNS1_3genE4ELNS1_11target_archE910ELNS1_3gpuE8ELNS1_3repE0EEENS1_30default_config_static_selectorELNS0_4arch9wavefront6targetE0EEEvSQ_
                                        ; -- End function
	.set _ZN7rocprim17ROCPRIM_400000_NS6detail17trampoline_kernelINS0_14default_configENS1_22reduce_config_selectorIbEEZNS1_11reduce_implILb1ES3_N6hipcub16HIPCUB_304000_NS22TransformInputIteratorIbN2at6native12_GLOBAL__N_19NonZeroOpIdEEPKdlEEPiiNS8_6detail34convert_binary_result_type_wrapperINS8_3SumESH_iEEEE10hipError_tPvRmT1_T2_T3_mT4_P12ihipStream_tbEUlT_E0_NS1_11comp_targetILNS1_3genE4ELNS1_11target_archE910ELNS1_3gpuE8ELNS1_3repE0EEENS1_30default_config_static_selectorELNS0_4arch9wavefront6targetE0EEEvSQ_.num_vgpr, 0
	.set _ZN7rocprim17ROCPRIM_400000_NS6detail17trampoline_kernelINS0_14default_configENS1_22reduce_config_selectorIbEEZNS1_11reduce_implILb1ES3_N6hipcub16HIPCUB_304000_NS22TransformInputIteratorIbN2at6native12_GLOBAL__N_19NonZeroOpIdEEPKdlEEPiiNS8_6detail34convert_binary_result_type_wrapperINS8_3SumESH_iEEEE10hipError_tPvRmT1_T2_T3_mT4_P12ihipStream_tbEUlT_E0_NS1_11comp_targetILNS1_3genE4ELNS1_11target_archE910ELNS1_3gpuE8ELNS1_3repE0EEENS1_30default_config_static_selectorELNS0_4arch9wavefront6targetE0EEEvSQ_.num_agpr, 0
	.set _ZN7rocprim17ROCPRIM_400000_NS6detail17trampoline_kernelINS0_14default_configENS1_22reduce_config_selectorIbEEZNS1_11reduce_implILb1ES3_N6hipcub16HIPCUB_304000_NS22TransformInputIteratorIbN2at6native12_GLOBAL__N_19NonZeroOpIdEEPKdlEEPiiNS8_6detail34convert_binary_result_type_wrapperINS8_3SumESH_iEEEE10hipError_tPvRmT1_T2_T3_mT4_P12ihipStream_tbEUlT_E0_NS1_11comp_targetILNS1_3genE4ELNS1_11target_archE910ELNS1_3gpuE8ELNS1_3repE0EEENS1_30default_config_static_selectorELNS0_4arch9wavefront6targetE0EEEvSQ_.numbered_sgpr, 0
	.set _ZN7rocprim17ROCPRIM_400000_NS6detail17trampoline_kernelINS0_14default_configENS1_22reduce_config_selectorIbEEZNS1_11reduce_implILb1ES3_N6hipcub16HIPCUB_304000_NS22TransformInputIteratorIbN2at6native12_GLOBAL__N_19NonZeroOpIdEEPKdlEEPiiNS8_6detail34convert_binary_result_type_wrapperINS8_3SumESH_iEEEE10hipError_tPvRmT1_T2_T3_mT4_P12ihipStream_tbEUlT_E0_NS1_11comp_targetILNS1_3genE4ELNS1_11target_archE910ELNS1_3gpuE8ELNS1_3repE0EEENS1_30default_config_static_selectorELNS0_4arch9wavefront6targetE0EEEvSQ_.num_named_barrier, 0
	.set _ZN7rocprim17ROCPRIM_400000_NS6detail17trampoline_kernelINS0_14default_configENS1_22reduce_config_selectorIbEEZNS1_11reduce_implILb1ES3_N6hipcub16HIPCUB_304000_NS22TransformInputIteratorIbN2at6native12_GLOBAL__N_19NonZeroOpIdEEPKdlEEPiiNS8_6detail34convert_binary_result_type_wrapperINS8_3SumESH_iEEEE10hipError_tPvRmT1_T2_T3_mT4_P12ihipStream_tbEUlT_E0_NS1_11comp_targetILNS1_3genE4ELNS1_11target_archE910ELNS1_3gpuE8ELNS1_3repE0EEENS1_30default_config_static_selectorELNS0_4arch9wavefront6targetE0EEEvSQ_.private_seg_size, 0
	.set _ZN7rocprim17ROCPRIM_400000_NS6detail17trampoline_kernelINS0_14default_configENS1_22reduce_config_selectorIbEEZNS1_11reduce_implILb1ES3_N6hipcub16HIPCUB_304000_NS22TransformInputIteratorIbN2at6native12_GLOBAL__N_19NonZeroOpIdEEPKdlEEPiiNS8_6detail34convert_binary_result_type_wrapperINS8_3SumESH_iEEEE10hipError_tPvRmT1_T2_T3_mT4_P12ihipStream_tbEUlT_E0_NS1_11comp_targetILNS1_3genE4ELNS1_11target_archE910ELNS1_3gpuE8ELNS1_3repE0EEENS1_30default_config_static_selectorELNS0_4arch9wavefront6targetE0EEEvSQ_.uses_vcc, 0
	.set _ZN7rocprim17ROCPRIM_400000_NS6detail17trampoline_kernelINS0_14default_configENS1_22reduce_config_selectorIbEEZNS1_11reduce_implILb1ES3_N6hipcub16HIPCUB_304000_NS22TransformInputIteratorIbN2at6native12_GLOBAL__N_19NonZeroOpIdEEPKdlEEPiiNS8_6detail34convert_binary_result_type_wrapperINS8_3SumESH_iEEEE10hipError_tPvRmT1_T2_T3_mT4_P12ihipStream_tbEUlT_E0_NS1_11comp_targetILNS1_3genE4ELNS1_11target_archE910ELNS1_3gpuE8ELNS1_3repE0EEENS1_30default_config_static_selectorELNS0_4arch9wavefront6targetE0EEEvSQ_.uses_flat_scratch, 0
	.set _ZN7rocprim17ROCPRIM_400000_NS6detail17trampoline_kernelINS0_14default_configENS1_22reduce_config_selectorIbEEZNS1_11reduce_implILb1ES3_N6hipcub16HIPCUB_304000_NS22TransformInputIteratorIbN2at6native12_GLOBAL__N_19NonZeroOpIdEEPKdlEEPiiNS8_6detail34convert_binary_result_type_wrapperINS8_3SumESH_iEEEE10hipError_tPvRmT1_T2_T3_mT4_P12ihipStream_tbEUlT_E0_NS1_11comp_targetILNS1_3genE4ELNS1_11target_archE910ELNS1_3gpuE8ELNS1_3repE0EEENS1_30default_config_static_selectorELNS0_4arch9wavefront6targetE0EEEvSQ_.has_dyn_sized_stack, 0
	.set _ZN7rocprim17ROCPRIM_400000_NS6detail17trampoline_kernelINS0_14default_configENS1_22reduce_config_selectorIbEEZNS1_11reduce_implILb1ES3_N6hipcub16HIPCUB_304000_NS22TransformInputIteratorIbN2at6native12_GLOBAL__N_19NonZeroOpIdEEPKdlEEPiiNS8_6detail34convert_binary_result_type_wrapperINS8_3SumESH_iEEEE10hipError_tPvRmT1_T2_T3_mT4_P12ihipStream_tbEUlT_E0_NS1_11comp_targetILNS1_3genE4ELNS1_11target_archE910ELNS1_3gpuE8ELNS1_3repE0EEENS1_30default_config_static_selectorELNS0_4arch9wavefront6targetE0EEEvSQ_.has_recursion, 0
	.set _ZN7rocprim17ROCPRIM_400000_NS6detail17trampoline_kernelINS0_14default_configENS1_22reduce_config_selectorIbEEZNS1_11reduce_implILb1ES3_N6hipcub16HIPCUB_304000_NS22TransformInputIteratorIbN2at6native12_GLOBAL__N_19NonZeroOpIdEEPKdlEEPiiNS8_6detail34convert_binary_result_type_wrapperINS8_3SumESH_iEEEE10hipError_tPvRmT1_T2_T3_mT4_P12ihipStream_tbEUlT_E0_NS1_11comp_targetILNS1_3genE4ELNS1_11target_archE910ELNS1_3gpuE8ELNS1_3repE0EEENS1_30default_config_static_selectorELNS0_4arch9wavefront6targetE0EEEvSQ_.has_indirect_call, 0
	.section	.AMDGPU.csdata,"",@progbits
; Kernel info:
; codeLenInByte = 0
; TotalNumSgprs: 0
; NumVgprs: 0
; ScratchSize: 0
; MemoryBound: 0
; FloatMode: 240
; IeeeMode: 1
; LDSByteSize: 0 bytes/workgroup (compile time only)
; SGPRBlocks: 0
; VGPRBlocks: 0
; NumSGPRsForWavesPerEU: 1
; NumVGPRsForWavesPerEU: 1
; Occupancy: 16
; WaveLimiterHint : 0
; COMPUTE_PGM_RSRC2:SCRATCH_EN: 0
; COMPUTE_PGM_RSRC2:USER_SGPR: 2
; COMPUTE_PGM_RSRC2:TRAP_HANDLER: 0
; COMPUTE_PGM_RSRC2:TGID_X_EN: 1
; COMPUTE_PGM_RSRC2:TGID_Y_EN: 0
; COMPUTE_PGM_RSRC2:TGID_Z_EN: 0
; COMPUTE_PGM_RSRC2:TIDIG_COMP_CNT: 0
	.section	.text._ZN7rocprim17ROCPRIM_400000_NS6detail17trampoline_kernelINS0_14default_configENS1_22reduce_config_selectorIbEEZNS1_11reduce_implILb1ES3_N6hipcub16HIPCUB_304000_NS22TransformInputIteratorIbN2at6native12_GLOBAL__N_19NonZeroOpIdEEPKdlEEPiiNS8_6detail34convert_binary_result_type_wrapperINS8_3SumESH_iEEEE10hipError_tPvRmT1_T2_T3_mT4_P12ihipStream_tbEUlT_E0_NS1_11comp_targetILNS1_3genE3ELNS1_11target_archE908ELNS1_3gpuE7ELNS1_3repE0EEENS1_30default_config_static_selectorELNS0_4arch9wavefront6targetE0EEEvSQ_,"axG",@progbits,_ZN7rocprim17ROCPRIM_400000_NS6detail17trampoline_kernelINS0_14default_configENS1_22reduce_config_selectorIbEEZNS1_11reduce_implILb1ES3_N6hipcub16HIPCUB_304000_NS22TransformInputIteratorIbN2at6native12_GLOBAL__N_19NonZeroOpIdEEPKdlEEPiiNS8_6detail34convert_binary_result_type_wrapperINS8_3SumESH_iEEEE10hipError_tPvRmT1_T2_T3_mT4_P12ihipStream_tbEUlT_E0_NS1_11comp_targetILNS1_3genE3ELNS1_11target_archE908ELNS1_3gpuE7ELNS1_3repE0EEENS1_30default_config_static_selectorELNS0_4arch9wavefront6targetE0EEEvSQ_,comdat
	.globl	_ZN7rocprim17ROCPRIM_400000_NS6detail17trampoline_kernelINS0_14default_configENS1_22reduce_config_selectorIbEEZNS1_11reduce_implILb1ES3_N6hipcub16HIPCUB_304000_NS22TransformInputIteratorIbN2at6native12_GLOBAL__N_19NonZeroOpIdEEPKdlEEPiiNS8_6detail34convert_binary_result_type_wrapperINS8_3SumESH_iEEEE10hipError_tPvRmT1_T2_T3_mT4_P12ihipStream_tbEUlT_E0_NS1_11comp_targetILNS1_3genE3ELNS1_11target_archE908ELNS1_3gpuE7ELNS1_3repE0EEENS1_30default_config_static_selectorELNS0_4arch9wavefront6targetE0EEEvSQ_ ; -- Begin function _ZN7rocprim17ROCPRIM_400000_NS6detail17trampoline_kernelINS0_14default_configENS1_22reduce_config_selectorIbEEZNS1_11reduce_implILb1ES3_N6hipcub16HIPCUB_304000_NS22TransformInputIteratorIbN2at6native12_GLOBAL__N_19NonZeroOpIdEEPKdlEEPiiNS8_6detail34convert_binary_result_type_wrapperINS8_3SumESH_iEEEE10hipError_tPvRmT1_T2_T3_mT4_P12ihipStream_tbEUlT_E0_NS1_11comp_targetILNS1_3genE3ELNS1_11target_archE908ELNS1_3gpuE7ELNS1_3repE0EEENS1_30default_config_static_selectorELNS0_4arch9wavefront6targetE0EEEvSQ_
	.p2align	8
	.type	_ZN7rocprim17ROCPRIM_400000_NS6detail17trampoline_kernelINS0_14default_configENS1_22reduce_config_selectorIbEEZNS1_11reduce_implILb1ES3_N6hipcub16HIPCUB_304000_NS22TransformInputIteratorIbN2at6native12_GLOBAL__N_19NonZeroOpIdEEPKdlEEPiiNS8_6detail34convert_binary_result_type_wrapperINS8_3SumESH_iEEEE10hipError_tPvRmT1_T2_T3_mT4_P12ihipStream_tbEUlT_E0_NS1_11comp_targetILNS1_3genE3ELNS1_11target_archE908ELNS1_3gpuE7ELNS1_3repE0EEENS1_30default_config_static_selectorELNS0_4arch9wavefront6targetE0EEEvSQ_,@function
_ZN7rocprim17ROCPRIM_400000_NS6detail17trampoline_kernelINS0_14default_configENS1_22reduce_config_selectorIbEEZNS1_11reduce_implILb1ES3_N6hipcub16HIPCUB_304000_NS22TransformInputIteratorIbN2at6native12_GLOBAL__N_19NonZeroOpIdEEPKdlEEPiiNS8_6detail34convert_binary_result_type_wrapperINS8_3SumESH_iEEEE10hipError_tPvRmT1_T2_T3_mT4_P12ihipStream_tbEUlT_E0_NS1_11comp_targetILNS1_3genE3ELNS1_11target_archE908ELNS1_3gpuE7ELNS1_3repE0EEENS1_30default_config_static_selectorELNS0_4arch9wavefront6targetE0EEEvSQ_: ; @_ZN7rocprim17ROCPRIM_400000_NS6detail17trampoline_kernelINS0_14default_configENS1_22reduce_config_selectorIbEEZNS1_11reduce_implILb1ES3_N6hipcub16HIPCUB_304000_NS22TransformInputIteratorIbN2at6native12_GLOBAL__N_19NonZeroOpIdEEPKdlEEPiiNS8_6detail34convert_binary_result_type_wrapperINS8_3SumESH_iEEEE10hipError_tPvRmT1_T2_T3_mT4_P12ihipStream_tbEUlT_E0_NS1_11comp_targetILNS1_3genE3ELNS1_11target_archE908ELNS1_3gpuE7ELNS1_3repE0EEENS1_30default_config_static_selectorELNS0_4arch9wavefront6targetE0EEEvSQ_
; %bb.0:
	.section	.rodata,"a",@progbits
	.p2align	6, 0x0
	.amdhsa_kernel _ZN7rocprim17ROCPRIM_400000_NS6detail17trampoline_kernelINS0_14default_configENS1_22reduce_config_selectorIbEEZNS1_11reduce_implILb1ES3_N6hipcub16HIPCUB_304000_NS22TransformInputIteratorIbN2at6native12_GLOBAL__N_19NonZeroOpIdEEPKdlEEPiiNS8_6detail34convert_binary_result_type_wrapperINS8_3SumESH_iEEEE10hipError_tPvRmT1_T2_T3_mT4_P12ihipStream_tbEUlT_E0_NS1_11comp_targetILNS1_3genE3ELNS1_11target_archE908ELNS1_3gpuE7ELNS1_3repE0EEENS1_30default_config_static_selectorELNS0_4arch9wavefront6targetE0EEEvSQ_
		.amdhsa_group_segment_fixed_size 0
		.amdhsa_private_segment_fixed_size 0
		.amdhsa_kernarg_size 64
		.amdhsa_user_sgpr_count 2
		.amdhsa_user_sgpr_dispatch_ptr 0
		.amdhsa_user_sgpr_queue_ptr 0
		.amdhsa_user_sgpr_kernarg_segment_ptr 1
		.amdhsa_user_sgpr_dispatch_id 0
		.amdhsa_user_sgpr_private_segment_size 0
		.amdhsa_wavefront_size32 1
		.amdhsa_uses_dynamic_stack 0
		.amdhsa_enable_private_segment 0
		.amdhsa_system_sgpr_workgroup_id_x 1
		.amdhsa_system_sgpr_workgroup_id_y 0
		.amdhsa_system_sgpr_workgroup_id_z 0
		.amdhsa_system_sgpr_workgroup_info 0
		.amdhsa_system_vgpr_workitem_id 0
		.amdhsa_next_free_vgpr 1
		.amdhsa_next_free_sgpr 1
		.amdhsa_reserve_vcc 0
		.amdhsa_float_round_mode_32 0
		.amdhsa_float_round_mode_16_64 0
		.amdhsa_float_denorm_mode_32 3
		.amdhsa_float_denorm_mode_16_64 3
		.amdhsa_fp16_overflow 0
		.amdhsa_workgroup_processor_mode 1
		.amdhsa_memory_ordered 1
		.amdhsa_forward_progress 1
		.amdhsa_inst_pref_size 0
		.amdhsa_round_robin_scheduling 0
		.amdhsa_exception_fp_ieee_invalid_op 0
		.amdhsa_exception_fp_denorm_src 0
		.amdhsa_exception_fp_ieee_div_zero 0
		.amdhsa_exception_fp_ieee_overflow 0
		.amdhsa_exception_fp_ieee_underflow 0
		.amdhsa_exception_fp_ieee_inexact 0
		.amdhsa_exception_int_div_zero 0
	.end_amdhsa_kernel
	.section	.text._ZN7rocprim17ROCPRIM_400000_NS6detail17trampoline_kernelINS0_14default_configENS1_22reduce_config_selectorIbEEZNS1_11reduce_implILb1ES3_N6hipcub16HIPCUB_304000_NS22TransformInputIteratorIbN2at6native12_GLOBAL__N_19NonZeroOpIdEEPKdlEEPiiNS8_6detail34convert_binary_result_type_wrapperINS8_3SumESH_iEEEE10hipError_tPvRmT1_T2_T3_mT4_P12ihipStream_tbEUlT_E0_NS1_11comp_targetILNS1_3genE3ELNS1_11target_archE908ELNS1_3gpuE7ELNS1_3repE0EEENS1_30default_config_static_selectorELNS0_4arch9wavefront6targetE0EEEvSQ_,"axG",@progbits,_ZN7rocprim17ROCPRIM_400000_NS6detail17trampoline_kernelINS0_14default_configENS1_22reduce_config_selectorIbEEZNS1_11reduce_implILb1ES3_N6hipcub16HIPCUB_304000_NS22TransformInputIteratorIbN2at6native12_GLOBAL__N_19NonZeroOpIdEEPKdlEEPiiNS8_6detail34convert_binary_result_type_wrapperINS8_3SumESH_iEEEE10hipError_tPvRmT1_T2_T3_mT4_P12ihipStream_tbEUlT_E0_NS1_11comp_targetILNS1_3genE3ELNS1_11target_archE908ELNS1_3gpuE7ELNS1_3repE0EEENS1_30default_config_static_selectorELNS0_4arch9wavefront6targetE0EEEvSQ_,comdat
.Lfunc_end375:
	.size	_ZN7rocprim17ROCPRIM_400000_NS6detail17trampoline_kernelINS0_14default_configENS1_22reduce_config_selectorIbEEZNS1_11reduce_implILb1ES3_N6hipcub16HIPCUB_304000_NS22TransformInputIteratorIbN2at6native12_GLOBAL__N_19NonZeroOpIdEEPKdlEEPiiNS8_6detail34convert_binary_result_type_wrapperINS8_3SumESH_iEEEE10hipError_tPvRmT1_T2_T3_mT4_P12ihipStream_tbEUlT_E0_NS1_11comp_targetILNS1_3genE3ELNS1_11target_archE908ELNS1_3gpuE7ELNS1_3repE0EEENS1_30default_config_static_selectorELNS0_4arch9wavefront6targetE0EEEvSQ_, .Lfunc_end375-_ZN7rocprim17ROCPRIM_400000_NS6detail17trampoline_kernelINS0_14default_configENS1_22reduce_config_selectorIbEEZNS1_11reduce_implILb1ES3_N6hipcub16HIPCUB_304000_NS22TransformInputIteratorIbN2at6native12_GLOBAL__N_19NonZeroOpIdEEPKdlEEPiiNS8_6detail34convert_binary_result_type_wrapperINS8_3SumESH_iEEEE10hipError_tPvRmT1_T2_T3_mT4_P12ihipStream_tbEUlT_E0_NS1_11comp_targetILNS1_3genE3ELNS1_11target_archE908ELNS1_3gpuE7ELNS1_3repE0EEENS1_30default_config_static_selectorELNS0_4arch9wavefront6targetE0EEEvSQ_
                                        ; -- End function
	.set _ZN7rocprim17ROCPRIM_400000_NS6detail17trampoline_kernelINS0_14default_configENS1_22reduce_config_selectorIbEEZNS1_11reduce_implILb1ES3_N6hipcub16HIPCUB_304000_NS22TransformInputIteratorIbN2at6native12_GLOBAL__N_19NonZeroOpIdEEPKdlEEPiiNS8_6detail34convert_binary_result_type_wrapperINS8_3SumESH_iEEEE10hipError_tPvRmT1_T2_T3_mT4_P12ihipStream_tbEUlT_E0_NS1_11comp_targetILNS1_3genE3ELNS1_11target_archE908ELNS1_3gpuE7ELNS1_3repE0EEENS1_30default_config_static_selectorELNS0_4arch9wavefront6targetE0EEEvSQ_.num_vgpr, 0
	.set _ZN7rocprim17ROCPRIM_400000_NS6detail17trampoline_kernelINS0_14default_configENS1_22reduce_config_selectorIbEEZNS1_11reduce_implILb1ES3_N6hipcub16HIPCUB_304000_NS22TransformInputIteratorIbN2at6native12_GLOBAL__N_19NonZeroOpIdEEPKdlEEPiiNS8_6detail34convert_binary_result_type_wrapperINS8_3SumESH_iEEEE10hipError_tPvRmT1_T2_T3_mT4_P12ihipStream_tbEUlT_E0_NS1_11comp_targetILNS1_3genE3ELNS1_11target_archE908ELNS1_3gpuE7ELNS1_3repE0EEENS1_30default_config_static_selectorELNS0_4arch9wavefront6targetE0EEEvSQ_.num_agpr, 0
	.set _ZN7rocprim17ROCPRIM_400000_NS6detail17trampoline_kernelINS0_14default_configENS1_22reduce_config_selectorIbEEZNS1_11reduce_implILb1ES3_N6hipcub16HIPCUB_304000_NS22TransformInputIteratorIbN2at6native12_GLOBAL__N_19NonZeroOpIdEEPKdlEEPiiNS8_6detail34convert_binary_result_type_wrapperINS8_3SumESH_iEEEE10hipError_tPvRmT1_T2_T3_mT4_P12ihipStream_tbEUlT_E0_NS1_11comp_targetILNS1_3genE3ELNS1_11target_archE908ELNS1_3gpuE7ELNS1_3repE0EEENS1_30default_config_static_selectorELNS0_4arch9wavefront6targetE0EEEvSQ_.numbered_sgpr, 0
	.set _ZN7rocprim17ROCPRIM_400000_NS6detail17trampoline_kernelINS0_14default_configENS1_22reduce_config_selectorIbEEZNS1_11reduce_implILb1ES3_N6hipcub16HIPCUB_304000_NS22TransformInputIteratorIbN2at6native12_GLOBAL__N_19NonZeroOpIdEEPKdlEEPiiNS8_6detail34convert_binary_result_type_wrapperINS8_3SumESH_iEEEE10hipError_tPvRmT1_T2_T3_mT4_P12ihipStream_tbEUlT_E0_NS1_11comp_targetILNS1_3genE3ELNS1_11target_archE908ELNS1_3gpuE7ELNS1_3repE0EEENS1_30default_config_static_selectorELNS0_4arch9wavefront6targetE0EEEvSQ_.num_named_barrier, 0
	.set _ZN7rocprim17ROCPRIM_400000_NS6detail17trampoline_kernelINS0_14default_configENS1_22reduce_config_selectorIbEEZNS1_11reduce_implILb1ES3_N6hipcub16HIPCUB_304000_NS22TransformInputIteratorIbN2at6native12_GLOBAL__N_19NonZeroOpIdEEPKdlEEPiiNS8_6detail34convert_binary_result_type_wrapperINS8_3SumESH_iEEEE10hipError_tPvRmT1_T2_T3_mT4_P12ihipStream_tbEUlT_E0_NS1_11comp_targetILNS1_3genE3ELNS1_11target_archE908ELNS1_3gpuE7ELNS1_3repE0EEENS1_30default_config_static_selectorELNS0_4arch9wavefront6targetE0EEEvSQ_.private_seg_size, 0
	.set _ZN7rocprim17ROCPRIM_400000_NS6detail17trampoline_kernelINS0_14default_configENS1_22reduce_config_selectorIbEEZNS1_11reduce_implILb1ES3_N6hipcub16HIPCUB_304000_NS22TransformInputIteratorIbN2at6native12_GLOBAL__N_19NonZeroOpIdEEPKdlEEPiiNS8_6detail34convert_binary_result_type_wrapperINS8_3SumESH_iEEEE10hipError_tPvRmT1_T2_T3_mT4_P12ihipStream_tbEUlT_E0_NS1_11comp_targetILNS1_3genE3ELNS1_11target_archE908ELNS1_3gpuE7ELNS1_3repE0EEENS1_30default_config_static_selectorELNS0_4arch9wavefront6targetE0EEEvSQ_.uses_vcc, 0
	.set _ZN7rocprim17ROCPRIM_400000_NS6detail17trampoline_kernelINS0_14default_configENS1_22reduce_config_selectorIbEEZNS1_11reduce_implILb1ES3_N6hipcub16HIPCUB_304000_NS22TransformInputIteratorIbN2at6native12_GLOBAL__N_19NonZeroOpIdEEPKdlEEPiiNS8_6detail34convert_binary_result_type_wrapperINS8_3SumESH_iEEEE10hipError_tPvRmT1_T2_T3_mT4_P12ihipStream_tbEUlT_E0_NS1_11comp_targetILNS1_3genE3ELNS1_11target_archE908ELNS1_3gpuE7ELNS1_3repE0EEENS1_30default_config_static_selectorELNS0_4arch9wavefront6targetE0EEEvSQ_.uses_flat_scratch, 0
	.set _ZN7rocprim17ROCPRIM_400000_NS6detail17trampoline_kernelINS0_14default_configENS1_22reduce_config_selectorIbEEZNS1_11reduce_implILb1ES3_N6hipcub16HIPCUB_304000_NS22TransformInputIteratorIbN2at6native12_GLOBAL__N_19NonZeroOpIdEEPKdlEEPiiNS8_6detail34convert_binary_result_type_wrapperINS8_3SumESH_iEEEE10hipError_tPvRmT1_T2_T3_mT4_P12ihipStream_tbEUlT_E0_NS1_11comp_targetILNS1_3genE3ELNS1_11target_archE908ELNS1_3gpuE7ELNS1_3repE0EEENS1_30default_config_static_selectorELNS0_4arch9wavefront6targetE0EEEvSQ_.has_dyn_sized_stack, 0
	.set _ZN7rocprim17ROCPRIM_400000_NS6detail17trampoline_kernelINS0_14default_configENS1_22reduce_config_selectorIbEEZNS1_11reduce_implILb1ES3_N6hipcub16HIPCUB_304000_NS22TransformInputIteratorIbN2at6native12_GLOBAL__N_19NonZeroOpIdEEPKdlEEPiiNS8_6detail34convert_binary_result_type_wrapperINS8_3SumESH_iEEEE10hipError_tPvRmT1_T2_T3_mT4_P12ihipStream_tbEUlT_E0_NS1_11comp_targetILNS1_3genE3ELNS1_11target_archE908ELNS1_3gpuE7ELNS1_3repE0EEENS1_30default_config_static_selectorELNS0_4arch9wavefront6targetE0EEEvSQ_.has_recursion, 0
	.set _ZN7rocprim17ROCPRIM_400000_NS6detail17trampoline_kernelINS0_14default_configENS1_22reduce_config_selectorIbEEZNS1_11reduce_implILb1ES3_N6hipcub16HIPCUB_304000_NS22TransformInputIteratorIbN2at6native12_GLOBAL__N_19NonZeroOpIdEEPKdlEEPiiNS8_6detail34convert_binary_result_type_wrapperINS8_3SumESH_iEEEE10hipError_tPvRmT1_T2_T3_mT4_P12ihipStream_tbEUlT_E0_NS1_11comp_targetILNS1_3genE3ELNS1_11target_archE908ELNS1_3gpuE7ELNS1_3repE0EEENS1_30default_config_static_selectorELNS0_4arch9wavefront6targetE0EEEvSQ_.has_indirect_call, 0
	.section	.AMDGPU.csdata,"",@progbits
; Kernel info:
; codeLenInByte = 0
; TotalNumSgprs: 0
; NumVgprs: 0
; ScratchSize: 0
; MemoryBound: 0
; FloatMode: 240
; IeeeMode: 1
; LDSByteSize: 0 bytes/workgroup (compile time only)
; SGPRBlocks: 0
; VGPRBlocks: 0
; NumSGPRsForWavesPerEU: 1
; NumVGPRsForWavesPerEU: 1
; Occupancy: 16
; WaveLimiterHint : 0
; COMPUTE_PGM_RSRC2:SCRATCH_EN: 0
; COMPUTE_PGM_RSRC2:USER_SGPR: 2
; COMPUTE_PGM_RSRC2:TRAP_HANDLER: 0
; COMPUTE_PGM_RSRC2:TGID_X_EN: 1
; COMPUTE_PGM_RSRC2:TGID_Y_EN: 0
; COMPUTE_PGM_RSRC2:TGID_Z_EN: 0
; COMPUTE_PGM_RSRC2:TIDIG_COMP_CNT: 0
	.section	.text._ZN7rocprim17ROCPRIM_400000_NS6detail17trampoline_kernelINS0_14default_configENS1_22reduce_config_selectorIbEEZNS1_11reduce_implILb1ES3_N6hipcub16HIPCUB_304000_NS22TransformInputIteratorIbN2at6native12_GLOBAL__N_19NonZeroOpIdEEPKdlEEPiiNS8_6detail34convert_binary_result_type_wrapperINS8_3SumESH_iEEEE10hipError_tPvRmT1_T2_T3_mT4_P12ihipStream_tbEUlT_E0_NS1_11comp_targetILNS1_3genE2ELNS1_11target_archE906ELNS1_3gpuE6ELNS1_3repE0EEENS1_30default_config_static_selectorELNS0_4arch9wavefront6targetE0EEEvSQ_,"axG",@progbits,_ZN7rocprim17ROCPRIM_400000_NS6detail17trampoline_kernelINS0_14default_configENS1_22reduce_config_selectorIbEEZNS1_11reduce_implILb1ES3_N6hipcub16HIPCUB_304000_NS22TransformInputIteratorIbN2at6native12_GLOBAL__N_19NonZeroOpIdEEPKdlEEPiiNS8_6detail34convert_binary_result_type_wrapperINS8_3SumESH_iEEEE10hipError_tPvRmT1_T2_T3_mT4_P12ihipStream_tbEUlT_E0_NS1_11comp_targetILNS1_3genE2ELNS1_11target_archE906ELNS1_3gpuE6ELNS1_3repE0EEENS1_30default_config_static_selectorELNS0_4arch9wavefront6targetE0EEEvSQ_,comdat
	.globl	_ZN7rocprim17ROCPRIM_400000_NS6detail17trampoline_kernelINS0_14default_configENS1_22reduce_config_selectorIbEEZNS1_11reduce_implILb1ES3_N6hipcub16HIPCUB_304000_NS22TransformInputIteratorIbN2at6native12_GLOBAL__N_19NonZeroOpIdEEPKdlEEPiiNS8_6detail34convert_binary_result_type_wrapperINS8_3SumESH_iEEEE10hipError_tPvRmT1_T2_T3_mT4_P12ihipStream_tbEUlT_E0_NS1_11comp_targetILNS1_3genE2ELNS1_11target_archE906ELNS1_3gpuE6ELNS1_3repE0EEENS1_30default_config_static_selectorELNS0_4arch9wavefront6targetE0EEEvSQ_ ; -- Begin function _ZN7rocprim17ROCPRIM_400000_NS6detail17trampoline_kernelINS0_14default_configENS1_22reduce_config_selectorIbEEZNS1_11reduce_implILb1ES3_N6hipcub16HIPCUB_304000_NS22TransformInputIteratorIbN2at6native12_GLOBAL__N_19NonZeroOpIdEEPKdlEEPiiNS8_6detail34convert_binary_result_type_wrapperINS8_3SumESH_iEEEE10hipError_tPvRmT1_T2_T3_mT4_P12ihipStream_tbEUlT_E0_NS1_11comp_targetILNS1_3genE2ELNS1_11target_archE906ELNS1_3gpuE6ELNS1_3repE0EEENS1_30default_config_static_selectorELNS0_4arch9wavefront6targetE0EEEvSQ_
	.p2align	8
	.type	_ZN7rocprim17ROCPRIM_400000_NS6detail17trampoline_kernelINS0_14default_configENS1_22reduce_config_selectorIbEEZNS1_11reduce_implILb1ES3_N6hipcub16HIPCUB_304000_NS22TransformInputIteratorIbN2at6native12_GLOBAL__N_19NonZeroOpIdEEPKdlEEPiiNS8_6detail34convert_binary_result_type_wrapperINS8_3SumESH_iEEEE10hipError_tPvRmT1_T2_T3_mT4_P12ihipStream_tbEUlT_E0_NS1_11comp_targetILNS1_3genE2ELNS1_11target_archE906ELNS1_3gpuE6ELNS1_3repE0EEENS1_30default_config_static_selectorELNS0_4arch9wavefront6targetE0EEEvSQ_,@function
_ZN7rocprim17ROCPRIM_400000_NS6detail17trampoline_kernelINS0_14default_configENS1_22reduce_config_selectorIbEEZNS1_11reduce_implILb1ES3_N6hipcub16HIPCUB_304000_NS22TransformInputIteratorIbN2at6native12_GLOBAL__N_19NonZeroOpIdEEPKdlEEPiiNS8_6detail34convert_binary_result_type_wrapperINS8_3SumESH_iEEEE10hipError_tPvRmT1_T2_T3_mT4_P12ihipStream_tbEUlT_E0_NS1_11comp_targetILNS1_3genE2ELNS1_11target_archE906ELNS1_3gpuE6ELNS1_3repE0EEENS1_30default_config_static_selectorELNS0_4arch9wavefront6targetE0EEEvSQ_: ; @_ZN7rocprim17ROCPRIM_400000_NS6detail17trampoline_kernelINS0_14default_configENS1_22reduce_config_selectorIbEEZNS1_11reduce_implILb1ES3_N6hipcub16HIPCUB_304000_NS22TransformInputIteratorIbN2at6native12_GLOBAL__N_19NonZeroOpIdEEPKdlEEPiiNS8_6detail34convert_binary_result_type_wrapperINS8_3SumESH_iEEEE10hipError_tPvRmT1_T2_T3_mT4_P12ihipStream_tbEUlT_E0_NS1_11comp_targetILNS1_3genE2ELNS1_11target_archE906ELNS1_3gpuE6ELNS1_3repE0EEENS1_30default_config_static_selectorELNS0_4arch9wavefront6targetE0EEEvSQ_
; %bb.0:
	.section	.rodata,"a",@progbits
	.p2align	6, 0x0
	.amdhsa_kernel _ZN7rocprim17ROCPRIM_400000_NS6detail17trampoline_kernelINS0_14default_configENS1_22reduce_config_selectorIbEEZNS1_11reduce_implILb1ES3_N6hipcub16HIPCUB_304000_NS22TransformInputIteratorIbN2at6native12_GLOBAL__N_19NonZeroOpIdEEPKdlEEPiiNS8_6detail34convert_binary_result_type_wrapperINS8_3SumESH_iEEEE10hipError_tPvRmT1_T2_T3_mT4_P12ihipStream_tbEUlT_E0_NS1_11comp_targetILNS1_3genE2ELNS1_11target_archE906ELNS1_3gpuE6ELNS1_3repE0EEENS1_30default_config_static_selectorELNS0_4arch9wavefront6targetE0EEEvSQ_
		.amdhsa_group_segment_fixed_size 0
		.amdhsa_private_segment_fixed_size 0
		.amdhsa_kernarg_size 64
		.amdhsa_user_sgpr_count 2
		.amdhsa_user_sgpr_dispatch_ptr 0
		.amdhsa_user_sgpr_queue_ptr 0
		.amdhsa_user_sgpr_kernarg_segment_ptr 1
		.amdhsa_user_sgpr_dispatch_id 0
		.amdhsa_user_sgpr_private_segment_size 0
		.amdhsa_wavefront_size32 1
		.amdhsa_uses_dynamic_stack 0
		.amdhsa_enable_private_segment 0
		.amdhsa_system_sgpr_workgroup_id_x 1
		.amdhsa_system_sgpr_workgroup_id_y 0
		.amdhsa_system_sgpr_workgroup_id_z 0
		.amdhsa_system_sgpr_workgroup_info 0
		.amdhsa_system_vgpr_workitem_id 0
		.amdhsa_next_free_vgpr 1
		.amdhsa_next_free_sgpr 1
		.amdhsa_reserve_vcc 0
		.amdhsa_float_round_mode_32 0
		.amdhsa_float_round_mode_16_64 0
		.amdhsa_float_denorm_mode_32 3
		.amdhsa_float_denorm_mode_16_64 3
		.amdhsa_fp16_overflow 0
		.amdhsa_workgroup_processor_mode 1
		.amdhsa_memory_ordered 1
		.amdhsa_forward_progress 1
		.amdhsa_inst_pref_size 0
		.amdhsa_round_robin_scheduling 0
		.amdhsa_exception_fp_ieee_invalid_op 0
		.amdhsa_exception_fp_denorm_src 0
		.amdhsa_exception_fp_ieee_div_zero 0
		.amdhsa_exception_fp_ieee_overflow 0
		.amdhsa_exception_fp_ieee_underflow 0
		.amdhsa_exception_fp_ieee_inexact 0
		.amdhsa_exception_int_div_zero 0
	.end_amdhsa_kernel
	.section	.text._ZN7rocprim17ROCPRIM_400000_NS6detail17trampoline_kernelINS0_14default_configENS1_22reduce_config_selectorIbEEZNS1_11reduce_implILb1ES3_N6hipcub16HIPCUB_304000_NS22TransformInputIteratorIbN2at6native12_GLOBAL__N_19NonZeroOpIdEEPKdlEEPiiNS8_6detail34convert_binary_result_type_wrapperINS8_3SumESH_iEEEE10hipError_tPvRmT1_T2_T3_mT4_P12ihipStream_tbEUlT_E0_NS1_11comp_targetILNS1_3genE2ELNS1_11target_archE906ELNS1_3gpuE6ELNS1_3repE0EEENS1_30default_config_static_selectorELNS0_4arch9wavefront6targetE0EEEvSQ_,"axG",@progbits,_ZN7rocprim17ROCPRIM_400000_NS6detail17trampoline_kernelINS0_14default_configENS1_22reduce_config_selectorIbEEZNS1_11reduce_implILb1ES3_N6hipcub16HIPCUB_304000_NS22TransformInputIteratorIbN2at6native12_GLOBAL__N_19NonZeroOpIdEEPKdlEEPiiNS8_6detail34convert_binary_result_type_wrapperINS8_3SumESH_iEEEE10hipError_tPvRmT1_T2_T3_mT4_P12ihipStream_tbEUlT_E0_NS1_11comp_targetILNS1_3genE2ELNS1_11target_archE906ELNS1_3gpuE6ELNS1_3repE0EEENS1_30default_config_static_selectorELNS0_4arch9wavefront6targetE0EEEvSQ_,comdat
.Lfunc_end376:
	.size	_ZN7rocprim17ROCPRIM_400000_NS6detail17trampoline_kernelINS0_14default_configENS1_22reduce_config_selectorIbEEZNS1_11reduce_implILb1ES3_N6hipcub16HIPCUB_304000_NS22TransformInputIteratorIbN2at6native12_GLOBAL__N_19NonZeroOpIdEEPKdlEEPiiNS8_6detail34convert_binary_result_type_wrapperINS8_3SumESH_iEEEE10hipError_tPvRmT1_T2_T3_mT4_P12ihipStream_tbEUlT_E0_NS1_11comp_targetILNS1_3genE2ELNS1_11target_archE906ELNS1_3gpuE6ELNS1_3repE0EEENS1_30default_config_static_selectorELNS0_4arch9wavefront6targetE0EEEvSQ_, .Lfunc_end376-_ZN7rocprim17ROCPRIM_400000_NS6detail17trampoline_kernelINS0_14default_configENS1_22reduce_config_selectorIbEEZNS1_11reduce_implILb1ES3_N6hipcub16HIPCUB_304000_NS22TransformInputIteratorIbN2at6native12_GLOBAL__N_19NonZeroOpIdEEPKdlEEPiiNS8_6detail34convert_binary_result_type_wrapperINS8_3SumESH_iEEEE10hipError_tPvRmT1_T2_T3_mT4_P12ihipStream_tbEUlT_E0_NS1_11comp_targetILNS1_3genE2ELNS1_11target_archE906ELNS1_3gpuE6ELNS1_3repE0EEENS1_30default_config_static_selectorELNS0_4arch9wavefront6targetE0EEEvSQ_
                                        ; -- End function
	.set _ZN7rocprim17ROCPRIM_400000_NS6detail17trampoline_kernelINS0_14default_configENS1_22reduce_config_selectorIbEEZNS1_11reduce_implILb1ES3_N6hipcub16HIPCUB_304000_NS22TransformInputIteratorIbN2at6native12_GLOBAL__N_19NonZeroOpIdEEPKdlEEPiiNS8_6detail34convert_binary_result_type_wrapperINS8_3SumESH_iEEEE10hipError_tPvRmT1_T2_T3_mT4_P12ihipStream_tbEUlT_E0_NS1_11comp_targetILNS1_3genE2ELNS1_11target_archE906ELNS1_3gpuE6ELNS1_3repE0EEENS1_30default_config_static_selectorELNS0_4arch9wavefront6targetE0EEEvSQ_.num_vgpr, 0
	.set _ZN7rocprim17ROCPRIM_400000_NS6detail17trampoline_kernelINS0_14default_configENS1_22reduce_config_selectorIbEEZNS1_11reduce_implILb1ES3_N6hipcub16HIPCUB_304000_NS22TransformInputIteratorIbN2at6native12_GLOBAL__N_19NonZeroOpIdEEPKdlEEPiiNS8_6detail34convert_binary_result_type_wrapperINS8_3SumESH_iEEEE10hipError_tPvRmT1_T2_T3_mT4_P12ihipStream_tbEUlT_E0_NS1_11comp_targetILNS1_3genE2ELNS1_11target_archE906ELNS1_3gpuE6ELNS1_3repE0EEENS1_30default_config_static_selectorELNS0_4arch9wavefront6targetE0EEEvSQ_.num_agpr, 0
	.set _ZN7rocprim17ROCPRIM_400000_NS6detail17trampoline_kernelINS0_14default_configENS1_22reduce_config_selectorIbEEZNS1_11reduce_implILb1ES3_N6hipcub16HIPCUB_304000_NS22TransformInputIteratorIbN2at6native12_GLOBAL__N_19NonZeroOpIdEEPKdlEEPiiNS8_6detail34convert_binary_result_type_wrapperINS8_3SumESH_iEEEE10hipError_tPvRmT1_T2_T3_mT4_P12ihipStream_tbEUlT_E0_NS1_11comp_targetILNS1_3genE2ELNS1_11target_archE906ELNS1_3gpuE6ELNS1_3repE0EEENS1_30default_config_static_selectorELNS0_4arch9wavefront6targetE0EEEvSQ_.numbered_sgpr, 0
	.set _ZN7rocprim17ROCPRIM_400000_NS6detail17trampoline_kernelINS0_14default_configENS1_22reduce_config_selectorIbEEZNS1_11reduce_implILb1ES3_N6hipcub16HIPCUB_304000_NS22TransformInputIteratorIbN2at6native12_GLOBAL__N_19NonZeroOpIdEEPKdlEEPiiNS8_6detail34convert_binary_result_type_wrapperINS8_3SumESH_iEEEE10hipError_tPvRmT1_T2_T3_mT4_P12ihipStream_tbEUlT_E0_NS1_11comp_targetILNS1_3genE2ELNS1_11target_archE906ELNS1_3gpuE6ELNS1_3repE0EEENS1_30default_config_static_selectorELNS0_4arch9wavefront6targetE0EEEvSQ_.num_named_barrier, 0
	.set _ZN7rocprim17ROCPRIM_400000_NS6detail17trampoline_kernelINS0_14default_configENS1_22reduce_config_selectorIbEEZNS1_11reduce_implILb1ES3_N6hipcub16HIPCUB_304000_NS22TransformInputIteratorIbN2at6native12_GLOBAL__N_19NonZeroOpIdEEPKdlEEPiiNS8_6detail34convert_binary_result_type_wrapperINS8_3SumESH_iEEEE10hipError_tPvRmT1_T2_T3_mT4_P12ihipStream_tbEUlT_E0_NS1_11comp_targetILNS1_3genE2ELNS1_11target_archE906ELNS1_3gpuE6ELNS1_3repE0EEENS1_30default_config_static_selectorELNS0_4arch9wavefront6targetE0EEEvSQ_.private_seg_size, 0
	.set _ZN7rocprim17ROCPRIM_400000_NS6detail17trampoline_kernelINS0_14default_configENS1_22reduce_config_selectorIbEEZNS1_11reduce_implILb1ES3_N6hipcub16HIPCUB_304000_NS22TransformInputIteratorIbN2at6native12_GLOBAL__N_19NonZeroOpIdEEPKdlEEPiiNS8_6detail34convert_binary_result_type_wrapperINS8_3SumESH_iEEEE10hipError_tPvRmT1_T2_T3_mT4_P12ihipStream_tbEUlT_E0_NS1_11comp_targetILNS1_3genE2ELNS1_11target_archE906ELNS1_3gpuE6ELNS1_3repE0EEENS1_30default_config_static_selectorELNS0_4arch9wavefront6targetE0EEEvSQ_.uses_vcc, 0
	.set _ZN7rocprim17ROCPRIM_400000_NS6detail17trampoline_kernelINS0_14default_configENS1_22reduce_config_selectorIbEEZNS1_11reduce_implILb1ES3_N6hipcub16HIPCUB_304000_NS22TransformInputIteratorIbN2at6native12_GLOBAL__N_19NonZeroOpIdEEPKdlEEPiiNS8_6detail34convert_binary_result_type_wrapperINS8_3SumESH_iEEEE10hipError_tPvRmT1_T2_T3_mT4_P12ihipStream_tbEUlT_E0_NS1_11comp_targetILNS1_3genE2ELNS1_11target_archE906ELNS1_3gpuE6ELNS1_3repE0EEENS1_30default_config_static_selectorELNS0_4arch9wavefront6targetE0EEEvSQ_.uses_flat_scratch, 0
	.set _ZN7rocprim17ROCPRIM_400000_NS6detail17trampoline_kernelINS0_14default_configENS1_22reduce_config_selectorIbEEZNS1_11reduce_implILb1ES3_N6hipcub16HIPCUB_304000_NS22TransformInputIteratorIbN2at6native12_GLOBAL__N_19NonZeroOpIdEEPKdlEEPiiNS8_6detail34convert_binary_result_type_wrapperINS8_3SumESH_iEEEE10hipError_tPvRmT1_T2_T3_mT4_P12ihipStream_tbEUlT_E0_NS1_11comp_targetILNS1_3genE2ELNS1_11target_archE906ELNS1_3gpuE6ELNS1_3repE0EEENS1_30default_config_static_selectorELNS0_4arch9wavefront6targetE0EEEvSQ_.has_dyn_sized_stack, 0
	.set _ZN7rocprim17ROCPRIM_400000_NS6detail17trampoline_kernelINS0_14default_configENS1_22reduce_config_selectorIbEEZNS1_11reduce_implILb1ES3_N6hipcub16HIPCUB_304000_NS22TransformInputIteratorIbN2at6native12_GLOBAL__N_19NonZeroOpIdEEPKdlEEPiiNS8_6detail34convert_binary_result_type_wrapperINS8_3SumESH_iEEEE10hipError_tPvRmT1_T2_T3_mT4_P12ihipStream_tbEUlT_E0_NS1_11comp_targetILNS1_3genE2ELNS1_11target_archE906ELNS1_3gpuE6ELNS1_3repE0EEENS1_30default_config_static_selectorELNS0_4arch9wavefront6targetE0EEEvSQ_.has_recursion, 0
	.set _ZN7rocprim17ROCPRIM_400000_NS6detail17trampoline_kernelINS0_14default_configENS1_22reduce_config_selectorIbEEZNS1_11reduce_implILb1ES3_N6hipcub16HIPCUB_304000_NS22TransformInputIteratorIbN2at6native12_GLOBAL__N_19NonZeroOpIdEEPKdlEEPiiNS8_6detail34convert_binary_result_type_wrapperINS8_3SumESH_iEEEE10hipError_tPvRmT1_T2_T3_mT4_P12ihipStream_tbEUlT_E0_NS1_11comp_targetILNS1_3genE2ELNS1_11target_archE906ELNS1_3gpuE6ELNS1_3repE0EEENS1_30default_config_static_selectorELNS0_4arch9wavefront6targetE0EEEvSQ_.has_indirect_call, 0
	.section	.AMDGPU.csdata,"",@progbits
; Kernel info:
; codeLenInByte = 0
; TotalNumSgprs: 0
; NumVgprs: 0
; ScratchSize: 0
; MemoryBound: 0
; FloatMode: 240
; IeeeMode: 1
; LDSByteSize: 0 bytes/workgroup (compile time only)
; SGPRBlocks: 0
; VGPRBlocks: 0
; NumSGPRsForWavesPerEU: 1
; NumVGPRsForWavesPerEU: 1
; Occupancy: 16
; WaveLimiterHint : 0
; COMPUTE_PGM_RSRC2:SCRATCH_EN: 0
; COMPUTE_PGM_RSRC2:USER_SGPR: 2
; COMPUTE_PGM_RSRC2:TRAP_HANDLER: 0
; COMPUTE_PGM_RSRC2:TGID_X_EN: 1
; COMPUTE_PGM_RSRC2:TGID_Y_EN: 0
; COMPUTE_PGM_RSRC2:TGID_Z_EN: 0
; COMPUTE_PGM_RSRC2:TIDIG_COMP_CNT: 0
	.section	.text._ZN7rocprim17ROCPRIM_400000_NS6detail17trampoline_kernelINS0_14default_configENS1_22reduce_config_selectorIbEEZNS1_11reduce_implILb1ES3_N6hipcub16HIPCUB_304000_NS22TransformInputIteratorIbN2at6native12_GLOBAL__N_19NonZeroOpIdEEPKdlEEPiiNS8_6detail34convert_binary_result_type_wrapperINS8_3SumESH_iEEEE10hipError_tPvRmT1_T2_T3_mT4_P12ihipStream_tbEUlT_E0_NS1_11comp_targetILNS1_3genE10ELNS1_11target_archE1201ELNS1_3gpuE5ELNS1_3repE0EEENS1_30default_config_static_selectorELNS0_4arch9wavefront6targetE0EEEvSQ_,"axG",@progbits,_ZN7rocprim17ROCPRIM_400000_NS6detail17trampoline_kernelINS0_14default_configENS1_22reduce_config_selectorIbEEZNS1_11reduce_implILb1ES3_N6hipcub16HIPCUB_304000_NS22TransformInputIteratorIbN2at6native12_GLOBAL__N_19NonZeroOpIdEEPKdlEEPiiNS8_6detail34convert_binary_result_type_wrapperINS8_3SumESH_iEEEE10hipError_tPvRmT1_T2_T3_mT4_P12ihipStream_tbEUlT_E0_NS1_11comp_targetILNS1_3genE10ELNS1_11target_archE1201ELNS1_3gpuE5ELNS1_3repE0EEENS1_30default_config_static_selectorELNS0_4arch9wavefront6targetE0EEEvSQ_,comdat
	.globl	_ZN7rocprim17ROCPRIM_400000_NS6detail17trampoline_kernelINS0_14default_configENS1_22reduce_config_selectorIbEEZNS1_11reduce_implILb1ES3_N6hipcub16HIPCUB_304000_NS22TransformInputIteratorIbN2at6native12_GLOBAL__N_19NonZeroOpIdEEPKdlEEPiiNS8_6detail34convert_binary_result_type_wrapperINS8_3SumESH_iEEEE10hipError_tPvRmT1_T2_T3_mT4_P12ihipStream_tbEUlT_E0_NS1_11comp_targetILNS1_3genE10ELNS1_11target_archE1201ELNS1_3gpuE5ELNS1_3repE0EEENS1_30default_config_static_selectorELNS0_4arch9wavefront6targetE0EEEvSQ_ ; -- Begin function _ZN7rocprim17ROCPRIM_400000_NS6detail17trampoline_kernelINS0_14default_configENS1_22reduce_config_selectorIbEEZNS1_11reduce_implILb1ES3_N6hipcub16HIPCUB_304000_NS22TransformInputIteratorIbN2at6native12_GLOBAL__N_19NonZeroOpIdEEPKdlEEPiiNS8_6detail34convert_binary_result_type_wrapperINS8_3SumESH_iEEEE10hipError_tPvRmT1_T2_T3_mT4_P12ihipStream_tbEUlT_E0_NS1_11comp_targetILNS1_3genE10ELNS1_11target_archE1201ELNS1_3gpuE5ELNS1_3repE0EEENS1_30default_config_static_selectorELNS0_4arch9wavefront6targetE0EEEvSQ_
	.p2align	8
	.type	_ZN7rocprim17ROCPRIM_400000_NS6detail17trampoline_kernelINS0_14default_configENS1_22reduce_config_selectorIbEEZNS1_11reduce_implILb1ES3_N6hipcub16HIPCUB_304000_NS22TransformInputIteratorIbN2at6native12_GLOBAL__N_19NonZeroOpIdEEPKdlEEPiiNS8_6detail34convert_binary_result_type_wrapperINS8_3SumESH_iEEEE10hipError_tPvRmT1_T2_T3_mT4_P12ihipStream_tbEUlT_E0_NS1_11comp_targetILNS1_3genE10ELNS1_11target_archE1201ELNS1_3gpuE5ELNS1_3repE0EEENS1_30default_config_static_selectorELNS0_4arch9wavefront6targetE0EEEvSQ_,@function
_ZN7rocprim17ROCPRIM_400000_NS6detail17trampoline_kernelINS0_14default_configENS1_22reduce_config_selectorIbEEZNS1_11reduce_implILb1ES3_N6hipcub16HIPCUB_304000_NS22TransformInputIteratorIbN2at6native12_GLOBAL__N_19NonZeroOpIdEEPKdlEEPiiNS8_6detail34convert_binary_result_type_wrapperINS8_3SumESH_iEEEE10hipError_tPvRmT1_T2_T3_mT4_P12ihipStream_tbEUlT_E0_NS1_11comp_targetILNS1_3genE10ELNS1_11target_archE1201ELNS1_3gpuE5ELNS1_3repE0EEENS1_30default_config_static_selectorELNS0_4arch9wavefront6targetE0EEEvSQ_: ; @_ZN7rocprim17ROCPRIM_400000_NS6detail17trampoline_kernelINS0_14default_configENS1_22reduce_config_selectorIbEEZNS1_11reduce_implILb1ES3_N6hipcub16HIPCUB_304000_NS22TransformInputIteratorIbN2at6native12_GLOBAL__N_19NonZeroOpIdEEPKdlEEPiiNS8_6detail34convert_binary_result_type_wrapperINS8_3SumESH_iEEEE10hipError_tPvRmT1_T2_T3_mT4_P12ihipStream_tbEUlT_E0_NS1_11comp_targetILNS1_3genE10ELNS1_11target_archE1201ELNS1_3gpuE5ELNS1_3repE0EEENS1_30default_config_static_selectorELNS0_4arch9wavefront6targetE0EEEvSQ_
; %bb.0:
	s_clause 0x2
	s_load_b256 s[16:23], s[0:1], 0x10
	s_load_b64 s[4:5], s[0:1], 0x0
	s_load_b64 s[26:27], s[0:1], 0x30
	s_lshl_b32 s2, ttmp9, 12
	s_mov_b32 s3, 0
	v_mbcnt_lo_u32_b32 v18, -1, 0
	v_lshlrev_b32_e32 v19, 3, v0
	s_mov_b32 s24, ttmp9
	s_mov_b32 s25, s3
	s_wait_kmcnt 0x0
	s_lshl_b64 s[6:7], s[16:17], 3
	s_lshr_b64 s[8:9], s[18:19], 12
	s_add_nc_u64 s[4:5], s[4:5], s[6:7]
	s_lshl_b64 s[6:7], s[2:3], 3
	s_cmp_lg_u64 s[8:9], s[24:25]
	s_add_nc_u64 s[16:17], s[4:5], s[6:7]
	s_cbranch_scc0 .LBB377_6
; %bb.1:
	s_clause 0xf
	global_load_b64 v[1:2], v19, s[16:17]
	global_load_b64 v[3:4], v19, s[16:17] offset:4096
	global_load_b64 v[5:6], v19, s[16:17] offset:2048
	;; [unrolled: 1-line block ×15, first 2 shown]
	s_mov_b32 s3, exec_lo
	s_wait_loadcnt 0xf
	v_cmp_neq_f64_e32 vcc_lo, 0, v[1:2]
	v_cndmask_b32_e64 v1, 0, 1, vcc_lo
	s_wait_loadcnt 0xe
	v_cmp_neq_f64_e32 vcc_lo, 0, v[3:4]
	s_wait_alu 0xfffd
	v_cndmask_b32_e64 v2, 0, 1, vcc_lo
	s_wait_loadcnt 0xd
	v_cmp_neq_f64_e32 vcc_lo, 0, v[5:6]
	s_wait_alu 0xfffd
	v_add_co_ci_u32_e64 v1, null, 0, v1, vcc_lo
	s_wait_loadcnt 0xc
	v_cmp_neq_f64_e32 vcc_lo, 0, v[7:8]
	s_wait_alu 0xfffd
	v_cndmask_b32_e64 v3, 0, 1, vcc_lo
	s_wait_loadcnt 0xb
	v_cmp_neq_f64_e32 vcc_lo, 0, v[9:10]
	s_wait_alu 0xfffd
	v_add_co_ci_u32_e64 v1, null, v1, v2, vcc_lo
	;; [unrolled: 8-line block ×7, first 2 shown]
	s_wait_loadcnt 0x0
	v_cmp_neq_f64_e32 vcc_lo, 0, v[34:35]
	s_wait_alu 0xfffd
	s_delay_alu instid0(VALU_DEP_2) | instskip(NEXT) | instid1(VALU_DEP_1)
	v_add_co_ci_u32_e64 v1, null, v1, v2, vcc_lo
	v_mov_b32_dpp v2, v1 quad_perm:[1,0,3,2] row_mask:0xf bank_mask:0xf
	s_delay_alu instid0(VALU_DEP_1) | instskip(NEXT) | instid1(VALU_DEP_1)
	v_add_nc_u32_e32 v1, v1, v2
	v_mov_b32_dpp v2, v1 quad_perm:[2,3,0,1] row_mask:0xf bank_mask:0xf
	s_delay_alu instid0(VALU_DEP_1) | instskip(NEXT) | instid1(VALU_DEP_1)
	v_add_nc_u32_e32 v1, v1, v2
	v_mov_b32_dpp v2, v1 row_ror:4 row_mask:0xf bank_mask:0xf
	s_delay_alu instid0(VALU_DEP_1) | instskip(NEXT) | instid1(VALU_DEP_1)
	v_add_nc_u32_e32 v1, v1, v2
	v_mov_b32_dpp v2, v1 row_ror:8 row_mask:0xf bank_mask:0xf
	s_delay_alu instid0(VALU_DEP_1)
	v_add_nc_u32_e32 v1, v1, v2
	ds_swizzle_b32 v2, v1 offset:swizzle(BROADCAST,32,15)
	s_wait_dscnt 0x0
	v_dual_mov_b32 v2, 0 :: v_dual_add_nc_u32 v1, v1, v2
	ds_bpermute_b32 v1, v2, v1 offset:124
	v_cmpx_eq_u32_e32 0, v18
	s_cbranch_execz .LBB377_3
; %bb.2:
	v_lshrrev_b32_e32 v2, 3, v0
	s_delay_alu instid0(VALU_DEP_1)
	v_and_b32_e32 v2, 28, v2
	s_wait_dscnt 0x0
	ds_store_b32 v2, v1
.LBB377_3:
	s_or_b32 exec_lo, exec_lo, s3
	s_delay_alu instid0(SALU_CYCLE_1)
	s_mov_b32 s3, exec_lo
	s_wait_dscnt 0x0
	s_barrier_signal -1
	s_barrier_wait -1
	global_inv scope:SCOPE_SE
	v_cmpx_gt_u32_e32 32, v0
	s_cbranch_execz .LBB377_5
; %bb.4:
	v_and_b32_e32 v1, 7, v18
	s_delay_alu instid0(VALU_DEP_1)
	v_lshlrev_b32_e32 v2, 2, v1
	v_cmp_ne_u32_e32 vcc_lo, 7, v1
	ds_load_b32 v2, v2
	s_wait_alu 0xfffd
	v_add_co_ci_u32_e64 v3, null, 0, v18, vcc_lo
	v_cmp_gt_u32_e32 vcc_lo, 6, v1
	s_delay_alu instid0(VALU_DEP_2) | instskip(SKIP_2) | instid1(VALU_DEP_1)
	v_lshlrev_b32_e32 v3, 2, v3
	s_wait_alu 0xfffd
	v_cndmask_b32_e64 v1, 0, 2, vcc_lo
	v_add_lshl_u32 v1, v1, v18, 2
	s_wait_dscnt 0x0
	ds_bpermute_b32 v3, v3, v2
	s_wait_dscnt 0x0
	v_add_nc_u32_e32 v2, v3, v2
	v_lshlrev_b32_e32 v3, 2, v18
	ds_bpermute_b32 v1, v1, v2
	s_wait_dscnt 0x0
	v_add_nc_u32_e32 v1, v1, v2
	v_or_b32_e32 v2, 16, v3
	ds_bpermute_b32 v2, v2, v1
	s_wait_dscnt 0x0
	v_add_nc_u32_e32 v1, v2, v1
.LBB377_5:
	s_or_b32 exec_lo, exec_lo, s3
	s_branch .LBB377_44
.LBB377_6:
                                        ; implicit-def: $vgpr1
	s_cbranch_execz .LBB377_44
; %bb.7:
	v_mov_b32_e32 v1, 0
	s_sub_co_i32 s28, s18, s2
	s_mov_b32 s2, exec_lo
	s_delay_alu instid0(VALU_DEP_1)
	v_dual_mov_b32 v2, v1 :: v_dual_mov_b32 v3, v1
	v_dual_mov_b32 v4, v1 :: v_dual_mov_b32 v5, v1
	;; [unrolled: 1-line block ×7, first 2 shown]
	v_mov_b32_e32 v16, v1
	v_cmpx_gt_u32_e64 s28, v0
	s_cbranch_execz .LBB377_9
; %bb.8:
	global_load_b64 v[13:14], v19, s[16:17]
	v_dual_mov_b32 v3, v1 :: v_dual_mov_b32 v4, v1
	v_dual_mov_b32 v5, v1 :: v_dual_mov_b32 v6, v1
	;; [unrolled: 1-line block ×6, first 2 shown]
	v_mov_b32_e32 v17, v1
	s_wait_loadcnt 0x0
	v_cmp_neq_f64_e32 vcc_lo, 0, v[13:14]
	v_dual_mov_b32 v13, v1 :: v_dual_mov_b32 v14, v1
	v_cndmask_b32_e64 v2, 0, 1, vcc_lo
	s_delay_alu instid0(VALU_DEP_1) | instskip(NEXT) | instid1(VALU_DEP_1)
	v_and_b32_e32 v2, 0xffff, v2
	v_mov_b32_e32 v1, v2
	v_mov_b32_e32 v2, v3
	;; [unrolled: 1-line block ×16, first 2 shown]
.LBB377_9:
	s_or_b32 exec_lo, exec_lo, s2
	v_or_b32_e32 v17, 0x100, v0
	s_delay_alu instid0(VALU_DEP_1)
	v_cmp_gt_u32_e32 vcc_lo, s28, v17
	s_and_saveexec_b32 s3, vcc_lo
	s_cbranch_execz .LBB377_11
; %bb.10:
	global_load_b64 v[20:21], v19, s[16:17] offset:2048
	s_wait_loadcnt 0x0
	v_cmp_neq_f64_e64 s2, 0, v[20:21]
	s_delay_alu instid0(VALU_DEP_1)
	v_cndmask_b32_e64 v2, 0, 1, s2
.LBB377_11:
	s_or_b32 exec_lo, exec_lo, s3
	v_or_b32_e32 v17, 0x200, v0
	s_delay_alu instid0(VALU_DEP_1)
	v_cmp_gt_u32_e64 s2, s28, v17
	s_and_saveexec_b32 s4, s2
	s_cbranch_execz .LBB377_13
; %bb.12:
	global_load_b64 v[20:21], v19, s[16:17] offset:4096
	s_wait_loadcnt 0x0
	v_cmp_neq_f64_e64 s3, 0, v[20:21]
	s_wait_alu 0xf1ff
	s_delay_alu instid0(VALU_DEP_1)
	v_cndmask_b32_e64 v3, 0, 1, s3
.LBB377_13:
	s_or_b32 exec_lo, exec_lo, s4
	v_or_b32_e32 v17, 0x300, v0
	s_delay_alu instid0(VALU_DEP_1)
	v_cmp_gt_u32_e64 s3, s28, v17
	s_and_saveexec_b32 s5, s3
	s_cbranch_execz .LBB377_15
; %bb.14:
	global_load_b64 v[20:21], v19, s[16:17] offset:6144
	s_wait_loadcnt 0x0
	v_cmp_neq_f64_e64 s4, 0, v[20:21]
	s_delay_alu instid0(VALU_DEP_1)
	v_cndmask_b32_e64 v4, 0, 1, s4
.LBB377_15:
	s_or_b32 exec_lo, exec_lo, s5
	v_or_b32_e32 v17, 0x400, v0
	s_delay_alu instid0(VALU_DEP_1)
	v_cmp_gt_u32_e64 s4, s28, v17
	s_and_saveexec_b32 s6, s4
	s_cbranch_execz .LBB377_17
; %bb.16:
	global_load_b64 v[20:21], v19, s[16:17] offset:8192
	s_wait_loadcnt 0x0
	v_cmp_neq_f64_e64 s5, 0, v[20:21]
	s_wait_alu 0xf1ff
	s_delay_alu instid0(VALU_DEP_1)
	v_cndmask_b32_e64 v5, 0, 1, s5
.LBB377_17:
	s_or_b32 exec_lo, exec_lo, s6
	v_or_b32_e32 v17, 0x500, v0
	s_delay_alu instid0(VALU_DEP_1)
	v_cmp_gt_u32_e64 s5, s28, v17
	s_and_saveexec_b32 s7, s5
	;; [unrolled: 27-line block ×6, first 2 shown]
	s_cbranch_execz .LBB377_35
; %bb.34:
	global_load_b64 v[20:21], v19, s[16:17] offset:26624
	s_wait_loadcnt 0x0
	v_cmp_neq_f64_e64 s14, 0, v[20:21]
	s_delay_alu instid0(VALU_DEP_1)
	v_cndmask_b32_e64 v14, 0, 1, s14
.LBB377_35:
	s_or_b32 exec_lo, exec_lo, s15
	v_or_b32_e32 v17, 0xe00, v0
	s_delay_alu instid0(VALU_DEP_1)
	v_cmp_gt_u32_e64 s14, s28, v17
	s_and_saveexec_b32 s29, s14
	s_cbranch_execz .LBB377_37
; %bb.36:
	global_load_b64 v[20:21], v19, s[16:17] offset:28672
	s_wait_loadcnt 0x0
	v_cmp_neq_f64_e64 s15, 0, v[20:21]
	s_wait_alu 0xf1ff
	s_delay_alu instid0(VALU_DEP_1)
	v_cndmask_b32_e64 v15, 0, 1, s15
.LBB377_37:
	s_wait_alu 0xfffe
	s_or_b32 exec_lo, exec_lo, s29
	v_or_b32_e32 v17, 0xf00, v0
	s_delay_alu instid0(VALU_DEP_1)
	v_cmp_gt_u32_e64 s15, s28, v17
	s_and_saveexec_b32 s29, s15
	s_cbranch_execz .LBB377_39
; %bb.38:
	global_load_b64 v[16:17], v19, s[16:17] offset:30720
	s_wait_loadcnt 0x0
	v_cmp_neq_f64_e64 s16, 0, v[16:17]
	s_delay_alu instid0(VALU_DEP_1)
	v_cndmask_b32_e64 v16, 0, 1, s16
.LBB377_39:
	s_wait_alu 0xfffe
	s_or_b32 exec_lo, exec_lo, s29
	v_cndmask_b32_e32 v2, 0, v2, vcc_lo
	v_cndmask_b32_e64 v3, 0, v3, s2
	v_cndmask_b32_e64 v4, 0, v4, s3
	v_cmp_ne_u32_e32 vcc_lo, 31, v18
	s_min_u32 s2, s28, 0x100
	v_add_nc_u32_e32 v1, v2, v1
	v_cndmask_b32_e64 v2, 0, v5, s4
	v_cndmask_b32_e64 v5, 0, v6, s5
	;; [unrolled: 1-line block ×3, first 2 shown]
	s_mov_b32 s3, exec_lo
	v_add3_u32 v1, v1, v3, v4
	v_cndmask_b32_e64 v3, 0, v7, s6
	v_cndmask_b32_e64 v4, 0, v8, s7
	s_delay_alu instid0(VALU_DEP_3) | instskip(SKIP_2) | instid1(VALU_DEP_3)
	v_add3_u32 v1, v1, v2, v5
	v_cndmask_b32_e64 v2, 0, v9, s8
	v_cndmask_b32_e64 v5, 0, v10, s9
	v_add3_u32 v1, v1, v3, v4
	v_cndmask_b32_e64 v3, 0, v11, s10
	v_cndmask_b32_e64 v4, 0, v12, s11
	s_delay_alu instid0(VALU_DEP_3) | instskip(SKIP_2) | instid1(VALU_DEP_3)
	v_add3_u32 v1, v1, v2, v5
	v_cndmask_b32_e64 v2, 0, v13, s12
	v_cndmask_b32_e64 v5, 0, v14, s13
	v_add3_u32 v1, v1, v3, v4
	v_cndmask_b32_e64 v3, 0, v16, s15
	s_wait_alu 0xfffd
	v_add_co_ci_u32_e64 v4, null, 0, v18, vcc_lo
	v_cmp_gt_u32_e32 vcc_lo, 30, v18
	v_add3_u32 v1, v1, v2, v5
	s_delay_alu instid0(VALU_DEP_3)
	v_lshlrev_b32_e32 v2, 2, v4
	v_add_nc_u32_e32 v4, 1, v18
	s_wait_alu 0xfffd
	v_cndmask_b32_e64 v5, 0, 2, vcc_lo
	v_add3_u32 v1, v1, v6, v3
	v_and_b32_e32 v3, 0xe0, v0
	ds_bpermute_b32 v2, v2, v1
	s_wait_alu 0xfffe
	v_sub_nc_u32_e64 v3, s2, v3 clamp
	s_delay_alu instid0(VALU_DEP_1)
	v_cmp_lt_u32_e32 vcc_lo, v4, v3
	v_add_lshl_u32 v4, v5, v18, 2
	s_wait_dscnt 0x0
	s_wait_alu 0xfffd
	v_cndmask_b32_e32 v2, 0, v2, vcc_lo
	v_cmp_gt_u32_e32 vcc_lo, 28, v18
	s_delay_alu instid0(VALU_DEP_2) | instskip(SKIP_4) | instid1(VALU_DEP_1)
	v_add_nc_u32_e32 v1, v1, v2
	s_wait_alu 0xfffd
	v_cndmask_b32_e64 v5, 0, 4, vcc_lo
	ds_bpermute_b32 v2, v4, v1
	v_add_nc_u32_e32 v4, 2, v18
	v_cmp_lt_u32_e32 vcc_lo, v4, v3
	v_add_lshl_u32 v4, v5, v18, 2
	s_wait_dscnt 0x0
	s_wait_alu 0xfffd
	v_cndmask_b32_e32 v2, 0, v2, vcc_lo
	v_cmp_gt_u32_e32 vcc_lo, 24, v18
	s_delay_alu instid0(VALU_DEP_2) | instskip(SKIP_4) | instid1(VALU_DEP_1)
	v_add_nc_u32_e32 v1, v1, v2
	s_wait_alu 0xfffd
	v_cndmask_b32_e64 v5, 0, 8, vcc_lo
	ds_bpermute_b32 v2, v4, v1
	v_add_nc_u32_e32 v4, 4, v18
	v_cmp_lt_u32_e32 vcc_lo, v4, v3
	v_add_lshl_u32 v4, v5, v18, 2
	v_add_nc_u32_e32 v5, 8, v18
	s_wait_dscnt 0x0
	s_wait_alu 0xfffd
	v_cndmask_b32_e32 v2, 0, v2, vcc_lo
	s_delay_alu instid0(VALU_DEP_2) | instskip(NEXT) | instid1(VALU_DEP_2)
	v_cmp_lt_u32_e32 vcc_lo, v5, v3
	v_add_nc_u32_e32 v1, v1, v2
	v_lshlrev_b32_e32 v2, 2, v18
	ds_bpermute_b32 v4, v4, v1
	v_or_b32_e32 v5, 64, v2
	s_wait_dscnt 0x0
	s_wait_alu 0xfffd
	v_cndmask_b32_e32 v4, 0, v4, vcc_lo
	s_delay_alu instid0(VALU_DEP_1) | instskip(SKIP_2) | instid1(VALU_DEP_1)
	v_add_nc_u32_e32 v1, v1, v4
	ds_bpermute_b32 v4, v5, v1
	v_add_nc_u32_e32 v5, 16, v18
	v_cmp_lt_u32_e32 vcc_lo, v5, v3
	s_wait_dscnt 0x0
	s_wait_alu 0xfffd
	v_cndmask_b32_e32 v3, 0, v4, vcc_lo
	s_delay_alu instid0(VALU_DEP_1)
	v_add_nc_u32_e32 v1, v1, v3
	v_cmpx_eq_u32_e32 0, v18
; %bb.40:
	v_lshrrev_b32_e32 v3, 3, v0
	s_delay_alu instid0(VALU_DEP_1)
	v_and_b32_e32 v3, 28, v3
	ds_store_b32 v3, v1 offset:32
; %bb.41:
	s_or_b32 exec_lo, exec_lo, s3
	s_delay_alu instid0(SALU_CYCLE_1)
	s_mov_b32 s3, exec_lo
	s_wait_loadcnt_dscnt 0x0
	s_barrier_signal -1
	s_barrier_wait -1
	global_inv scope:SCOPE_SE
	v_cmpx_gt_u32_e32 8, v0
	s_cbranch_execz .LBB377_43
; %bb.42:
	ds_load_b32 v1, v2 offset:32
	v_and_b32_e32 v3, 7, v18
	s_add_co_i32 s2, s2, 31
	v_or_b32_e32 v2, 16, v2
	s_wait_alu 0xfffe
	s_lshr_b32 s2, s2, 5
	v_cmp_ne_u32_e32 vcc_lo, 7, v3
	v_add_nc_u32_e32 v5, 1, v3
	s_wait_alu 0xfffd
	v_add_co_ci_u32_e64 v4, null, 0, v18, vcc_lo
	v_cmp_gt_u32_e32 vcc_lo, 6, v3
	s_delay_alu instid0(VALU_DEP_2)
	v_lshlrev_b32_e32 v4, 2, v4
	s_wait_alu 0xfffd
	v_cndmask_b32_e64 v6, 0, 2, vcc_lo
	s_wait_alu 0xfffe
	v_cmp_gt_u32_e32 vcc_lo, s2, v5
	s_wait_dscnt 0x0
	ds_bpermute_b32 v4, v4, v1
	v_add_lshl_u32 v5, v6, v18, 2
	s_wait_dscnt 0x0
	s_wait_alu 0xfffd
	v_cndmask_b32_e32 v4, 0, v4, vcc_lo
	s_delay_alu instid0(VALU_DEP_1) | instskip(SKIP_3) | instid1(VALU_DEP_2)
	v_add_nc_u32_e32 v1, v4, v1
	ds_bpermute_b32 v4, v5, v1
	v_add_nc_u32_e32 v5, 2, v3
	v_add_nc_u32_e32 v3, 4, v3
	v_cmp_gt_u32_e32 vcc_lo, s2, v5
	s_wait_dscnt 0x0
	s_wait_alu 0xfffd
	v_cndmask_b32_e32 v4, 0, v4, vcc_lo
	v_cmp_gt_u32_e32 vcc_lo, s2, v3
	s_delay_alu instid0(VALU_DEP_2) | instskip(SKIP_4) | instid1(VALU_DEP_1)
	v_add_nc_u32_e32 v1, v1, v4
	ds_bpermute_b32 v2, v2, v1
	s_wait_dscnt 0x0
	s_wait_alu 0xfffd
	v_cndmask_b32_e32 v2, 0, v2, vcc_lo
	v_add_nc_u32_e32 v1, v1, v2
.LBB377_43:
	s_wait_alu 0xfffe
	s_or_b32 exec_lo, exec_lo, s3
.LBB377_44:
	s_load_b32 s0, s[0:1], 0x38
	s_mov_b32 s1, exec_lo
	v_cmpx_eq_u32_e32 0, v0
	s_cbranch_execz .LBB377_46
; %bb.45:
	s_mul_u64 s[2:3], s[26:27], s[22:23]
	s_wait_alu 0xfffe
	s_lshl_b64 s[2:3], s[2:3], 2
	s_cmp_eq_u64 s[18:19], 0
	s_wait_alu 0xfffe
	s_add_nc_u64 s[2:3], s[20:21], s[2:3]
	s_cselect_b32 s1, -1, 0
	s_wait_kmcnt 0x0
	v_cndmask_b32_e64 v0, v1, s0, s1
	v_mov_b32_e32 v1, 0
	s_lshl_b64 s[0:1], s[24:25], 2
	s_wait_alu 0xfffe
	s_add_nc_u64 s[0:1], s[2:3], s[0:1]
	global_store_b32 v1, v0, s[0:1]
.LBB377_46:
	s_endpgm
	.section	.rodata,"a",@progbits
	.p2align	6, 0x0
	.amdhsa_kernel _ZN7rocprim17ROCPRIM_400000_NS6detail17trampoline_kernelINS0_14default_configENS1_22reduce_config_selectorIbEEZNS1_11reduce_implILb1ES3_N6hipcub16HIPCUB_304000_NS22TransformInputIteratorIbN2at6native12_GLOBAL__N_19NonZeroOpIdEEPKdlEEPiiNS8_6detail34convert_binary_result_type_wrapperINS8_3SumESH_iEEEE10hipError_tPvRmT1_T2_T3_mT4_P12ihipStream_tbEUlT_E0_NS1_11comp_targetILNS1_3genE10ELNS1_11target_archE1201ELNS1_3gpuE5ELNS1_3repE0EEENS1_30default_config_static_selectorELNS0_4arch9wavefront6targetE0EEEvSQ_
		.amdhsa_group_segment_fixed_size 64
		.amdhsa_private_segment_fixed_size 0
		.amdhsa_kernarg_size 64
		.amdhsa_user_sgpr_count 2
		.amdhsa_user_sgpr_dispatch_ptr 0
		.amdhsa_user_sgpr_queue_ptr 0
		.amdhsa_user_sgpr_kernarg_segment_ptr 1
		.amdhsa_user_sgpr_dispatch_id 0
		.amdhsa_user_sgpr_private_segment_size 0
		.amdhsa_wavefront_size32 1
		.amdhsa_uses_dynamic_stack 0
		.amdhsa_enable_private_segment 0
		.amdhsa_system_sgpr_workgroup_id_x 1
		.amdhsa_system_sgpr_workgroup_id_y 0
		.amdhsa_system_sgpr_workgroup_id_z 0
		.amdhsa_system_sgpr_workgroup_info 0
		.amdhsa_system_vgpr_workitem_id 0
		.amdhsa_next_free_vgpr 36
		.amdhsa_next_free_sgpr 30
		.amdhsa_reserve_vcc 1
		.amdhsa_float_round_mode_32 0
		.amdhsa_float_round_mode_16_64 0
		.amdhsa_float_denorm_mode_32 3
		.amdhsa_float_denorm_mode_16_64 3
		.amdhsa_fp16_overflow 0
		.amdhsa_workgroup_processor_mode 1
		.amdhsa_memory_ordered 1
		.amdhsa_forward_progress 1
		.amdhsa_inst_pref_size 25
		.amdhsa_round_robin_scheduling 0
		.amdhsa_exception_fp_ieee_invalid_op 0
		.amdhsa_exception_fp_denorm_src 0
		.amdhsa_exception_fp_ieee_div_zero 0
		.amdhsa_exception_fp_ieee_overflow 0
		.amdhsa_exception_fp_ieee_underflow 0
		.amdhsa_exception_fp_ieee_inexact 0
		.amdhsa_exception_int_div_zero 0
	.end_amdhsa_kernel
	.section	.text._ZN7rocprim17ROCPRIM_400000_NS6detail17trampoline_kernelINS0_14default_configENS1_22reduce_config_selectorIbEEZNS1_11reduce_implILb1ES3_N6hipcub16HIPCUB_304000_NS22TransformInputIteratorIbN2at6native12_GLOBAL__N_19NonZeroOpIdEEPKdlEEPiiNS8_6detail34convert_binary_result_type_wrapperINS8_3SumESH_iEEEE10hipError_tPvRmT1_T2_T3_mT4_P12ihipStream_tbEUlT_E0_NS1_11comp_targetILNS1_3genE10ELNS1_11target_archE1201ELNS1_3gpuE5ELNS1_3repE0EEENS1_30default_config_static_selectorELNS0_4arch9wavefront6targetE0EEEvSQ_,"axG",@progbits,_ZN7rocprim17ROCPRIM_400000_NS6detail17trampoline_kernelINS0_14default_configENS1_22reduce_config_selectorIbEEZNS1_11reduce_implILb1ES3_N6hipcub16HIPCUB_304000_NS22TransformInputIteratorIbN2at6native12_GLOBAL__N_19NonZeroOpIdEEPKdlEEPiiNS8_6detail34convert_binary_result_type_wrapperINS8_3SumESH_iEEEE10hipError_tPvRmT1_T2_T3_mT4_P12ihipStream_tbEUlT_E0_NS1_11comp_targetILNS1_3genE10ELNS1_11target_archE1201ELNS1_3gpuE5ELNS1_3repE0EEENS1_30default_config_static_selectorELNS0_4arch9wavefront6targetE0EEEvSQ_,comdat
.Lfunc_end377:
	.size	_ZN7rocprim17ROCPRIM_400000_NS6detail17trampoline_kernelINS0_14default_configENS1_22reduce_config_selectorIbEEZNS1_11reduce_implILb1ES3_N6hipcub16HIPCUB_304000_NS22TransformInputIteratorIbN2at6native12_GLOBAL__N_19NonZeroOpIdEEPKdlEEPiiNS8_6detail34convert_binary_result_type_wrapperINS8_3SumESH_iEEEE10hipError_tPvRmT1_T2_T3_mT4_P12ihipStream_tbEUlT_E0_NS1_11comp_targetILNS1_3genE10ELNS1_11target_archE1201ELNS1_3gpuE5ELNS1_3repE0EEENS1_30default_config_static_selectorELNS0_4arch9wavefront6targetE0EEEvSQ_, .Lfunc_end377-_ZN7rocprim17ROCPRIM_400000_NS6detail17trampoline_kernelINS0_14default_configENS1_22reduce_config_selectorIbEEZNS1_11reduce_implILb1ES3_N6hipcub16HIPCUB_304000_NS22TransformInputIteratorIbN2at6native12_GLOBAL__N_19NonZeroOpIdEEPKdlEEPiiNS8_6detail34convert_binary_result_type_wrapperINS8_3SumESH_iEEEE10hipError_tPvRmT1_T2_T3_mT4_P12ihipStream_tbEUlT_E0_NS1_11comp_targetILNS1_3genE10ELNS1_11target_archE1201ELNS1_3gpuE5ELNS1_3repE0EEENS1_30default_config_static_selectorELNS0_4arch9wavefront6targetE0EEEvSQ_
                                        ; -- End function
	.set _ZN7rocprim17ROCPRIM_400000_NS6detail17trampoline_kernelINS0_14default_configENS1_22reduce_config_selectorIbEEZNS1_11reduce_implILb1ES3_N6hipcub16HIPCUB_304000_NS22TransformInputIteratorIbN2at6native12_GLOBAL__N_19NonZeroOpIdEEPKdlEEPiiNS8_6detail34convert_binary_result_type_wrapperINS8_3SumESH_iEEEE10hipError_tPvRmT1_T2_T3_mT4_P12ihipStream_tbEUlT_E0_NS1_11comp_targetILNS1_3genE10ELNS1_11target_archE1201ELNS1_3gpuE5ELNS1_3repE0EEENS1_30default_config_static_selectorELNS0_4arch9wavefront6targetE0EEEvSQ_.num_vgpr, 36
	.set _ZN7rocprim17ROCPRIM_400000_NS6detail17trampoline_kernelINS0_14default_configENS1_22reduce_config_selectorIbEEZNS1_11reduce_implILb1ES3_N6hipcub16HIPCUB_304000_NS22TransformInputIteratorIbN2at6native12_GLOBAL__N_19NonZeroOpIdEEPKdlEEPiiNS8_6detail34convert_binary_result_type_wrapperINS8_3SumESH_iEEEE10hipError_tPvRmT1_T2_T3_mT4_P12ihipStream_tbEUlT_E0_NS1_11comp_targetILNS1_3genE10ELNS1_11target_archE1201ELNS1_3gpuE5ELNS1_3repE0EEENS1_30default_config_static_selectorELNS0_4arch9wavefront6targetE0EEEvSQ_.num_agpr, 0
	.set _ZN7rocprim17ROCPRIM_400000_NS6detail17trampoline_kernelINS0_14default_configENS1_22reduce_config_selectorIbEEZNS1_11reduce_implILb1ES3_N6hipcub16HIPCUB_304000_NS22TransformInputIteratorIbN2at6native12_GLOBAL__N_19NonZeroOpIdEEPKdlEEPiiNS8_6detail34convert_binary_result_type_wrapperINS8_3SumESH_iEEEE10hipError_tPvRmT1_T2_T3_mT4_P12ihipStream_tbEUlT_E0_NS1_11comp_targetILNS1_3genE10ELNS1_11target_archE1201ELNS1_3gpuE5ELNS1_3repE0EEENS1_30default_config_static_selectorELNS0_4arch9wavefront6targetE0EEEvSQ_.numbered_sgpr, 30
	.set _ZN7rocprim17ROCPRIM_400000_NS6detail17trampoline_kernelINS0_14default_configENS1_22reduce_config_selectorIbEEZNS1_11reduce_implILb1ES3_N6hipcub16HIPCUB_304000_NS22TransformInputIteratorIbN2at6native12_GLOBAL__N_19NonZeroOpIdEEPKdlEEPiiNS8_6detail34convert_binary_result_type_wrapperINS8_3SumESH_iEEEE10hipError_tPvRmT1_T2_T3_mT4_P12ihipStream_tbEUlT_E0_NS1_11comp_targetILNS1_3genE10ELNS1_11target_archE1201ELNS1_3gpuE5ELNS1_3repE0EEENS1_30default_config_static_selectorELNS0_4arch9wavefront6targetE0EEEvSQ_.num_named_barrier, 0
	.set _ZN7rocprim17ROCPRIM_400000_NS6detail17trampoline_kernelINS0_14default_configENS1_22reduce_config_selectorIbEEZNS1_11reduce_implILb1ES3_N6hipcub16HIPCUB_304000_NS22TransformInputIteratorIbN2at6native12_GLOBAL__N_19NonZeroOpIdEEPKdlEEPiiNS8_6detail34convert_binary_result_type_wrapperINS8_3SumESH_iEEEE10hipError_tPvRmT1_T2_T3_mT4_P12ihipStream_tbEUlT_E0_NS1_11comp_targetILNS1_3genE10ELNS1_11target_archE1201ELNS1_3gpuE5ELNS1_3repE0EEENS1_30default_config_static_selectorELNS0_4arch9wavefront6targetE0EEEvSQ_.private_seg_size, 0
	.set _ZN7rocprim17ROCPRIM_400000_NS6detail17trampoline_kernelINS0_14default_configENS1_22reduce_config_selectorIbEEZNS1_11reduce_implILb1ES3_N6hipcub16HIPCUB_304000_NS22TransformInputIteratorIbN2at6native12_GLOBAL__N_19NonZeroOpIdEEPKdlEEPiiNS8_6detail34convert_binary_result_type_wrapperINS8_3SumESH_iEEEE10hipError_tPvRmT1_T2_T3_mT4_P12ihipStream_tbEUlT_E0_NS1_11comp_targetILNS1_3genE10ELNS1_11target_archE1201ELNS1_3gpuE5ELNS1_3repE0EEENS1_30default_config_static_selectorELNS0_4arch9wavefront6targetE0EEEvSQ_.uses_vcc, 1
	.set _ZN7rocprim17ROCPRIM_400000_NS6detail17trampoline_kernelINS0_14default_configENS1_22reduce_config_selectorIbEEZNS1_11reduce_implILb1ES3_N6hipcub16HIPCUB_304000_NS22TransformInputIteratorIbN2at6native12_GLOBAL__N_19NonZeroOpIdEEPKdlEEPiiNS8_6detail34convert_binary_result_type_wrapperINS8_3SumESH_iEEEE10hipError_tPvRmT1_T2_T3_mT4_P12ihipStream_tbEUlT_E0_NS1_11comp_targetILNS1_3genE10ELNS1_11target_archE1201ELNS1_3gpuE5ELNS1_3repE0EEENS1_30default_config_static_selectorELNS0_4arch9wavefront6targetE0EEEvSQ_.uses_flat_scratch, 0
	.set _ZN7rocprim17ROCPRIM_400000_NS6detail17trampoline_kernelINS0_14default_configENS1_22reduce_config_selectorIbEEZNS1_11reduce_implILb1ES3_N6hipcub16HIPCUB_304000_NS22TransformInputIteratorIbN2at6native12_GLOBAL__N_19NonZeroOpIdEEPKdlEEPiiNS8_6detail34convert_binary_result_type_wrapperINS8_3SumESH_iEEEE10hipError_tPvRmT1_T2_T3_mT4_P12ihipStream_tbEUlT_E0_NS1_11comp_targetILNS1_3genE10ELNS1_11target_archE1201ELNS1_3gpuE5ELNS1_3repE0EEENS1_30default_config_static_selectorELNS0_4arch9wavefront6targetE0EEEvSQ_.has_dyn_sized_stack, 0
	.set _ZN7rocprim17ROCPRIM_400000_NS6detail17trampoline_kernelINS0_14default_configENS1_22reduce_config_selectorIbEEZNS1_11reduce_implILb1ES3_N6hipcub16HIPCUB_304000_NS22TransformInputIteratorIbN2at6native12_GLOBAL__N_19NonZeroOpIdEEPKdlEEPiiNS8_6detail34convert_binary_result_type_wrapperINS8_3SumESH_iEEEE10hipError_tPvRmT1_T2_T3_mT4_P12ihipStream_tbEUlT_E0_NS1_11comp_targetILNS1_3genE10ELNS1_11target_archE1201ELNS1_3gpuE5ELNS1_3repE0EEENS1_30default_config_static_selectorELNS0_4arch9wavefront6targetE0EEEvSQ_.has_recursion, 0
	.set _ZN7rocprim17ROCPRIM_400000_NS6detail17trampoline_kernelINS0_14default_configENS1_22reduce_config_selectorIbEEZNS1_11reduce_implILb1ES3_N6hipcub16HIPCUB_304000_NS22TransformInputIteratorIbN2at6native12_GLOBAL__N_19NonZeroOpIdEEPKdlEEPiiNS8_6detail34convert_binary_result_type_wrapperINS8_3SumESH_iEEEE10hipError_tPvRmT1_T2_T3_mT4_P12ihipStream_tbEUlT_E0_NS1_11comp_targetILNS1_3genE10ELNS1_11target_archE1201ELNS1_3gpuE5ELNS1_3repE0EEENS1_30default_config_static_selectorELNS0_4arch9wavefront6targetE0EEEvSQ_.has_indirect_call, 0
	.section	.AMDGPU.csdata,"",@progbits
; Kernel info:
; codeLenInByte = 3084
; TotalNumSgprs: 32
; NumVgprs: 36
; ScratchSize: 0
; MemoryBound: 0
; FloatMode: 240
; IeeeMode: 1
; LDSByteSize: 64 bytes/workgroup (compile time only)
; SGPRBlocks: 0
; VGPRBlocks: 4
; NumSGPRsForWavesPerEU: 32
; NumVGPRsForWavesPerEU: 36
; Occupancy: 16
; WaveLimiterHint : 1
; COMPUTE_PGM_RSRC2:SCRATCH_EN: 0
; COMPUTE_PGM_RSRC2:USER_SGPR: 2
; COMPUTE_PGM_RSRC2:TRAP_HANDLER: 0
; COMPUTE_PGM_RSRC2:TGID_X_EN: 1
; COMPUTE_PGM_RSRC2:TGID_Y_EN: 0
; COMPUTE_PGM_RSRC2:TGID_Z_EN: 0
; COMPUTE_PGM_RSRC2:TIDIG_COMP_CNT: 0
	.section	.text._ZN7rocprim17ROCPRIM_400000_NS6detail17trampoline_kernelINS0_14default_configENS1_22reduce_config_selectorIbEEZNS1_11reduce_implILb1ES3_N6hipcub16HIPCUB_304000_NS22TransformInputIteratorIbN2at6native12_GLOBAL__N_19NonZeroOpIdEEPKdlEEPiiNS8_6detail34convert_binary_result_type_wrapperINS8_3SumESH_iEEEE10hipError_tPvRmT1_T2_T3_mT4_P12ihipStream_tbEUlT_E0_NS1_11comp_targetILNS1_3genE10ELNS1_11target_archE1200ELNS1_3gpuE4ELNS1_3repE0EEENS1_30default_config_static_selectorELNS0_4arch9wavefront6targetE0EEEvSQ_,"axG",@progbits,_ZN7rocprim17ROCPRIM_400000_NS6detail17trampoline_kernelINS0_14default_configENS1_22reduce_config_selectorIbEEZNS1_11reduce_implILb1ES3_N6hipcub16HIPCUB_304000_NS22TransformInputIteratorIbN2at6native12_GLOBAL__N_19NonZeroOpIdEEPKdlEEPiiNS8_6detail34convert_binary_result_type_wrapperINS8_3SumESH_iEEEE10hipError_tPvRmT1_T2_T3_mT4_P12ihipStream_tbEUlT_E0_NS1_11comp_targetILNS1_3genE10ELNS1_11target_archE1200ELNS1_3gpuE4ELNS1_3repE0EEENS1_30default_config_static_selectorELNS0_4arch9wavefront6targetE0EEEvSQ_,comdat
	.globl	_ZN7rocprim17ROCPRIM_400000_NS6detail17trampoline_kernelINS0_14default_configENS1_22reduce_config_selectorIbEEZNS1_11reduce_implILb1ES3_N6hipcub16HIPCUB_304000_NS22TransformInputIteratorIbN2at6native12_GLOBAL__N_19NonZeroOpIdEEPKdlEEPiiNS8_6detail34convert_binary_result_type_wrapperINS8_3SumESH_iEEEE10hipError_tPvRmT1_T2_T3_mT4_P12ihipStream_tbEUlT_E0_NS1_11comp_targetILNS1_3genE10ELNS1_11target_archE1200ELNS1_3gpuE4ELNS1_3repE0EEENS1_30default_config_static_selectorELNS0_4arch9wavefront6targetE0EEEvSQ_ ; -- Begin function _ZN7rocprim17ROCPRIM_400000_NS6detail17trampoline_kernelINS0_14default_configENS1_22reduce_config_selectorIbEEZNS1_11reduce_implILb1ES3_N6hipcub16HIPCUB_304000_NS22TransformInputIteratorIbN2at6native12_GLOBAL__N_19NonZeroOpIdEEPKdlEEPiiNS8_6detail34convert_binary_result_type_wrapperINS8_3SumESH_iEEEE10hipError_tPvRmT1_T2_T3_mT4_P12ihipStream_tbEUlT_E0_NS1_11comp_targetILNS1_3genE10ELNS1_11target_archE1200ELNS1_3gpuE4ELNS1_3repE0EEENS1_30default_config_static_selectorELNS0_4arch9wavefront6targetE0EEEvSQ_
	.p2align	8
	.type	_ZN7rocprim17ROCPRIM_400000_NS6detail17trampoline_kernelINS0_14default_configENS1_22reduce_config_selectorIbEEZNS1_11reduce_implILb1ES3_N6hipcub16HIPCUB_304000_NS22TransformInputIteratorIbN2at6native12_GLOBAL__N_19NonZeroOpIdEEPKdlEEPiiNS8_6detail34convert_binary_result_type_wrapperINS8_3SumESH_iEEEE10hipError_tPvRmT1_T2_T3_mT4_P12ihipStream_tbEUlT_E0_NS1_11comp_targetILNS1_3genE10ELNS1_11target_archE1200ELNS1_3gpuE4ELNS1_3repE0EEENS1_30default_config_static_selectorELNS0_4arch9wavefront6targetE0EEEvSQ_,@function
_ZN7rocprim17ROCPRIM_400000_NS6detail17trampoline_kernelINS0_14default_configENS1_22reduce_config_selectorIbEEZNS1_11reduce_implILb1ES3_N6hipcub16HIPCUB_304000_NS22TransformInputIteratorIbN2at6native12_GLOBAL__N_19NonZeroOpIdEEPKdlEEPiiNS8_6detail34convert_binary_result_type_wrapperINS8_3SumESH_iEEEE10hipError_tPvRmT1_T2_T3_mT4_P12ihipStream_tbEUlT_E0_NS1_11comp_targetILNS1_3genE10ELNS1_11target_archE1200ELNS1_3gpuE4ELNS1_3repE0EEENS1_30default_config_static_selectorELNS0_4arch9wavefront6targetE0EEEvSQ_: ; @_ZN7rocprim17ROCPRIM_400000_NS6detail17trampoline_kernelINS0_14default_configENS1_22reduce_config_selectorIbEEZNS1_11reduce_implILb1ES3_N6hipcub16HIPCUB_304000_NS22TransformInputIteratorIbN2at6native12_GLOBAL__N_19NonZeroOpIdEEPKdlEEPiiNS8_6detail34convert_binary_result_type_wrapperINS8_3SumESH_iEEEE10hipError_tPvRmT1_T2_T3_mT4_P12ihipStream_tbEUlT_E0_NS1_11comp_targetILNS1_3genE10ELNS1_11target_archE1200ELNS1_3gpuE4ELNS1_3repE0EEENS1_30default_config_static_selectorELNS0_4arch9wavefront6targetE0EEEvSQ_
; %bb.0:
	.section	.rodata,"a",@progbits
	.p2align	6, 0x0
	.amdhsa_kernel _ZN7rocprim17ROCPRIM_400000_NS6detail17trampoline_kernelINS0_14default_configENS1_22reduce_config_selectorIbEEZNS1_11reduce_implILb1ES3_N6hipcub16HIPCUB_304000_NS22TransformInputIteratorIbN2at6native12_GLOBAL__N_19NonZeroOpIdEEPKdlEEPiiNS8_6detail34convert_binary_result_type_wrapperINS8_3SumESH_iEEEE10hipError_tPvRmT1_T2_T3_mT4_P12ihipStream_tbEUlT_E0_NS1_11comp_targetILNS1_3genE10ELNS1_11target_archE1200ELNS1_3gpuE4ELNS1_3repE0EEENS1_30default_config_static_selectorELNS0_4arch9wavefront6targetE0EEEvSQ_
		.amdhsa_group_segment_fixed_size 0
		.amdhsa_private_segment_fixed_size 0
		.amdhsa_kernarg_size 64
		.amdhsa_user_sgpr_count 2
		.amdhsa_user_sgpr_dispatch_ptr 0
		.amdhsa_user_sgpr_queue_ptr 0
		.amdhsa_user_sgpr_kernarg_segment_ptr 1
		.amdhsa_user_sgpr_dispatch_id 0
		.amdhsa_user_sgpr_private_segment_size 0
		.amdhsa_wavefront_size32 1
		.amdhsa_uses_dynamic_stack 0
		.amdhsa_enable_private_segment 0
		.amdhsa_system_sgpr_workgroup_id_x 1
		.amdhsa_system_sgpr_workgroup_id_y 0
		.amdhsa_system_sgpr_workgroup_id_z 0
		.amdhsa_system_sgpr_workgroup_info 0
		.amdhsa_system_vgpr_workitem_id 0
		.amdhsa_next_free_vgpr 1
		.amdhsa_next_free_sgpr 1
		.amdhsa_reserve_vcc 0
		.amdhsa_float_round_mode_32 0
		.amdhsa_float_round_mode_16_64 0
		.amdhsa_float_denorm_mode_32 3
		.amdhsa_float_denorm_mode_16_64 3
		.amdhsa_fp16_overflow 0
		.amdhsa_workgroup_processor_mode 1
		.amdhsa_memory_ordered 1
		.amdhsa_forward_progress 1
		.amdhsa_inst_pref_size 0
		.amdhsa_round_robin_scheduling 0
		.amdhsa_exception_fp_ieee_invalid_op 0
		.amdhsa_exception_fp_denorm_src 0
		.amdhsa_exception_fp_ieee_div_zero 0
		.amdhsa_exception_fp_ieee_overflow 0
		.amdhsa_exception_fp_ieee_underflow 0
		.amdhsa_exception_fp_ieee_inexact 0
		.amdhsa_exception_int_div_zero 0
	.end_amdhsa_kernel
	.section	.text._ZN7rocprim17ROCPRIM_400000_NS6detail17trampoline_kernelINS0_14default_configENS1_22reduce_config_selectorIbEEZNS1_11reduce_implILb1ES3_N6hipcub16HIPCUB_304000_NS22TransformInputIteratorIbN2at6native12_GLOBAL__N_19NonZeroOpIdEEPKdlEEPiiNS8_6detail34convert_binary_result_type_wrapperINS8_3SumESH_iEEEE10hipError_tPvRmT1_T2_T3_mT4_P12ihipStream_tbEUlT_E0_NS1_11comp_targetILNS1_3genE10ELNS1_11target_archE1200ELNS1_3gpuE4ELNS1_3repE0EEENS1_30default_config_static_selectorELNS0_4arch9wavefront6targetE0EEEvSQ_,"axG",@progbits,_ZN7rocprim17ROCPRIM_400000_NS6detail17trampoline_kernelINS0_14default_configENS1_22reduce_config_selectorIbEEZNS1_11reduce_implILb1ES3_N6hipcub16HIPCUB_304000_NS22TransformInputIteratorIbN2at6native12_GLOBAL__N_19NonZeroOpIdEEPKdlEEPiiNS8_6detail34convert_binary_result_type_wrapperINS8_3SumESH_iEEEE10hipError_tPvRmT1_T2_T3_mT4_P12ihipStream_tbEUlT_E0_NS1_11comp_targetILNS1_3genE10ELNS1_11target_archE1200ELNS1_3gpuE4ELNS1_3repE0EEENS1_30default_config_static_selectorELNS0_4arch9wavefront6targetE0EEEvSQ_,comdat
.Lfunc_end378:
	.size	_ZN7rocprim17ROCPRIM_400000_NS6detail17trampoline_kernelINS0_14default_configENS1_22reduce_config_selectorIbEEZNS1_11reduce_implILb1ES3_N6hipcub16HIPCUB_304000_NS22TransformInputIteratorIbN2at6native12_GLOBAL__N_19NonZeroOpIdEEPKdlEEPiiNS8_6detail34convert_binary_result_type_wrapperINS8_3SumESH_iEEEE10hipError_tPvRmT1_T2_T3_mT4_P12ihipStream_tbEUlT_E0_NS1_11comp_targetILNS1_3genE10ELNS1_11target_archE1200ELNS1_3gpuE4ELNS1_3repE0EEENS1_30default_config_static_selectorELNS0_4arch9wavefront6targetE0EEEvSQ_, .Lfunc_end378-_ZN7rocprim17ROCPRIM_400000_NS6detail17trampoline_kernelINS0_14default_configENS1_22reduce_config_selectorIbEEZNS1_11reduce_implILb1ES3_N6hipcub16HIPCUB_304000_NS22TransformInputIteratorIbN2at6native12_GLOBAL__N_19NonZeroOpIdEEPKdlEEPiiNS8_6detail34convert_binary_result_type_wrapperINS8_3SumESH_iEEEE10hipError_tPvRmT1_T2_T3_mT4_P12ihipStream_tbEUlT_E0_NS1_11comp_targetILNS1_3genE10ELNS1_11target_archE1200ELNS1_3gpuE4ELNS1_3repE0EEENS1_30default_config_static_selectorELNS0_4arch9wavefront6targetE0EEEvSQ_
                                        ; -- End function
	.set _ZN7rocprim17ROCPRIM_400000_NS6detail17trampoline_kernelINS0_14default_configENS1_22reduce_config_selectorIbEEZNS1_11reduce_implILb1ES3_N6hipcub16HIPCUB_304000_NS22TransformInputIteratorIbN2at6native12_GLOBAL__N_19NonZeroOpIdEEPKdlEEPiiNS8_6detail34convert_binary_result_type_wrapperINS8_3SumESH_iEEEE10hipError_tPvRmT1_T2_T3_mT4_P12ihipStream_tbEUlT_E0_NS1_11comp_targetILNS1_3genE10ELNS1_11target_archE1200ELNS1_3gpuE4ELNS1_3repE0EEENS1_30default_config_static_selectorELNS0_4arch9wavefront6targetE0EEEvSQ_.num_vgpr, 0
	.set _ZN7rocprim17ROCPRIM_400000_NS6detail17trampoline_kernelINS0_14default_configENS1_22reduce_config_selectorIbEEZNS1_11reduce_implILb1ES3_N6hipcub16HIPCUB_304000_NS22TransformInputIteratorIbN2at6native12_GLOBAL__N_19NonZeroOpIdEEPKdlEEPiiNS8_6detail34convert_binary_result_type_wrapperINS8_3SumESH_iEEEE10hipError_tPvRmT1_T2_T3_mT4_P12ihipStream_tbEUlT_E0_NS1_11comp_targetILNS1_3genE10ELNS1_11target_archE1200ELNS1_3gpuE4ELNS1_3repE0EEENS1_30default_config_static_selectorELNS0_4arch9wavefront6targetE0EEEvSQ_.num_agpr, 0
	.set _ZN7rocprim17ROCPRIM_400000_NS6detail17trampoline_kernelINS0_14default_configENS1_22reduce_config_selectorIbEEZNS1_11reduce_implILb1ES3_N6hipcub16HIPCUB_304000_NS22TransformInputIteratorIbN2at6native12_GLOBAL__N_19NonZeroOpIdEEPKdlEEPiiNS8_6detail34convert_binary_result_type_wrapperINS8_3SumESH_iEEEE10hipError_tPvRmT1_T2_T3_mT4_P12ihipStream_tbEUlT_E0_NS1_11comp_targetILNS1_3genE10ELNS1_11target_archE1200ELNS1_3gpuE4ELNS1_3repE0EEENS1_30default_config_static_selectorELNS0_4arch9wavefront6targetE0EEEvSQ_.numbered_sgpr, 0
	.set _ZN7rocprim17ROCPRIM_400000_NS6detail17trampoline_kernelINS0_14default_configENS1_22reduce_config_selectorIbEEZNS1_11reduce_implILb1ES3_N6hipcub16HIPCUB_304000_NS22TransformInputIteratorIbN2at6native12_GLOBAL__N_19NonZeroOpIdEEPKdlEEPiiNS8_6detail34convert_binary_result_type_wrapperINS8_3SumESH_iEEEE10hipError_tPvRmT1_T2_T3_mT4_P12ihipStream_tbEUlT_E0_NS1_11comp_targetILNS1_3genE10ELNS1_11target_archE1200ELNS1_3gpuE4ELNS1_3repE0EEENS1_30default_config_static_selectorELNS0_4arch9wavefront6targetE0EEEvSQ_.num_named_barrier, 0
	.set _ZN7rocprim17ROCPRIM_400000_NS6detail17trampoline_kernelINS0_14default_configENS1_22reduce_config_selectorIbEEZNS1_11reduce_implILb1ES3_N6hipcub16HIPCUB_304000_NS22TransformInputIteratorIbN2at6native12_GLOBAL__N_19NonZeroOpIdEEPKdlEEPiiNS8_6detail34convert_binary_result_type_wrapperINS8_3SumESH_iEEEE10hipError_tPvRmT1_T2_T3_mT4_P12ihipStream_tbEUlT_E0_NS1_11comp_targetILNS1_3genE10ELNS1_11target_archE1200ELNS1_3gpuE4ELNS1_3repE0EEENS1_30default_config_static_selectorELNS0_4arch9wavefront6targetE0EEEvSQ_.private_seg_size, 0
	.set _ZN7rocprim17ROCPRIM_400000_NS6detail17trampoline_kernelINS0_14default_configENS1_22reduce_config_selectorIbEEZNS1_11reduce_implILb1ES3_N6hipcub16HIPCUB_304000_NS22TransformInputIteratorIbN2at6native12_GLOBAL__N_19NonZeroOpIdEEPKdlEEPiiNS8_6detail34convert_binary_result_type_wrapperINS8_3SumESH_iEEEE10hipError_tPvRmT1_T2_T3_mT4_P12ihipStream_tbEUlT_E0_NS1_11comp_targetILNS1_3genE10ELNS1_11target_archE1200ELNS1_3gpuE4ELNS1_3repE0EEENS1_30default_config_static_selectorELNS0_4arch9wavefront6targetE0EEEvSQ_.uses_vcc, 0
	.set _ZN7rocprim17ROCPRIM_400000_NS6detail17trampoline_kernelINS0_14default_configENS1_22reduce_config_selectorIbEEZNS1_11reduce_implILb1ES3_N6hipcub16HIPCUB_304000_NS22TransformInputIteratorIbN2at6native12_GLOBAL__N_19NonZeroOpIdEEPKdlEEPiiNS8_6detail34convert_binary_result_type_wrapperINS8_3SumESH_iEEEE10hipError_tPvRmT1_T2_T3_mT4_P12ihipStream_tbEUlT_E0_NS1_11comp_targetILNS1_3genE10ELNS1_11target_archE1200ELNS1_3gpuE4ELNS1_3repE0EEENS1_30default_config_static_selectorELNS0_4arch9wavefront6targetE0EEEvSQ_.uses_flat_scratch, 0
	.set _ZN7rocprim17ROCPRIM_400000_NS6detail17trampoline_kernelINS0_14default_configENS1_22reduce_config_selectorIbEEZNS1_11reduce_implILb1ES3_N6hipcub16HIPCUB_304000_NS22TransformInputIteratorIbN2at6native12_GLOBAL__N_19NonZeroOpIdEEPKdlEEPiiNS8_6detail34convert_binary_result_type_wrapperINS8_3SumESH_iEEEE10hipError_tPvRmT1_T2_T3_mT4_P12ihipStream_tbEUlT_E0_NS1_11comp_targetILNS1_3genE10ELNS1_11target_archE1200ELNS1_3gpuE4ELNS1_3repE0EEENS1_30default_config_static_selectorELNS0_4arch9wavefront6targetE0EEEvSQ_.has_dyn_sized_stack, 0
	.set _ZN7rocprim17ROCPRIM_400000_NS6detail17trampoline_kernelINS0_14default_configENS1_22reduce_config_selectorIbEEZNS1_11reduce_implILb1ES3_N6hipcub16HIPCUB_304000_NS22TransformInputIteratorIbN2at6native12_GLOBAL__N_19NonZeroOpIdEEPKdlEEPiiNS8_6detail34convert_binary_result_type_wrapperINS8_3SumESH_iEEEE10hipError_tPvRmT1_T2_T3_mT4_P12ihipStream_tbEUlT_E0_NS1_11comp_targetILNS1_3genE10ELNS1_11target_archE1200ELNS1_3gpuE4ELNS1_3repE0EEENS1_30default_config_static_selectorELNS0_4arch9wavefront6targetE0EEEvSQ_.has_recursion, 0
	.set _ZN7rocprim17ROCPRIM_400000_NS6detail17trampoline_kernelINS0_14default_configENS1_22reduce_config_selectorIbEEZNS1_11reduce_implILb1ES3_N6hipcub16HIPCUB_304000_NS22TransformInputIteratorIbN2at6native12_GLOBAL__N_19NonZeroOpIdEEPKdlEEPiiNS8_6detail34convert_binary_result_type_wrapperINS8_3SumESH_iEEEE10hipError_tPvRmT1_T2_T3_mT4_P12ihipStream_tbEUlT_E0_NS1_11comp_targetILNS1_3genE10ELNS1_11target_archE1200ELNS1_3gpuE4ELNS1_3repE0EEENS1_30default_config_static_selectorELNS0_4arch9wavefront6targetE0EEEvSQ_.has_indirect_call, 0
	.section	.AMDGPU.csdata,"",@progbits
; Kernel info:
; codeLenInByte = 0
; TotalNumSgprs: 0
; NumVgprs: 0
; ScratchSize: 0
; MemoryBound: 0
; FloatMode: 240
; IeeeMode: 1
; LDSByteSize: 0 bytes/workgroup (compile time only)
; SGPRBlocks: 0
; VGPRBlocks: 0
; NumSGPRsForWavesPerEU: 1
; NumVGPRsForWavesPerEU: 1
; Occupancy: 16
; WaveLimiterHint : 0
; COMPUTE_PGM_RSRC2:SCRATCH_EN: 0
; COMPUTE_PGM_RSRC2:USER_SGPR: 2
; COMPUTE_PGM_RSRC2:TRAP_HANDLER: 0
; COMPUTE_PGM_RSRC2:TGID_X_EN: 1
; COMPUTE_PGM_RSRC2:TGID_Y_EN: 0
; COMPUTE_PGM_RSRC2:TGID_Z_EN: 0
; COMPUTE_PGM_RSRC2:TIDIG_COMP_CNT: 0
	.section	.text._ZN7rocprim17ROCPRIM_400000_NS6detail17trampoline_kernelINS0_14default_configENS1_22reduce_config_selectorIbEEZNS1_11reduce_implILb1ES3_N6hipcub16HIPCUB_304000_NS22TransformInputIteratorIbN2at6native12_GLOBAL__N_19NonZeroOpIdEEPKdlEEPiiNS8_6detail34convert_binary_result_type_wrapperINS8_3SumESH_iEEEE10hipError_tPvRmT1_T2_T3_mT4_P12ihipStream_tbEUlT_E0_NS1_11comp_targetILNS1_3genE9ELNS1_11target_archE1100ELNS1_3gpuE3ELNS1_3repE0EEENS1_30default_config_static_selectorELNS0_4arch9wavefront6targetE0EEEvSQ_,"axG",@progbits,_ZN7rocprim17ROCPRIM_400000_NS6detail17trampoline_kernelINS0_14default_configENS1_22reduce_config_selectorIbEEZNS1_11reduce_implILb1ES3_N6hipcub16HIPCUB_304000_NS22TransformInputIteratorIbN2at6native12_GLOBAL__N_19NonZeroOpIdEEPKdlEEPiiNS8_6detail34convert_binary_result_type_wrapperINS8_3SumESH_iEEEE10hipError_tPvRmT1_T2_T3_mT4_P12ihipStream_tbEUlT_E0_NS1_11comp_targetILNS1_3genE9ELNS1_11target_archE1100ELNS1_3gpuE3ELNS1_3repE0EEENS1_30default_config_static_selectorELNS0_4arch9wavefront6targetE0EEEvSQ_,comdat
	.globl	_ZN7rocprim17ROCPRIM_400000_NS6detail17trampoline_kernelINS0_14default_configENS1_22reduce_config_selectorIbEEZNS1_11reduce_implILb1ES3_N6hipcub16HIPCUB_304000_NS22TransformInputIteratorIbN2at6native12_GLOBAL__N_19NonZeroOpIdEEPKdlEEPiiNS8_6detail34convert_binary_result_type_wrapperINS8_3SumESH_iEEEE10hipError_tPvRmT1_T2_T3_mT4_P12ihipStream_tbEUlT_E0_NS1_11comp_targetILNS1_3genE9ELNS1_11target_archE1100ELNS1_3gpuE3ELNS1_3repE0EEENS1_30default_config_static_selectorELNS0_4arch9wavefront6targetE0EEEvSQ_ ; -- Begin function _ZN7rocprim17ROCPRIM_400000_NS6detail17trampoline_kernelINS0_14default_configENS1_22reduce_config_selectorIbEEZNS1_11reduce_implILb1ES3_N6hipcub16HIPCUB_304000_NS22TransformInputIteratorIbN2at6native12_GLOBAL__N_19NonZeroOpIdEEPKdlEEPiiNS8_6detail34convert_binary_result_type_wrapperINS8_3SumESH_iEEEE10hipError_tPvRmT1_T2_T3_mT4_P12ihipStream_tbEUlT_E0_NS1_11comp_targetILNS1_3genE9ELNS1_11target_archE1100ELNS1_3gpuE3ELNS1_3repE0EEENS1_30default_config_static_selectorELNS0_4arch9wavefront6targetE0EEEvSQ_
	.p2align	8
	.type	_ZN7rocprim17ROCPRIM_400000_NS6detail17trampoline_kernelINS0_14default_configENS1_22reduce_config_selectorIbEEZNS1_11reduce_implILb1ES3_N6hipcub16HIPCUB_304000_NS22TransformInputIteratorIbN2at6native12_GLOBAL__N_19NonZeroOpIdEEPKdlEEPiiNS8_6detail34convert_binary_result_type_wrapperINS8_3SumESH_iEEEE10hipError_tPvRmT1_T2_T3_mT4_P12ihipStream_tbEUlT_E0_NS1_11comp_targetILNS1_3genE9ELNS1_11target_archE1100ELNS1_3gpuE3ELNS1_3repE0EEENS1_30default_config_static_selectorELNS0_4arch9wavefront6targetE0EEEvSQ_,@function
_ZN7rocprim17ROCPRIM_400000_NS6detail17trampoline_kernelINS0_14default_configENS1_22reduce_config_selectorIbEEZNS1_11reduce_implILb1ES3_N6hipcub16HIPCUB_304000_NS22TransformInputIteratorIbN2at6native12_GLOBAL__N_19NonZeroOpIdEEPKdlEEPiiNS8_6detail34convert_binary_result_type_wrapperINS8_3SumESH_iEEEE10hipError_tPvRmT1_T2_T3_mT4_P12ihipStream_tbEUlT_E0_NS1_11comp_targetILNS1_3genE9ELNS1_11target_archE1100ELNS1_3gpuE3ELNS1_3repE0EEENS1_30default_config_static_selectorELNS0_4arch9wavefront6targetE0EEEvSQ_: ; @_ZN7rocprim17ROCPRIM_400000_NS6detail17trampoline_kernelINS0_14default_configENS1_22reduce_config_selectorIbEEZNS1_11reduce_implILb1ES3_N6hipcub16HIPCUB_304000_NS22TransformInputIteratorIbN2at6native12_GLOBAL__N_19NonZeroOpIdEEPKdlEEPiiNS8_6detail34convert_binary_result_type_wrapperINS8_3SumESH_iEEEE10hipError_tPvRmT1_T2_T3_mT4_P12ihipStream_tbEUlT_E0_NS1_11comp_targetILNS1_3genE9ELNS1_11target_archE1100ELNS1_3gpuE3ELNS1_3repE0EEENS1_30default_config_static_selectorELNS0_4arch9wavefront6targetE0EEEvSQ_
; %bb.0:
	.section	.rodata,"a",@progbits
	.p2align	6, 0x0
	.amdhsa_kernel _ZN7rocprim17ROCPRIM_400000_NS6detail17trampoline_kernelINS0_14default_configENS1_22reduce_config_selectorIbEEZNS1_11reduce_implILb1ES3_N6hipcub16HIPCUB_304000_NS22TransformInputIteratorIbN2at6native12_GLOBAL__N_19NonZeroOpIdEEPKdlEEPiiNS8_6detail34convert_binary_result_type_wrapperINS8_3SumESH_iEEEE10hipError_tPvRmT1_T2_T3_mT4_P12ihipStream_tbEUlT_E0_NS1_11comp_targetILNS1_3genE9ELNS1_11target_archE1100ELNS1_3gpuE3ELNS1_3repE0EEENS1_30default_config_static_selectorELNS0_4arch9wavefront6targetE0EEEvSQ_
		.amdhsa_group_segment_fixed_size 0
		.amdhsa_private_segment_fixed_size 0
		.amdhsa_kernarg_size 64
		.amdhsa_user_sgpr_count 2
		.amdhsa_user_sgpr_dispatch_ptr 0
		.amdhsa_user_sgpr_queue_ptr 0
		.amdhsa_user_sgpr_kernarg_segment_ptr 1
		.amdhsa_user_sgpr_dispatch_id 0
		.amdhsa_user_sgpr_private_segment_size 0
		.amdhsa_wavefront_size32 1
		.amdhsa_uses_dynamic_stack 0
		.amdhsa_enable_private_segment 0
		.amdhsa_system_sgpr_workgroup_id_x 1
		.amdhsa_system_sgpr_workgroup_id_y 0
		.amdhsa_system_sgpr_workgroup_id_z 0
		.amdhsa_system_sgpr_workgroup_info 0
		.amdhsa_system_vgpr_workitem_id 0
		.amdhsa_next_free_vgpr 1
		.amdhsa_next_free_sgpr 1
		.amdhsa_reserve_vcc 0
		.amdhsa_float_round_mode_32 0
		.amdhsa_float_round_mode_16_64 0
		.amdhsa_float_denorm_mode_32 3
		.amdhsa_float_denorm_mode_16_64 3
		.amdhsa_fp16_overflow 0
		.amdhsa_workgroup_processor_mode 1
		.amdhsa_memory_ordered 1
		.amdhsa_forward_progress 1
		.amdhsa_inst_pref_size 0
		.amdhsa_round_robin_scheduling 0
		.amdhsa_exception_fp_ieee_invalid_op 0
		.amdhsa_exception_fp_denorm_src 0
		.amdhsa_exception_fp_ieee_div_zero 0
		.amdhsa_exception_fp_ieee_overflow 0
		.amdhsa_exception_fp_ieee_underflow 0
		.amdhsa_exception_fp_ieee_inexact 0
		.amdhsa_exception_int_div_zero 0
	.end_amdhsa_kernel
	.section	.text._ZN7rocprim17ROCPRIM_400000_NS6detail17trampoline_kernelINS0_14default_configENS1_22reduce_config_selectorIbEEZNS1_11reduce_implILb1ES3_N6hipcub16HIPCUB_304000_NS22TransformInputIteratorIbN2at6native12_GLOBAL__N_19NonZeroOpIdEEPKdlEEPiiNS8_6detail34convert_binary_result_type_wrapperINS8_3SumESH_iEEEE10hipError_tPvRmT1_T2_T3_mT4_P12ihipStream_tbEUlT_E0_NS1_11comp_targetILNS1_3genE9ELNS1_11target_archE1100ELNS1_3gpuE3ELNS1_3repE0EEENS1_30default_config_static_selectorELNS0_4arch9wavefront6targetE0EEEvSQ_,"axG",@progbits,_ZN7rocprim17ROCPRIM_400000_NS6detail17trampoline_kernelINS0_14default_configENS1_22reduce_config_selectorIbEEZNS1_11reduce_implILb1ES3_N6hipcub16HIPCUB_304000_NS22TransformInputIteratorIbN2at6native12_GLOBAL__N_19NonZeroOpIdEEPKdlEEPiiNS8_6detail34convert_binary_result_type_wrapperINS8_3SumESH_iEEEE10hipError_tPvRmT1_T2_T3_mT4_P12ihipStream_tbEUlT_E0_NS1_11comp_targetILNS1_3genE9ELNS1_11target_archE1100ELNS1_3gpuE3ELNS1_3repE0EEENS1_30default_config_static_selectorELNS0_4arch9wavefront6targetE0EEEvSQ_,comdat
.Lfunc_end379:
	.size	_ZN7rocprim17ROCPRIM_400000_NS6detail17trampoline_kernelINS0_14default_configENS1_22reduce_config_selectorIbEEZNS1_11reduce_implILb1ES3_N6hipcub16HIPCUB_304000_NS22TransformInputIteratorIbN2at6native12_GLOBAL__N_19NonZeroOpIdEEPKdlEEPiiNS8_6detail34convert_binary_result_type_wrapperINS8_3SumESH_iEEEE10hipError_tPvRmT1_T2_T3_mT4_P12ihipStream_tbEUlT_E0_NS1_11comp_targetILNS1_3genE9ELNS1_11target_archE1100ELNS1_3gpuE3ELNS1_3repE0EEENS1_30default_config_static_selectorELNS0_4arch9wavefront6targetE0EEEvSQ_, .Lfunc_end379-_ZN7rocprim17ROCPRIM_400000_NS6detail17trampoline_kernelINS0_14default_configENS1_22reduce_config_selectorIbEEZNS1_11reduce_implILb1ES3_N6hipcub16HIPCUB_304000_NS22TransformInputIteratorIbN2at6native12_GLOBAL__N_19NonZeroOpIdEEPKdlEEPiiNS8_6detail34convert_binary_result_type_wrapperINS8_3SumESH_iEEEE10hipError_tPvRmT1_T2_T3_mT4_P12ihipStream_tbEUlT_E0_NS1_11comp_targetILNS1_3genE9ELNS1_11target_archE1100ELNS1_3gpuE3ELNS1_3repE0EEENS1_30default_config_static_selectorELNS0_4arch9wavefront6targetE0EEEvSQ_
                                        ; -- End function
	.set _ZN7rocprim17ROCPRIM_400000_NS6detail17trampoline_kernelINS0_14default_configENS1_22reduce_config_selectorIbEEZNS1_11reduce_implILb1ES3_N6hipcub16HIPCUB_304000_NS22TransformInputIteratorIbN2at6native12_GLOBAL__N_19NonZeroOpIdEEPKdlEEPiiNS8_6detail34convert_binary_result_type_wrapperINS8_3SumESH_iEEEE10hipError_tPvRmT1_T2_T3_mT4_P12ihipStream_tbEUlT_E0_NS1_11comp_targetILNS1_3genE9ELNS1_11target_archE1100ELNS1_3gpuE3ELNS1_3repE0EEENS1_30default_config_static_selectorELNS0_4arch9wavefront6targetE0EEEvSQ_.num_vgpr, 0
	.set _ZN7rocprim17ROCPRIM_400000_NS6detail17trampoline_kernelINS0_14default_configENS1_22reduce_config_selectorIbEEZNS1_11reduce_implILb1ES3_N6hipcub16HIPCUB_304000_NS22TransformInputIteratorIbN2at6native12_GLOBAL__N_19NonZeroOpIdEEPKdlEEPiiNS8_6detail34convert_binary_result_type_wrapperINS8_3SumESH_iEEEE10hipError_tPvRmT1_T2_T3_mT4_P12ihipStream_tbEUlT_E0_NS1_11comp_targetILNS1_3genE9ELNS1_11target_archE1100ELNS1_3gpuE3ELNS1_3repE0EEENS1_30default_config_static_selectorELNS0_4arch9wavefront6targetE0EEEvSQ_.num_agpr, 0
	.set _ZN7rocprim17ROCPRIM_400000_NS6detail17trampoline_kernelINS0_14default_configENS1_22reduce_config_selectorIbEEZNS1_11reduce_implILb1ES3_N6hipcub16HIPCUB_304000_NS22TransformInputIteratorIbN2at6native12_GLOBAL__N_19NonZeroOpIdEEPKdlEEPiiNS8_6detail34convert_binary_result_type_wrapperINS8_3SumESH_iEEEE10hipError_tPvRmT1_T2_T3_mT4_P12ihipStream_tbEUlT_E0_NS1_11comp_targetILNS1_3genE9ELNS1_11target_archE1100ELNS1_3gpuE3ELNS1_3repE0EEENS1_30default_config_static_selectorELNS0_4arch9wavefront6targetE0EEEvSQ_.numbered_sgpr, 0
	.set _ZN7rocprim17ROCPRIM_400000_NS6detail17trampoline_kernelINS0_14default_configENS1_22reduce_config_selectorIbEEZNS1_11reduce_implILb1ES3_N6hipcub16HIPCUB_304000_NS22TransformInputIteratorIbN2at6native12_GLOBAL__N_19NonZeroOpIdEEPKdlEEPiiNS8_6detail34convert_binary_result_type_wrapperINS8_3SumESH_iEEEE10hipError_tPvRmT1_T2_T3_mT4_P12ihipStream_tbEUlT_E0_NS1_11comp_targetILNS1_3genE9ELNS1_11target_archE1100ELNS1_3gpuE3ELNS1_3repE0EEENS1_30default_config_static_selectorELNS0_4arch9wavefront6targetE0EEEvSQ_.num_named_barrier, 0
	.set _ZN7rocprim17ROCPRIM_400000_NS6detail17trampoline_kernelINS0_14default_configENS1_22reduce_config_selectorIbEEZNS1_11reduce_implILb1ES3_N6hipcub16HIPCUB_304000_NS22TransformInputIteratorIbN2at6native12_GLOBAL__N_19NonZeroOpIdEEPKdlEEPiiNS8_6detail34convert_binary_result_type_wrapperINS8_3SumESH_iEEEE10hipError_tPvRmT1_T2_T3_mT4_P12ihipStream_tbEUlT_E0_NS1_11comp_targetILNS1_3genE9ELNS1_11target_archE1100ELNS1_3gpuE3ELNS1_3repE0EEENS1_30default_config_static_selectorELNS0_4arch9wavefront6targetE0EEEvSQ_.private_seg_size, 0
	.set _ZN7rocprim17ROCPRIM_400000_NS6detail17trampoline_kernelINS0_14default_configENS1_22reduce_config_selectorIbEEZNS1_11reduce_implILb1ES3_N6hipcub16HIPCUB_304000_NS22TransformInputIteratorIbN2at6native12_GLOBAL__N_19NonZeroOpIdEEPKdlEEPiiNS8_6detail34convert_binary_result_type_wrapperINS8_3SumESH_iEEEE10hipError_tPvRmT1_T2_T3_mT4_P12ihipStream_tbEUlT_E0_NS1_11comp_targetILNS1_3genE9ELNS1_11target_archE1100ELNS1_3gpuE3ELNS1_3repE0EEENS1_30default_config_static_selectorELNS0_4arch9wavefront6targetE0EEEvSQ_.uses_vcc, 0
	.set _ZN7rocprim17ROCPRIM_400000_NS6detail17trampoline_kernelINS0_14default_configENS1_22reduce_config_selectorIbEEZNS1_11reduce_implILb1ES3_N6hipcub16HIPCUB_304000_NS22TransformInputIteratorIbN2at6native12_GLOBAL__N_19NonZeroOpIdEEPKdlEEPiiNS8_6detail34convert_binary_result_type_wrapperINS8_3SumESH_iEEEE10hipError_tPvRmT1_T2_T3_mT4_P12ihipStream_tbEUlT_E0_NS1_11comp_targetILNS1_3genE9ELNS1_11target_archE1100ELNS1_3gpuE3ELNS1_3repE0EEENS1_30default_config_static_selectorELNS0_4arch9wavefront6targetE0EEEvSQ_.uses_flat_scratch, 0
	.set _ZN7rocprim17ROCPRIM_400000_NS6detail17trampoline_kernelINS0_14default_configENS1_22reduce_config_selectorIbEEZNS1_11reduce_implILb1ES3_N6hipcub16HIPCUB_304000_NS22TransformInputIteratorIbN2at6native12_GLOBAL__N_19NonZeroOpIdEEPKdlEEPiiNS8_6detail34convert_binary_result_type_wrapperINS8_3SumESH_iEEEE10hipError_tPvRmT1_T2_T3_mT4_P12ihipStream_tbEUlT_E0_NS1_11comp_targetILNS1_3genE9ELNS1_11target_archE1100ELNS1_3gpuE3ELNS1_3repE0EEENS1_30default_config_static_selectorELNS0_4arch9wavefront6targetE0EEEvSQ_.has_dyn_sized_stack, 0
	.set _ZN7rocprim17ROCPRIM_400000_NS6detail17trampoline_kernelINS0_14default_configENS1_22reduce_config_selectorIbEEZNS1_11reduce_implILb1ES3_N6hipcub16HIPCUB_304000_NS22TransformInputIteratorIbN2at6native12_GLOBAL__N_19NonZeroOpIdEEPKdlEEPiiNS8_6detail34convert_binary_result_type_wrapperINS8_3SumESH_iEEEE10hipError_tPvRmT1_T2_T3_mT4_P12ihipStream_tbEUlT_E0_NS1_11comp_targetILNS1_3genE9ELNS1_11target_archE1100ELNS1_3gpuE3ELNS1_3repE0EEENS1_30default_config_static_selectorELNS0_4arch9wavefront6targetE0EEEvSQ_.has_recursion, 0
	.set _ZN7rocprim17ROCPRIM_400000_NS6detail17trampoline_kernelINS0_14default_configENS1_22reduce_config_selectorIbEEZNS1_11reduce_implILb1ES3_N6hipcub16HIPCUB_304000_NS22TransformInputIteratorIbN2at6native12_GLOBAL__N_19NonZeroOpIdEEPKdlEEPiiNS8_6detail34convert_binary_result_type_wrapperINS8_3SumESH_iEEEE10hipError_tPvRmT1_T2_T3_mT4_P12ihipStream_tbEUlT_E0_NS1_11comp_targetILNS1_3genE9ELNS1_11target_archE1100ELNS1_3gpuE3ELNS1_3repE0EEENS1_30default_config_static_selectorELNS0_4arch9wavefront6targetE0EEEvSQ_.has_indirect_call, 0
	.section	.AMDGPU.csdata,"",@progbits
; Kernel info:
; codeLenInByte = 0
; TotalNumSgprs: 0
; NumVgprs: 0
; ScratchSize: 0
; MemoryBound: 0
; FloatMode: 240
; IeeeMode: 1
; LDSByteSize: 0 bytes/workgroup (compile time only)
; SGPRBlocks: 0
; VGPRBlocks: 0
; NumSGPRsForWavesPerEU: 1
; NumVGPRsForWavesPerEU: 1
; Occupancy: 16
; WaveLimiterHint : 0
; COMPUTE_PGM_RSRC2:SCRATCH_EN: 0
; COMPUTE_PGM_RSRC2:USER_SGPR: 2
; COMPUTE_PGM_RSRC2:TRAP_HANDLER: 0
; COMPUTE_PGM_RSRC2:TGID_X_EN: 1
; COMPUTE_PGM_RSRC2:TGID_Y_EN: 0
; COMPUTE_PGM_RSRC2:TGID_Z_EN: 0
; COMPUTE_PGM_RSRC2:TIDIG_COMP_CNT: 0
	.section	.text._ZN7rocprim17ROCPRIM_400000_NS6detail17trampoline_kernelINS0_14default_configENS1_22reduce_config_selectorIbEEZNS1_11reduce_implILb1ES3_N6hipcub16HIPCUB_304000_NS22TransformInputIteratorIbN2at6native12_GLOBAL__N_19NonZeroOpIdEEPKdlEEPiiNS8_6detail34convert_binary_result_type_wrapperINS8_3SumESH_iEEEE10hipError_tPvRmT1_T2_T3_mT4_P12ihipStream_tbEUlT_E0_NS1_11comp_targetILNS1_3genE8ELNS1_11target_archE1030ELNS1_3gpuE2ELNS1_3repE0EEENS1_30default_config_static_selectorELNS0_4arch9wavefront6targetE0EEEvSQ_,"axG",@progbits,_ZN7rocprim17ROCPRIM_400000_NS6detail17trampoline_kernelINS0_14default_configENS1_22reduce_config_selectorIbEEZNS1_11reduce_implILb1ES3_N6hipcub16HIPCUB_304000_NS22TransformInputIteratorIbN2at6native12_GLOBAL__N_19NonZeroOpIdEEPKdlEEPiiNS8_6detail34convert_binary_result_type_wrapperINS8_3SumESH_iEEEE10hipError_tPvRmT1_T2_T3_mT4_P12ihipStream_tbEUlT_E0_NS1_11comp_targetILNS1_3genE8ELNS1_11target_archE1030ELNS1_3gpuE2ELNS1_3repE0EEENS1_30default_config_static_selectorELNS0_4arch9wavefront6targetE0EEEvSQ_,comdat
	.globl	_ZN7rocprim17ROCPRIM_400000_NS6detail17trampoline_kernelINS0_14default_configENS1_22reduce_config_selectorIbEEZNS1_11reduce_implILb1ES3_N6hipcub16HIPCUB_304000_NS22TransformInputIteratorIbN2at6native12_GLOBAL__N_19NonZeroOpIdEEPKdlEEPiiNS8_6detail34convert_binary_result_type_wrapperINS8_3SumESH_iEEEE10hipError_tPvRmT1_T2_T3_mT4_P12ihipStream_tbEUlT_E0_NS1_11comp_targetILNS1_3genE8ELNS1_11target_archE1030ELNS1_3gpuE2ELNS1_3repE0EEENS1_30default_config_static_selectorELNS0_4arch9wavefront6targetE0EEEvSQ_ ; -- Begin function _ZN7rocprim17ROCPRIM_400000_NS6detail17trampoline_kernelINS0_14default_configENS1_22reduce_config_selectorIbEEZNS1_11reduce_implILb1ES3_N6hipcub16HIPCUB_304000_NS22TransformInputIteratorIbN2at6native12_GLOBAL__N_19NonZeroOpIdEEPKdlEEPiiNS8_6detail34convert_binary_result_type_wrapperINS8_3SumESH_iEEEE10hipError_tPvRmT1_T2_T3_mT4_P12ihipStream_tbEUlT_E0_NS1_11comp_targetILNS1_3genE8ELNS1_11target_archE1030ELNS1_3gpuE2ELNS1_3repE0EEENS1_30default_config_static_selectorELNS0_4arch9wavefront6targetE0EEEvSQ_
	.p2align	8
	.type	_ZN7rocprim17ROCPRIM_400000_NS6detail17trampoline_kernelINS0_14default_configENS1_22reduce_config_selectorIbEEZNS1_11reduce_implILb1ES3_N6hipcub16HIPCUB_304000_NS22TransformInputIteratorIbN2at6native12_GLOBAL__N_19NonZeroOpIdEEPKdlEEPiiNS8_6detail34convert_binary_result_type_wrapperINS8_3SumESH_iEEEE10hipError_tPvRmT1_T2_T3_mT4_P12ihipStream_tbEUlT_E0_NS1_11comp_targetILNS1_3genE8ELNS1_11target_archE1030ELNS1_3gpuE2ELNS1_3repE0EEENS1_30default_config_static_selectorELNS0_4arch9wavefront6targetE0EEEvSQ_,@function
_ZN7rocprim17ROCPRIM_400000_NS6detail17trampoline_kernelINS0_14default_configENS1_22reduce_config_selectorIbEEZNS1_11reduce_implILb1ES3_N6hipcub16HIPCUB_304000_NS22TransformInputIteratorIbN2at6native12_GLOBAL__N_19NonZeroOpIdEEPKdlEEPiiNS8_6detail34convert_binary_result_type_wrapperINS8_3SumESH_iEEEE10hipError_tPvRmT1_T2_T3_mT4_P12ihipStream_tbEUlT_E0_NS1_11comp_targetILNS1_3genE8ELNS1_11target_archE1030ELNS1_3gpuE2ELNS1_3repE0EEENS1_30default_config_static_selectorELNS0_4arch9wavefront6targetE0EEEvSQ_: ; @_ZN7rocprim17ROCPRIM_400000_NS6detail17trampoline_kernelINS0_14default_configENS1_22reduce_config_selectorIbEEZNS1_11reduce_implILb1ES3_N6hipcub16HIPCUB_304000_NS22TransformInputIteratorIbN2at6native12_GLOBAL__N_19NonZeroOpIdEEPKdlEEPiiNS8_6detail34convert_binary_result_type_wrapperINS8_3SumESH_iEEEE10hipError_tPvRmT1_T2_T3_mT4_P12ihipStream_tbEUlT_E0_NS1_11comp_targetILNS1_3genE8ELNS1_11target_archE1030ELNS1_3gpuE2ELNS1_3repE0EEENS1_30default_config_static_selectorELNS0_4arch9wavefront6targetE0EEEvSQ_
; %bb.0:
	.section	.rodata,"a",@progbits
	.p2align	6, 0x0
	.amdhsa_kernel _ZN7rocprim17ROCPRIM_400000_NS6detail17trampoline_kernelINS0_14default_configENS1_22reduce_config_selectorIbEEZNS1_11reduce_implILb1ES3_N6hipcub16HIPCUB_304000_NS22TransformInputIteratorIbN2at6native12_GLOBAL__N_19NonZeroOpIdEEPKdlEEPiiNS8_6detail34convert_binary_result_type_wrapperINS8_3SumESH_iEEEE10hipError_tPvRmT1_T2_T3_mT4_P12ihipStream_tbEUlT_E0_NS1_11comp_targetILNS1_3genE8ELNS1_11target_archE1030ELNS1_3gpuE2ELNS1_3repE0EEENS1_30default_config_static_selectorELNS0_4arch9wavefront6targetE0EEEvSQ_
		.amdhsa_group_segment_fixed_size 0
		.amdhsa_private_segment_fixed_size 0
		.amdhsa_kernarg_size 64
		.amdhsa_user_sgpr_count 2
		.amdhsa_user_sgpr_dispatch_ptr 0
		.amdhsa_user_sgpr_queue_ptr 0
		.amdhsa_user_sgpr_kernarg_segment_ptr 1
		.amdhsa_user_sgpr_dispatch_id 0
		.amdhsa_user_sgpr_private_segment_size 0
		.amdhsa_wavefront_size32 1
		.amdhsa_uses_dynamic_stack 0
		.amdhsa_enable_private_segment 0
		.amdhsa_system_sgpr_workgroup_id_x 1
		.amdhsa_system_sgpr_workgroup_id_y 0
		.amdhsa_system_sgpr_workgroup_id_z 0
		.amdhsa_system_sgpr_workgroup_info 0
		.amdhsa_system_vgpr_workitem_id 0
		.amdhsa_next_free_vgpr 1
		.amdhsa_next_free_sgpr 1
		.amdhsa_reserve_vcc 0
		.amdhsa_float_round_mode_32 0
		.amdhsa_float_round_mode_16_64 0
		.amdhsa_float_denorm_mode_32 3
		.amdhsa_float_denorm_mode_16_64 3
		.amdhsa_fp16_overflow 0
		.amdhsa_workgroup_processor_mode 1
		.amdhsa_memory_ordered 1
		.amdhsa_forward_progress 1
		.amdhsa_inst_pref_size 0
		.amdhsa_round_robin_scheduling 0
		.amdhsa_exception_fp_ieee_invalid_op 0
		.amdhsa_exception_fp_denorm_src 0
		.amdhsa_exception_fp_ieee_div_zero 0
		.amdhsa_exception_fp_ieee_overflow 0
		.amdhsa_exception_fp_ieee_underflow 0
		.amdhsa_exception_fp_ieee_inexact 0
		.amdhsa_exception_int_div_zero 0
	.end_amdhsa_kernel
	.section	.text._ZN7rocprim17ROCPRIM_400000_NS6detail17trampoline_kernelINS0_14default_configENS1_22reduce_config_selectorIbEEZNS1_11reduce_implILb1ES3_N6hipcub16HIPCUB_304000_NS22TransformInputIteratorIbN2at6native12_GLOBAL__N_19NonZeroOpIdEEPKdlEEPiiNS8_6detail34convert_binary_result_type_wrapperINS8_3SumESH_iEEEE10hipError_tPvRmT1_T2_T3_mT4_P12ihipStream_tbEUlT_E0_NS1_11comp_targetILNS1_3genE8ELNS1_11target_archE1030ELNS1_3gpuE2ELNS1_3repE0EEENS1_30default_config_static_selectorELNS0_4arch9wavefront6targetE0EEEvSQ_,"axG",@progbits,_ZN7rocprim17ROCPRIM_400000_NS6detail17trampoline_kernelINS0_14default_configENS1_22reduce_config_selectorIbEEZNS1_11reduce_implILb1ES3_N6hipcub16HIPCUB_304000_NS22TransformInputIteratorIbN2at6native12_GLOBAL__N_19NonZeroOpIdEEPKdlEEPiiNS8_6detail34convert_binary_result_type_wrapperINS8_3SumESH_iEEEE10hipError_tPvRmT1_T2_T3_mT4_P12ihipStream_tbEUlT_E0_NS1_11comp_targetILNS1_3genE8ELNS1_11target_archE1030ELNS1_3gpuE2ELNS1_3repE0EEENS1_30default_config_static_selectorELNS0_4arch9wavefront6targetE0EEEvSQ_,comdat
.Lfunc_end380:
	.size	_ZN7rocprim17ROCPRIM_400000_NS6detail17trampoline_kernelINS0_14default_configENS1_22reduce_config_selectorIbEEZNS1_11reduce_implILb1ES3_N6hipcub16HIPCUB_304000_NS22TransformInputIteratorIbN2at6native12_GLOBAL__N_19NonZeroOpIdEEPKdlEEPiiNS8_6detail34convert_binary_result_type_wrapperINS8_3SumESH_iEEEE10hipError_tPvRmT1_T2_T3_mT4_P12ihipStream_tbEUlT_E0_NS1_11comp_targetILNS1_3genE8ELNS1_11target_archE1030ELNS1_3gpuE2ELNS1_3repE0EEENS1_30default_config_static_selectorELNS0_4arch9wavefront6targetE0EEEvSQ_, .Lfunc_end380-_ZN7rocprim17ROCPRIM_400000_NS6detail17trampoline_kernelINS0_14default_configENS1_22reduce_config_selectorIbEEZNS1_11reduce_implILb1ES3_N6hipcub16HIPCUB_304000_NS22TransformInputIteratorIbN2at6native12_GLOBAL__N_19NonZeroOpIdEEPKdlEEPiiNS8_6detail34convert_binary_result_type_wrapperINS8_3SumESH_iEEEE10hipError_tPvRmT1_T2_T3_mT4_P12ihipStream_tbEUlT_E0_NS1_11comp_targetILNS1_3genE8ELNS1_11target_archE1030ELNS1_3gpuE2ELNS1_3repE0EEENS1_30default_config_static_selectorELNS0_4arch9wavefront6targetE0EEEvSQ_
                                        ; -- End function
	.set _ZN7rocprim17ROCPRIM_400000_NS6detail17trampoline_kernelINS0_14default_configENS1_22reduce_config_selectorIbEEZNS1_11reduce_implILb1ES3_N6hipcub16HIPCUB_304000_NS22TransformInputIteratorIbN2at6native12_GLOBAL__N_19NonZeroOpIdEEPKdlEEPiiNS8_6detail34convert_binary_result_type_wrapperINS8_3SumESH_iEEEE10hipError_tPvRmT1_T2_T3_mT4_P12ihipStream_tbEUlT_E0_NS1_11comp_targetILNS1_3genE8ELNS1_11target_archE1030ELNS1_3gpuE2ELNS1_3repE0EEENS1_30default_config_static_selectorELNS0_4arch9wavefront6targetE0EEEvSQ_.num_vgpr, 0
	.set _ZN7rocprim17ROCPRIM_400000_NS6detail17trampoline_kernelINS0_14default_configENS1_22reduce_config_selectorIbEEZNS1_11reduce_implILb1ES3_N6hipcub16HIPCUB_304000_NS22TransformInputIteratorIbN2at6native12_GLOBAL__N_19NonZeroOpIdEEPKdlEEPiiNS8_6detail34convert_binary_result_type_wrapperINS8_3SumESH_iEEEE10hipError_tPvRmT1_T2_T3_mT4_P12ihipStream_tbEUlT_E0_NS1_11comp_targetILNS1_3genE8ELNS1_11target_archE1030ELNS1_3gpuE2ELNS1_3repE0EEENS1_30default_config_static_selectorELNS0_4arch9wavefront6targetE0EEEvSQ_.num_agpr, 0
	.set _ZN7rocprim17ROCPRIM_400000_NS6detail17trampoline_kernelINS0_14default_configENS1_22reduce_config_selectorIbEEZNS1_11reduce_implILb1ES3_N6hipcub16HIPCUB_304000_NS22TransformInputIteratorIbN2at6native12_GLOBAL__N_19NonZeroOpIdEEPKdlEEPiiNS8_6detail34convert_binary_result_type_wrapperINS8_3SumESH_iEEEE10hipError_tPvRmT1_T2_T3_mT4_P12ihipStream_tbEUlT_E0_NS1_11comp_targetILNS1_3genE8ELNS1_11target_archE1030ELNS1_3gpuE2ELNS1_3repE0EEENS1_30default_config_static_selectorELNS0_4arch9wavefront6targetE0EEEvSQ_.numbered_sgpr, 0
	.set _ZN7rocprim17ROCPRIM_400000_NS6detail17trampoline_kernelINS0_14default_configENS1_22reduce_config_selectorIbEEZNS1_11reduce_implILb1ES3_N6hipcub16HIPCUB_304000_NS22TransformInputIteratorIbN2at6native12_GLOBAL__N_19NonZeroOpIdEEPKdlEEPiiNS8_6detail34convert_binary_result_type_wrapperINS8_3SumESH_iEEEE10hipError_tPvRmT1_T2_T3_mT4_P12ihipStream_tbEUlT_E0_NS1_11comp_targetILNS1_3genE8ELNS1_11target_archE1030ELNS1_3gpuE2ELNS1_3repE0EEENS1_30default_config_static_selectorELNS0_4arch9wavefront6targetE0EEEvSQ_.num_named_barrier, 0
	.set _ZN7rocprim17ROCPRIM_400000_NS6detail17trampoline_kernelINS0_14default_configENS1_22reduce_config_selectorIbEEZNS1_11reduce_implILb1ES3_N6hipcub16HIPCUB_304000_NS22TransformInputIteratorIbN2at6native12_GLOBAL__N_19NonZeroOpIdEEPKdlEEPiiNS8_6detail34convert_binary_result_type_wrapperINS8_3SumESH_iEEEE10hipError_tPvRmT1_T2_T3_mT4_P12ihipStream_tbEUlT_E0_NS1_11comp_targetILNS1_3genE8ELNS1_11target_archE1030ELNS1_3gpuE2ELNS1_3repE0EEENS1_30default_config_static_selectorELNS0_4arch9wavefront6targetE0EEEvSQ_.private_seg_size, 0
	.set _ZN7rocprim17ROCPRIM_400000_NS6detail17trampoline_kernelINS0_14default_configENS1_22reduce_config_selectorIbEEZNS1_11reduce_implILb1ES3_N6hipcub16HIPCUB_304000_NS22TransformInputIteratorIbN2at6native12_GLOBAL__N_19NonZeroOpIdEEPKdlEEPiiNS8_6detail34convert_binary_result_type_wrapperINS8_3SumESH_iEEEE10hipError_tPvRmT1_T2_T3_mT4_P12ihipStream_tbEUlT_E0_NS1_11comp_targetILNS1_3genE8ELNS1_11target_archE1030ELNS1_3gpuE2ELNS1_3repE0EEENS1_30default_config_static_selectorELNS0_4arch9wavefront6targetE0EEEvSQ_.uses_vcc, 0
	.set _ZN7rocprim17ROCPRIM_400000_NS6detail17trampoline_kernelINS0_14default_configENS1_22reduce_config_selectorIbEEZNS1_11reduce_implILb1ES3_N6hipcub16HIPCUB_304000_NS22TransformInputIteratorIbN2at6native12_GLOBAL__N_19NonZeroOpIdEEPKdlEEPiiNS8_6detail34convert_binary_result_type_wrapperINS8_3SumESH_iEEEE10hipError_tPvRmT1_T2_T3_mT4_P12ihipStream_tbEUlT_E0_NS1_11comp_targetILNS1_3genE8ELNS1_11target_archE1030ELNS1_3gpuE2ELNS1_3repE0EEENS1_30default_config_static_selectorELNS0_4arch9wavefront6targetE0EEEvSQ_.uses_flat_scratch, 0
	.set _ZN7rocprim17ROCPRIM_400000_NS6detail17trampoline_kernelINS0_14default_configENS1_22reduce_config_selectorIbEEZNS1_11reduce_implILb1ES3_N6hipcub16HIPCUB_304000_NS22TransformInputIteratorIbN2at6native12_GLOBAL__N_19NonZeroOpIdEEPKdlEEPiiNS8_6detail34convert_binary_result_type_wrapperINS8_3SumESH_iEEEE10hipError_tPvRmT1_T2_T3_mT4_P12ihipStream_tbEUlT_E0_NS1_11comp_targetILNS1_3genE8ELNS1_11target_archE1030ELNS1_3gpuE2ELNS1_3repE0EEENS1_30default_config_static_selectorELNS0_4arch9wavefront6targetE0EEEvSQ_.has_dyn_sized_stack, 0
	.set _ZN7rocprim17ROCPRIM_400000_NS6detail17trampoline_kernelINS0_14default_configENS1_22reduce_config_selectorIbEEZNS1_11reduce_implILb1ES3_N6hipcub16HIPCUB_304000_NS22TransformInputIteratorIbN2at6native12_GLOBAL__N_19NonZeroOpIdEEPKdlEEPiiNS8_6detail34convert_binary_result_type_wrapperINS8_3SumESH_iEEEE10hipError_tPvRmT1_T2_T3_mT4_P12ihipStream_tbEUlT_E0_NS1_11comp_targetILNS1_3genE8ELNS1_11target_archE1030ELNS1_3gpuE2ELNS1_3repE0EEENS1_30default_config_static_selectorELNS0_4arch9wavefront6targetE0EEEvSQ_.has_recursion, 0
	.set _ZN7rocprim17ROCPRIM_400000_NS6detail17trampoline_kernelINS0_14default_configENS1_22reduce_config_selectorIbEEZNS1_11reduce_implILb1ES3_N6hipcub16HIPCUB_304000_NS22TransformInputIteratorIbN2at6native12_GLOBAL__N_19NonZeroOpIdEEPKdlEEPiiNS8_6detail34convert_binary_result_type_wrapperINS8_3SumESH_iEEEE10hipError_tPvRmT1_T2_T3_mT4_P12ihipStream_tbEUlT_E0_NS1_11comp_targetILNS1_3genE8ELNS1_11target_archE1030ELNS1_3gpuE2ELNS1_3repE0EEENS1_30default_config_static_selectorELNS0_4arch9wavefront6targetE0EEEvSQ_.has_indirect_call, 0
	.section	.AMDGPU.csdata,"",@progbits
; Kernel info:
; codeLenInByte = 0
; TotalNumSgprs: 0
; NumVgprs: 0
; ScratchSize: 0
; MemoryBound: 0
; FloatMode: 240
; IeeeMode: 1
; LDSByteSize: 0 bytes/workgroup (compile time only)
; SGPRBlocks: 0
; VGPRBlocks: 0
; NumSGPRsForWavesPerEU: 1
; NumVGPRsForWavesPerEU: 1
; Occupancy: 16
; WaveLimiterHint : 0
; COMPUTE_PGM_RSRC2:SCRATCH_EN: 0
; COMPUTE_PGM_RSRC2:USER_SGPR: 2
; COMPUTE_PGM_RSRC2:TRAP_HANDLER: 0
; COMPUTE_PGM_RSRC2:TGID_X_EN: 1
; COMPUTE_PGM_RSRC2:TGID_Y_EN: 0
; COMPUTE_PGM_RSRC2:TGID_Z_EN: 0
; COMPUTE_PGM_RSRC2:TIDIG_COMP_CNT: 0
	.section	.text._ZN7rocprim17ROCPRIM_400000_NS6detail17trampoline_kernelINS0_14default_configENS1_22reduce_config_selectorIbEEZNS1_11reduce_implILb1ES3_N6hipcub16HIPCUB_304000_NS22TransformInputIteratorIbN2at6native12_GLOBAL__N_19NonZeroOpIdEEPKdlEEPiiNS8_6detail34convert_binary_result_type_wrapperINS8_3SumESH_iEEEE10hipError_tPvRmT1_T2_T3_mT4_P12ihipStream_tbEUlT_E1_NS1_11comp_targetILNS1_3genE0ELNS1_11target_archE4294967295ELNS1_3gpuE0ELNS1_3repE0EEENS1_30default_config_static_selectorELNS0_4arch9wavefront6targetE0EEEvSQ_,"axG",@progbits,_ZN7rocprim17ROCPRIM_400000_NS6detail17trampoline_kernelINS0_14default_configENS1_22reduce_config_selectorIbEEZNS1_11reduce_implILb1ES3_N6hipcub16HIPCUB_304000_NS22TransformInputIteratorIbN2at6native12_GLOBAL__N_19NonZeroOpIdEEPKdlEEPiiNS8_6detail34convert_binary_result_type_wrapperINS8_3SumESH_iEEEE10hipError_tPvRmT1_T2_T3_mT4_P12ihipStream_tbEUlT_E1_NS1_11comp_targetILNS1_3genE0ELNS1_11target_archE4294967295ELNS1_3gpuE0ELNS1_3repE0EEENS1_30default_config_static_selectorELNS0_4arch9wavefront6targetE0EEEvSQ_,comdat
	.globl	_ZN7rocprim17ROCPRIM_400000_NS6detail17trampoline_kernelINS0_14default_configENS1_22reduce_config_selectorIbEEZNS1_11reduce_implILb1ES3_N6hipcub16HIPCUB_304000_NS22TransformInputIteratorIbN2at6native12_GLOBAL__N_19NonZeroOpIdEEPKdlEEPiiNS8_6detail34convert_binary_result_type_wrapperINS8_3SumESH_iEEEE10hipError_tPvRmT1_T2_T3_mT4_P12ihipStream_tbEUlT_E1_NS1_11comp_targetILNS1_3genE0ELNS1_11target_archE4294967295ELNS1_3gpuE0ELNS1_3repE0EEENS1_30default_config_static_selectorELNS0_4arch9wavefront6targetE0EEEvSQ_ ; -- Begin function _ZN7rocprim17ROCPRIM_400000_NS6detail17trampoline_kernelINS0_14default_configENS1_22reduce_config_selectorIbEEZNS1_11reduce_implILb1ES3_N6hipcub16HIPCUB_304000_NS22TransformInputIteratorIbN2at6native12_GLOBAL__N_19NonZeroOpIdEEPKdlEEPiiNS8_6detail34convert_binary_result_type_wrapperINS8_3SumESH_iEEEE10hipError_tPvRmT1_T2_T3_mT4_P12ihipStream_tbEUlT_E1_NS1_11comp_targetILNS1_3genE0ELNS1_11target_archE4294967295ELNS1_3gpuE0ELNS1_3repE0EEENS1_30default_config_static_selectorELNS0_4arch9wavefront6targetE0EEEvSQ_
	.p2align	8
	.type	_ZN7rocprim17ROCPRIM_400000_NS6detail17trampoline_kernelINS0_14default_configENS1_22reduce_config_selectorIbEEZNS1_11reduce_implILb1ES3_N6hipcub16HIPCUB_304000_NS22TransformInputIteratorIbN2at6native12_GLOBAL__N_19NonZeroOpIdEEPKdlEEPiiNS8_6detail34convert_binary_result_type_wrapperINS8_3SumESH_iEEEE10hipError_tPvRmT1_T2_T3_mT4_P12ihipStream_tbEUlT_E1_NS1_11comp_targetILNS1_3genE0ELNS1_11target_archE4294967295ELNS1_3gpuE0ELNS1_3repE0EEENS1_30default_config_static_selectorELNS0_4arch9wavefront6targetE0EEEvSQ_,@function
_ZN7rocprim17ROCPRIM_400000_NS6detail17trampoline_kernelINS0_14default_configENS1_22reduce_config_selectorIbEEZNS1_11reduce_implILb1ES3_N6hipcub16HIPCUB_304000_NS22TransformInputIteratorIbN2at6native12_GLOBAL__N_19NonZeroOpIdEEPKdlEEPiiNS8_6detail34convert_binary_result_type_wrapperINS8_3SumESH_iEEEE10hipError_tPvRmT1_T2_T3_mT4_P12ihipStream_tbEUlT_E1_NS1_11comp_targetILNS1_3genE0ELNS1_11target_archE4294967295ELNS1_3gpuE0ELNS1_3repE0EEENS1_30default_config_static_selectorELNS0_4arch9wavefront6targetE0EEEvSQ_: ; @_ZN7rocprim17ROCPRIM_400000_NS6detail17trampoline_kernelINS0_14default_configENS1_22reduce_config_selectorIbEEZNS1_11reduce_implILb1ES3_N6hipcub16HIPCUB_304000_NS22TransformInputIteratorIbN2at6native12_GLOBAL__N_19NonZeroOpIdEEPKdlEEPiiNS8_6detail34convert_binary_result_type_wrapperINS8_3SumESH_iEEEE10hipError_tPvRmT1_T2_T3_mT4_P12ihipStream_tbEUlT_E1_NS1_11comp_targetILNS1_3genE0ELNS1_11target_archE4294967295ELNS1_3gpuE0ELNS1_3repE0EEENS1_30default_config_static_selectorELNS0_4arch9wavefront6targetE0EEEvSQ_
; %bb.0:
	.section	.rodata,"a",@progbits
	.p2align	6, 0x0
	.amdhsa_kernel _ZN7rocprim17ROCPRIM_400000_NS6detail17trampoline_kernelINS0_14default_configENS1_22reduce_config_selectorIbEEZNS1_11reduce_implILb1ES3_N6hipcub16HIPCUB_304000_NS22TransformInputIteratorIbN2at6native12_GLOBAL__N_19NonZeroOpIdEEPKdlEEPiiNS8_6detail34convert_binary_result_type_wrapperINS8_3SumESH_iEEEE10hipError_tPvRmT1_T2_T3_mT4_P12ihipStream_tbEUlT_E1_NS1_11comp_targetILNS1_3genE0ELNS1_11target_archE4294967295ELNS1_3gpuE0ELNS1_3repE0EEENS1_30default_config_static_selectorELNS0_4arch9wavefront6targetE0EEEvSQ_
		.amdhsa_group_segment_fixed_size 0
		.amdhsa_private_segment_fixed_size 0
		.amdhsa_kernarg_size 48
		.amdhsa_user_sgpr_count 2
		.amdhsa_user_sgpr_dispatch_ptr 0
		.amdhsa_user_sgpr_queue_ptr 0
		.amdhsa_user_sgpr_kernarg_segment_ptr 1
		.amdhsa_user_sgpr_dispatch_id 0
		.amdhsa_user_sgpr_private_segment_size 0
		.amdhsa_wavefront_size32 1
		.amdhsa_uses_dynamic_stack 0
		.amdhsa_enable_private_segment 0
		.amdhsa_system_sgpr_workgroup_id_x 1
		.amdhsa_system_sgpr_workgroup_id_y 0
		.amdhsa_system_sgpr_workgroup_id_z 0
		.amdhsa_system_sgpr_workgroup_info 0
		.amdhsa_system_vgpr_workitem_id 0
		.amdhsa_next_free_vgpr 1
		.amdhsa_next_free_sgpr 1
		.amdhsa_reserve_vcc 0
		.amdhsa_float_round_mode_32 0
		.amdhsa_float_round_mode_16_64 0
		.amdhsa_float_denorm_mode_32 3
		.amdhsa_float_denorm_mode_16_64 3
		.amdhsa_fp16_overflow 0
		.amdhsa_workgroup_processor_mode 1
		.amdhsa_memory_ordered 1
		.amdhsa_forward_progress 1
		.amdhsa_inst_pref_size 0
		.amdhsa_round_robin_scheduling 0
		.amdhsa_exception_fp_ieee_invalid_op 0
		.amdhsa_exception_fp_denorm_src 0
		.amdhsa_exception_fp_ieee_div_zero 0
		.amdhsa_exception_fp_ieee_overflow 0
		.amdhsa_exception_fp_ieee_underflow 0
		.amdhsa_exception_fp_ieee_inexact 0
		.amdhsa_exception_int_div_zero 0
	.end_amdhsa_kernel
	.section	.text._ZN7rocprim17ROCPRIM_400000_NS6detail17trampoline_kernelINS0_14default_configENS1_22reduce_config_selectorIbEEZNS1_11reduce_implILb1ES3_N6hipcub16HIPCUB_304000_NS22TransformInputIteratorIbN2at6native12_GLOBAL__N_19NonZeroOpIdEEPKdlEEPiiNS8_6detail34convert_binary_result_type_wrapperINS8_3SumESH_iEEEE10hipError_tPvRmT1_T2_T3_mT4_P12ihipStream_tbEUlT_E1_NS1_11comp_targetILNS1_3genE0ELNS1_11target_archE4294967295ELNS1_3gpuE0ELNS1_3repE0EEENS1_30default_config_static_selectorELNS0_4arch9wavefront6targetE0EEEvSQ_,"axG",@progbits,_ZN7rocprim17ROCPRIM_400000_NS6detail17trampoline_kernelINS0_14default_configENS1_22reduce_config_selectorIbEEZNS1_11reduce_implILb1ES3_N6hipcub16HIPCUB_304000_NS22TransformInputIteratorIbN2at6native12_GLOBAL__N_19NonZeroOpIdEEPKdlEEPiiNS8_6detail34convert_binary_result_type_wrapperINS8_3SumESH_iEEEE10hipError_tPvRmT1_T2_T3_mT4_P12ihipStream_tbEUlT_E1_NS1_11comp_targetILNS1_3genE0ELNS1_11target_archE4294967295ELNS1_3gpuE0ELNS1_3repE0EEENS1_30default_config_static_selectorELNS0_4arch9wavefront6targetE0EEEvSQ_,comdat
.Lfunc_end381:
	.size	_ZN7rocprim17ROCPRIM_400000_NS6detail17trampoline_kernelINS0_14default_configENS1_22reduce_config_selectorIbEEZNS1_11reduce_implILb1ES3_N6hipcub16HIPCUB_304000_NS22TransformInputIteratorIbN2at6native12_GLOBAL__N_19NonZeroOpIdEEPKdlEEPiiNS8_6detail34convert_binary_result_type_wrapperINS8_3SumESH_iEEEE10hipError_tPvRmT1_T2_T3_mT4_P12ihipStream_tbEUlT_E1_NS1_11comp_targetILNS1_3genE0ELNS1_11target_archE4294967295ELNS1_3gpuE0ELNS1_3repE0EEENS1_30default_config_static_selectorELNS0_4arch9wavefront6targetE0EEEvSQ_, .Lfunc_end381-_ZN7rocprim17ROCPRIM_400000_NS6detail17trampoline_kernelINS0_14default_configENS1_22reduce_config_selectorIbEEZNS1_11reduce_implILb1ES3_N6hipcub16HIPCUB_304000_NS22TransformInputIteratorIbN2at6native12_GLOBAL__N_19NonZeroOpIdEEPKdlEEPiiNS8_6detail34convert_binary_result_type_wrapperINS8_3SumESH_iEEEE10hipError_tPvRmT1_T2_T3_mT4_P12ihipStream_tbEUlT_E1_NS1_11comp_targetILNS1_3genE0ELNS1_11target_archE4294967295ELNS1_3gpuE0ELNS1_3repE0EEENS1_30default_config_static_selectorELNS0_4arch9wavefront6targetE0EEEvSQ_
                                        ; -- End function
	.set _ZN7rocprim17ROCPRIM_400000_NS6detail17trampoline_kernelINS0_14default_configENS1_22reduce_config_selectorIbEEZNS1_11reduce_implILb1ES3_N6hipcub16HIPCUB_304000_NS22TransformInputIteratorIbN2at6native12_GLOBAL__N_19NonZeroOpIdEEPKdlEEPiiNS8_6detail34convert_binary_result_type_wrapperINS8_3SumESH_iEEEE10hipError_tPvRmT1_T2_T3_mT4_P12ihipStream_tbEUlT_E1_NS1_11comp_targetILNS1_3genE0ELNS1_11target_archE4294967295ELNS1_3gpuE0ELNS1_3repE0EEENS1_30default_config_static_selectorELNS0_4arch9wavefront6targetE0EEEvSQ_.num_vgpr, 0
	.set _ZN7rocprim17ROCPRIM_400000_NS6detail17trampoline_kernelINS0_14default_configENS1_22reduce_config_selectorIbEEZNS1_11reduce_implILb1ES3_N6hipcub16HIPCUB_304000_NS22TransformInputIteratorIbN2at6native12_GLOBAL__N_19NonZeroOpIdEEPKdlEEPiiNS8_6detail34convert_binary_result_type_wrapperINS8_3SumESH_iEEEE10hipError_tPvRmT1_T2_T3_mT4_P12ihipStream_tbEUlT_E1_NS1_11comp_targetILNS1_3genE0ELNS1_11target_archE4294967295ELNS1_3gpuE0ELNS1_3repE0EEENS1_30default_config_static_selectorELNS0_4arch9wavefront6targetE0EEEvSQ_.num_agpr, 0
	.set _ZN7rocprim17ROCPRIM_400000_NS6detail17trampoline_kernelINS0_14default_configENS1_22reduce_config_selectorIbEEZNS1_11reduce_implILb1ES3_N6hipcub16HIPCUB_304000_NS22TransformInputIteratorIbN2at6native12_GLOBAL__N_19NonZeroOpIdEEPKdlEEPiiNS8_6detail34convert_binary_result_type_wrapperINS8_3SumESH_iEEEE10hipError_tPvRmT1_T2_T3_mT4_P12ihipStream_tbEUlT_E1_NS1_11comp_targetILNS1_3genE0ELNS1_11target_archE4294967295ELNS1_3gpuE0ELNS1_3repE0EEENS1_30default_config_static_selectorELNS0_4arch9wavefront6targetE0EEEvSQ_.numbered_sgpr, 0
	.set _ZN7rocprim17ROCPRIM_400000_NS6detail17trampoline_kernelINS0_14default_configENS1_22reduce_config_selectorIbEEZNS1_11reduce_implILb1ES3_N6hipcub16HIPCUB_304000_NS22TransformInputIteratorIbN2at6native12_GLOBAL__N_19NonZeroOpIdEEPKdlEEPiiNS8_6detail34convert_binary_result_type_wrapperINS8_3SumESH_iEEEE10hipError_tPvRmT1_T2_T3_mT4_P12ihipStream_tbEUlT_E1_NS1_11comp_targetILNS1_3genE0ELNS1_11target_archE4294967295ELNS1_3gpuE0ELNS1_3repE0EEENS1_30default_config_static_selectorELNS0_4arch9wavefront6targetE0EEEvSQ_.num_named_barrier, 0
	.set _ZN7rocprim17ROCPRIM_400000_NS6detail17trampoline_kernelINS0_14default_configENS1_22reduce_config_selectorIbEEZNS1_11reduce_implILb1ES3_N6hipcub16HIPCUB_304000_NS22TransformInputIteratorIbN2at6native12_GLOBAL__N_19NonZeroOpIdEEPKdlEEPiiNS8_6detail34convert_binary_result_type_wrapperINS8_3SumESH_iEEEE10hipError_tPvRmT1_T2_T3_mT4_P12ihipStream_tbEUlT_E1_NS1_11comp_targetILNS1_3genE0ELNS1_11target_archE4294967295ELNS1_3gpuE0ELNS1_3repE0EEENS1_30default_config_static_selectorELNS0_4arch9wavefront6targetE0EEEvSQ_.private_seg_size, 0
	.set _ZN7rocprim17ROCPRIM_400000_NS6detail17trampoline_kernelINS0_14default_configENS1_22reduce_config_selectorIbEEZNS1_11reduce_implILb1ES3_N6hipcub16HIPCUB_304000_NS22TransformInputIteratorIbN2at6native12_GLOBAL__N_19NonZeroOpIdEEPKdlEEPiiNS8_6detail34convert_binary_result_type_wrapperINS8_3SumESH_iEEEE10hipError_tPvRmT1_T2_T3_mT4_P12ihipStream_tbEUlT_E1_NS1_11comp_targetILNS1_3genE0ELNS1_11target_archE4294967295ELNS1_3gpuE0ELNS1_3repE0EEENS1_30default_config_static_selectorELNS0_4arch9wavefront6targetE0EEEvSQ_.uses_vcc, 0
	.set _ZN7rocprim17ROCPRIM_400000_NS6detail17trampoline_kernelINS0_14default_configENS1_22reduce_config_selectorIbEEZNS1_11reduce_implILb1ES3_N6hipcub16HIPCUB_304000_NS22TransformInputIteratorIbN2at6native12_GLOBAL__N_19NonZeroOpIdEEPKdlEEPiiNS8_6detail34convert_binary_result_type_wrapperINS8_3SumESH_iEEEE10hipError_tPvRmT1_T2_T3_mT4_P12ihipStream_tbEUlT_E1_NS1_11comp_targetILNS1_3genE0ELNS1_11target_archE4294967295ELNS1_3gpuE0ELNS1_3repE0EEENS1_30default_config_static_selectorELNS0_4arch9wavefront6targetE0EEEvSQ_.uses_flat_scratch, 0
	.set _ZN7rocprim17ROCPRIM_400000_NS6detail17trampoline_kernelINS0_14default_configENS1_22reduce_config_selectorIbEEZNS1_11reduce_implILb1ES3_N6hipcub16HIPCUB_304000_NS22TransformInputIteratorIbN2at6native12_GLOBAL__N_19NonZeroOpIdEEPKdlEEPiiNS8_6detail34convert_binary_result_type_wrapperINS8_3SumESH_iEEEE10hipError_tPvRmT1_T2_T3_mT4_P12ihipStream_tbEUlT_E1_NS1_11comp_targetILNS1_3genE0ELNS1_11target_archE4294967295ELNS1_3gpuE0ELNS1_3repE0EEENS1_30default_config_static_selectorELNS0_4arch9wavefront6targetE0EEEvSQ_.has_dyn_sized_stack, 0
	.set _ZN7rocprim17ROCPRIM_400000_NS6detail17trampoline_kernelINS0_14default_configENS1_22reduce_config_selectorIbEEZNS1_11reduce_implILb1ES3_N6hipcub16HIPCUB_304000_NS22TransformInputIteratorIbN2at6native12_GLOBAL__N_19NonZeroOpIdEEPKdlEEPiiNS8_6detail34convert_binary_result_type_wrapperINS8_3SumESH_iEEEE10hipError_tPvRmT1_T2_T3_mT4_P12ihipStream_tbEUlT_E1_NS1_11comp_targetILNS1_3genE0ELNS1_11target_archE4294967295ELNS1_3gpuE0ELNS1_3repE0EEENS1_30default_config_static_selectorELNS0_4arch9wavefront6targetE0EEEvSQ_.has_recursion, 0
	.set _ZN7rocprim17ROCPRIM_400000_NS6detail17trampoline_kernelINS0_14default_configENS1_22reduce_config_selectorIbEEZNS1_11reduce_implILb1ES3_N6hipcub16HIPCUB_304000_NS22TransformInputIteratorIbN2at6native12_GLOBAL__N_19NonZeroOpIdEEPKdlEEPiiNS8_6detail34convert_binary_result_type_wrapperINS8_3SumESH_iEEEE10hipError_tPvRmT1_T2_T3_mT4_P12ihipStream_tbEUlT_E1_NS1_11comp_targetILNS1_3genE0ELNS1_11target_archE4294967295ELNS1_3gpuE0ELNS1_3repE0EEENS1_30default_config_static_selectorELNS0_4arch9wavefront6targetE0EEEvSQ_.has_indirect_call, 0
	.section	.AMDGPU.csdata,"",@progbits
; Kernel info:
; codeLenInByte = 0
; TotalNumSgprs: 0
; NumVgprs: 0
; ScratchSize: 0
; MemoryBound: 0
; FloatMode: 240
; IeeeMode: 1
; LDSByteSize: 0 bytes/workgroup (compile time only)
; SGPRBlocks: 0
; VGPRBlocks: 0
; NumSGPRsForWavesPerEU: 1
; NumVGPRsForWavesPerEU: 1
; Occupancy: 16
; WaveLimiterHint : 0
; COMPUTE_PGM_RSRC2:SCRATCH_EN: 0
; COMPUTE_PGM_RSRC2:USER_SGPR: 2
; COMPUTE_PGM_RSRC2:TRAP_HANDLER: 0
; COMPUTE_PGM_RSRC2:TGID_X_EN: 1
; COMPUTE_PGM_RSRC2:TGID_Y_EN: 0
; COMPUTE_PGM_RSRC2:TGID_Z_EN: 0
; COMPUTE_PGM_RSRC2:TIDIG_COMP_CNT: 0
	.section	.text._ZN7rocprim17ROCPRIM_400000_NS6detail17trampoline_kernelINS0_14default_configENS1_22reduce_config_selectorIbEEZNS1_11reduce_implILb1ES3_N6hipcub16HIPCUB_304000_NS22TransformInputIteratorIbN2at6native12_GLOBAL__N_19NonZeroOpIdEEPKdlEEPiiNS8_6detail34convert_binary_result_type_wrapperINS8_3SumESH_iEEEE10hipError_tPvRmT1_T2_T3_mT4_P12ihipStream_tbEUlT_E1_NS1_11comp_targetILNS1_3genE5ELNS1_11target_archE942ELNS1_3gpuE9ELNS1_3repE0EEENS1_30default_config_static_selectorELNS0_4arch9wavefront6targetE0EEEvSQ_,"axG",@progbits,_ZN7rocprim17ROCPRIM_400000_NS6detail17trampoline_kernelINS0_14default_configENS1_22reduce_config_selectorIbEEZNS1_11reduce_implILb1ES3_N6hipcub16HIPCUB_304000_NS22TransformInputIteratorIbN2at6native12_GLOBAL__N_19NonZeroOpIdEEPKdlEEPiiNS8_6detail34convert_binary_result_type_wrapperINS8_3SumESH_iEEEE10hipError_tPvRmT1_T2_T3_mT4_P12ihipStream_tbEUlT_E1_NS1_11comp_targetILNS1_3genE5ELNS1_11target_archE942ELNS1_3gpuE9ELNS1_3repE0EEENS1_30default_config_static_selectorELNS0_4arch9wavefront6targetE0EEEvSQ_,comdat
	.globl	_ZN7rocprim17ROCPRIM_400000_NS6detail17trampoline_kernelINS0_14default_configENS1_22reduce_config_selectorIbEEZNS1_11reduce_implILb1ES3_N6hipcub16HIPCUB_304000_NS22TransformInputIteratorIbN2at6native12_GLOBAL__N_19NonZeroOpIdEEPKdlEEPiiNS8_6detail34convert_binary_result_type_wrapperINS8_3SumESH_iEEEE10hipError_tPvRmT1_T2_T3_mT4_P12ihipStream_tbEUlT_E1_NS1_11comp_targetILNS1_3genE5ELNS1_11target_archE942ELNS1_3gpuE9ELNS1_3repE0EEENS1_30default_config_static_selectorELNS0_4arch9wavefront6targetE0EEEvSQ_ ; -- Begin function _ZN7rocprim17ROCPRIM_400000_NS6detail17trampoline_kernelINS0_14default_configENS1_22reduce_config_selectorIbEEZNS1_11reduce_implILb1ES3_N6hipcub16HIPCUB_304000_NS22TransformInputIteratorIbN2at6native12_GLOBAL__N_19NonZeroOpIdEEPKdlEEPiiNS8_6detail34convert_binary_result_type_wrapperINS8_3SumESH_iEEEE10hipError_tPvRmT1_T2_T3_mT4_P12ihipStream_tbEUlT_E1_NS1_11comp_targetILNS1_3genE5ELNS1_11target_archE942ELNS1_3gpuE9ELNS1_3repE0EEENS1_30default_config_static_selectorELNS0_4arch9wavefront6targetE0EEEvSQ_
	.p2align	8
	.type	_ZN7rocprim17ROCPRIM_400000_NS6detail17trampoline_kernelINS0_14default_configENS1_22reduce_config_selectorIbEEZNS1_11reduce_implILb1ES3_N6hipcub16HIPCUB_304000_NS22TransformInputIteratorIbN2at6native12_GLOBAL__N_19NonZeroOpIdEEPKdlEEPiiNS8_6detail34convert_binary_result_type_wrapperINS8_3SumESH_iEEEE10hipError_tPvRmT1_T2_T3_mT4_P12ihipStream_tbEUlT_E1_NS1_11comp_targetILNS1_3genE5ELNS1_11target_archE942ELNS1_3gpuE9ELNS1_3repE0EEENS1_30default_config_static_selectorELNS0_4arch9wavefront6targetE0EEEvSQ_,@function
_ZN7rocprim17ROCPRIM_400000_NS6detail17trampoline_kernelINS0_14default_configENS1_22reduce_config_selectorIbEEZNS1_11reduce_implILb1ES3_N6hipcub16HIPCUB_304000_NS22TransformInputIteratorIbN2at6native12_GLOBAL__N_19NonZeroOpIdEEPKdlEEPiiNS8_6detail34convert_binary_result_type_wrapperINS8_3SumESH_iEEEE10hipError_tPvRmT1_T2_T3_mT4_P12ihipStream_tbEUlT_E1_NS1_11comp_targetILNS1_3genE5ELNS1_11target_archE942ELNS1_3gpuE9ELNS1_3repE0EEENS1_30default_config_static_selectorELNS0_4arch9wavefront6targetE0EEEvSQ_: ; @_ZN7rocprim17ROCPRIM_400000_NS6detail17trampoline_kernelINS0_14default_configENS1_22reduce_config_selectorIbEEZNS1_11reduce_implILb1ES3_N6hipcub16HIPCUB_304000_NS22TransformInputIteratorIbN2at6native12_GLOBAL__N_19NonZeroOpIdEEPKdlEEPiiNS8_6detail34convert_binary_result_type_wrapperINS8_3SumESH_iEEEE10hipError_tPvRmT1_T2_T3_mT4_P12ihipStream_tbEUlT_E1_NS1_11comp_targetILNS1_3genE5ELNS1_11target_archE942ELNS1_3gpuE9ELNS1_3repE0EEENS1_30default_config_static_selectorELNS0_4arch9wavefront6targetE0EEEvSQ_
; %bb.0:
	.section	.rodata,"a",@progbits
	.p2align	6, 0x0
	.amdhsa_kernel _ZN7rocprim17ROCPRIM_400000_NS6detail17trampoline_kernelINS0_14default_configENS1_22reduce_config_selectorIbEEZNS1_11reduce_implILb1ES3_N6hipcub16HIPCUB_304000_NS22TransformInputIteratorIbN2at6native12_GLOBAL__N_19NonZeroOpIdEEPKdlEEPiiNS8_6detail34convert_binary_result_type_wrapperINS8_3SumESH_iEEEE10hipError_tPvRmT1_T2_T3_mT4_P12ihipStream_tbEUlT_E1_NS1_11comp_targetILNS1_3genE5ELNS1_11target_archE942ELNS1_3gpuE9ELNS1_3repE0EEENS1_30default_config_static_selectorELNS0_4arch9wavefront6targetE0EEEvSQ_
		.amdhsa_group_segment_fixed_size 0
		.amdhsa_private_segment_fixed_size 0
		.amdhsa_kernarg_size 48
		.amdhsa_user_sgpr_count 2
		.amdhsa_user_sgpr_dispatch_ptr 0
		.amdhsa_user_sgpr_queue_ptr 0
		.amdhsa_user_sgpr_kernarg_segment_ptr 1
		.amdhsa_user_sgpr_dispatch_id 0
		.amdhsa_user_sgpr_private_segment_size 0
		.amdhsa_wavefront_size32 1
		.amdhsa_uses_dynamic_stack 0
		.amdhsa_enable_private_segment 0
		.amdhsa_system_sgpr_workgroup_id_x 1
		.amdhsa_system_sgpr_workgroup_id_y 0
		.amdhsa_system_sgpr_workgroup_id_z 0
		.amdhsa_system_sgpr_workgroup_info 0
		.amdhsa_system_vgpr_workitem_id 0
		.amdhsa_next_free_vgpr 1
		.amdhsa_next_free_sgpr 1
		.amdhsa_reserve_vcc 0
		.amdhsa_float_round_mode_32 0
		.amdhsa_float_round_mode_16_64 0
		.amdhsa_float_denorm_mode_32 3
		.amdhsa_float_denorm_mode_16_64 3
		.amdhsa_fp16_overflow 0
		.amdhsa_workgroup_processor_mode 1
		.amdhsa_memory_ordered 1
		.amdhsa_forward_progress 1
		.amdhsa_inst_pref_size 0
		.amdhsa_round_robin_scheduling 0
		.amdhsa_exception_fp_ieee_invalid_op 0
		.amdhsa_exception_fp_denorm_src 0
		.amdhsa_exception_fp_ieee_div_zero 0
		.amdhsa_exception_fp_ieee_overflow 0
		.amdhsa_exception_fp_ieee_underflow 0
		.amdhsa_exception_fp_ieee_inexact 0
		.amdhsa_exception_int_div_zero 0
	.end_amdhsa_kernel
	.section	.text._ZN7rocprim17ROCPRIM_400000_NS6detail17trampoline_kernelINS0_14default_configENS1_22reduce_config_selectorIbEEZNS1_11reduce_implILb1ES3_N6hipcub16HIPCUB_304000_NS22TransformInputIteratorIbN2at6native12_GLOBAL__N_19NonZeroOpIdEEPKdlEEPiiNS8_6detail34convert_binary_result_type_wrapperINS8_3SumESH_iEEEE10hipError_tPvRmT1_T2_T3_mT4_P12ihipStream_tbEUlT_E1_NS1_11comp_targetILNS1_3genE5ELNS1_11target_archE942ELNS1_3gpuE9ELNS1_3repE0EEENS1_30default_config_static_selectorELNS0_4arch9wavefront6targetE0EEEvSQ_,"axG",@progbits,_ZN7rocprim17ROCPRIM_400000_NS6detail17trampoline_kernelINS0_14default_configENS1_22reduce_config_selectorIbEEZNS1_11reduce_implILb1ES3_N6hipcub16HIPCUB_304000_NS22TransformInputIteratorIbN2at6native12_GLOBAL__N_19NonZeroOpIdEEPKdlEEPiiNS8_6detail34convert_binary_result_type_wrapperINS8_3SumESH_iEEEE10hipError_tPvRmT1_T2_T3_mT4_P12ihipStream_tbEUlT_E1_NS1_11comp_targetILNS1_3genE5ELNS1_11target_archE942ELNS1_3gpuE9ELNS1_3repE0EEENS1_30default_config_static_selectorELNS0_4arch9wavefront6targetE0EEEvSQ_,comdat
.Lfunc_end382:
	.size	_ZN7rocprim17ROCPRIM_400000_NS6detail17trampoline_kernelINS0_14default_configENS1_22reduce_config_selectorIbEEZNS1_11reduce_implILb1ES3_N6hipcub16HIPCUB_304000_NS22TransformInputIteratorIbN2at6native12_GLOBAL__N_19NonZeroOpIdEEPKdlEEPiiNS8_6detail34convert_binary_result_type_wrapperINS8_3SumESH_iEEEE10hipError_tPvRmT1_T2_T3_mT4_P12ihipStream_tbEUlT_E1_NS1_11comp_targetILNS1_3genE5ELNS1_11target_archE942ELNS1_3gpuE9ELNS1_3repE0EEENS1_30default_config_static_selectorELNS0_4arch9wavefront6targetE0EEEvSQ_, .Lfunc_end382-_ZN7rocprim17ROCPRIM_400000_NS6detail17trampoline_kernelINS0_14default_configENS1_22reduce_config_selectorIbEEZNS1_11reduce_implILb1ES3_N6hipcub16HIPCUB_304000_NS22TransformInputIteratorIbN2at6native12_GLOBAL__N_19NonZeroOpIdEEPKdlEEPiiNS8_6detail34convert_binary_result_type_wrapperINS8_3SumESH_iEEEE10hipError_tPvRmT1_T2_T3_mT4_P12ihipStream_tbEUlT_E1_NS1_11comp_targetILNS1_3genE5ELNS1_11target_archE942ELNS1_3gpuE9ELNS1_3repE0EEENS1_30default_config_static_selectorELNS0_4arch9wavefront6targetE0EEEvSQ_
                                        ; -- End function
	.set _ZN7rocprim17ROCPRIM_400000_NS6detail17trampoline_kernelINS0_14default_configENS1_22reduce_config_selectorIbEEZNS1_11reduce_implILb1ES3_N6hipcub16HIPCUB_304000_NS22TransformInputIteratorIbN2at6native12_GLOBAL__N_19NonZeroOpIdEEPKdlEEPiiNS8_6detail34convert_binary_result_type_wrapperINS8_3SumESH_iEEEE10hipError_tPvRmT1_T2_T3_mT4_P12ihipStream_tbEUlT_E1_NS1_11comp_targetILNS1_3genE5ELNS1_11target_archE942ELNS1_3gpuE9ELNS1_3repE0EEENS1_30default_config_static_selectorELNS0_4arch9wavefront6targetE0EEEvSQ_.num_vgpr, 0
	.set _ZN7rocprim17ROCPRIM_400000_NS6detail17trampoline_kernelINS0_14default_configENS1_22reduce_config_selectorIbEEZNS1_11reduce_implILb1ES3_N6hipcub16HIPCUB_304000_NS22TransformInputIteratorIbN2at6native12_GLOBAL__N_19NonZeroOpIdEEPKdlEEPiiNS8_6detail34convert_binary_result_type_wrapperINS8_3SumESH_iEEEE10hipError_tPvRmT1_T2_T3_mT4_P12ihipStream_tbEUlT_E1_NS1_11comp_targetILNS1_3genE5ELNS1_11target_archE942ELNS1_3gpuE9ELNS1_3repE0EEENS1_30default_config_static_selectorELNS0_4arch9wavefront6targetE0EEEvSQ_.num_agpr, 0
	.set _ZN7rocprim17ROCPRIM_400000_NS6detail17trampoline_kernelINS0_14default_configENS1_22reduce_config_selectorIbEEZNS1_11reduce_implILb1ES3_N6hipcub16HIPCUB_304000_NS22TransformInputIteratorIbN2at6native12_GLOBAL__N_19NonZeroOpIdEEPKdlEEPiiNS8_6detail34convert_binary_result_type_wrapperINS8_3SumESH_iEEEE10hipError_tPvRmT1_T2_T3_mT4_P12ihipStream_tbEUlT_E1_NS1_11comp_targetILNS1_3genE5ELNS1_11target_archE942ELNS1_3gpuE9ELNS1_3repE0EEENS1_30default_config_static_selectorELNS0_4arch9wavefront6targetE0EEEvSQ_.numbered_sgpr, 0
	.set _ZN7rocprim17ROCPRIM_400000_NS6detail17trampoline_kernelINS0_14default_configENS1_22reduce_config_selectorIbEEZNS1_11reduce_implILb1ES3_N6hipcub16HIPCUB_304000_NS22TransformInputIteratorIbN2at6native12_GLOBAL__N_19NonZeroOpIdEEPKdlEEPiiNS8_6detail34convert_binary_result_type_wrapperINS8_3SumESH_iEEEE10hipError_tPvRmT1_T2_T3_mT4_P12ihipStream_tbEUlT_E1_NS1_11comp_targetILNS1_3genE5ELNS1_11target_archE942ELNS1_3gpuE9ELNS1_3repE0EEENS1_30default_config_static_selectorELNS0_4arch9wavefront6targetE0EEEvSQ_.num_named_barrier, 0
	.set _ZN7rocprim17ROCPRIM_400000_NS6detail17trampoline_kernelINS0_14default_configENS1_22reduce_config_selectorIbEEZNS1_11reduce_implILb1ES3_N6hipcub16HIPCUB_304000_NS22TransformInputIteratorIbN2at6native12_GLOBAL__N_19NonZeroOpIdEEPKdlEEPiiNS8_6detail34convert_binary_result_type_wrapperINS8_3SumESH_iEEEE10hipError_tPvRmT1_T2_T3_mT4_P12ihipStream_tbEUlT_E1_NS1_11comp_targetILNS1_3genE5ELNS1_11target_archE942ELNS1_3gpuE9ELNS1_3repE0EEENS1_30default_config_static_selectorELNS0_4arch9wavefront6targetE0EEEvSQ_.private_seg_size, 0
	.set _ZN7rocprim17ROCPRIM_400000_NS6detail17trampoline_kernelINS0_14default_configENS1_22reduce_config_selectorIbEEZNS1_11reduce_implILb1ES3_N6hipcub16HIPCUB_304000_NS22TransformInputIteratorIbN2at6native12_GLOBAL__N_19NonZeroOpIdEEPKdlEEPiiNS8_6detail34convert_binary_result_type_wrapperINS8_3SumESH_iEEEE10hipError_tPvRmT1_T2_T3_mT4_P12ihipStream_tbEUlT_E1_NS1_11comp_targetILNS1_3genE5ELNS1_11target_archE942ELNS1_3gpuE9ELNS1_3repE0EEENS1_30default_config_static_selectorELNS0_4arch9wavefront6targetE0EEEvSQ_.uses_vcc, 0
	.set _ZN7rocprim17ROCPRIM_400000_NS6detail17trampoline_kernelINS0_14default_configENS1_22reduce_config_selectorIbEEZNS1_11reduce_implILb1ES3_N6hipcub16HIPCUB_304000_NS22TransformInputIteratorIbN2at6native12_GLOBAL__N_19NonZeroOpIdEEPKdlEEPiiNS8_6detail34convert_binary_result_type_wrapperINS8_3SumESH_iEEEE10hipError_tPvRmT1_T2_T3_mT4_P12ihipStream_tbEUlT_E1_NS1_11comp_targetILNS1_3genE5ELNS1_11target_archE942ELNS1_3gpuE9ELNS1_3repE0EEENS1_30default_config_static_selectorELNS0_4arch9wavefront6targetE0EEEvSQ_.uses_flat_scratch, 0
	.set _ZN7rocprim17ROCPRIM_400000_NS6detail17trampoline_kernelINS0_14default_configENS1_22reduce_config_selectorIbEEZNS1_11reduce_implILb1ES3_N6hipcub16HIPCUB_304000_NS22TransformInputIteratorIbN2at6native12_GLOBAL__N_19NonZeroOpIdEEPKdlEEPiiNS8_6detail34convert_binary_result_type_wrapperINS8_3SumESH_iEEEE10hipError_tPvRmT1_T2_T3_mT4_P12ihipStream_tbEUlT_E1_NS1_11comp_targetILNS1_3genE5ELNS1_11target_archE942ELNS1_3gpuE9ELNS1_3repE0EEENS1_30default_config_static_selectorELNS0_4arch9wavefront6targetE0EEEvSQ_.has_dyn_sized_stack, 0
	.set _ZN7rocprim17ROCPRIM_400000_NS6detail17trampoline_kernelINS0_14default_configENS1_22reduce_config_selectorIbEEZNS1_11reduce_implILb1ES3_N6hipcub16HIPCUB_304000_NS22TransformInputIteratorIbN2at6native12_GLOBAL__N_19NonZeroOpIdEEPKdlEEPiiNS8_6detail34convert_binary_result_type_wrapperINS8_3SumESH_iEEEE10hipError_tPvRmT1_T2_T3_mT4_P12ihipStream_tbEUlT_E1_NS1_11comp_targetILNS1_3genE5ELNS1_11target_archE942ELNS1_3gpuE9ELNS1_3repE0EEENS1_30default_config_static_selectorELNS0_4arch9wavefront6targetE0EEEvSQ_.has_recursion, 0
	.set _ZN7rocprim17ROCPRIM_400000_NS6detail17trampoline_kernelINS0_14default_configENS1_22reduce_config_selectorIbEEZNS1_11reduce_implILb1ES3_N6hipcub16HIPCUB_304000_NS22TransformInputIteratorIbN2at6native12_GLOBAL__N_19NonZeroOpIdEEPKdlEEPiiNS8_6detail34convert_binary_result_type_wrapperINS8_3SumESH_iEEEE10hipError_tPvRmT1_T2_T3_mT4_P12ihipStream_tbEUlT_E1_NS1_11comp_targetILNS1_3genE5ELNS1_11target_archE942ELNS1_3gpuE9ELNS1_3repE0EEENS1_30default_config_static_selectorELNS0_4arch9wavefront6targetE0EEEvSQ_.has_indirect_call, 0
	.section	.AMDGPU.csdata,"",@progbits
; Kernel info:
; codeLenInByte = 0
; TotalNumSgprs: 0
; NumVgprs: 0
; ScratchSize: 0
; MemoryBound: 0
; FloatMode: 240
; IeeeMode: 1
; LDSByteSize: 0 bytes/workgroup (compile time only)
; SGPRBlocks: 0
; VGPRBlocks: 0
; NumSGPRsForWavesPerEU: 1
; NumVGPRsForWavesPerEU: 1
; Occupancy: 16
; WaveLimiterHint : 0
; COMPUTE_PGM_RSRC2:SCRATCH_EN: 0
; COMPUTE_PGM_RSRC2:USER_SGPR: 2
; COMPUTE_PGM_RSRC2:TRAP_HANDLER: 0
; COMPUTE_PGM_RSRC2:TGID_X_EN: 1
; COMPUTE_PGM_RSRC2:TGID_Y_EN: 0
; COMPUTE_PGM_RSRC2:TGID_Z_EN: 0
; COMPUTE_PGM_RSRC2:TIDIG_COMP_CNT: 0
	.section	.text._ZN7rocprim17ROCPRIM_400000_NS6detail17trampoline_kernelINS0_14default_configENS1_22reduce_config_selectorIbEEZNS1_11reduce_implILb1ES3_N6hipcub16HIPCUB_304000_NS22TransformInputIteratorIbN2at6native12_GLOBAL__N_19NonZeroOpIdEEPKdlEEPiiNS8_6detail34convert_binary_result_type_wrapperINS8_3SumESH_iEEEE10hipError_tPvRmT1_T2_T3_mT4_P12ihipStream_tbEUlT_E1_NS1_11comp_targetILNS1_3genE4ELNS1_11target_archE910ELNS1_3gpuE8ELNS1_3repE0EEENS1_30default_config_static_selectorELNS0_4arch9wavefront6targetE0EEEvSQ_,"axG",@progbits,_ZN7rocprim17ROCPRIM_400000_NS6detail17trampoline_kernelINS0_14default_configENS1_22reduce_config_selectorIbEEZNS1_11reduce_implILb1ES3_N6hipcub16HIPCUB_304000_NS22TransformInputIteratorIbN2at6native12_GLOBAL__N_19NonZeroOpIdEEPKdlEEPiiNS8_6detail34convert_binary_result_type_wrapperINS8_3SumESH_iEEEE10hipError_tPvRmT1_T2_T3_mT4_P12ihipStream_tbEUlT_E1_NS1_11comp_targetILNS1_3genE4ELNS1_11target_archE910ELNS1_3gpuE8ELNS1_3repE0EEENS1_30default_config_static_selectorELNS0_4arch9wavefront6targetE0EEEvSQ_,comdat
	.globl	_ZN7rocprim17ROCPRIM_400000_NS6detail17trampoline_kernelINS0_14default_configENS1_22reduce_config_selectorIbEEZNS1_11reduce_implILb1ES3_N6hipcub16HIPCUB_304000_NS22TransformInputIteratorIbN2at6native12_GLOBAL__N_19NonZeroOpIdEEPKdlEEPiiNS8_6detail34convert_binary_result_type_wrapperINS8_3SumESH_iEEEE10hipError_tPvRmT1_T2_T3_mT4_P12ihipStream_tbEUlT_E1_NS1_11comp_targetILNS1_3genE4ELNS1_11target_archE910ELNS1_3gpuE8ELNS1_3repE0EEENS1_30default_config_static_selectorELNS0_4arch9wavefront6targetE0EEEvSQ_ ; -- Begin function _ZN7rocprim17ROCPRIM_400000_NS6detail17trampoline_kernelINS0_14default_configENS1_22reduce_config_selectorIbEEZNS1_11reduce_implILb1ES3_N6hipcub16HIPCUB_304000_NS22TransformInputIteratorIbN2at6native12_GLOBAL__N_19NonZeroOpIdEEPKdlEEPiiNS8_6detail34convert_binary_result_type_wrapperINS8_3SumESH_iEEEE10hipError_tPvRmT1_T2_T3_mT4_P12ihipStream_tbEUlT_E1_NS1_11comp_targetILNS1_3genE4ELNS1_11target_archE910ELNS1_3gpuE8ELNS1_3repE0EEENS1_30default_config_static_selectorELNS0_4arch9wavefront6targetE0EEEvSQ_
	.p2align	8
	.type	_ZN7rocprim17ROCPRIM_400000_NS6detail17trampoline_kernelINS0_14default_configENS1_22reduce_config_selectorIbEEZNS1_11reduce_implILb1ES3_N6hipcub16HIPCUB_304000_NS22TransformInputIteratorIbN2at6native12_GLOBAL__N_19NonZeroOpIdEEPKdlEEPiiNS8_6detail34convert_binary_result_type_wrapperINS8_3SumESH_iEEEE10hipError_tPvRmT1_T2_T3_mT4_P12ihipStream_tbEUlT_E1_NS1_11comp_targetILNS1_3genE4ELNS1_11target_archE910ELNS1_3gpuE8ELNS1_3repE0EEENS1_30default_config_static_selectorELNS0_4arch9wavefront6targetE0EEEvSQ_,@function
_ZN7rocprim17ROCPRIM_400000_NS6detail17trampoline_kernelINS0_14default_configENS1_22reduce_config_selectorIbEEZNS1_11reduce_implILb1ES3_N6hipcub16HIPCUB_304000_NS22TransformInputIteratorIbN2at6native12_GLOBAL__N_19NonZeroOpIdEEPKdlEEPiiNS8_6detail34convert_binary_result_type_wrapperINS8_3SumESH_iEEEE10hipError_tPvRmT1_T2_T3_mT4_P12ihipStream_tbEUlT_E1_NS1_11comp_targetILNS1_3genE4ELNS1_11target_archE910ELNS1_3gpuE8ELNS1_3repE0EEENS1_30default_config_static_selectorELNS0_4arch9wavefront6targetE0EEEvSQ_: ; @_ZN7rocprim17ROCPRIM_400000_NS6detail17trampoline_kernelINS0_14default_configENS1_22reduce_config_selectorIbEEZNS1_11reduce_implILb1ES3_N6hipcub16HIPCUB_304000_NS22TransformInputIteratorIbN2at6native12_GLOBAL__N_19NonZeroOpIdEEPKdlEEPiiNS8_6detail34convert_binary_result_type_wrapperINS8_3SumESH_iEEEE10hipError_tPvRmT1_T2_T3_mT4_P12ihipStream_tbEUlT_E1_NS1_11comp_targetILNS1_3genE4ELNS1_11target_archE910ELNS1_3gpuE8ELNS1_3repE0EEENS1_30default_config_static_selectorELNS0_4arch9wavefront6targetE0EEEvSQ_
; %bb.0:
	.section	.rodata,"a",@progbits
	.p2align	6, 0x0
	.amdhsa_kernel _ZN7rocprim17ROCPRIM_400000_NS6detail17trampoline_kernelINS0_14default_configENS1_22reduce_config_selectorIbEEZNS1_11reduce_implILb1ES3_N6hipcub16HIPCUB_304000_NS22TransformInputIteratorIbN2at6native12_GLOBAL__N_19NonZeroOpIdEEPKdlEEPiiNS8_6detail34convert_binary_result_type_wrapperINS8_3SumESH_iEEEE10hipError_tPvRmT1_T2_T3_mT4_P12ihipStream_tbEUlT_E1_NS1_11comp_targetILNS1_3genE4ELNS1_11target_archE910ELNS1_3gpuE8ELNS1_3repE0EEENS1_30default_config_static_selectorELNS0_4arch9wavefront6targetE0EEEvSQ_
		.amdhsa_group_segment_fixed_size 0
		.amdhsa_private_segment_fixed_size 0
		.amdhsa_kernarg_size 48
		.amdhsa_user_sgpr_count 2
		.amdhsa_user_sgpr_dispatch_ptr 0
		.amdhsa_user_sgpr_queue_ptr 0
		.amdhsa_user_sgpr_kernarg_segment_ptr 1
		.amdhsa_user_sgpr_dispatch_id 0
		.amdhsa_user_sgpr_private_segment_size 0
		.amdhsa_wavefront_size32 1
		.amdhsa_uses_dynamic_stack 0
		.amdhsa_enable_private_segment 0
		.amdhsa_system_sgpr_workgroup_id_x 1
		.amdhsa_system_sgpr_workgroup_id_y 0
		.amdhsa_system_sgpr_workgroup_id_z 0
		.amdhsa_system_sgpr_workgroup_info 0
		.amdhsa_system_vgpr_workitem_id 0
		.amdhsa_next_free_vgpr 1
		.amdhsa_next_free_sgpr 1
		.amdhsa_reserve_vcc 0
		.amdhsa_float_round_mode_32 0
		.amdhsa_float_round_mode_16_64 0
		.amdhsa_float_denorm_mode_32 3
		.amdhsa_float_denorm_mode_16_64 3
		.amdhsa_fp16_overflow 0
		.amdhsa_workgroup_processor_mode 1
		.amdhsa_memory_ordered 1
		.amdhsa_forward_progress 1
		.amdhsa_inst_pref_size 0
		.amdhsa_round_robin_scheduling 0
		.amdhsa_exception_fp_ieee_invalid_op 0
		.amdhsa_exception_fp_denorm_src 0
		.amdhsa_exception_fp_ieee_div_zero 0
		.amdhsa_exception_fp_ieee_overflow 0
		.amdhsa_exception_fp_ieee_underflow 0
		.amdhsa_exception_fp_ieee_inexact 0
		.amdhsa_exception_int_div_zero 0
	.end_amdhsa_kernel
	.section	.text._ZN7rocprim17ROCPRIM_400000_NS6detail17trampoline_kernelINS0_14default_configENS1_22reduce_config_selectorIbEEZNS1_11reduce_implILb1ES3_N6hipcub16HIPCUB_304000_NS22TransformInputIteratorIbN2at6native12_GLOBAL__N_19NonZeroOpIdEEPKdlEEPiiNS8_6detail34convert_binary_result_type_wrapperINS8_3SumESH_iEEEE10hipError_tPvRmT1_T2_T3_mT4_P12ihipStream_tbEUlT_E1_NS1_11comp_targetILNS1_3genE4ELNS1_11target_archE910ELNS1_3gpuE8ELNS1_3repE0EEENS1_30default_config_static_selectorELNS0_4arch9wavefront6targetE0EEEvSQ_,"axG",@progbits,_ZN7rocprim17ROCPRIM_400000_NS6detail17trampoline_kernelINS0_14default_configENS1_22reduce_config_selectorIbEEZNS1_11reduce_implILb1ES3_N6hipcub16HIPCUB_304000_NS22TransformInputIteratorIbN2at6native12_GLOBAL__N_19NonZeroOpIdEEPKdlEEPiiNS8_6detail34convert_binary_result_type_wrapperINS8_3SumESH_iEEEE10hipError_tPvRmT1_T2_T3_mT4_P12ihipStream_tbEUlT_E1_NS1_11comp_targetILNS1_3genE4ELNS1_11target_archE910ELNS1_3gpuE8ELNS1_3repE0EEENS1_30default_config_static_selectorELNS0_4arch9wavefront6targetE0EEEvSQ_,comdat
.Lfunc_end383:
	.size	_ZN7rocprim17ROCPRIM_400000_NS6detail17trampoline_kernelINS0_14default_configENS1_22reduce_config_selectorIbEEZNS1_11reduce_implILb1ES3_N6hipcub16HIPCUB_304000_NS22TransformInputIteratorIbN2at6native12_GLOBAL__N_19NonZeroOpIdEEPKdlEEPiiNS8_6detail34convert_binary_result_type_wrapperINS8_3SumESH_iEEEE10hipError_tPvRmT1_T2_T3_mT4_P12ihipStream_tbEUlT_E1_NS1_11comp_targetILNS1_3genE4ELNS1_11target_archE910ELNS1_3gpuE8ELNS1_3repE0EEENS1_30default_config_static_selectorELNS0_4arch9wavefront6targetE0EEEvSQ_, .Lfunc_end383-_ZN7rocprim17ROCPRIM_400000_NS6detail17trampoline_kernelINS0_14default_configENS1_22reduce_config_selectorIbEEZNS1_11reduce_implILb1ES3_N6hipcub16HIPCUB_304000_NS22TransformInputIteratorIbN2at6native12_GLOBAL__N_19NonZeroOpIdEEPKdlEEPiiNS8_6detail34convert_binary_result_type_wrapperINS8_3SumESH_iEEEE10hipError_tPvRmT1_T2_T3_mT4_P12ihipStream_tbEUlT_E1_NS1_11comp_targetILNS1_3genE4ELNS1_11target_archE910ELNS1_3gpuE8ELNS1_3repE0EEENS1_30default_config_static_selectorELNS0_4arch9wavefront6targetE0EEEvSQ_
                                        ; -- End function
	.set _ZN7rocprim17ROCPRIM_400000_NS6detail17trampoline_kernelINS0_14default_configENS1_22reduce_config_selectorIbEEZNS1_11reduce_implILb1ES3_N6hipcub16HIPCUB_304000_NS22TransformInputIteratorIbN2at6native12_GLOBAL__N_19NonZeroOpIdEEPKdlEEPiiNS8_6detail34convert_binary_result_type_wrapperINS8_3SumESH_iEEEE10hipError_tPvRmT1_T2_T3_mT4_P12ihipStream_tbEUlT_E1_NS1_11comp_targetILNS1_3genE4ELNS1_11target_archE910ELNS1_3gpuE8ELNS1_3repE0EEENS1_30default_config_static_selectorELNS0_4arch9wavefront6targetE0EEEvSQ_.num_vgpr, 0
	.set _ZN7rocprim17ROCPRIM_400000_NS6detail17trampoline_kernelINS0_14default_configENS1_22reduce_config_selectorIbEEZNS1_11reduce_implILb1ES3_N6hipcub16HIPCUB_304000_NS22TransformInputIteratorIbN2at6native12_GLOBAL__N_19NonZeroOpIdEEPKdlEEPiiNS8_6detail34convert_binary_result_type_wrapperINS8_3SumESH_iEEEE10hipError_tPvRmT1_T2_T3_mT4_P12ihipStream_tbEUlT_E1_NS1_11comp_targetILNS1_3genE4ELNS1_11target_archE910ELNS1_3gpuE8ELNS1_3repE0EEENS1_30default_config_static_selectorELNS0_4arch9wavefront6targetE0EEEvSQ_.num_agpr, 0
	.set _ZN7rocprim17ROCPRIM_400000_NS6detail17trampoline_kernelINS0_14default_configENS1_22reduce_config_selectorIbEEZNS1_11reduce_implILb1ES3_N6hipcub16HIPCUB_304000_NS22TransformInputIteratorIbN2at6native12_GLOBAL__N_19NonZeroOpIdEEPKdlEEPiiNS8_6detail34convert_binary_result_type_wrapperINS8_3SumESH_iEEEE10hipError_tPvRmT1_T2_T3_mT4_P12ihipStream_tbEUlT_E1_NS1_11comp_targetILNS1_3genE4ELNS1_11target_archE910ELNS1_3gpuE8ELNS1_3repE0EEENS1_30default_config_static_selectorELNS0_4arch9wavefront6targetE0EEEvSQ_.numbered_sgpr, 0
	.set _ZN7rocprim17ROCPRIM_400000_NS6detail17trampoline_kernelINS0_14default_configENS1_22reduce_config_selectorIbEEZNS1_11reduce_implILb1ES3_N6hipcub16HIPCUB_304000_NS22TransformInputIteratorIbN2at6native12_GLOBAL__N_19NonZeroOpIdEEPKdlEEPiiNS8_6detail34convert_binary_result_type_wrapperINS8_3SumESH_iEEEE10hipError_tPvRmT1_T2_T3_mT4_P12ihipStream_tbEUlT_E1_NS1_11comp_targetILNS1_3genE4ELNS1_11target_archE910ELNS1_3gpuE8ELNS1_3repE0EEENS1_30default_config_static_selectorELNS0_4arch9wavefront6targetE0EEEvSQ_.num_named_barrier, 0
	.set _ZN7rocprim17ROCPRIM_400000_NS6detail17trampoline_kernelINS0_14default_configENS1_22reduce_config_selectorIbEEZNS1_11reduce_implILb1ES3_N6hipcub16HIPCUB_304000_NS22TransformInputIteratorIbN2at6native12_GLOBAL__N_19NonZeroOpIdEEPKdlEEPiiNS8_6detail34convert_binary_result_type_wrapperINS8_3SumESH_iEEEE10hipError_tPvRmT1_T2_T3_mT4_P12ihipStream_tbEUlT_E1_NS1_11comp_targetILNS1_3genE4ELNS1_11target_archE910ELNS1_3gpuE8ELNS1_3repE0EEENS1_30default_config_static_selectorELNS0_4arch9wavefront6targetE0EEEvSQ_.private_seg_size, 0
	.set _ZN7rocprim17ROCPRIM_400000_NS6detail17trampoline_kernelINS0_14default_configENS1_22reduce_config_selectorIbEEZNS1_11reduce_implILb1ES3_N6hipcub16HIPCUB_304000_NS22TransformInputIteratorIbN2at6native12_GLOBAL__N_19NonZeroOpIdEEPKdlEEPiiNS8_6detail34convert_binary_result_type_wrapperINS8_3SumESH_iEEEE10hipError_tPvRmT1_T2_T3_mT4_P12ihipStream_tbEUlT_E1_NS1_11comp_targetILNS1_3genE4ELNS1_11target_archE910ELNS1_3gpuE8ELNS1_3repE0EEENS1_30default_config_static_selectorELNS0_4arch9wavefront6targetE0EEEvSQ_.uses_vcc, 0
	.set _ZN7rocprim17ROCPRIM_400000_NS6detail17trampoline_kernelINS0_14default_configENS1_22reduce_config_selectorIbEEZNS1_11reduce_implILb1ES3_N6hipcub16HIPCUB_304000_NS22TransformInputIteratorIbN2at6native12_GLOBAL__N_19NonZeroOpIdEEPKdlEEPiiNS8_6detail34convert_binary_result_type_wrapperINS8_3SumESH_iEEEE10hipError_tPvRmT1_T2_T3_mT4_P12ihipStream_tbEUlT_E1_NS1_11comp_targetILNS1_3genE4ELNS1_11target_archE910ELNS1_3gpuE8ELNS1_3repE0EEENS1_30default_config_static_selectorELNS0_4arch9wavefront6targetE0EEEvSQ_.uses_flat_scratch, 0
	.set _ZN7rocprim17ROCPRIM_400000_NS6detail17trampoline_kernelINS0_14default_configENS1_22reduce_config_selectorIbEEZNS1_11reduce_implILb1ES3_N6hipcub16HIPCUB_304000_NS22TransformInputIteratorIbN2at6native12_GLOBAL__N_19NonZeroOpIdEEPKdlEEPiiNS8_6detail34convert_binary_result_type_wrapperINS8_3SumESH_iEEEE10hipError_tPvRmT1_T2_T3_mT4_P12ihipStream_tbEUlT_E1_NS1_11comp_targetILNS1_3genE4ELNS1_11target_archE910ELNS1_3gpuE8ELNS1_3repE0EEENS1_30default_config_static_selectorELNS0_4arch9wavefront6targetE0EEEvSQ_.has_dyn_sized_stack, 0
	.set _ZN7rocprim17ROCPRIM_400000_NS6detail17trampoline_kernelINS0_14default_configENS1_22reduce_config_selectorIbEEZNS1_11reduce_implILb1ES3_N6hipcub16HIPCUB_304000_NS22TransformInputIteratorIbN2at6native12_GLOBAL__N_19NonZeroOpIdEEPKdlEEPiiNS8_6detail34convert_binary_result_type_wrapperINS8_3SumESH_iEEEE10hipError_tPvRmT1_T2_T3_mT4_P12ihipStream_tbEUlT_E1_NS1_11comp_targetILNS1_3genE4ELNS1_11target_archE910ELNS1_3gpuE8ELNS1_3repE0EEENS1_30default_config_static_selectorELNS0_4arch9wavefront6targetE0EEEvSQ_.has_recursion, 0
	.set _ZN7rocprim17ROCPRIM_400000_NS6detail17trampoline_kernelINS0_14default_configENS1_22reduce_config_selectorIbEEZNS1_11reduce_implILb1ES3_N6hipcub16HIPCUB_304000_NS22TransformInputIteratorIbN2at6native12_GLOBAL__N_19NonZeroOpIdEEPKdlEEPiiNS8_6detail34convert_binary_result_type_wrapperINS8_3SumESH_iEEEE10hipError_tPvRmT1_T2_T3_mT4_P12ihipStream_tbEUlT_E1_NS1_11comp_targetILNS1_3genE4ELNS1_11target_archE910ELNS1_3gpuE8ELNS1_3repE0EEENS1_30default_config_static_selectorELNS0_4arch9wavefront6targetE0EEEvSQ_.has_indirect_call, 0
	.section	.AMDGPU.csdata,"",@progbits
; Kernel info:
; codeLenInByte = 0
; TotalNumSgprs: 0
; NumVgprs: 0
; ScratchSize: 0
; MemoryBound: 0
; FloatMode: 240
; IeeeMode: 1
; LDSByteSize: 0 bytes/workgroup (compile time only)
; SGPRBlocks: 0
; VGPRBlocks: 0
; NumSGPRsForWavesPerEU: 1
; NumVGPRsForWavesPerEU: 1
; Occupancy: 16
; WaveLimiterHint : 0
; COMPUTE_PGM_RSRC2:SCRATCH_EN: 0
; COMPUTE_PGM_RSRC2:USER_SGPR: 2
; COMPUTE_PGM_RSRC2:TRAP_HANDLER: 0
; COMPUTE_PGM_RSRC2:TGID_X_EN: 1
; COMPUTE_PGM_RSRC2:TGID_Y_EN: 0
; COMPUTE_PGM_RSRC2:TGID_Z_EN: 0
; COMPUTE_PGM_RSRC2:TIDIG_COMP_CNT: 0
	.section	.text._ZN7rocprim17ROCPRIM_400000_NS6detail17trampoline_kernelINS0_14default_configENS1_22reduce_config_selectorIbEEZNS1_11reduce_implILb1ES3_N6hipcub16HIPCUB_304000_NS22TransformInputIteratorIbN2at6native12_GLOBAL__N_19NonZeroOpIdEEPKdlEEPiiNS8_6detail34convert_binary_result_type_wrapperINS8_3SumESH_iEEEE10hipError_tPvRmT1_T2_T3_mT4_P12ihipStream_tbEUlT_E1_NS1_11comp_targetILNS1_3genE3ELNS1_11target_archE908ELNS1_3gpuE7ELNS1_3repE0EEENS1_30default_config_static_selectorELNS0_4arch9wavefront6targetE0EEEvSQ_,"axG",@progbits,_ZN7rocprim17ROCPRIM_400000_NS6detail17trampoline_kernelINS0_14default_configENS1_22reduce_config_selectorIbEEZNS1_11reduce_implILb1ES3_N6hipcub16HIPCUB_304000_NS22TransformInputIteratorIbN2at6native12_GLOBAL__N_19NonZeroOpIdEEPKdlEEPiiNS8_6detail34convert_binary_result_type_wrapperINS8_3SumESH_iEEEE10hipError_tPvRmT1_T2_T3_mT4_P12ihipStream_tbEUlT_E1_NS1_11comp_targetILNS1_3genE3ELNS1_11target_archE908ELNS1_3gpuE7ELNS1_3repE0EEENS1_30default_config_static_selectorELNS0_4arch9wavefront6targetE0EEEvSQ_,comdat
	.globl	_ZN7rocprim17ROCPRIM_400000_NS6detail17trampoline_kernelINS0_14default_configENS1_22reduce_config_selectorIbEEZNS1_11reduce_implILb1ES3_N6hipcub16HIPCUB_304000_NS22TransformInputIteratorIbN2at6native12_GLOBAL__N_19NonZeroOpIdEEPKdlEEPiiNS8_6detail34convert_binary_result_type_wrapperINS8_3SumESH_iEEEE10hipError_tPvRmT1_T2_T3_mT4_P12ihipStream_tbEUlT_E1_NS1_11comp_targetILNS1_3genE3ELNS1_11target_archE908ELNS1_3gpuE7ELNS1_3repE0EEENS1_30default_config_static_selectorELNS0_4arch9wavefront6targetE0EEEvSQ_ ; -- Begin function _ZN7rocprim17ROCPRIM_400000_NS6detail17trampoline_kernelINS0_14default_configENS1_22reduce_config_selectorIbEEZNS1_11reduce_implILb1ES3_N6hipcub16HIPCUB_304000_NS22TransformInputIteratorIbN2at6native12_GLOBAL__N_19NonZeroOpIdEEPKdlEEPiiNS8_6detail34convert_binary_result_type_wrapperINS8_3SumESH_iEEEE10hipError_tPvRmT1_T2_T3_mT4_P12ihipStream_tbEUlT_E1_NS1_11comp_targetILNS1_3genE3ELNS1_11target_archE908ELNS1_3gpuE7ELNS1_3repE0EEENS1_30default_config_static_selectorELNS0_4arch9wavefront6targetE0EEEvSQ_
	.p2align	8
	.type	_ZN7rocprim17ROCPRIM_400000_NS6detail17trampoline_kernelINS0_14default_configENS1_22reduce_config_selectorIbEEZNS1_11reduce_implILb1ES3_N6hipcub16HIPCUB_304000_NS22TransformInputIteratorIbN2at6native12_GLOBAL__N_19NonZeroOpIdEEPKdlEEPiiNS8_6detail34convert_binary_result_type_wrapperINS8_3SumESH_iEEEE10hipError_tPvRmT1_T2_T3_mT4_P12ihipStream_tbEUlT_E1_NS1_11comp_targetILNS1_3genE3ELNS1_11target_archE908ELNS1_3gpuE7ELNS1_3repE0EEENS1_30default_config_static_selectorELNS0_4arch9wavefront6targetE0EEEvSQ_,@function
_ZN7rocprim17ROCPRIM_400000_NS6detail17trampoline_kernelINS0_14default_configENS1_22reduce_config_selectorIbEEZNS1_11reduce_implILb1ES3_N6hipcub16HIPCUB_304000_NS22TransformInputIteratorIbN2at6native12_GLOBAL__N_19NonZeroOpIdEEPKdlEEPiiNS8_6detail34convert_binary_result_type_wrapperINS8_3SumESH_iEEEE10hipError_tPvRmT1_T2_T3_mT4_P12ihipStream_tbEUlT_E1_NS1_11comp_targetILNS1_3genE3ELNS1_11target_archE908ELNS1_3gpuE7ELNS1_3repE0EEENS1_30default_config_static_selectorELNS0_4arch9wavefront6targetE0EEEvSQ_: ; @_ZN7rocprim17ROCPRIM_400000_NS6detail17trampoline_kernelINS0_14default_configENS1_22reduce_config_selectorIbEEZNS1_11reduce_implILb1ES3_N6hipcub16HIPCUB_304000_NS22TransformInputIteratorIbN2at6native12_GLOBAL__N_19NonZeroOpIdEEPKdlEEPiiNS8_6detail34convert_binary_result_type_wrapperINS8_3SumESH_iEEEE10hipError_tPvRmT1_T2_T3_mT4_P12ihipStream_tbEUlT_E1_NS1_11comp_targetILNS1_3genE3ELNS1_11target_archE908ELNS1_3gpuE7ELNS1_3repE0EEENS1_30default_config_static_selectorELNS0_4arch9wavefront6targetE0EEEvSQ_
; %bb.0:
	.section	.rodata,"a",@progbits
	.p2align	6, 0x0
	.amdhsa_kernel _ZN7rocprim17ROCPRIM_400000_NS6detail17trampoline_kernelINS0_14default_configENS1_22reduce_config_selectorIbEEZNS1_11reduce_implILb1ES3_N6hipcub16HIPCUB_304000_NS22TransformInputIteratorIbN2at6native12_GLOBAL__N_19NonZeroOpIdEEPKdlEEPiiNS8_6detail34convert_binary_result_type_wrapperINS8_3SumESH_iEEEE10hipError_tPvRmT1_T2_T3_mT4_P12ihipStream_tbEUlT_E1_NS1_11comp_targetILNS1_3genE3ELNS1_11target_archE908ELNS1_3gpuE7ELNS1_3repE0EEENS1_30default_config_static_selectorELNS0_4arch9wavefront6targetE0EEEvSQ_
		.amdhsa_group_segment_fixed_size 0
		.amdhsa_private_segment_fixed_size 0
		.amdhsa_kernarg_size 48
		.amdhsa_user_sgpr_count 2
		.amdhsa_user_sgpr_dispatch_ptr 0
		.amdhsa_user_sgpr_queue_ptr 0
		.amdhsa_user_sgpr_kernarg_segment_ptr 1
		.amdhsa_user_sgpr_dispatch_id 0
		.amdhsa_user_sgpr_private_segment_size 0
		.amdhsa_wavefront_size32 1
		.amdhsa_uses_dynamic_stack 0
		.amdhsa_enable_private_segment 0
		.amdhsa_system_sgpr_workgroup_id_x 1
		.amdhsa_system_sgpr_workgroup_id_y 0
		.amdhsa_system_sgpr_workgroup_id_z 0
		.amdhsa_system_sgpr_workgroup_info 0
		.amdhsa_system_vgpr_workitem_id 0
		.amdhsa_next_free_vgpr 1
		.amdhsa_next_free_sgpr 1
		.amdhsa_reserve_vcc 0
		.amdhsa_float_round_mode_32 0
		.amdhsa_float_round_mode_16_64 0
		.amdhsa_float_denorm_mode_32 3
		.amdhsa_float_denorm_mode_16_64 3
		.amdhsa_fp16_overflow 0
		.amdhsa_workgroup_processor_mode 1
		.amdhsa_memory_ordered 1
		.amdhsa_forward_progress 1
		.amdhsa_inst_pref_size 0
		.amdhsa_round_robin_scheduling 0
		.amdhsa_exception_fp_ieee_invalid_op 0
		.amdhsa_exception_fp_denorm_src 0
		.amdhsa_exception_fp_ieee_div_zero 0
		.amdhsa_exception_fp_ieee_overflow 0
		.amdhsa_exception_fp_ieee_underflow 0
		.amdhsa_exception_fp_ieee_inexact 0
		.amdhsa_exception_int_div_zero 0
	.end_amdhsa_kernel
	.section	.text._ZN7rocprim17ROCPRIM_400000_NS6detail17trampoline_kernelINS0_14default_configENS1_22reduce_config_selectorIbEEZNS1_11reduce_implILb1ES3_N6hipcub16HIPCUB_304000_NS22TransformInputIteratorIbN2at6native12_GLOBAL__N_19NonZeroOpIdEEPKdlEEPiiNS8_6detail34convert_binary_result_type_wrapperINS8_3SumESH_iEEEE10hipError_tPvRmT1_T2_T3_mT4_P12ihipStream_tbEUlT_E1_NS1_11comp_targetILNS1_3genE3ELNS1_11target_archE908ELNS1_3gpuE7ELNS1_3repE0EEENS1_30default_config_static_selectorELNS0_4arch9wavefront6targetE0EEEvSQ_,"axG",@progbits,_ZN7rocprim17ROCPRIM_400000_NS6detail17trampoline_kernelINS0_14default_configENS1_22reduce_config_selectorIbEEZNS1_11reduce_implILb1ES3_N6hipcub16HIPCUB_304000_NS22TransformInputIteratorIbN2at6native12_GLOBAL__N_19NonZeroOpIdEEPKdlEEPiiNS8_6detail34convert_binary_result_type_wrapperINS8_3SumESH_iEEEE10hipError_tPvRmT1_T2_T3_mT4_P12ihipStream_tbEUlT_E1_NS1_11comp_targetILNS1_3genE3ELNS1_11target_archE908ELNS1_3gpuE7ELNS1_3repE0EEENS1_30default_config_static_selectorELNS0_4arch9wavefront6targetE0EEEvSQ_,comdat
.Lfunc_end384:
	.size	_ZN7rocprim17ROCPRIM_400000_NS6detail17trampoline_kernelINS0_14default_configENS1_22reduce_config_selectorIbEEZNS1_11reduce_implILb1ES3_N6hipcub16HIPCUB_304000_NS22TransformInputIteratorIbN2at6native12_GLOBAL__N_19NonZeroOpIdEEPKdlEEPiiNS8_6detail34convert_binary_result_type_wrapperINS8_3SumESH_iEEEE10hipError_tPvRmT1_T2_T3_mT4_P12ihipStream_tbEUlT_E1_NS1_11comp_targetILNS1_3genE3ELNS1_11target_archE908ELNS1_3gpuE7ELNS1_3repE0EEENS1_30default_config_static_selectorELNS0_4arch9wavefront6targetE0EEEvSQ_, .Lfunc_end384-_ZN7rocprim17ROCPRIM_400000_NS6detail17trampoline_kernelINS0_14default_configENS1_22reduce_config_selectorIbEEZNS1_11reduce_implILb1ES3_N6hipcub16HIPCUB_304000_NS22TransformInputIteratorIbN2at6native12_GLOBAL__N_19NonZeroOpIdEEPKdlEEPiiNS8_6detail34convert_binary_result_type_wrapperINS8_3SumESH_iEEEE10hipError_tPvRmT1_T2_T3_mT4_P12ihipStream_tbEUlT_E1_NS1_11comp_targetILNS1_3genE3ELNS1_11target_archE908ELNS1_3gpuE7ELNS1_3repE0EEENS1_30default_config_static_selectorELNS0_4arch9wavefront6targetE0EEEvSQ_
                                        ; -- End function
	.set _ZN7rocprim17ROCPRIM_400000_NS6detail17trampoline_kernelINS0_14default_configENS1_22reduce_config_selectorIbEEZNS1_11reduce_implILb1ES3_N6hipcub16HIPCUB_304000_NS22TransformInputIteratorIbN2at6native12_GLOBAL__N_19NonZeroOpIdEEPKdlEEPiiNS8_6detail34convert_binary_result_type_wrapperINS8_3SumESH_iEEEE10hipError_tPvRmT1_T2_T3_mT4_P12ihipStream_tbEUlT_E1_NS1_11comp_targetILNS1_3genE3ELNS1_11target_archE908ELNS1_3gpuE7ELNS1_3repE0EEENS1_30default_config_static_selectorELNS0_4arch9wavefront6targetE0EEEvSQ_.num_vgpr, 0
	.set _ZN7rocprim17ROCPRIM_400000_NS6detail17trampoline_kernelINS0_14default_configENS1_22reduce_config_selectorIbEEZNS1_11reduce_implILb1ES3_N6hipcub16HIPCUB_304000_NS22TransformInputIteratorIbN2at6native12_GLOBAL__N_19NonZeroOpIdEEPKdlEEPiiNS8_6detail34convert_binary_result_type_wrapperINS8_3SumESH_iEEEE10hipError_tPvRmT1_T2_T3_mT4_P12ihipStream_tbEUlT_E1_NS1_11comp_targetILNS1_3genE3ELNS1_11target_archE908ELNS1_3gpuE7ELNS1_3repE0EEENS1_30default_config_static_selectorELNS0_4arch9wavefront6targetE0EEEvSQ_.num_agpr, 0
	.set _ZN7rocprim17ROCPRIM_400000_NS6detail17trampoline_kernelINS0_14default_configENS1_22reduce_config_selectorIbEEZNS1_11reduce_implILb1ES3_N6hipcub16HIPCUB_304000_NS22TransformInputIteratorIbN2at6native12_GLOBAL__N_19NonZeroOpIdEEPKdlEEPiiNS8_6detail34convert_binary_result_type_wrapperINS8_3SumESH_iEEEE10hipError_tPvRmT1_T2_T3_mT4_P12ihipStream_tbEUlT_E1_NS1_11comp_targetILNS1_3genE3ELNS1_11target_archE908ELNS1_3gpuE7ELNS1_3repE0EEENS1_30default_config_static_selectorELNS0_4arch9wavefront6targetE0EEEvSQ_.numbered_sgpr, 0
	.set _ZN7rocprim17ROCPRIM_400000_NS6detail17trampoline_kernelINS0_14default_configENS1_22reduce_config_selectorIbEEZNS1_11reduce_implILb1ES3_N6hipcub16HIPCUB_304000_NS22TransformInputIteratorIbN2at6native12_GLOBAL__N_19NonZeroOpIdEEPKdlEEPiiNS8_6detail34convert_binary_result_type_wrapperINS8_3SumESH_iEEEE10hipError_tPvRmT1_T2_T3_mT4_P12ihipStream_tbEUlT_E1_NS1_11comp_targetILNS1_3genE3ELNS1_11target_archE908ELNS1_3gpuE7ELNS1_3repE0EEENS1_30default_config_static_selectorELNS0_4arch9wavefront6targetE0EEEvSQ_.num_named_barrier, 0
	.set _ZN7rocprim17ROCPRIM_400000_NS6detail17trampoline_kernelINS0_14default_configENS1_22reduce_config_selectorIbEEZNS1_11reduce_implILb1ES3_N6hipcub16HIPCUB_304000_NS22TransformInputIteratorIbN2at6native12_GLOBAL__N_19NonZeroOpIdEEPKdlEEPiiNS8_6detail34convert_binary_result_type_wrapperINS8_3SumESH_iEEEE10hipError_tPvRmT1_T2_T3_mT4_P12ihipStream_tbEUlT_E1_NS1_11comp_targetILNS1_3genE3ELNS1_11target_archE908ELNS1_3gpuE7ELNS1_3repE0EEENS1_30default_config_static_selectorELNS0_4arch9wavefront6targetE0EEEvSQ_.private_seg_size, 0
	.set _ZN7rocprim17ROCPRIM_400000_NS6detail17trampoline_kernelINS0_14default_configENS1_22reduce_config_selectorIbEEZNS1_11reduce_implILb1ES3_N6hipcub16HIPCUB_304000_NS22TransformInputIteratorIbN2at6native12_GLOBAL__N_19NonZeroOpIdEEPKdlEEPiiNS8_6detail34convert_binary_result_type_wrapperINS8_3SumESH_iEEEE10hipError_tPvRmT1_T2_T3_mT4_P12ihipStream_tbEUlT_E1_NS1_11comp_targetILNS1_3genE3ELNS1_11target_archE908ELNS1_3gpuE7ELNS1_3repE0EEENS1_30default_config_static_selectorELNS0_4arch9wavefront6targetE0EEEvSQ_.uses_vcc, 0
	.set _ZN7rocprim17ROCPRIM_400000_NS6detail17trampoline_kernelINS0_14default_configENS1_22reduce_config_selectorIbEEZNS1_11reduce_implILb1ES3_N6hipcub16HIPCUB_304000_NS22TransformInputIteratorIbN2at6native12_GLOBAL__N_19NonZeroOpIdEEPKdlEEPiiNS8_6detail34convert_binary_result_type_wrapperINS8_3SumESH_iEEEE10hipError_tPvRmT1_T2_T3_mT4_P12ihipStream_tbEUlT_E1_NS1_11comp_targetILNS1_3genE3ELNS1_11target_archE908ELNS1_3gpuE7ELNS1_3repE0EEENS1_30default_config_static_selectorELNS0_4arch9wavefront6targetE0EEEvSQ_.uses_flat_scratch, 0
	.set _ZN7rocprim17ROCPRIM_400000_NS6detail17trampoline_kernelINS0_14default_configENS1_22reduce_config_selectorIbEEZNS1_11reduce_implILb1ES3_N6hipcub16HIPCUB_304000_NS22TransformInputIteratorIbN2at6native12_GLOBAL__N_19NonZeroOpIdEEPKdlEEPiiNS8_6detail34convert_binary_result_type_wrapperINS8_3SumESH_iEEEE10hipError_tPvRmT1_T2_T3_mT4_P12ihipStream_tbEUlT_E1_NS1_11comp_targetILNS1_3genE3ELNS1_11target_archE908ELNS1_3gpuE7ELNS1_3repE0EEENS1_30default_config_static_selectorELNS0_4arch9wavefront6targetE0EEEvSQ_.has_dyn_sized_stack, 0
	.set _ZN7rocprim17ROCPRIM_400000_NS6detail17trampoline_kernelINS0_14default_configENS1_22reduce_config_selectorIbEEZNS1_11reduce_implILb1ES3_N6hipcub16HIPCUB_304000_NS22TransformInputIteratorIbN2at6native12_GLOBAL__N_19NonZeroOpIdEEPKdlEEPiiNS8_6detail34convert_binary_result_type_wrapperINS8_3SumESH_iEEEE10hipError_tPvRmT1_T2_T3_mT4_P12ihipStream_tbEUlT_E1_NS1_11comp_targetILNS1_3genE3ELNS1_11target_archE908ELNS1_3gpuE7ELNS1_3repE0EEENS1_30default_config_static_selectorELNS0_4arch9wavefront6targetE0EEEvSQ_.has_recursion, 0
	.set _ZN7rocprim17ROCPRIM_400000_NS6detail17trampoline_kernelINS0_14default_configENS1_22reduce_config_selectorIbEEZNS1_11reduce_implILb1ES3_N6hipcub16HIPCUB_304000_NS22TransformInputIteratorIbN2at6native12_GLOBAL__N_19NonZeroOpIdEEPKdlEEPiiNS8_6detail34convert_binary_result_type_wrapperINS8_3SumESH_iEEEE10hipError_tPvRmT1_T2_T3_mT4_P12ihipStream_tbEUlT_E1_NS1_11comp_targetILNS1_3genE3ELNS1_11target_archE908ELNS1_3gpuE7ELNS1_3repE0EEENS1_30default_config_static_selectorELNS0_4arch9wavefront6targetE0EEEvSQ_.has_indirect_call, 0
	.section	.AMDGPU.csdata,"",@progbits
; Kernel info:
; codeLenInByte = 0
; TotalNumSgprs: 0
; NumVgprs: 0
; ScratchSize: 0
; MemoryBound: 0
; FloatMode: 240
; IeeeMode: 1
; LDSByteSize: 0 bytes/workgroup (compile time only)
; SGPRBlocks: 0
; VGPRBlocks: 0
; NumSGPRsForWavesPerEU: 1
; NumVGPRsForWavesPerEU: 1
; Occupancy: 16
; WaveLimiterHint : 0
; COMPUTE_PGM_RSRC2:SCRATCH_EN: 0
; COMPUTE_PGM_RSRC2:USER_SGPR: 2
; COMPUTE_PGM_RSRC2:TRAP_HANDLER: 0
; COMPUTE_PGM_RSRC2:TGID_X_EN: 1
; COMPUTE_PGM_RSRC2:TGID_Y_EN: 0
; COMPUTE_PGM_RSRC2:TGID_Z_EN: 0
; COMPUTE_PGM_RSRC2:TIDIG_COMP_CNT: 0
	.section	.text._ZN7rocprim17ROCPRIM_400000_NS6detail17trampoline_kernelINS0_14default_configENS1_22reduce_config_selectorIbEEZNS1_11reduce_implILb1ES3_N6hipcub16HIPCUB_304000_NS22TransformInputIteratorIbN2at6native12_GLOBAL__N_19NonZeroOpIdEEPKdlEEPiiNS8_6detail34convert_binary_result_type_wrapperINS8_3SumESH_iEEEE10hipError_tPvRmT1_T2_T3_mT4_P12ihipStream_tbEUlT_E1_NS1_11comp_targetILNS1_3genE2ELNS1_11target_archE906ELNS1_3gpuE6ELNS1_3repE0EEENS1_30default_config_static_selectorELNS0_4arch9wavefront6targetE0EEEvSQ_,"axG",@progbits,_ZN7rocprim17ROCPRIM_400000_NS6detail17trampoline_kernelINS0_14default_configENS1_22reduce_config_selectorIbEEZNS1_11reduce_implILb1ES3_N6hipcub16HIPCUB_304000_NS22TransformInputIteratorIbN2at6native12_GLOBAL__N_19NonZeroOpIdEEPKdlEEPiiNS8_6detail34convert_binary_result_type_wrapperINS8_3SumESH_iEEEE10hipError_tPvRmT1_T2_T3_mT4_P12ihipStream_tbEUlT_E1_NS1_11comp_targetILNS1_3genE2ELNS1_11target_archE906ELNS1_3gpuE6ELNS1_3repE0EEENS1_30default_config_static_selectorELNS0_4arch9wavefront6targetE0EEEvSQ_,comdat
	.globl	_ZN7rocprim17ROCPRIM_400000_NS6detail17trampoline_kernelINS0_14default_configENS1_22reduce_config_selectorIbEEZNS1_11reduce_implILb1ES3_N6hipcub16HIPCUB_304000_NS22TransformInputIteratorIbN2at6native12_GLOBAL__N_19NonZeroOpIdEEPKdlEEPiiNS8_6detail34convert_binary_result_type_wrapperINS8_3SumESH_iEEEE10hipError_tPvRmT1_T2_T3_mT4_P12ihipStream_tbEUlT_E1_NS1_11comp_targetILNS1_3genE2ELNS1_11target_archE906ELNS1_3gpuE6ELNS1_3repE0EEENS1_30default_config_static_selectorELNS0_4arch9wavefront6targetE0EEEvSQ_ ; -- Begin function _ZN7rocprim17ROCPRIM_400000_NS6detail17trampoline_kernelINS0_14default_configENS1_22reduce_config_selectorIbEEZNS1_11reduce_implILb1ES3_N6hipcub16HIPCUB_304000_NS22TransformInputIteratorIbN2at6native12_GLOBAL__N_19NonZeroOpIdEEPKdlEEPiiNS8_6detail34convert_binary_result_type_wrapperINS8_3SumESH_iEEEE10hipError_tPvRmT1_T2_T3_mT4_P12ihipStream_tbEUlT_E1_NS1_11comp_targetILNS1_3genE2ELNS1_11target_archE906ELNS1_3gpuE6ELNS1_3repE0EEENS1_30default_config_static_selectorELNS0_4arch9wavefront6targetE0EEEvSQ_
	.p2align	8
	.type	_ZN7rocprim17ROCPRIM_400000_NS6detail17trampoline_kernelINS0_14default_configENS1_22reduce_config_selectorIbEEZNS1_11reduce_implILb1ES3_N6hipcub16HIPCUB_304000_NS22TransformInputIteratorIbN2at6native12_GLOBAL__N_19NonZeroOpIdEEPKdlEEPiiNS8_6detail34convert_binary_result_type_wrapperINS8_3SumESH_iEEEE10hipError_tPvRmT1_T2_T3_mT4_P12ihipStream_tbEUlT_E1_NS1_11comp_targetILNS1_3genE2ELNS1_11target_archE906ELNS1_3gpuE6ELNS1_3repE0EEENS1_30default_config_static_selectorELNS0_4arch9wavefront6targetE0EEEvSQ_,@function
_ZN7rocprim17ROCPRIM_400000_NS6detail17trampoline_kernelINS0_14default_configENS1_22reduce_config_selectorIbEEZNS1_11reduce_implILb1ES3_N6hipcub16HIPCUB_304000_NS22TransformInputIteratorIbN2at6native12_GLOBAL__N_19NonZeroOpIdEEPKdlEEPiiNS8_6detail34convert_binary_result_type_wrapperINS8_3SumESH_iEEEE10hipError_tPvRmT1_T2_T3_mT4_P12ihipStream_tbEUlT_E1_NS1_11comp_targetILNS1_3genE2ELNS1_11target_archE906ELNS1_3gpuE6ELNS1_3repE0EEENS1_30default_config_static_selectorELNS0_4arch9wavefront6targetE0EEEvSQ_: ; @_ZN7rocprim17ROCPRIM_400000_NS6detail17trampoline_kernelINS0_14default_configENS1_22reduce_config_selectorIbEEZNS1_11reduce_implILb1ES3_N6hipcub16HIPCUB_304000_NS22TransformInputIteratorIbN2at6native12_GLOBAL__N_19NonZeroOpIdEEPKdlEEPiiNS8_6detail34convert_binary_result_type_wrapperINS8_3SumESH_iEEEE10hipError_tPvRmT1_T2_T3_mT4_P12ihipStream_tbEUlT_E1_NS1_11comp_targetILNS1_3genE2ELNS1_11target_archE906ELNS1_3gpuE6ELNS1_3repE0EEENS1_30default_config_static_selectorELNS0_4arch9wavefront6targetE0EEEvSQ_
; %bb.0:
	.section	.rodata,"a",@progbits
	.p2align	6, 0x0
	.amdhsa_kernel _ZN7rocprim17ROCPRIM_400000_NS6detail17trampoline_kernelINS0_14default_configENS1_22reduce_config_selectorIbEEZNS1_11reduce_implILb1ES3_N6hipcub16HIPCUB_304000_NS22TransformInputIteratorIbN2at6native12_GLOBAL__N_19NonZeroOpIdEEPKdlEEPiiNS8_6detail34convert_binary_result_type_wrapperINS8_3SumESH_iEEEE10hipError_tPvRmT1_T2_T3_mT4_P12ihipStream_tbEUlT_E1_NS1_11comp_targetILNS1_3genE2ELNS1_11target_archE906ELNS1_3gpuE6ELNS1_3repE0EEENS1_30default_config_static_selectorELNS0_4arch9wavefront6targetE0EEEvSQ_
		.amdhsa_group_segment_fixed_size 0
		.amdhsa_private_segment_fixed_size 0
		.amdhsa_kernarg_size 48
		.amdhsa_user_sgpr_count 2
		.amdhsa_user_sgpr_dispatch_ptr 0
		.amdhsa_user_sgpr_queue_ptr 0
		.amdhsa_user_sgpr_kernarg_segment_ptr 1
		.amdhsa_user_sgpr_dispatch_id 0
		.amdhsa_user_sgpr_private_segment_size 0
		.amdhsa_wavefront_size32 1
		.amdhsa_uses_dynamic_stack 0
		.amdhsa_enable_private_segment 0
		.amdhsa_system_sgpr_workgroup_id_x 1
		.amdhsa_system_sgpr_workgroup_id_y 0
		.amdhsa_system_sgpr_workgroup_id_z 0
		.amdhsa_system_sgpr_workgroup_info 0
		.amdhsa_system_vgpr_workitem_id 0
		.amdhsa_next_free_vgpr 1
		.amdhsa_next_free_sgpr 1
		.amdhsa_reserve_vcc 0
		.amdhsa_float_round_mode_32 0
		.amdhsa_float_round_mode_16_64 0
		.amdhsa_float_denorm_mode_32 3
		.amdhsa_float_denorm_mode_16_64 3
		.amdhsa_fp16_overflow 0
		.amdhsa_workgroup_processor_mode 1
		.amdhsa_memory_ordered 1
		.amdhsa_forward_progress 1
		.amdhsa_inst_pref_size 0
		.amdhsa_round_robin_scheduling 0
		.amdhsa_exception_fp_ieee_invalid_op 0
		.amdhsa_exception_fp_denorm_src 0
		.amdhsa_exception_fp_ieee_div_zero 0
		.amdhsa_exception_fp_ieee_overflow 0
		.amdhsa_exception_fp_ieee_underflow 0
		.amdhsa_exception_fp_ieee_inexact 0
		.amdhsa_exception_int_div_zero 0
	.end_amdhsa_kernel
	.section	.text._ZN7rocprim17ROCPRIM_400000_NS6detail17trampoline_kernelINS0_14default_configENS1_22reduce_config_selectorIbEEZNS1_11reduce_implILb1ES3_N6hipcub16HIPCUB_304000_NS22TransformInputIteratorIbN2at6native12_GLOBAL__N_19NonZeroOpIdEEPKdlEEPiiNS8_6detail34convert_binary_result_type_wrapperINS8_3SumESH_iEEEE10hipError_tPvRmT1_T2_T3_mT4_P12ihipStream_tbEUlT_E1_NS1_11comp_targetILNS1_3genE2ELNS1_11target_archE906ELNS1_3gpuE6ELNS1_3repE0EEENS1_30default_config_static_selectorELNS0_4arch9wavefront6targetE0EEEvSQ_,"axG",@progbits,_ZN7rocprim17ROCPRIM_400000_NS6detail17trampoline_kernelINS0_14default_configENS1_22reduce_config_selectorIbEEZNS1_11reduce_implILb1ES3_N6hipcub16HIPCUB_304000_NS22TransformInputIteratorIbN2at6native12_GLOBAL__N_19NonZeroOpIdEEPKdlEEPiiNS8_6detail34convert_binary_result_type_wrapperINS8_3SumESH_iEEEE10hipError_tPvRmT1_T2_T3_mT4_P12ihipStream_tbEUlT_E1_NS1_11comp_targetILNS1_3genE2ELNS1_11target_archE906ELNS1_3gpuE6ELNS1_3repE0EEENS1_30default_config_static_selectorELNS0_4arch9wavefront6targetE0EEEvSQ_,comdat
.Lfunc_end385:
	.size	_ZN7rocprim17ROCPRIM_400000_NS6detail17trampoline_kernelINS0_14default_configENS1_22reduce_config_selectorIbEEZNS1_11reduce_implILb1ES3_N6hipcub16HIPCUB_304000_NS22TransformInputIteratorIbN2at6native12_GLOBAL__N_19NonZeroOpIdEEPKdlEEPiiNS8_6detail34convert_binary_result_type_wrapperINS8_3SumESH_iEEEE10hipError_tPvRmT1_T2_T3_mT4_P12ihipStream_tbEUlT_E1_NS1_11comp_targetILNS1_3genE2ELNS1_11target_archE906ELNS1_3gpuE6ELNS1_3repE0EEENS1_30default_config_static_selectorELNS0_4arch9wavefront6targetE0EEEvSQ_, .Lfunc_end385-_ZN7rocprim17ROCPRIM_400000_NS6detail17trampoline_kernelINS0_14default_configENS1_22reduce_config_selectorIbEEZNS1_11reduce_implILb1ES3_N6hipcub16HIPCUB_304000_NS22TransformInputIteratorIbN2at6native12_GLOBAL__N_19NonZeroOpIdEEPKdlEEPiiNS8_6detail34convert_binary_result_type_wrapperINS8_3SumESH_iEEEE10hipError_tPvRmT1_T2_T3_mT4_P12ihipStream_tbEUlT_E1_NS1_11comp_targetILNS1_3genE2ELNS1_11target_archE906ELNS1_3gpuE6ELNS1_3repE0EEENS1_30default_config_static_selectorELNS0_4arch9wavefront6targetE0EEEvSQ_
                                        ; -- End function
	.set _ZN7rocprim17ROCPRIM_400000_NS6detail17trampoline_kernelINS0_14default_configENS1_22reduce_config_selectorIbEEZNS1_11reduce_implILb1ES3_N6hipcub16HIPCUB_304000_NS22TransformInputIteratorIbN2at6native12_GLOBAL__N_19NonZeroOpIdEEPKdlEEPiiNS8_6detail34convert_binary_result_type_wrapperINS8_3SumESH_iEEEE10hipError_tPvRmT1_T2_T3_mT4_P12ihipStream_tbEUlT_E1_NS1_11comp_targetILNS1_3genE2ELNS1_11target_archE906ELNS1_3gpuE6ELNS1_3repE0EEENS1_30default_config_static_selectorELNS0_4arch9wavefront6targetE0EEEvSQ_.num_vgpr, 0
	.set _ZN7rocprim17ROCPRIM_400000_NS6detail17trampoline_kernelINS0_14default_configENS1_22reduce_config_selectorIbEEZNS1_11reduce_implILb1ES3_N6hipcub16HIPCUB_304000_NS22TransformInputIteratorIbN2at6native12_GLOBAL__N_19NonZeroOpIdEEPKdlEEPiiNS8_6detail34convert_binary_result_type_wrapperINS8_3SumESH_iEEEE10hipError_tPvRmT1_T2_T3_mT4_P12ihipStream_tbEUlT_E1_NS1_11comp_targetILNS1_3genE2ELNS1_11target_archE906ELNS1_3gpuE6ELNS1_3repE0EEENS1_30default_config_static_selectorELNS0_4arch9wavefront6targetE0EEEvSQ_.num_agpr, 0
	.set _ZN7rocprim17ROCPRIM_400000_NS6detail17trampoline_kernelINS0_14default_configENS1_22reduce_config_selectorIbEEZNS1_11reduce_implILb1ES3_N6hipcub16HIPCUB_304000_NS22TransformInputIteratorIbN2at6native12_GLOBAL__N_19NonZeroOpIdEEPKdlEEPiiNS8_6detail34convert_binary_result_type_wrapperINS8_3SumESH_iEEEE10hipError_tPvRmT1_T2_T3_mT4_P12ihipStream_tbEUlT_E1_NS1_11comp_targetILNS1_3genE2ELNS1_11target_archE906ELNS1_3gpuE6ELNS1_3repE0EEENS1_30default_config_static_selectorELNS0_4arch9wavefront6targetE0EEEvSQ_.numbered_sgpr, 0
	.set _ZN7rocprim17ROCPRIM_400000_NS6detail17trampoline_kernelINS0_14default_configENS1_22reduce_config_selectorIbEEZNS1_11reduce_implILb1ES3_N6hipcub16HIPCUB_304000_NS22TransformInputIteratorIbN2at6native12_GLOBAL__N_19NonZeroOpIdEEPKdlEEPiiNS8_6detail34convert_binary_result_type_wrapperINS8_3SumESH_iEEEE10hipError_tPvRmT1_T2_T3_mT4_P12ihipStream_tbEUlT_E1_NS1_11comp_targetILNS1_3genE2ELNS1_11target_archE906ELNS1_3gpuE6ELNS1_3repE0EEENS1_30default_config_static_selectorELNS0_4arch9wavefront6targetE0EEEvSQ_.num_named_barrier, 0
	.set _ZN7rocprim17ROCPRIM_400000_NS6detail17trampoline_kernelINS0_14default_configENS1_22reduce_config_selectorIbEEZNS1_11reduce_implILb1ES3_N6hipcub16HIPCUB_304000_NS22TransformInputIteratorIbN2at6native12_GLOBAL__N_19NonZeroOpIdEEPKdlEEPiiNS8_6detail34convert_binary_result_type_wrapperINS8_3SumESH_iEEEE10hipError_tPvRmT1_T2_T3_mT4_P12ihipStream_tbEUlT_E1_NS1_11comp_targetILNS1_3genE2ELNS1_11target_archE906ELNS1_3gpuE6ELNS1_3repE0EEENS1_30default_config_static_selectorELNS0_4arch9wavefront6targetE0EEEvSQ_.private_seg_size, 0
	.set _ZN7rocprim17ROCPRIM_400000_NS6detail17trampoline_kernelINS0_14default_configENS1_22reduce_config_selectorIbEEZNS1_11reduce_implILb1ES3_N6hipcub16HIPCUB_304000_NS22TransformInputIteratorIbN2at6native12_GLOBAL__N_19NonZeroOpIdEEPKdlEEPiiNS8_6detail34convert_binary_result_type_wrapperINS8_3SumESH_iEEEE10hipError_tPvRmT1_T2_T3_mT4_P12ihipStream_tbEUlT_E1_NS1_11comp_targetILNS1_3genE2ELNS1_11target_archE906ELNS1_3gpuE6ELNS1_3repE0EEENS1_30default_config_static_selectorELNS0_4arch9wavefront6targetE0EEEvSQ_.uses_vcc, 0
	.set _ZN7rocprim17ROCPRIM_400000_NS6detail17trampoline_kernelINS0_14default_configENS1_22reduce_config_selectorIbEEZNS1_11reduce_implILb1ES3_N6hipcub16HIPCUB_304000_NS22TransformInputIteratorIbN2at6native12_GLOBAL__N_19NonZeroOpIdEEPKdlEEPiiNS8_6detail34convert_binary_result_type_wrapperINS8_3SumESH_iEEEE10hipError_tPvRmT1_T2_T3_mT4_P12ihipStream_tbEUlT_E1_NS1_11comp_targetILNS1_3genE2ELNS1_11target_archE906ELNS1_3gpuE6ELNS1_3repE0EEENS1_30default_config_static_selectorELNS0_4arch9wavefront6targetE0EEEvSQ_.uses_flat_scratch, 0
	.set _ZN7rocprim17ROCPRIM_400000_NS6detail17trampoline_kernelINS0_14default_configENS1_22reduce_config_selectorIbEEZNS1_11reduce_implILb1ES3_N6hipcub16HIPCUB_304000_NS22TransformInputIteratorIbN2at6native12_GLOBAL__N_19NonZeroOpIdEEPKdlEEPiiNS8_6detail34convert_binary_result_type_wrapperINS8_3SumESH_iEEEE10hipError_tPvRmT1_T2_T3_mT4_P12ihipStream_tbEUlT_E1_NS1_11comp_targetILNS1_3genE2ELNS1_11target_archE906ELNS1_3gpuE6ELNS1_3repE0EEENS1_30default_config_static_selectorELNS0_4arch9wavefront6targetE0EEEvSQ_.has_dyn_sized_stack, 0
	.set _ZN7rocprim17ROCPRIM_400000_NS6detail17trampoline_kernelINS0_14default_configENS1_22reduce_config_selectorIbEEZNS1_11reduce_implILb1ES3_N6hipcub16HIPCUB_304000_NS22TransformInputIteratorIbN2at6native12_GLOBAL__N_19NonZeroOpIdEEPKdlEEPiiNS8_6detail34convert_binary_result_type_wrapperINS8_3SumESH_iEEEE10hipError_tPvRmT1_T2_T3_mT4_P12ihipStream_tbEUlT_E1_NS1_11comp_targetILNS1_3genE2ELNS1_11target_archE906ELNS1_3gpuE6ELNS1_3repE0EEENS1_30default_config_static_selectorELNS0_4arch9wavefront6targetE0EEEvSQ_.has_recursion, 0
	.set _ZN7rocprim17ROCPRIM_400000_NS6detail17trampoline_kernelINS0_14default_configENS1_22reduce_config_selectorIbEEZNS1_11reduce_implILb1ES3_N6hipcub16HIPCUB_304000_NS22TransformInputIteratorIbN2at6native12_GLOBAL__N_19NonZeroOpIdEEPKdlEEPiiNS8_6detail34convert_binary_result_type_wrapperINS8_3SumESH_iEEEE10hipError_tPvRmT1_T2_T3_mT4_P12ihipStream_tbEUlT_E1_NS1_11comp_targetILNS1_3genE2ELNS1_11target_archE906ELNS1_3gpuE6ELNS1_3repE0EEENS1_30default_config_static_selectorELNS0_4arch9wavefront6targetE0EEEvSQ_.has_indirect_call, 0
	.section	.AMDGPU.csdata,"",@progbits
; Kernel info:
; codeLenInByte = 0
; TotalNumSgprs: 0
; NumVgprs: 0
; ScratchSize: 0
; MemoryBound: 0
; FloatMode: 240
; IeeeMode: 1
; LDSByteSize: 0 bytes/workgroup (compile time only)
; SGPRBlocks: 0
; VGPRBlocks: 0
; NumSGPRsForWavesPerEU: 1
; NumVGPRsForWavesPerEU: 1
; Occupancy: 16
; WaveLimiterHint : 0
; COMPUTE_PGM_RSRC2:SCRATCH_EN: 0
; COMPUTE_PGM_RSRC2:USER_SGPR: 2
; COMPUTE_PGM_RSRC2:TRAP_HANDLER: 0
; COMPUTE_PGM_RSRC2:TGID_X_EN: 1
; COMPUTE_PGM_RSRC2:TGID_Y_EN: 0
; COMPUTE_PGM_RSRC2:TGID_Z_EN: 0
; COMPUTE_PGM_RSRC2:TIDIG_COMP_CNT: 0
	.section	.text._ZN7rocprim17ROCPRIM_400000_NS6detail17trampoline_kernelINS0_14default_configENS1_22reduce_config_selectorIbEEZNS1_11reduce_implILb1ES3_N6hipcub16HIPCUB_304000_NS22TransformInputIteratorIbN2at6native12_GLOBAL__N_19NonZeroOpIdEEPKdlEEPiiNS8_6detail34convert_binary_result_type_wrapperINS8_3SumESH_iEEEE10hipError_tPvRmT1_T2_T3_mT4_P12ihipStream_tbEUlT_E1_NS1_11comp_targetILNS1_3genE10ELNS1_11target_archE1201ELNS1_3gpuE5ELNS1_3repE0EEENS1_30default_config_static_selectorELNS0_4arch9wavefront6targetE0EEEvSQ_,"axG",@progbits,_ZN7rocprim17ROCPRIM_400000_NS6detail17trampoline_kernelINS0_14default_configENS1_22reduce_config_selectorIbEEZNS1_11reduce_implILb1ES3_N6hipcub16HIPCUB_304000_NS22TransformInputIteratorIbN2at6native12_GLOBAL__N_19NonZeroOpIdEEPKdlEEPiiNS8_6detail34convert_binary_result_type_wrapperINS8_3SumESH_iEEEE10hipError_tPvRmT1_T2_T3_mT4_P12ihipStream_tbEUlT_E1_NS1_11comp_targetILNS1_3genE10ELNS1_11target_archE1201ELNS1_3gpuE5ELNS1_3repE0EEENS1_30default_config_static_selectorELNS0_4arch9wavefront6targetE0EEEvSQ_,comdat
	.globl	_ZN7rocprim17ROCPRIM_400000_NS6detail17trampoline_kernelINS0_14default_configENS1_22reduce_config_selectorIbEEZNS1_11reduce_implILb1ES3_N6hipcub16HIPCUB_304000_NS22TransformInputIteratorIbN2at6native12_GLOBAL__N_19NonZeroOpIdEEPKdlEEPiiNS8_6detail34convert_binary_result_type_wrapperINS8_3SumESH_iEEEE10hipError_tPvRmT1_T2_T3_mT4_P12ihipStream_tbEUlT_E1_NS1_11comp_targetILNS1_3genE10ELNS1_11target_archE1201ELNS1_3gpuE5ELNS1_3repE0EEENS1_30default_config_static_selectorELNS0_4arch9wavefront6targetE0EEEvSQ_ ; -- Begin function _ZN7rocprim17ROCPRIM_400000_NS6detail17trampoline_kernelINS0_14default_configENS1_22reduce_config_selectorIbEEZNS1_11reduce_implILb1ES3_N6hipcub16HIPCUB_304000_NS22TransformInputIteratorIbN2at6native12_GLOBAL__N_19NonZeroOpIdEEPKdlEEPiiNS8_6detail34convert_binary_result_type_wrapperINS8_3SumESH_iEEEE10hipError_tPvRmT1_T2_T3_mT4_P12ihipStream_tbEUlT_E1_NS1_11comp_targetILNS1_3genE10ELNS1_11target_archE1201ELNS1_3gpuE5ELNS1_3repE0EEENS1_30default_config_static_selectorELNS0_4arch9wavefront6targetE0EEEvSQ_
	.p2align	8
	.type	_ZN7rocprim17ROCPRIM_400000_NS6detail17trampoline_kernelINS0_14default_configENS1_22reduce_config_selectorIbEEZNS1_11reduce_implILb1ES3_N6hipcub16HIPCUB_304000_NS22TransformInputIteratorIbN2at6native12_GLOBAL__N_19NonZeroOpIdEEPKdlEEPiiNS8_6detail34convert_binary_result_type_wrapperINS8_3SumESH_iEEEE10hipError_tPvRmT1_T2_T3_mT4_P12ihipStream_tbEUlT_E1_NS1_11comp_targetILNS1_3genE10ELNS1_11target_archE1201ELNS1_3gpuE5ELNS1_3repE0EEENS1_30default_config_static_selectorELNS0_4arch9wavefront6targetE0EEEvSQ_,@function
_ZN7rocprim17ROCPRIM_400000_NS6detail17trampoline_kernelINS0_14default_configENS1_22reduce_config_selectorIbEEZNS1_11reduce_implILb1ES3_N6hipcub16HIPCUB_304000_NS22TransformInputIteratorIbN2at6native12_GLOBAL__N_19NonZeroOpIdEEPKdlEEPiiNS8_6detail34convert_binary_result_type_wrapperINS8_3SumESH_iEEEE10hipError_tPvRmT1_T2_T3_mT4_P12ihipStream_tbEUlT_E1_NS1_11comp_targetILNS1_3genE10ELNS1_11target_archE1201ELNS1_3gpuE5ELNS1_3repE0EEENS1_30default_config_static_selectorELNS0_4arch9wavefront6targetE0EEEvSQ_: ; @_ZN7rocprim17ROCPRIM_400000_NS6detail17trampoline_kernelINS0_14default_configENS1_22reduce_config_selectorIbEEZNS1_11reduce_implILb1ES3_N6hipcub16HIPCUB_304000_NS22TransformInputIteratorIbN2at6native12_GLOBAL__N_19NonZeroOpIdEEPKdlEEPiiNS8_6detail34convert_binary_result_type_wrapperINS8_3SumESH_iEEEE10hipError_tPvRmT1_T2_T3_mT4_P12ihipStream_tbEUlT_E1_NS1_11comp_targetILNS1_3genE10ELNS1_11target_archE1201ELNS1_3gpuE5ELNS1_3repE0EEENS1_30default_config_static_selectorELNS0_4arch9wavefront6targetE0EEEvSQ_
; %bb.0:
	s_clause 0x2
	s_load_b32 s44, s[0:1], 0x4
	s_load_b64 s[40:41], s[0:1], 0x8
	s_load_b128 s[36:39], s[0:1], 0x18
	s_mov_b32 s34, ttmp9
	s_wait_kmcnt 0x0
	s_cmp_lt_i32 s44, 16
	s_cbranch_scc1 .LBB386_12
; %bb.1:
	s_cmp_gt_i32 s44, 63
	s_cbranch_scc0 .LBB386_13
; %bb.2:
	s_cmp_gt_i32 s44, 0x7f
	s_cbranch_scc0 .LBB386_22
; %bb.3:
	s_cmp_eq_u32 s44, 0x80
	s_mov_b32 s5, 0
	s_cbranch_scc0 .LBB386_23
; %bb.4:
	s_mov_b32 s35, 0
	s_lshl_b32 s8, s34, 15
	s_mov_b32 s9, s35
	s_lshr_b64 s[2:3], s[36:37], 15
	s_lshl_b64 s[6:7], s[8:9], 3
	s_cmp_lg_u64 s[2:3], s[34:35]
	s_add_nc_u64 s[6:7], s[40:41], s[6:7]
	s_cbranch_scc0 .LBB386_34
; %bb.5:
	v_lshlrev_b32_e32 v1, 3, v0
	s_clause 0x1f
	global_load_b64 v[2:3], v1, s[6:7] offset:4096
	global_load_b64 v[4:5], v1, s[6:7]
	global_load_b64 v[6:7], v1, s[6:7] offset:6144
	global_load_b64 v[8:9], v1, s[6:7] offset:2048
	;; [unrolled: 1-line block ×30, first 2 shown]
	s_clause 0x1f
	global_load_b64 v[66:67], v1, s[6:7] offset:59392
	global_load_b64 v[68:69], v1, s[6:7] offset:65536
	;; [unrolled: 1-line block ×32, first 2 shown]
	s_clause 0x3
	global_load_b64 v[130:131], v1, s[6:7] offset:131072
	global_load_b64 v[132:133], v1, s[6:7] offset:133120
	;; [unrolled: 1-line block ×4, first 2 shown]
	s_wait_loadcnt 0x3e
	v_cmp_neq_f64_e32 vcc_lo, 0, v[2:3]
	v_cmp_neq_f64_e64 s2, 0, v[4:5]
	v_cmp_neq_f64_e64 s3, 0, v[10:11]
	v_cndmask_b32_e64 v139, 0, 1, vcc_lo
	s_delay_alu instid0(VALU_DEP_3)
	v_cndmask_b32_e64 v138, 0, 1, s2
	v_cmp_neq_f64_e64 s2, 0, v[8:9]
	v_cmp_neq_f64_e32 vcc_lo, 0, v[12:13]
	s_clause 0x3
	global_load_b64 v[2:3], v1, s[6:7] offset:139264
	global_load_b64 v[4:5], v1, s[6:7] offset:141312
	;; [unrolled: 1-line block ×4, first 2 shown]
	s_wait_loadcnt 0x16
	v_cmp_neq_f64_e64 s4, 0, v[100:101]
	s_wait_alu 0xf1ff
	v_add_co_ci_u32_e64 v138, null, 0, v138, s2
	v_cmp_neq_f64_e64 s2, 0, v[6:7]
	s_wait_alu 0xfffd
	v_cndmask_b32_e64 v140, 0, 1, vcc_lo
	v_cmp_neq_f64_e32 vcc_lo, 0, v[14:15]
	v_cndmask_b32_e64 v100, 0, 1, s4
	s_wait_loadcnt 0x12
	v_cmp_neq_f64_e64 s4, 0, v[108:109]
	s_wait_alu 0xf1ff
	v_add_co_ci_u32_e64 v138, null, v138, v139, s2
	v_cmp_neq_f64_e64 s2, 0, v[18:19]
	v_cndmask_b32_e64 v139, 0, 1, s3
	v_cmp_neq_f64_e64 s3, 0, v[16:17]
	s_clause 0x3
	global_load_b64 v[6:7], v1, s[6:7] offset:147456
	global_load_b64 v[12:13], v1, s[6:7] offset:149504
	;; [unrolled: 1-line block ×4, first 2 shown]
	v_cndmask_b32_e64 v108, 0, 1, s4
	v_cmp_neq_f64_e64 s4, 0, v[104:105]
	s_wait_alu 0xf1ff
	v_add_co_ci_u32_e64 v138, null, v138, v140, s2
	v_cmp_neq_f64_e64 s2, 0, v[20:21]
	s_delay_alu instid0(VALU_DEP_2)
	v_add_co_ci_u32_e64 v138, null, v138, v139, s3
	v_cmp_neq_f64_e64 s3, 0, v[26:27]
	s_wait_alu 0xfffd
	v_cndmask_b32_e64 v139, 0, 1, vcc_lo
	v_cmp_neq_f64_e32 vcc_lo, 0, v[28:29]
	s_wait_alu 0xf1ff
	v_cndmask_b32_e64 v140, 0, 1, s2
	v_cmp_neq_f64_e64 s2, 0, v[22:23]
	s_clause 0x3
	global_load_b64 v[16:17], v1, s[6:7] offset:155648
	global_load_b64 v[20:21], v1, s[6:7] offset:157696
	;; [unrolled: 1-line block ×4, first 2 shown]
	v_add_co_ci_u32_e64 v138, null, v138, v140, s3
	v_cmp_neq_f64_e64 s3, 0, v[24:25]
	s_wait_alu 0xfffd
	v_cndmask_b32_e64 v140, 0, 1, vcc_lo
	v_cmp_neq_f64_e32 vcc_lo, 0, v[30:31]
	s_wait_alu 0xf1ff
	s_delay_alu instid0(VALU_DEP_3)
	v_add_co_ci_u32_e64 v138, null, v138, v139, s3
	v_cmp_neq_f64_e64 s3, 0, v[34:35]
	v_cndmask_b32_e64 v139, 0, 1, s2
	v_cmp_neq_f64_e64 s2, 0, v[36:37]
	s_clause 0x3
	global_load_b64 v[24:25], v1, s[6:7] offset:163840
	global_load_b64 v[28:29], v1, s[6:7] offset:165888
	global_load_b64 v[30:31], v1, s[6:7] offset:167936
	global_load_b64 v[34:35], v1, s[6:7] offset:169984
	s_wait_alu 0xf1ff
	v_add_co_ci_u32_e64 v138, null, v138, v140, s3
	v_cmp_neq_f64_e64 s3, 0, v[32:33]
	v_cndmask_b32_e64 v140, 0, 1, s2
	v_cmp_neq_f64_e64 s2, 0, v[38:39]
	s_wait_alu 0xf1ff
	s_delay_alu instid0(VALU_DEP_3)
	v_add_co_ci_u32_e64 v138, null, v138, v139, s3
	v_cmp_neq_f64_e64 s3, 0, v[42:43]
	s_wait_alu 0xfffd
	v_cndmask_b32_e64 v139, 0, 1, vcc_lo
	v_cmp_neq_f64_e32 vcc_lo, 0, v[44:45]
	s_clause 0x3
	global_load_b64 v[32:33], v1, s[6:7] offset:172032
	global_load_b64 v[36:37], v1, s[6:7] offset:174080
	global_load_b64 v[38:39], v1, s[6:7] offset:176128
	global_load_b64 v[42:43], v1, s[6:7] offset:178176
	s_wait_alu 0xf1ff
	v_add_co_ci_u32_e64 v138, null, v138, v140, s3
	v_cmp_neq_f64_e64 s3, 0, v[40:41]
	s_wait_alu 0xfffd
	v_cndmask_b32_e64 v140, 0, 1, vcc_lo
	v_cmp_neq_f64_e32 vcc_lo, 0, v[46:47]
	s_wait_alu 0xf1ff
	s_delay_alu instid0(VALU_DEP_3)
	v_add_co_ci_u32_e64 v138, null, v138, v139, s3
	v_cmp_neq_f64_e64 s3, 0, v[50:51]
	v_cndmask_b32_e64 v139, 0, 1, s2
	v_cmp_neq_f64_e64 s2, 0, v[52:53]
	s_clause 0x3
	global_load_b64 v[40:41], v1, s[6:7] offset:180224
	global_load_b64 v[44:45], v1, s[6:7] offset:182272
	global_load_b64 v[46:47], v1, s[6:7] offset:184320
	global_load_b64 v[50:51], v1, s[6:7] offset:186368
	s_wait_alu 0xf1ff
	v_add_co_ci_u32_e64 v138, null, v138, v140, s3
	v_cmp_neq_f64_e64 s3, 0, v[48:49]
	v_cndmask_b32_e64 v140, 0, 1, s2
	v_cmp_neq_f64_e64 s2, 0, v[54:55]
	s_wait_alu 0xf1ff
	s_delay_alu instid0(VALU_DEP_3)
	v_add_co_ci_u32_e64 v138, null, v138, v139, s3
	v_cmp_neq_f64_e64 s3, 0, v[58:59]
	s_wait_alu 0xfffd
	v_cndmask_b32_e64 v139, 0, 1, vcc_lo
	v_cmp_neq_f64_e32 vcc_lo, 0, v[60:61]
	s_clause 0x3
	global_load_b64 v[48:49], v1, s[6:7] offset:188416
	global_load_b64 v[52:53], v1, s[6:7] offset:190464
	global_load_b64 v[54:55], v1, s[6:7] offset:192512
	global_load_b64 v[58:59], v1, s[6:7] offset:194560
	s_wait_alu 0xf1ff
	;; [unrolled: 34-line block ×4, first 2 shown]
	v_add_co_ci_u32_e64 v138, null, v138, v140, s3
	v_cmp_neq_f64_e64 s3, 0, v[88:89]
	s_wait_alu 0xfffd
	v_cndmask_b32_e64 v140, 0, 1, vcc_lo
	v_cmp_neq_f64_e32 vcc_lo, 0, v[94:95]
	s_wait_alu 0xf1ff
	s_delay_alu instid0(VALU_DEP_3)
	v_add_co_ci_u32_e64 v138, null, v138, v139, s3
	v_cmp_neq_f64_e64 s3, 0, v[98:99]
	s_clause 0x3
	global_load_b64 v[88:89], v1, s[6:7] offset:229376
	global_load_b64 v[92:93], v1, s[6:7] offset:231424
	;; [unrolled: 1-line block ×4, first 2 shown]
	s_wait_alu 0xf1ff
	v_add_co_ci_u32_e64 v101, null, v138, v140, s3
	v_cmp_neq_f64_e64 s3, 0, v[102:103]
	s_wait_alu 0xf1ff
	s_delay_alu instid0(VALU_DEP_1) | instskip(SKIP_2) | instid1(VALU_DEP_1)
	v_cndmask_b32_e64 v138, 0, 1, s3
	v_cmp_neq_f64_e64 s3, 0, v[96:97]
	s_wait_alu 0xf1ff
	v_add_co_ci_u32_e64 v139, null, v101, v100, s3
	v_cmp_neq_f64_e64 s3, 0, v[106:107]
	s_clause 0x3
	global_load_b64 v[96:97], v1, s[6:7] offset:237568
	global_load_b64 v[100:101], v1, s[6:7] offset:239616
	;; [unrolled: 1-line block ×4, first 2 shown]
	s_wait_alu 0xf1ff
	v_add_co_ci_u32_e64 v109, null, v139, v138, s3
	s_wait_loadcnt 0x3e
	v_cmp_neq_f64_e64 s3, 0, v[110:111]
	s_delay_alu instid0(VALU_DEP_2) | instskip(SKIP_2) | instid1(VALU_DEP_3)
	v_add_co_ci_u32_e64 v139, null, v109, v108, s4
	v_cmp_neq_f64_e64 s4, 0, v[114:115]
	s_wait_alu 0xf1ff
	v_cndmask_b32_e64 v138, 0, 1, s3
	v_cmp_neq_f64_e64 s3, 0, v[112:113]
	s_clause 0x4
	global_load_b64 v[104:105], v1, s[6:7] offset:245760
	global_load_b64 v[108:109], v1, s[6:7] offset:247808
	;; [unrolled: 1-line block ×5, first 2 shown]
	v_add_co_ci_u32_e64 v138, null, v139, v138, s4
	s_wait_alu 0xf1ff
	v_cndmask_b32_e64 v139, 0, 1, s3
	v_cmp_neq_f64_e64 s3, 0, v[116:117]
	s_wait_alu 0xf1ff
	s_delay_alu instid0(VALU_DEP_1) | instskip(SKIP_3) | instid1(VALU_DEP_1)
	v_cndmask_b32_e64 v140, 0, 1, s3
	s_wait_loadcnt 0x3e
	v_cmp_neq_f64_e64 s3, 0, v[118:119]
	s_wait_alu 0xf1ff
	v_add_co_ci_u32_e64 v138, null, v138, v139, s3
	v_cmp_neq_f64_e64 s3, 0, v[122:123]
	s_wait_alu 0xfffd
	v_cndmask_b32_e64 v139, 0, 1, vcc_lo
	v_cmp_neq_f64_e32 vcc_lo, 0, v[120:121]
	s_clause 0x2
	global_load_b64 v[116:117], v1, s[6:7] offset:258048
	global_load_b64 v[118:119], v1, s[6:7] offset:260096
	global_load_b64 v[122:123], v1, s[6:7] offset:256000
	v_cndmask_b32_e64 v1, 0, 1, s2
	s_mov_b32 s2, exec_lo
	s_wait_alu 0xf1ff
	v_add_co_ci_u32_e64 v138, null, v138, v140, s3
	s_wait_alu 0xfffd
	s_delay_alu instid0(VALU_DEP_1)
	v_add_co_ci_u32_e64 v1, null, v138, v1, vcc_lo
	v_cmp_neq_f64_e32 vcc_lo, 0, v[126:127]
	s_wait_alu 0xfffd
	v_cndmask_b32_e64 v120, 0, 1, vcc_lo
	v_cmp_neq_f64_e32 vcc_lo, 0, v[124:125]
	s_wait_alu 0xfffd
	v_add_co_ci_u32_e64 v1, null, v1, v139, vcc_lo
	s_wait_loadcnt 0x3e
	v_cmp_neq_f64_e32 vcc_lo, 0, v[130:131]
	s_wait_alu 0xfffd
	v_cndmask_b32_e64 v121, 0, 1, vcc_lo
	v_cmp_neq_f64_e32 vcc_lo, 0, v[128:129]
	s_wait_alu 0xfffd
	v_add_co_ci_u32_e64 v1, null, v1, v120, vcc_lo
	s_wait_loadcnt 0x3d
	;; [unrolled: 7-line block ×32, first 2 shown]
	v_cmp_neq_f64_e32 vcc_lo, 0, v[116:117]
	s_wait_alu 0xfffd
	v_cndmask_b32_e64 v3, 0, 1, vcc_lo
	s_wait_loadcnt 0x0
	v_cmp_neq_f64_e32 vcc_lo, 0, v[122:123]
	s_wait_alu 0xfffd
	v_add_co_ci_u32_e64 v1, null, v1, v2, vcc_lo
	v_cmp_neq_f64_e32 vcc_lo, 0, v[118:119]
	s_wait_alu 0xfffd
	s_delay_alu instid0(VALU_DEP_2) | instskip(NEXT) | instid1(VALU_DEP_1)
	v_add_co_ci_u32_e64 v1, null, v1, v3, vcc_lo
	v_mov_b32_dpp v2, v1 quad_perm:[1,0,3,2] row_mask:0xf bank_mask:0xf
	s_delay_alu instid0(VALU_DEP_1) | instskip(NEXT) | instid1(VALU_DEP_1)
	v_add_nc_u32_e32 v1, v1, v2
	v_mov_b32_dpp v2, v1 quad_perm:[2,3,0,1] row_mask:0xf bank_mask:0xf
	s_delay_alu instid0(VALU_DEP_1) | instskip(NEXT) | instid1(VALU_DEP_1)
	v_add_nc_u32_e32 v1, v1, v2
	v_mov_b32_dpp v2, v1 row_ror:4 row_mask:0xf bank_mask:0xf
	s_delay_alu instid0(VALU_DEP_1) | instskip(NEXT) | instid1(VALU_DEP_1)
	v_add_nc_u32_e32 v1, v1, v2
	v_mov_b32_dpp v2, v1 row_ror:8 row_mask:0xf bank_mask:0xf
	s_delay_alu instid0(VALU_DEP_1)
	v_add_nc_u32_e32 v1, v1, v2
	ds_swizzle_b32 v2, v1 offset:swizzle(BROADCAST,32,15)
	s_wait_dscnt 0x0
	v_dual_mov_b32 v2, 0 :: v_dual_add_nc_u32 v1, v1, v2
	ds_bpermute_b32 v1, v2, v1 offset:124
	v_mbcnt_lo_u32_b32 v2, -1, 0
	s_delay_alu instid0(VALU_DEP_1)
	v_cmpx_eq_u32_e32 0, v2
	s_cbranch_execz .LBB386_7
; %bb.6:
	v_lshrrev_b32_e32 v3, 3, v0
	s_delay_alu instid0(VALU_DEP_1)
	v_and_b32_e32 v3, 28, v3
	s_wait_dscnt 0x0
	ds_store_b32 v3, v1
.LBB386_7:
	s_wait_alu 0xfffe
	s_or_b32 exec_lo, exec_lo, s2
	s_delay_alu instid0(SALU_CYCLE_1)
	s_mov_b32 s2, exec_lo
	s_wait_dscnt 0x0
	s_barrier_signal -1
	s_barrier_wait -1
	global_inv scope:SCOPE_SE
	v_cmpx_gt_u32_e32 32, v0
	s_cbranch_execz .LBB386_9
; %bb.8:
	v_and_b32_e32 v1, 7, v2
	s_delay_alu instid0(VALU_DEP_1)
	v_lshlrev_b32_e32 v3, 2, v1
	v_cmp_ne_u32_e32 vcc_lo, 7, v1
	ds_load_b32 v3, v3
	s_wait_alu 0xfffd
	v_add_co_ci_u32_e64 v4, null, 0, v2, vcc_lo
	v_cmp_gt_u32_e32 vcc_lo, 6, v1
	s_delay_alu instid0(VALU_DEP_2) | instskip(SKIP_2) | instid1(VALU_DEP_1)
	v_lshlrev_b32_e32 v4, 2, v4
	s_wait_alu 0xfffd
	v_cndmask_b32_e64 v1, 0, 2, vcc_lo
	v_add_lshl_u32 v1, v1, v2, 2
	v_lshlrev_b32_e32 v2, 2, v2
	s_delay_alu instid0(VALU_DEP_1)
	v_or_b32_e32 v2, 16, v2
	s_wait_dscnt 0x0
	ds_bpermute_b32 v4, v4, v3
	s_wait_dscnt 0x0
	v_add_nc_u32_e32 v3, v4, v3
	ds_bpermute_b32 v1, v1, v3
	s_wait_dscnt 0x0
	v_add_nc_u32_e32 v1, v1, v3
	;; [unrolled: 3-line block ×3, first 2 shown]
.LBB386_9:
	s_wait_alu 0xfffe
	s_or_b32 exec_lo, exec_lo, s2
.LBB386_10:
	v_cmp_eq_u32_e64 s2, 0, v0
	s_and_b32 vcc_lo, exec_lo, s5
	s_wait_alu 0xfffe
	s_cbranch_vccnz .LBB386_24
.LBB386_11:
	s_branch .LBB386_512
.LBB386_12:
	s_mov_b32 s2, 0
                                        ; implicit-def: $vgpr1
	s_cbranch_execz .LBB386_623
	s_branch .LBB386_513
.LBB386_13:
	s_mov_b32 s2, 0
                                        ; implicit-def: $vgpr1
	s_cbranch_execz .LBB386_512
; %bb.14:
	s_cmp_gt_i32 s44, 31
	s_cbranch_scc0 .LBB386_31
; %bb.15:
	s_cmp_eq_u32 s44, 32
	s_cbranch_scc0 .LBB386_32
; %bb.16:
	s_mov_b32 s35, 0
	s_lshl_b32 s2, s34, 13
	s_mov_b32 s3, s35
	s_lshr_b64 s[4:5], s[36:37], 13
	s_lshl_b64 s[6:7], s[2:3], 3
	s_cmp_lg_u64 s[4:5], s[34:35]
	s_add_nc_u64 s[42:43], s[40:41], s[6:7]
	s_cbranch_scc0 .LBB386_296
; %bb.17:
	v_lshlrev_b32_e32 v63, 3, v0
	s_mov_b32 s3, exec_lo
	s_clause 0x1f
	global_load_b64 v[1:2], v63, s[42:43]
	global_load_b64 v[3:4], v63, s[42:43] offset:4096
	global_load_b64 v[5:6], v63, s[42:43] offset:2048
	;; [unrolled: 1-line block ×31, first 2 shown]
	s_wait_loadcnt 0x1f
	v_cmp_neq_f64_e32 vcc_lo, 0, v[1:2]
	v_cndmask_b32_e64 v1, 0, 1, vcc_lo
	s_wait_loadcnt 0x1e
	v_cmp_neq_f64_e32 vcc_lo, 0, v[3:4]
	s_wait_alu 0xfffd
	v_cndmask_b32_e64 v2, 0, 1, vcc_lo
	s_wait_loadcnt 0x1d
	v_cmp_neq_f64_e32 vcc_lo, 0, v[5:6]
	s_wait_alu 0xfffd
	v_add_co_ci_u32_e64 v1, null, 0, v1, vcc_lo
	s_wait_loadcnt 0x1c
	v_cmp_neq_f64_e32 vcc_lo, 0, v[7:8]
	s_wait_alu 0xfffd
	v_cndmask_b32_e64 v3, 0, 1, vcc_lo
	s_wait_loadcnt 0x1b
	v_cmp_neq_f64_e32 vcc_lo, 0, v[9:10]
	s_wait_alu 0xfffd
	v_add_co_ci_u32_e64 v1, null, v1, v2, vcc_lo
	s_wait_loadcnt 0x1a
	v_cmp_neq_f64_e32 vcc_lo, 0, v[11:12]
	s_wait_alu 0xfffd
	v_cndmask_b32_e64 v2, 0, 1, vcc_lo
	s_wait_loadcnt 0x19
	v_cmp_neq_f64_e32 vcc_lo, 0, v[13:14]
	s_wait_alu 0xfffd
	v_add_co_ci_u32_e64 v1, null, v1, v3, vcc_lo
	s_wait_loadcnt 0x18
	v_cmp_neq_f64_e32 vcc_lo, 0, v[15:16]
	s_wait_alu 0xfffd
	v_cndmask_b32_e64 v3, 0, 1, vcc_lo
	s_wait_loadcnt 0x17
	v_cmp_neq_f64_e32 vcc_lo, 0, v[17:18]
	s_wait_alu 0xfffd
	v_add_co_ci_u32_e64 v1, null, v1, v2, vcc_lo
	s_wait_loadcnt 0x16
	v_cmp_neq_f64_e32 vcc_lo, 0, v[19:20]
	s_wait_alu 0xfffd
	v_cndmask_b32_e64 v2, 0, 1, vcc_lo
	s_wait_loadcnt 0x15
	v_cmp_neq_f64_e32 vcc_lo, 0, v[21:22]
	s_wait_alu 0xfffd
	v_add_co_ci_u32_e64 v1, null, v1, v3, vcc_lo
	s_wait_loadcnt 0x14
	v_cmp_neq_f64_e32 vcc_lo, 0, v[23:24]
	s_wait_alu 0xfffd
	v_cndmask_b32_e64 v3, 0, 1, vcc_lo
	s_wait_loadcnt 0x13
	v_cmp_neq_f64_e32 vcc_lo, 0, v[25:26]
	s_wait_alu 0xfffd
	v_add_co_ci_u32_e64 v1, null, v1, v2, vcc_lo
	s_wait_loadcnt 0x12
	v_cmp_neq_f64_e32 vcc_lo, 0, v[27:28]
	s_wait_alu 0xfffd
	v_cndmask_b32_e64 v2, 0, 1, vcc_lo
	s_wait_loadcnt 0x11
	v_cmp_neq_f64_e32 vcc_lo, 0, v[29:30]
	s_wait_alu 0xfffd
	v_add_co_ci_u32_e64 v1, null, v1, v3, vcc_lo
	s_wait_loadcnt 0x10
	v_cmp_neq_f64_e32 vcc_lo, 0, v[31:32]
	s_wait_alu 0xfffd
	v_cndmask_b32_e64 v3, 0, 1, vcc_lo
	s_wait_loadcnt 0xf
	v_cmp_neq_f64_e32 vcc_lo, 0, v[33:34]
	s_wait_alu 0xfffd
	v_add_co_ci_u32_e64 v1, null, v1, v2, vcc_lo
	s_wait_loadcnt 0xe
	v_cmp_neq_f64_e32 vcc_lo, 0, v[35:36]
	s_wait_alu 0xfffd
	v_cndmask_b32_e64 v2, 0, 1, vcc_lo
	s_wait_loadcnt 0xd
	v_cmp_neq_f64_e32 vcc_lo, 0, v[37:38]
	s_wait_alu 0xfffd
	v_add_co_ci_u32_e64 v1, null, v1, v3, vcc_lo
	s_wait_loadcnt 0xc
	v_cmp_neq_f64_e32 vcc_lo, 0, v[39:40]
	s_wait_alu 0xfffd
	v_cndmask_b32_e64 v3, 0, 1, vcc_lo
	s_wait_loadcnt 0xb
	v_cmp_neq_f64_e32 vcc_lo, 0, v[41:42]
	s_wait_alu 0xfffd
	v_add_co_ci_u32_e64 v1, null, v1, v2, vcc_lo
	s_wait_loadcnt 0xa
	v_cmp_neq_f64_e32 vcc_lo, 0, v[43:44]
	s_wait_alu 0xfffd
	v_cndmask_b32_e64 v2, 0, 1, vcc_lo
	s_wait_loadcnt 0x9
	v_cmp_neq_f64_e32 vcc_lo, 0, v[45:46]
	s_wait_alu 0xfffd
	v_add_co_ci_u32_e64 v1, null, v1, v3, vcc_lo
	s_wait_loadcnt 0x8
	v_cmp_neq_f64_e32 vcc_lo, 0, v[47:48]
	s_wait_alu 0xfffd
	v_cndmask_b32_e64 v3, 0, 1, vcc_lo
	s_wait_loadcnt 0x7
	v_cmp_neq_f64_e32 vcc_lo, 0, v[49:50]
	s_wait_alu 0xfffd
	v_add_co_ci_u32_e64 v1, null, v1, v2, vcc_lo
	s_wait_loadcnt 0x6
	v_cmp_neq_f64_e32 vcc_lo, 0, v[51:52]
	s_wait_alu 0xfffd
	v_cndmask_b32_e64 v2, 0, 1, vcc_lo
	s_wait_loadcnt 0x5
	v_cmp_neq_f64_e32 vcc_lo, 0, v[53:54]
	s_wait_alu 0xfffd
	v_add_co_ci_u32_e64 v1, null, v1, v3, vcc_lo
	s_wait_loadcnt 0x4
	v_cmp_neq_f64_e32 vcc_lo, 0, v[55:56]
	s_wait_alu 0xfffd
	v_cndmask_b32_e64 v3, 0, 1, vcc_lo
	s_wait_loadcnt 0x3
	v_cmp_neq_f64_e32 vcc_lo, 0, v[57:58]
	s_wait_alu 0xfffd
	v_add_co_ci_u32_e64 v1, null, v1, v2, vcc_lo
	s_wait_loadcnt 0x2
	v_cmp_neq_f64_e32 vcc_lo, 0, v[59:60]
	s_wait_alu 0xfffd
	v_cndmask_b32_e64 v2, 0, 1, vcc_lo
	s_wait_loadcnt 0x1
	v_cmp_neq_f64_e32 vcc_lo, 0, v[61:62]
	s_wait_alu 0xfffd
	v_add_co_ci_u32_e64 v1, null, v1, v3, vcc_lo
	s_wait_loadcnt 0x0
	v_cmp_neq_f64_e32 vcc_lo, 0, v[63:64]
	s_wait_alu 0xfffd
	s_delay_alu instid0(VALU_DEP_2) | instskip(NEXT) | instid1(VALU_DEP_1)
	v_add_co_ci_u32_e64 v1, null, v1, v2, vcc_lo
	v_mov_b32_dpp v2, v1 quad_perm:[1,0,3,2] row_mask:0xf bank_mask:0xf
	s_delay_alu instid0(VALU_DEP_1) | instskip(NEXT) | instid1(VALU_DEP_1)
	v_add_nc_u32_e32 v1, v1, v2
	v_mov_b32_dpp v2, v1 quad_perm:[2,3,0,1] row_mask:0xf bank_mask:0xf
	s_delay_alu instid0(VALU_DEP_1) | instskip(NEXT) | instid1(VALU_DEP_1)
	v_add_nc_u32_e32 v1, v1, v2
	v_mov_b32_dpp v2, v1 row_ror:4 row_mask:0xf bank_mask:0xf
	s_delay_alu instid0(VALU_DEP_1) | instskip(NEXT) | instid1(VALU_DEP_1)
	v_add_nc_u32_e32 v1, v1, v2
	v_mov_b32_dpp v2, v1 row_ror:8 row_mask:0xf bank_mask:0xf
	s_delay_alu instid0(VALU_DEP_1)
	v_add_nc_u32_e32 v1, v1, v2
	ds_swizzle_b32 v2, v1 offset:swizzle(BROADCAST,32,15)
	s_wait_dscnt 0x0
	v_dual_mov_b32 v2, 0 :: v_dual_add_nc_u32 v1, v1, v2
	ds_bpermute_b32 v1, v2, v1 offset:124
	v_mbcnt_lo_u32_b32 v2, -1, 0
	s_delay_alu instid0(VALU_DEP_1)
	v_cmpx_eq_u32_e32 0, v2
	s_cbranch_execz .LBB386_19
; %bb.18:
	v_lshrrev_b32_e32 v3, 3, v0
	s_delay_alu instid0(VALU_DEP_1)
	v_and_b32_e32 v3, 28, v3
	s_wait_dscnt 0x0
	ds_store_b32 v3, v1 offset:128
.LBB386_19:
	s_or_b32 exec_lo, exec_lo, s3
	s_delay_alu instid0(SALU_CYCLE_1)
	s_mov_b32 s3, exec_lo
	s_wait_dscnt 0x0
	s_barrier_signal -1
	s_barrier_wait -1
	global_inv scope:SCOPE_SE
	v_cmpx_gt_u32_e32 32, v0
	s_cbranch_execz .LBB386_21
; %bb.20:
	v_and_b32_e32 v1, 7, v2
	s_delay_alu instid0(VALU_DEP_1)
	v_lshlrev_b32_e32 v3, 2, v1
	v_cmp_ne_u32_e32 vcc_lo, 7, v1
	ds_load_b32 v3, v3 offset:128
	s_wait_alu 0xfffd
	v_add_co_ci_u32_e64 v4, null, 0, v2, vcc_lo
	v_cmp_gt_u32_e32 vcc_lo, 6, v1
	s_delay_alu instid0(VALU_DEP_2) | instskip(SKIP_2) | instid1(VALU_DEP_1)
	v_lshlrev_b32_e32 v4, 2, v4
	s_wait_alu 0xfffd
	v_cndmask_b32_e64 v1, 0, 2, vcc_lo
	v_add_lshl_u32 v1, v1, v2, 2
	v_lshlrev_b32_e32 v2, 2, v2
	s_delay_alu instid0(VALU_DEP_1)
	v_or_b32_e32 v2, 16, v2
	s_wait_dscnt 0x0
	ds_bpermute_b32 v4, v4, v3
	s_wait_dscnt 0x0
	v_add_nc_u32_e32 v3, v4, v3
	ds_bpermute_b32 v1, v1, v3
	s_wait_dscnt 0x0
	v_add_nc_u32_e32 v1, v1, v3
	;; [unrolled: 3-line block ×3, first 2 shown]
.LBB386_21:
	s_or_b32 exec_lo, exec_lo, s3
	s_mov_b32 s3, 0
	s_branch .LBB386_297
.LBB386_22:
	s_mov_b32 s5, -1
.LBB386_23:
	s_mov_b32 s2, 0
                                        ; implicit-def: $vgpr1
	s_and_b32 vcc_lo, exec_lo, s5
	s_cbranch_vccz .LBB386_11
.LBB386_24:
	s_cmp_eq_u32 s44, 64
	s_cbranch_scc0 .LBB386_33
; %bb.25:
	s_mov_b32 s35, 0
	s_lshl_b32 s4, s34, 14
	s_mov_b32 s5, s35
	s_lshr_b64 s[2:3], s[36:37], 14
	s_wait_alu 0xfffe
	s_lshl_b64 s[6:7], s[4:5], 3
	s_cmp_lg_u64 s[2:3], s[34:35]
	s_add_nc_u64 s[2:3], s[40:41], s[6:7]
	s_cbranch_scc0 .LBB386_376
; %bb.26:
	v_lshlrev_b32_e32 v127, 3, v0
	s_mov_b32 s5, exec_lo
	s_clause 0x1f
	global_load_b64 v[1:2], v127, s[2:3]
	global_load_b64 v[3:4], v127, s[2:3] offset:4096
	global_load_b64 v[5:6], v127, s[2:3] offset:6144
	;; [unrolled: 1-line block ×31, first 2 shown]
	s_clause 0x1f
	global_load_b64 v[65:66], v127, s[2:3] offset:65536
	global_load_b64 v[67:68], v127, s[2:3] offset:69632
	global_load_b64 v[69:70], v127, s[2:3] offset:71680
	global_load_b64 v[71:72], v127, s[2:3] offset:67584
	global_load_b64 v[73:74], v127, s[2:3] offset:73728
	global_load_b64 v[75:76], v127, s[2:3] offset:77824
	global_load_b64 v[77:78], v127, s[2:3] offset:75776
	global_load_b64 v[79:80], v127, s[2:3] offset:81920
	global_load_b64 v[81:82], v127, s[2:3] offset:79872
	global_load_b64 v[83:84], v127, s[2:3] offset:86016
	global_load_b64 v[85:86], v127, s[2:3] offset:83968
	global_load_b64 v[87:88], v127, s[2:3] offset:90112
	global_load_b64 v[89:90], v127, s[2:3] offset:88064
	global_load_b64 v[91:92], v127, s[2:3] offset:94208
	global_load_b64 v[93:94], v127, s[2:3] offset:92160
	global_load_b64 v[95:96], v127, s[2:3] offset:98304
	global_load_b64 v[97:98], v127, s[2:3] offset:96256
	global_load_b64 v[99:100], v127, s[2:3] offset:102400
	global_load_b64 v[101:102], v127, s[2:3] offset:100352
	global_load_b64 v[103:104], v127, s[2:3] offset:106496
	global_load_b64 v[105:106], v127, s[2:3] offset:104448
	global_load_b64 v[107:108], v127, s[2:3] offset:110592
	global_load_b64 v[109:110], v127, s[2:3] offset:108544
	global_load_b64 v[111:112], v127, s[2:3] offset:114688
	global_load_b64 v[113:114], v127, s[2:3] offset:112640
	global_load_b64 v[115:116], v127, s[2:3] offset:118784
	global_load_b64 v[117:118], v127, s[2:3] offset:116736
	global_load_b64 v[119:120], v127, s[2:3] offset:122880
	global_load_b64 v[121:122], v127, s[2:3] offset:120832
	global_load_b64 v[123:124], v127, s[2:3] offset:126976
	global_load_b64 v[125:126], v127, s[2:3] offset:129024
	global_load_b64 v[127:128], v127, s[2:3] offset:124928
	s_wait_loadcnt 0x3e
	v_cmp_neq_f64_e32 vcc_lo, 0, v[1:2]
	s_wait_alu 0xfffd
	v_cndmask_b32_e64 v1, 0, 1, vcc_lo
	v_cmp_neq_f64_e32 vcc_lo, 0, v[3:4]
	s_wait_alu 0xfffd
	v_cndmask_b32_e64 v2, 0, 1, vcc_lo
	s_wait_loadcnt 0x3c
	v_cmp_neq_f64_e32 vcc_lo, 0, v[7:8]
	s_wait_alu 0xfffd
	v_add_co_ci_u32_e64 v1, null, 0, v1, vcc_lo
	s_wait_loadcnt 0x3b
	v_cmp_neq_f64_e32 vcc_lo, 0, v[9:10]
	s_wait_alu 0xfffd
	v_cndmask_b32_e64 v3, 0, 1, vcc_lo
	v_cmp_neq_f64_e32 vcc_lo, 0, v[5:6]
	s_wait_alu 0xfffd
	v_add_co_ci_u32_e64 v1, null, v1, v2, vcc_lo
	s_wait_loadcnt 0x3a
	v_cmp_neq_f64_e32 vcc_lo, 0, v[11:12]
	s_wait_alu 0xfffd
	v_cndmask_b32_e64 v2, 0, 1, vcc_lo
	s_wait_loadcnt 0x38
	v_cmp_neq_f64_e32 vcc_lo, 0, v[15:16]
	s_wait_alu 0xfffd
	v_add_co_ci_u32_e64 v1, null, v1, v3, vcc_lo
	s_wait_loadcnt 0x37
	v_cmp_neq_f64_e32 vcc_lo, 0, v[17:18]
	s_wait_alu 0xfffd
	v_cndmask_b32_e64 v3, 0, 1, vcc_lo
	v_cmp_neq_f64_e32 vcc_lo, 0, v[13:14]
	s_wait_alu 0xfffd
	v_add_co_ci_u32_e64 v1, null, v1, v2, vcc_lo
	s_wait_loadcnt 0x36
	;; [unrolled: 15-line block ×3, first 2 shown]
	v_cmp_neq_f64_e32 vcc_lo, 0, v[27:28]
	s_wait_alu 0xfffd
	v_cndmask_b32_e64 v2, 0, 1, vcc_lo
	s_wait_loadcnt 0x31
	v_cmp_neq_f64_e32 vcc_lo, 0, v[29:30]
	s_wait_alu 0xfffd
	v_add_co_ci_u32_e64 v1, null, v1, v3, vcc_lo
	s_wait_loadcnt 0x30
	v_cmp_neq_f64_e32 vcc_lo, 0, v[31:32]
	s_wait_alu 0xfffd
	v_cndmask_b32_e64 v3, 0, 1, vcc_lo
	s_wait_loadcnt 0x2f
	v_cmp_neq_f64_e32 vcc_lo, 0, v[33:34]
	s_wait_alu 0xfffd
	v_add_co_ci_u32_e64 v1, null, v1, v2, vcc_lo
	s_wait_loadcnt 0x2e
	;; [unrolled: 8-line block ×3, first 2 shown]
	v_cmp_neq_f64_e32 vcc_lo, 0, v[41:42]
	s_wait_alu 0xfffd
	v_cndmask_b32_e64 v3, 0, 1, vcc_lo
	v_cmp_neq_f64_e32 vcc_lo, 0, v[37:38]
	s_wait_alu 0xfffd
	v_add_co_ci_u32_e64 v1, null, v1, v2, vcc_lo
	s_wait_loadcnt 0x2a
	v_cmp_neq_f64_e32 vcc_lo, 0, v[43:44]
	s_wait_alu 0xfffd
	v_cndmask_b32_e64 v2, 0, 1, vcc_lo
	s_wait_loadcnt 0x28
	v_cmp_neq_f64_e32 vcc_lo, 0, v[47:48]
	s_wait_alu 0xfffd
	v_add_co_ci_u32_e64 v1, null, v1, v3, vcc_lo
	s_wait_loadcnt 0x27
	v_cmp_neq_f64_e32 vcc_lo, 0, v[49:50]
	s_wait_alu 0xfffd
	v_cndmask_b32_e64 v3, 0, 1, vcc_lo
	v_cmp_neq_f64_e32 vcc_lo, 0, v[45:46]
	s_wait_alu 0xfffd
	v_add_co_ci_u32_e64 v1, null, v1, v2, vcc_lo
	s_wait_loadcnt 0x26
	v_cmp_neq_f64_e32 vcc_lo, 0, v[51:52]
	s_wait_alu 0xfffd
	v_cndmask_b32_e64 v2, 0, 1, vcc_lo
	s_wait_loadcnt 0x24
	v_cmp_neq_f64_e32 vcc_lo, 0, v[55:56]
	s_wait_alu 0xfffd
	v_add_co_ci_u32_e64 v1, null, v1, v3, vcc_lo
	s_wait_loadcnt 0x23
	;; [unrolled: 15-line block ×5, first 2 shown]
	v_cmp_neq_f64_e32 vcc_lo, 0, v[79:80]
	s_wait_alu 0xfffd
	v_cndmask_b32_e64 v3, 0, 1, vcc_lo
	s_wait_loadcnt 0x17
	v_cmp_neq_f64_e32 vcc_lo, 0, v[81:82]
	s_wait_alu 0xfffd
	v_add_co_ci_u32_e64 v1, null, v1, v2, vcc_lo
	s_wait_loadcnt 0x16
	v_cmp_neq_f64_e32 vcc_lo, 0, v[83:84]
	s_wait_alu 0xfffd
	v_cndmask_b32_e64 v2, 0, 1, vcc_lo
	s_wait_loadcnt 0x15
	v_cmp_neq_f64_e32 vcc_lo, 0, v[85:86]
	s_wait_alu 0xfffd
	v_add_co_ci_u32_e64 v1, null, v1, v3, vcc_lo
	s_wait_loadcnt 0x14
	;; [unrolled: 8-line block ×11, first 2 shown]
	v_cmp_neq_f64_e32 vcc_lo, 0, v[123:124]
	s_wait_alu 0xfffd
	v_cndmask_b32_e64 v2, 0, 1, vcc_lo
	s_wait_loadcnt 0x0
	v_cmp_neq_f64_e32 vcc_lo, 0, v[127:128]
	s_wait_alu 0xfffd
	v_add_co_ci_u32_e64 v1, null, v1, v3, vcc_lo
	v_cmp_neq_f64_e32 vcc_lo, 0, v[125:126]
	s_wait_alu 0xfffd
	s_delay_alu instid0(VALU_DEP_2) | instskip(NEXT) | instid1(VALU_DEP_1)
	v_add_co_ci_u32_e64 v1, null, v1, v2, vcc_lo
	v_mov_b32_dpp v2, v1 quad_perm:[1,0,3,2] row_mask:0xf bank_mask:0xf
	s_delay_alu instid0(VALU_DEP_1) | instskip(NEXT) | instid1(VALU_DEP_1)
	v_add_nc_u32_e32 v1, v1, v2
	v_mov_b32_dpp v2, v1 quad_perm:[2,3,0,1] row_mask:0xf bank_mask:0xf
	s_delay_alu instid0(VALU_DEP_1) | instskip(NEXT) | instid1(VALU_DEP_1)
	v_add_nc_u32_e32 v1, v1, v2
	v_mov_b32_dpp v2, v1 row_ror:4 row_mask:0xf bank_mask:0xf
	s_delay_alu instid0(VALU_DEP_1) | instskip(NEXT) | instid1(VALU_DEP_1)
	v_add_nc_u32_e32 v1, v1, v2
	v_mov_b32_dpp v2, v1 row_ror:8 row_mask:0xf bank_mask:0xf
	s_delay_alu instid0(VALU_DEP_1)
	v_add_nc_u32_e32 v1, v1, v2
	ds_swizzle_b32 v2, v1 offset:swizzle(BROADCAST,32,15)
	s_wait_dscnt 0x0
	v_dual_mov_b32 v2, 0 :: v_dual_add_nc_u32 v1, v1, v2
	ds_bpermute_b32 v1, v2, v1 offset:124
	v_mbcnt_lo_u32_b32 v2, -1, 0
	s_delay_alu instid0(VALU_DEP_1)
	v_cmpx_eq_u32_e32 0, v2
	s_cbranch_execz .LBB386_28
; %bb.27:
	v_lshrrev_b32_e32 v3, 3, v0
	s_delay_alu instid0(VALU_DEP_1)
	v_and_b32_e32 v3, 28, v3
	s_wait_dscnt 0x0
	ds_store_b32 v3, v1 offset:192
.LBB386_28:
	s_wait_alu 0xfffe
	s_or_b32 exec_lo, exec_lo, s5
	s_delay_alu instid0(SALU_CYCLE_1)
	s_mov_b32 s5, exec_lo
	s_wait_dscnt 0x0
	s_barrier_signal -1
	s_barrier_wait -1
	global_inv scope:SCOPE_SE
	v_cmpx_gt_u32_e32 32, v0
	s_cbranch_execz .LBB386_30
; %bb.29:
	v_and_b32_e32 v1, 7, v2
	s_delay_alu instid0(VALU_DEP_1)
	v_lshlrev_b32_e32 v3, 2, v1
	v_cmp_ne_u32_e32 vcc_lo, 7, v1
	ds_load_b32 v3, v3 offset:192
	s_wait_alu 0xfffd
	v_add_co_ci_u32_e64 v4, null, 0, v2, vcc_lo
	v_cmp_gt_u32_e32 vcc_lo, 6, v1
	s_delay_alu instid0(VALU_DEP_2) | instskip(SKIP_2) | instid1(VALU_DEP_1)
	v_lshlrev_b32_e32 v4, 2, v4
	s_wait_alu 0xfffd
	v_cndmask_b32_e64 v1, 0, 2, vcc_lo
	v_add_lshl_u32 v1, v1, v2, 2
	v_lshlrev_b32_e32 v2, 2, v2
	s_delay_alu instid0(VALU_DEP_1)
	v_or_b32_e32 v2, 16, v2
	s_wait_dscnt 0x0
	ds_bpermute_b32 v4, v4, v3
	s_wait_dscnt 0x0
	v_add_nc_u32_e32 v3, v4, v3
	ds_bpermute_b32 v1, v1, v3
	s_wait_dscnt 0x0
	v_add_nc_u32_e32 v1, v1, v3
	;; [unrolled: 3-line block ×3, first 2 shown]
.LBB386_30:
	s_wait_alu 0xfffe
	s_or_b32 exec_lo, exec_lo, s5
	s_mov_b32 s5, 0
	s_branch .LBB386_377
.LBB386_31:
                                        ; implicit-def: $vgpr1
	s_cbranch_execz .LBB386_512
	s_branch .LBB386_368
.LBB386_32:
                                        ; implicit-def: $vgpr1
	s_branch .LBB386_512
.LBB386_33:
                                        ; implicit-def: $vgpr1
	s_branch .LBB386_512
.LBB386_34:
                                        ; implicit-def: $vgpr1
	s_cbranch_execz .LBB386_10
; %bb.35:
	s_sub_co_i32 s2, s36, s8
	s_mov_b32 s3, exec_lo
                                        ; implicit-def: $vgpr1
	v_cmpx_gt_u32_e64 s2, v0
	s_cbranch_execz .LBB386_37
; %bb.36:
	v_lshlrev_b32_e32 v1, 3, v0
	global_load_b64 v[1:2], v1, s[6:7]
	s_wait_loadcnt 0x0
	v_cmp_neq_f64_e32 vcc_lo, 0, v[1:2]
	v_cndmask_b32_e64 v1, 0, 1, vcc_lo
.LBB386_37:
	s_or_b32 exec_lo, exec_lo, s3
	v_or_b32_e32 v3, 0x100, v0
	v_mov_b32_e32 v2, 0
	s_delay_alu instid0(VALU_DEP_2)
	v_cmp_gt_u32_e32 vcc_lo, s2, v3
	v_mov_b32_e32 v3, 0
	s_and_saveexec_b32 s3, vcc_lo
	s_cbranch_execz .LBB386_39
; %bb.38:
	v_lshlrev_b32_e32 v3, 3, v0
	global_load_b64 v[3:4], v3, s[6:7] offset:2048
	s_wait_loadcnt 0x0
	v_cmp_neq_f64_e32 vcc_lo, 0, v[3:4]
	s_wait_alu 0xfffd
	v_cndmask_b32_e64 v3, 0, 1, vcc_lo
.LBB386_39:
	s_wait_alu 0xfffe
	s_or_b32 exec_lo, exec_lo, s3
	v_or_b32_e32 v4, 0x200, v0
	s_mov_b32 s3, exec_lo
	s_delay_alu instid0(VALU_DEP_1)
	v_cmpx_gt_u32_e64 s2, v4
	s_cbranch_execz .LBB386_41
; %bb.40:
	v_lshlrev_b32_e32 v2, 3, v0
	global_load_b64 v[4:5], v2, s[6:7] offset:4096
	s_wait_loadcnt 0x0
	v_cmp_neq_f64_e32 vcc_lo, 0, v[4:5]
	s_wait_alu 0xfffd
	v_cndmask_b32_e64 v2, 0, 1, vcc_lo
.LBB386_41:
	s_wait_alu 0xfffe
	s_or_b32 exec_lo, exec_lo, s3
	v_or_b32_e32 v5, 0x300, v0
	v_mov_b32_e32 v4, 0
	s_delay_alu instid0(VALU_DEP_2)
	v_cmp_gt_u32_e32 vcc_lo, s2, v5
	v_mov_b32_e32 v5, 0
	s_and_saveexec_b32 s3, vcc_lo
	s_cbranch_execz .LBB386_43
; %bb.42:
	v_lshlrev_b32_e32 v5, 3, v0
	global_load_b64 v[5:6], v5, s[6:7] offset:6144
	s_wait_loadcnt 0x0
	v_cmp_neq_f64_e32 vcc_lo, 0, v[5:6]
	s_wait_alu 0xfffd
	v_cndmask_b32_e64 v5, 0, 1, vcc_lo
.LBB386_43:
	s_wait_alu 0xfffe
	s_or_b32 exec_lo, exec_lo, s3
	v_or_b32_e32 v6, 0x400, v0
	s_mov_b32 s3, exec_lo
	s_delay_alu instid0(VALU_DEP_1)
	v_cmpx_gt_u32_e64 s2, v6
	s_cbranch_execz .LBB386_45
; %bb.44:
	v_lshlrev_b32_e32 v4, 3, v0
	global_load_b64 v[6:7], v4, s[6:7] offset:8192
	s_wait_loadcnt 0x0
	v_cmp_neq_f64_e32 vcc_lo, 0, v[6:7]
	s_wait_alu 0xfffd
	v_cndmask_b32_e64 v4, 0, 1, vcc_lo
.LBB386_45:
	s_wait_alu 0xfffe
	;; [unrolled: 32-line block ×63, first 2 shown]
	s_or_b32 exec_lo, exec_lo, s3
	v_or_b32_e32 v128, 0x7f00, v0
	s_delay_alu instid0(VALU_DEP_1)
	v_cmp_gt_u32_e32 vcc_lo, s2, v128
	v_mov_b32_e32 v128, 0
	s_and_saveexec_b32 s3, vcc_lo
	s_cbranch_execz .LBB386_291
; %bb.290:
	v_lshlrev_b32_e32 v128, 3, v0
	global_load_b64 v[128:129], v128, s[6:7] offset:260096
	s_wait_loadcnt 0x0
	v_cmp_neq_f64_e32 vcc_lo, 0, v[128:129]
	s_wait_alu 0xfffd
	v_cndmask_b32_e64 v128, 0, 1, vcc_lo
.LBB386_291:
	s_wait_alu 0xfffe
	s_or_b32 exec_lo, exec_lo, s3
	v_add_nc_u32_e32 v1, v3, v1
	s_min_u32 s2, s2, 0x100
	s_mov_b32 s3, exec_lo
	s_delay_alu instid0(VALU_DEP_1) | instskip(SKIP_1) | instid1(VALU_DEP_2)
	v_add3_u32 v1, v1, v2, v5
	v_mbcnt_lo_u32_b32 v2, -1, 0
	v_add3_u32 v1, v1, v4, v7
	s_delay_alu instid0(VALU_DEP_2) | instskip(SKIP_1) | instid1(VALU_DEP_3)
	v_cmp_ne_u32_e32 vcc_lo, 31, v2
	v_add_nc_u32_e32 v5, 1, v2
	v_add3_u32 v1, v1, v6, v9
	s_wait_alu 0xfffd
	v_add_co_ci_u32_e64 v3, null, 0, v2, vcc_lo
	v_cmp_gt_u32_e32 vcc_lo, 30, v2
	s_delay_alu instid0(VALU_DEP_3) | instskip(NEXT) | instid1(VALU_DEP_3)
	v_add3_u32 v1, v1, v8, v11
	v_lshlrev_b32_e32 v3, 2, v3
	s_wait_alu 0xfffd
	v_cndmask_b32_e64 v6, 0, 2, vcc_lo
	s_delay_alu instid0(VALU_DEP_3) | instskip(NEXT) | instid1(VALU_DEP_1)
	v_add3_u32 v1, v1, v10, v13
	v_add3_u32 v1, v1, v12, v15
	s_delay_alu instid0(VALU_DEP_1) | instskip(NEXT) | instid1(VALU_DEP_1)
	v_add3_u32 v1, v1, v14, v17
	v_add3_u32 v1, v1, v16, v19
	s_delay_alu instid0(VALU_DEP_1) | instskip(NEXT) | instid1(VALU_DEP_1)
	;; [unrolled: 3-line block ×28, first 2 shown]
	v_add3_u32 v1, v1, v122, v125
	v_add3_u32 v1, v1, v124, v127
	s_delay_alu instid0(VALU_DEP_1) | instskip(SKIP_3) | instid1(VALU_DEP_1)
	v_add3_u32 v1, v1, v126, v128
	ds_bpermute_b32 v3, v3, v1
	v_and_b32_e32 v4, 0xe0, v0
	s_wait_alu 0xfffe
	v_sub_nc_u32_e64 v4, s2, v4 clamp
	s_delay_alu instid0(VALU_DEP_1)
	v_cmp_lt_u32_e32 vcc_lo, v5, v4
	v_add_lshl_u32 v5, v6, v2, 2
	s_wait_dscnt 0x0
	s_wait_alu 0xfffd
	v_cndmask_b32_e32 v3, 0, v3, vcc_lo
	v_cmp_gt_u32_e32 vcc_lo, 28, v2
	s_delay_alu instid0(VALU_DEP_2) | instskip(SKIP_4) | instid1(VALU_DEP_1)
	v_add_nc_u32_e32 v1, v3, v1
	s_wait_alu 0xfffd
	v_cndmask_b32_e64 v6, 0, 4, vcc_lo
	ds_bpermute_b32 v3, v5, v1
	v_add_nc_u32_e32 v5, 2, v2
	v_cmp_lt_u32_e32 vcc_lo, v5, v4
	v_add_lshl_u32 v5, v6, v2, 2
	s_wait_dscnt 0x0
	s_wait_alu 0xfffd
	v_cndmask_b32_e32 v3, 0, v3, vcc_lo
	v_cmp_gt_u32_e32 vcc_lo, 24, v2
	s_delay_alu instid0(VALU_DEP_2) | instskip(SKIP_4) | instid1(VALU_DEP_1)
	v_add_nc_u32_e32 v1, v1, v3
	s_wait_alu 0xfffd
	v_cndmask_b32_e64 v6, 0, 8, vcc_lo
	ds_bpermute_b32 v3, v5, v1
	v_add_nc_u32_e32 v5, 4, v2
	v_cmp_lt_u32_e32 vcc_lo, v5, v4
	v_add_lshl_u32 v5, v6, v2, 2
	s_wait_dscnt 0x0
	s_wait_alu 0xfffd
	v_dual_cndmask_b32 v3, 0, v3 :: v_dual_add_nc_u32 v6, 8, v2
	s_delay_alu instid0(VALU_DEP_1) | instskip(NEXT) | instid1(VALU_DEP_2)
	v_cmp_lt_u32_e32 vcc_lo, v6, v4
	v_add_nc_u32_e32 v1, v1, v3
	v_lshlrev_b32_e32 v3, 2, v2
	ds_bpermute_b32 v5, v5, v1
	v_or_b32_e32 v6, 64, v3
	s_wait_dscnt 0x0
	s_wait_alu 0xfffd
	v_cndmask_b32_e32 v5, 0, v5, vcc_lo
	s_delay_alu instid0(VALU_DEP_1) | instskip(SKIP_2) | instid1(VALU_DEP_1)
	v_add_nc_u32_e32 v1, v1, v5
	ds_bpermute_b32 v5, v6, v1
	v_add_nc_u32_e32 v6, 16, v2
	v_cmp_lt_u32_e32 vcc_lo, v6, v4
	s_wait_dscnt 0x0
	s_wait_alu 0xfffd
	v_cndmask_b32_e32 v4, 0, v5, vcc_lo
	s_delay_alu instid0(VALU_DEP_1)
	v_add_nc_u32_e32 v1, v1, v4
	v_cmpx_eq_u32_e32 0, v2
; %bb.292:
	v_lshrrev_b32_e32 v4, 3, v0
	s_delay_alu instid0(VALU_DEP_1)
	v_and_b32_e32 v4, 28, v4
	ds_store_b32 v4, v1 offset:256
; %bb.293:
	s_or_b32 exec_lo, exec_lo, s3
	s_delay_alu instid0(SALU_CYCLE_1)
	s_mov_b32 s3, exec_lo
	s_wait_loadcnt_dscnt 0x0
	s_barrier_signal -1
	s_barrier_wait -1
	global_inv scope:SCOPE_SE
	v_cmpx_gt_u32_e32 8, v0
	s_cbranch_execz .LBB386_295
; %bb.294:
	ds_load_b32 v1, v3 offset:256
	v_and_b32_e32 v4, 7, v2
	s_add_co_i32 s2, s2, 31
	s_wait_alu 0xfffe
	s_lshr_b32 s2, s2, 5
	s_delay_alu instid0(VALU_DEP_1) | instskip(SKIP_4) | instid1(VALU_DEP_2)
	v_cmp_ne_u32_e32 vcc_lo, 7, v4
	v_add_nc_u32_e32 v6, 1, v4
	s_wait_alu 0xfffd
	v_add_co_ci_u32_e64 v5, null, 0, v2, vcc_lo
	v_cmp_gt_u32_e32 vcc_lo, 6, v4
	v_lshlrev_b32_e32 v5, 2, v5
	s_wait_alu 0xfffd
	v_cndmask_b32_e64 v7, 0, 2, vcc_lo
	s_wait_alu 0xfffe
	v_cmp_gt_u32_e32 vcc_lo, s2, v6
	s_wait_dscnt 0x0
	ds_bpermute_b32 v5, v5, v1
	v_add_lshl_u32 v2, v7, v2, 2
	s_wait_dscnt 0x0
	s_wait_alu 0xfffd
	v_cndmask_b32_e32 v5, 0, v5, vcc_lo
	s_delay_alu instid0(VALU_DEP_1)
	v_add_nc_u32_e32 v1, v5, v1
	v_add_nc_u32_e32 v5, 2, v4
	ds_bpermute_b32 v2, v2, v1
	v_cmp_gt_u32_e32 vcc_lo, s2, v5
	s_wait_dscnt 0x0
	s_wait_alu 0xfffd
	v_cndmask_b32_e32 v2, 0, v2, vcc_lo
	s_delay_alu instid0(VALU_DEP_1)
	v_add_nc_u32_e32 v1, v1, v2
	v_or_b32_e32 v2, 16, v3
	v_add_nc_u32_e32 v3, 4, v4
	ds_bpermute_b32 v2, v2, v1
	v_cmp_gt_u32_e32 vcc_lo, s2, v3
	s_wait_dscnt 0x0
	s_wait_alu 0xfffd
	v_cndmask_b32_e32 v2, 0, v2, vcc_lo
	s_delay_alu instid0(VALU_DEP_1)
	v_add_nc_u32_e32 v1, v1, v2
.LBB386_295:
	s_wait_alu 0xfffe
	s_or_b32 exec_lo, exec_lo, s3
	v_cmp_eq_u32_e64 s2, 0, v0
	s_and_b32 vcc_lo, exec_lo, s5
	s_wait_alu 0xfffe
	s_cbranch_vccnz .LBB386_24
	s_branch .LBB386_11
.LBB386_296:
	s_mov_b32 s3, -1
                                        ; implicit-def: $vgpr1
.LBB386_297:
	s_delay_alu instid0(SALU_CYCLE_1)
	s_and_b32 vcc_lo, exec_lo, s3
	s_wait_alu 0xfffe
	s_cbranch_vccz .LBB386_367
; %bb.298:
	v_mov_b32_e32 v1, 0
	s_sub_co_i32 s45, s36, s2
	s_delay_alu instid0(SALU_CYCLE_1) | instskip(NEXT) | instid1(VALU_DEP_2)
	v_cmp_gt_u32_e32 vcc_lo, s45, v0
	v_dual_mov_b32 v2, v1 :: v_dual_mov_b32 v3, v1
	v_dual_mov_b32 v4, v1 :: v_dual_mov_b32 v5, v1
	;; [unrolled: 1-line block ×15, first 2 shown]
	v_mov_b32_e32 v32, v1
	s_and_saveexec_b32 s2, vcc_lo
	s_cbranch_execz .LBB386_300
; %bb.299:
	v_dual_mov_b32 v3, v1 :: v_dual_lshlrev_b32 v2, 3, v0
	v_mov_b32_e32 v32, v1
	v_dual_mov_b32 v4, v1 :: v_dual_mov_b32 v5, v1
	global_load_b64 v[33:34], v2, s[42:43]
	v_dual_mov_b32 v6, v1 :: v_dual_mov_b32 v7, v1
	v_dual_mov_b32 v8, v1 :: v_dual_mov_b32 v9, v1
	;; [unrolled: 1-line block ×13, first 2 shown]
	s_wait_loadcnt 0x0
	v_cmp_neq_f64_e32 vcc_lo, 0, v[33:34]
	v_mov_b32_e32 v33, v1
	s_wait_alu 0xfffd
	v_cndmask_b32_e64 v2, 0, 1, vcc_lo
	s_delay_alu instid0(VALU_DEP_1)
	v_mov_b32_e32 v1, v2
	v_mov_b32_e32 v2, v3
	;; [unrolled: 1-line block ×32, first 2 shown]
.LBB386_300:
	s_or_b32 exec_lo, exec_lo, s2
	v_or_b32_e32 v33, 0x100, v0
	s_delay_alu instid0(VALU_DEP_1)
	v_cmp_gt_u32_e32 vcc_lo, s45, v33
	s_and_saveexec_b32 s3, vcc_lo
	s_cbranch_execz .LBB386_302
; %bb.301:
	v_lshlrev_b32_e32 v2, 3, v0
	global_load_b64 v[33:34], v2, s[42:43] offset:2048
	s_wait_loadcnt 0x0
	v_cmp_neq_f64_e64 s2, 0, v[33:34]
	s_delay_alu instid0(VALU_DEP_1)
	v_cndmask_b32_e64 v2, 0, 1, s2
.LBB386_302:
	s_or_b32 exec_lo, exec_lo, s3
	v_or_b32_e32 v33, 0x200, v0
	s_delay_alu instid0(VALU_DEP_1)
	v_cmp_gt_u32_e64 s2, s45, v33
	s_and_saveexec_b32 s4, s2
	s_cbranch_execz .LBB386_304
; %bb.303:
	v_lshlrev_b32_e32 v3, 3, v0
	global_load_b64 v[33:34], v3, s[42:43] offset:4096
	s_wait_loadcnt 0x0
	v_cmp_neq_f64_e64 s3, 0, v[33:34]
	s_wait_alu 0xf1ff
	s_delay_alu instid0(VALU_DEP_1)
	v_cndmask_b32_e64 v3, 0, 1, s3
.LBB386_304:
	s_or_b32 exec_lo, exec_lo, s4
	v_or_b32_e32 v33, 0x300, v0
	s_delay_alu instid0(VALU_DEP_1)
	v_cmp_gt_u32_e64 s3, s45, v33
	s_and_saveexec_b32 s5, s3
	s_cbranch_execz .LBB386_306
; %bb.305:
	v_lshlrev_b32_e32 v4, 3, v0
	global_load_b64 v[33:34], v4, s[42:43] offset:6144
	s_wait_loadcnt 0x0
	v_cmp_neq_f64_e64 s4, 0, v[33:34]
	s_delay_alu instid0(VALU_DEP_1)
	v_cndmask_b32_e64 v4, 0, 1, s4
.LBB386_306:
	s_or_b32 exec_lo, exec_lo, s5
	v_or_b32_e32 v33, 0x400, v0
	s_delay_alu instid0(VALU_DEP_1)
	v_cmp_gt_u32_e64 s4, s45, v33
	s_and_saveexec_b32 s6, s4
	s_cbranch_execz .LBB386_308
; %bb.307:
	v_lshlrev_b32_e32 v5, 3, v0
	global_load_b64 v[33:34], v5, s[42:43] offset:8192
	s_wait_loadcnt 0x0
	v_cmp_neq_f64_e64 s5, 0, v[33:34]
	s_wait_alu 0xf1ff
	s_delay_alu instid0(VALU_DEP_1)
	v_cndmask_b32_e64 v5, 0, 1, s5
.LBB386_308:
	s_or_b32 exec_lo, exec_lo, s6
	v_or_b32_e32 v33, 0x500, v0
	s_delay_alu instid0(VALU_DEP_1)
	v_cmp_gt_u32_e64 s5, s45, v33
	s_and_saveexec_b32 s7, s5
	;; [unrolled: 29-line block ×15, first 2 shown]
	s_cbranch_execz .LBB386_362
; %bb.361:
	v_lshlrev_b32_e32 v32, 3, v0
	global_load_b64 v[32:33], v32, s[42:43] offset:63488
	s_wait_loadcnt 0x0
	v_cmp_neq_f64_e64 s33, 0, v[32:33]
	s_delay_alu instid0(VALU_DEP_1)
	v_cndmask_b32_e64 v32, 0, 1, s33
.LBB386_362:
	s_or_b32 exec_lo, exec_lo, s46
	v_cndmask_b32_e32 v2, 0, v2, vcc_lo
	v_cndmask_b32_e64 v3, 0, v3, s2
	v_cndmask_b32_e64 v4, 0, v4, s3
	s_min_u32 s2, s45, 0x100
	s_mov_b32 s3, exec_lo
	v_add_nc_u32_e32 v1, v2, v1
	v_cndmask_b32_e64 v2, 0, v5, s4
	v_cndmask_b32_e64 v5, 0, v6, s5
	v_cndmask_b32_e64 v6, 0, v30, s29
	s_delay_alu instid0(VALU_DEP_4) | instskip(SKIP_3) | instid1(VALU_DEP_4)
	v_add3_u32 v1, v1, v3, v4
	v_cndmask_b32_e64 v3, 0, v7, s6
	v_cndmask_b32_e64 v4, 0, v8, s7
	;; [unrolled: 1-line block ×3, first 2 shown]
	v_add3_u32 v1, v1, v2, v5
	v_cndmask_b32_e64 v2, 0, v9, s8
	v_cndmask_b32_e64 v5, 0, v10, s9
	s_delay_alu instid0(VALU_DEP_3) | instskip(SKIP_2) | instid1(VALU_DEP_3)
	v_add3_u32 v1, v1, v3, v4
	v_cndmask_b32_e64 v3, 0, v11, s10
	v_cndmask_b32_e64 v4, 0, v12, s11
	v_add3_u32 v1, v1, v2, v5
	v_cndmask_b32_e64 v2, 0, v13, s12
	v_cndmask_b32_e64 v5, 0, v14, s13
	s_delay_alu instid0(VALU_DEP_3) | instskip(SKIP_2) | instid1(VALU_DEP_3)
	v_add3_u32 v1, v1, v3, v4
	v_cndmask_b32_e64 v3, 0, v15, s14
	v_cndmask_b32_e64 v4, 0, v16, s15
	;; [unrolled: 7-line block ×5, first 2 shown]
	v_add3_u32 v1, v1, v2, v5
	v_mbcnt_lo_u32_b32 v2, -1, 0
	v_cndmask_b32_e64 v5, 0, v29, s28
	s_delay_alu instid0(VALU_DEP_3) | instskip(NEXT) | instid1(VALU_DEP_3)
	v_add3_u32 v1, v1, v3, v4
	v_cmp_ne_u32_e32 vcc_lo, 31, v2
	v_cndmask_b32_e64 v3, 0, v32, s31
	s_delay_alu instid0(VALU_DEP_3)
	v_add3_u32 v1, v1, v5, v6
	s_wait_alu 0xfffd
	v_add_co_ci_u32_e64 v4, null, 0, v2, vcc_lo
	v_add_nc_u32_e32 v5, 1, v2
	v_cmp_gt_u32_e32 vcc_lo, 30, v2
	v_add3_u32 v1, v1, v7, v3
	s_delay_alu instid0(VALU_DEP_4)
	v_lshlrev_b32_e32 v4, 2, v4
	s_wait_alu 0xfffd
	v_cndmask_b32_e64 v6, 0, 2, vcc_lo
	ds_bpermute_b32 v3, v4, v1
	v_and_b32_e32 v4, 0xe0, v0
	s_wait_alu 0xfffe
	s_delay_alu instid0(VALU_DEP_1) | instskip(NEXT) | instid1(VALU_DEP_1)
	v_sub_nc_u32_e64 v4, s2, v4 clamp
	v_cmp_lt_u32_e32 vcc_lo, v5, v4
	v_add_lshl_u32 v5, v6, v2, 2
	s_wait_dscnt 0x0
	s_wait_alu 0xfffd
	v_cndmask_b32_e32 v3, 0, v3, vcc_lo
	v_cmp_gt_u32_e32 vcc_lo, 28, v2
	s_delay_alu instid0(VALU_DEP_2) | instskip(SKIP_4) | instid1(VALU_DEP_1)
	v_add_nc_u32_e32 v1, v1, v3
	s_wait_alu 0xfffd
	v_cndmask_b32_e64 v6, 0, 4, vcc_lo
	ds_bpermute_b32 v3, v5, v1
	v_add_nc_u32_e32 v5, 2, v2
	v_cmp_lt_u32_e32 vcc_lo, v5, v4
	v_add_lshl_u32 v5, v6, v2, 2
	s_wait_dscnt 0x0
	s_wait_alu 0xfffd
	v_cndmask_b32_e32 v3, 0, v3, vcc_lo
	v_cmp_gt_u32_e32 vcc_lo, 24, v2
	s_delay_alu instid0(VALU_DEP_2) | instskip(SKIP_4) | instid1(VALU_DEP_1)
	v_add_nc_u32_e32 v1, v1, v3
	s_wait_alu 0xfffd
	v_cndmask_b32_e64 v6, 0, 8, vcc_lo
	ds_bpermute_b32 v3, v5, v1
	v_add_nc_u32_e32 v5, 4, v2
	v_cmp_lt_u32_e32 vcc_lo, v5, v4
	v_add_lshl_u32 v5, v6, v2, 2
	s_wait_dscnt 0x0
	s_wait_alu 0xfffd
	v_cndmask_b32_e32 v3, 0, v3, vcc_lo
	s_delay_alu instid0(VALU_DEP_1) | instskip(SKIP_3) | instid1(VALU_DEP_1)
	v_add_nc_u32_e32 v1, v1, v3
	v_lshlrev_b32_e32 v3, 2, v2
	ds_bpermute_b32 v5, v5, v1
	v_add_nc_u32_e32 v6, 8, v2
	v_cmp_lt_u32_e32 vcc_lo, v6, v4
	v_or_b32_e32 v6, 64, v3
	s_wait_dscnt 0x0
	s_wait_alu 0xfffd
	v_cndmask_b32_e32 v5, 0, v5, vcc_lo
	s_delay_alu instid0(VALU_DEP_1) | instskip(SKIP_2) | instid1(VALU_DEP_1)
	v_add_nc_u32_e32 v1, v1, v5
	ds_bpermute_b32 v5, v6, v1
	v_add_nc_u32_e32 v6, 16, v2
	v_cmp_lt_u32_e32 vcc_lo, v6, v4
	s_wait_dscnt 0x0
	s_wait_alu 0xfffd
	v_cndmask_b32_e32 v4, 0, v5, vcc_lo
	s_delay_alu instid0(VALU_DEP_1)
	v_add_nc_u32_e32 v1, v1, v4
	v_cmpx_eq_u32_e32 0, v2
; %bb.363:
	v_lshrrev_b32_e32 v4, 3, v0
	s_delay_alu instid0(VALU_DEP_1)
	v_and_b32_e32 v4, 28, v4
	ds_store_b32 v4, v1 offset:256
; %bb.364:
	s_or_b32 exec_lo, exec_lo, s3
	s_delay_alu instid0(SALU_CYCLE_1)
	s_mov_b32 s3, exec_lo
	s_wait_loadcnt_dscnt 0x0
	s_barrier_signal -1
	s_barrier_wait -1
	global_inv scope:SCOPE_SE
	v_cmpx_gt_u32_e32 8, v0
	s_cbranch_execz .LBB386_366
; %bb.365:
	ds_load_b32 v1, v3 offset:256
	v_and_b32_e32 v4, 7, v2
	s_add_co_i32 s2, s2, 31
	s_wait_alu 0xfffe
	s_lshr_b32 s2, s2, 5
	s_delay_alu instid0(VALU_DEP_1) | instskip(SKIP_4) | instid1(VALU_DEP_2)
	v_cmp_ne_u32_e32 vcc_lo, 7, v4
	v_add_nc_u32_e32 v6, 1, v4
	s_wait_alu 0xfffd
	v_add_co_ci_u32_e64 v5, null, 0, v2, vcc_lo
	v_cmp_gt_u32_e32 vcc_lo, 6, v4
	v_lshlrev_b32_e32 v5, 2, v5
	s_wait_alu 0xfffd
	v_cndmask_b32_e64 v7, 0, 2, vcc_lo
	s_wait_alu 0xfffe
	v_cmp_gt_u32_e32 vcc_lo, s2, v6
	s_wait_dscnt 0x0
	ds_bpermute_b32 v5, v5, v1
	v_add_lshl_u32 v2, v7, v2, 2
	s_wait_dscnt 0x0
	s_wait_alu 0xfffd
	v_cndmask_b32_e32 v5, 0, v5, vcc_lo
	s_delay_alu instid0(VALU_DEP_1)
	v_add_nc_u32_e32 v1, v5, v1
	v_add_nc_u32_e32 v5, 2, v4
	ds_bpermute_b32 v2, v2, v1
	v_cmp_gt_u32_e32 vcc_lo, s2, v5
	s_wait_dscnt 0x0
	s_wait_alu 0xfffd
	v_cndmask_b32_e32 v2, 0, v2, vcc_lo
	s_delay_alu instid0(VALU_DEP_1)
	v_add_nc_u32_e32 v1, v1, v2
	v_or_b32_e32 v2, 16, v3
	v_add_nc_u32_e32 v3, 4, v4
	ds_bpermute_b32 v2, v2, v1
	v_cmp_gt_u32_e32 vcc_lo, s2, v3
	s_wait_dscnt 0x0
	s_wait_alu 0xfffd
	v_cndmask_b32_e32 v2, 0, v2, vcc_lo
	s_delay_alu instid0(VALU_DEP_1)
	v_add_nc_u32_e32 v1, v1, v2
.LBB386_366:
	s_wait_alu 0xfffe
	s_or_b32 exec_lo, exec_lo, s3
.LBB386_367:
	v_cmp_eq_u32_e64 s2, 0, v0
	s_branch .LBB386_512
.LBB386_368:
	s_cmp_eq_u32 s44, 16
	s_cbranch_scc0 .LBB386_375
; %bb.369:
	s_mov_b32 s35, 0
	s_lshl_b32 s2, s34, 12
	s_mov_b32 s3, s35
	s_lshr_b64 s[4:5], s[36:37], 12
	s_lshl_b64 s[6:7], s[2:3], 3
	s_cmp_lg_u64 s[4:5], s[34:35]
	s_add_nc_u64 s[16:17], s[40:41], s[6:7]
	s_cbranch_scc0 .LBB386_533
; %bb.370:
	v_lshlrev_b32_e32 v31, 3, v0
	s_mov_b32 s3, exec_lo
	s_clause 0xf
	global_load_b64 v[1:2], v31, s[16:17]
	global_load_b64 v[3:4], v31, s[16:17] offset:4096
	global_load_b64 v[5:6], v31, s[16:17] offset:2048
	;; [unrolled: 1-line block ×15, first 2 shown]
	s_wait_loadcnt 0xf
	v_cmp_neq_f64_e32 vcc_lo, 0, v[1:2]
	v_cndmask_b32_e64 v1, 0, 1, vcc_lo
	s_wait_loadcnt 0xe
	v_cmp_neq_f64_e32 vcc_lo, 0, v[3:4]
	s_wait_alu 0xfffd
	v_cndmask_b32_e64 v2, 0, 1, vcc_lo
	s_wait_loadcnt 0xd
	v_cmp_neq_f64_e32 vcc_lo, 0, v[5:6]
	s_wait_alu 0xfffd
	v_add_co_ci_u32_e64 v1, null, 0, v1, vcc_lo
	s_wait_loadcnt 0xc
	v_cmp_neq_f64_e32 vcc_lo, 0, v[7:8]
	s_wait_alu 0xfffd
	v_cndmask_b32_e64 v3, 0, 1, vcc_lo
	s_wait_loadcnt 0xb
	v_cmp_neq_f64_e32 vcc_lo, 0, v[9:10]
	s_wait_alu 0xfffd
	v_add_co_ci_u32_e64 v1, null, v1, v2, vcc_lo
	;; [unrolled: 8-line block ×7, first 2 shown]
	s_wait_loadcnt 0x0
	v_cmp_neq_f64_e32 vcc_lo, 0, v[31:32]
	s_wait_alu 0xfffd
	s_delay_alu instid0(VALU_DEP_2) | instskip(NEXT) | instid1(VALU_DEP_1)
	v_add_co_ci_u32_e64 v1, null, v1, v2, vcc_lo
	v_mov_b32_dpp v2, v1 quad_perm:[1,0,3,2] row_mask:0xf bank_mask:0xf
	s_delay_alu instid0(VALU_DEP_1) | instskip(NEXT) | instid1(VALU_DEP_1)
	v_add_nc_u32_e32 v1, v1, v2
	v_mov_b32_dpp v2, v1 quad_perm:[2,3,0,1] row_mask:0xf bank_mask:0xf
	s_delay_alu instid0(VALU_DEP_1) | instskip(NEXT) | instid1(VALU_DEP_1)
	v_add_nc_u32_e32 v1, v1, v2
	v_mov_b32_dpp v2, v1 row_ror:4 row_mask:0xf bank_mask:0xf
	s_delay_alu instid0(VALU_DEP_1) | instskip(NEXT) | instid1(VALU_DEP_1)
	v_add_nc_u32_e32 v1, v1, v2
	v_mov_b32_dpp v2, v1 row_ror:8 row_mask:0xf bank_mask:0xf
	s_delay_alu instid0(VALU_DEP_1)
	v_add_nc_u32_e32 v1, v1, v2
	ds_swizzle_b32 v2, v1 offset:swizzle(BROADCAST,32,15)
	s_wait_dscnt 0x0
	v_dual_mov_b32 v2, 0 :: v_dual_add_nc_u32 v1, v1, v2
	ds_bpermute_b32 v1, v2, v1 offset:124
	v_mbcnt_lo_u32_b32 v2, -1, 0
	s_delay_alu instid0(VALU_DEP_1)
	v_cmpx_eq_u32_e32 0, v2
	s_cbranch_execz .LBB386_372
; %bb.371:
	v_lshrrev_b32_e32 v3, 3, v0
	s_delay_alu instid0(VALU_DEP_1)
	v_and_b32_e32 v3, 28, v3
	s_wait_dscnt 0x0
	ds_store_b32 v3, v1 offset:32
.LBB386_372:
	s_or_b32 exec_lo, exec_lo, s3
	s_delay_alu instid0(SALU_CYCLE_1)
	s_mov_b32 s3, exec_lo
	s_wait_dscnt 0x0
	s_barrier_signal -1
	s_barrier_wait -1
	global_inv scope:SCOPE_SE
	v_cmpx_gt_u32_e32 32, v0
	s_cbranch_execz .LBB386_374
; %bb.373:
	v_and_b32_e32 v1, 7, v2
	s_delay_alu instid0(VALU_DEP_1)
	v_lshlrev_b32_e32 v3, 2, v1
	v_cmp_ne_u32_e32 vcc_lo, 7, v1
	ds_load_b32 v3, v3 offset:32
	s_wait_alu 0xfffd
	v_add_co_ci_u32_e64 v4, null, 0, v2, vcc_lo
	v_cmp_gt_u32_e32 vcc_lo, 6, v1
	s_delay_alu instid0(VALU_DEP_2) | instskip(SKIP_2) | instid1(VALU_DEP_1)
	v_lshlrev_b32_e32 v4, 2, v4
	s_wait_alu 0xfffd
	v_cndmask_b32_e64 v1, 0, 2, vcc_lo
	v_add_lshl_u32 v1, v1, v2, 2
	v_lshlrev_b32_e32 v2, 2, v2
	s_delay_alu instid0(VALU_DEP_1)
	v_or_b32_e32 v2, 16, v2
	s_wait_dscnt 0x0
	ds_bpermute_b32 v4, v4, v3
	s_wait_dscnt 0x0
	v_add_nc_u32_e32 v3, v4, v3
	ds_bpermute_b32 v1, v1, v3
	s_wait_dscnt 0x0
	v_add_nc_u32_e32 v1, v1, v3
	;; [unrolled: 3-line block ×3, first 2 shown]
.LBB386_374:
	s_or_b32 exec_lo, exec_lo, s3
	s_mov_b32 s3, 0
	s_branch .LBB386_534
.LBB386_375:
                                        ; implicit-def: $vgpr1
	s_branch .LBB386_623
.LBB386_376:
	s_mov_b32 s5, -1
                                        ; implicit-def: $vgpr1
.LBB386_377:
	s_wait_alu 0xfffe
	s_and_b32 vcc_lo, exec_lo, s5
	s_wait_alu 0xfffe
	s_cbranch_vccz .LBB386_511
; %bb.378:
	s_sub_co_i32 s4, s36, s4
	s_mov_b32 s5, exec_lo
                                        ; implicit-def: $vgpr1
	s_wait_alu 0xfffe
	v_cmpx_gt_u32_e64 s4, v0
	s_cbranch_execz .LBB386_380
; %bb.379:
	v_lshlrev_b32_e32 v1, 3, v0
	global_load_b64 v[1:2], v1, s[2:3]
	s_wait_loadcnt 0x0
	v_cmp_neq_f64_e32 vcc_lo, 0, v[1:2]
	s_wait_alu 0xfffd
	v_cndmask_b32_e64 v1, 0, 1, vcc_lo
.LBB386_380:
	s_or_b32 exec_lo, exec_lo, s5
	v_or_b32_e32 v3, 0x100, v0
	v_mov_b32_e32 v2, 0
	s_delay_alu instid0(VALU_DEP_2)
	v_cmp_gt_u32_e32 vcc_lo, s4, v3
	v_mov_b32_e32 v3, 0
	s_and_saveexec_b32 s5, vcc_lo
	s_cbranch_execz .LBB386_382
; %bb.381:
	v_lshlrev_b32_e32 v3, 3, v0
	global_load_b64 v[3:4], v3, s[2:3] offset:2048
	s_wait_loadcnt 0x0
	v_cmp_neq_f64_e32 vcc_lo, 0, v[3:4]
	s_wait_alu 0xfffd
	v_cndmask_b32_e64 v3, 0, 1, vcc_lo
.LBB386_382:
	s_wait_alu 0xfffe
	s_or_b32 exec_lo, exec_lo, s5
	v_or_b32_e32 v4, 0x200, v0
	s_mov_b32 s5, exec_lo
	s_delay_alu instid0(VALU_DEP_1)
	v_cmpx_gt_u32_e64 s4, v4
	s_cbranch_execz .LBB386_384
; %bb.383:
	v_lshlrev_b32_e32 v2, 3, v0
	global_load_b64 v[4:5], v2, s[2:3] offset:4096
	s_wait_loadcnt 0x0
	v_cmp_neq_f64_e32 vcc_lo, 0, v[4:5]
	s_wait_alu 0xfffd
	v_cndmask_b32_e64 v2, 0, 1, vcc_lo
.LBB386_384:
	s_wait_alu 0xfffe
	s_or_b32 exec_lo, exec_lo, s5
	v_or_b32_e32 v5, 0x300, v0
	v_mov_b32_e32 v4, 0
	s_delay_alu instid0(VALU_DEP_2)
	v_cmp_gt_u32_e32 vcc_lo, s4, v5
	v_mov_b32_e32 v5, 0
	s_and_saveexec_b32 s5, vcc_lo
	s_cbranch_execz .LBB386_386
; %bb.385:
	v_lshlrev_b32_e32 v5, 3, v0
	global_load_b64 v[5:6], v5, s[2:3] offset:6144
	s_wait_loadcnt 0x0
	v_cmp_neq_f64_e32 vcc_lo, 0, v[5:6]
	s_wait_alu 0xfffd
	v_cndmask_b32_e64 v5, 0, 1, vcc_lo
.LBB386_386:
	s_wait_alu 0xfffe
	s_or_b32 exec_lo, exec_lo, s5
	v_or_b32_e32 v6, 0x400, v0
	s_mov_b32 s5, exec_lo
	s_delay_alu instid0(VALU_DEP_1)
	v_cmpx_gt_u32_e64 s4, v6
	s_cbranch_execz .LBB386_388
; %bb.387:
	v_lshlrev_b32_e32 v4, 3, v0
	global_load_b64 v[6:7], v4, s[2:3] offset:8192
	s_wait_loadcnt 0x0
	v_cmp_neq_f64_e32 vcc_lo, 0, v[6:7]
	s_wait_alu 0xfffd
	v_cndmask_b32_e64 v4, 0, 1, vcc_lo
.LBB386_388:
	s_wait_alu 0xfffe
	;; [unrolled: 32-line block ×31, first 2 shown]
	s_or_b32 exec_lo, exec_lo, s5
	v_or_b32_e32 v64, 0x3f00, v0
	s_delay_alu instid0(VALU_DEP_1)
	v_cmp_gt_u32_e32 vcc_lo, s4, v64
	v_mov_b32_e32 v64, 0
	s_and_saveexec_b32 s5, vcc_lo
	s_cbranch_execz .LBB386_506
; %bb.505:
	v_lshlrev_b32_e32 v64, 3, v0
	global_load_b64 v[64:65], v64, s[2:3] offset:129024
	s_wait_loadcnt 0x0
	v_cmp_neq_f64_e32 vcc_lo, 0, v[64:65]
	s_wait_alu 0xfffd
	v_cndmask_b32_e64 v64, 0, 1, vcc_lo
.LBB386_506:
	s_wait_alu 0xfffe
	s_or_b32 exec_lo, exec_lo, s5
	v_add_nc_u32_e32 v1, v3, v1
	s_min_u32 s2, s4, 0x100
	s_mov_b32 s3, exec_lo
	s_delay_alu instid0(VALU_DEP_1) | instskip(SKIP_1) | instid1(VALU_DEP_2)
	v_add3_u32 v1, v1, v2, v5
	v_mbcnt_lo_u32_b32 v2, -1, 0
	v_add3_u32 v1, v1, v4, v7
	s_delay_alu instid0(VALU_DEP_2) | instskip(SKIP_1) | instid1(VALU_DEP_3)
	v_cmp_ne_u32_e32 vcc_lo, 31, v2
	v_add_nc_u32_e32 v5, 1, v2
	v_add3_u32 v1, v1, v6, v9
	s_wait_alu 0xfffd
	v_add_co_ci_u32_e64 v3, null, 0, v2, vcc_lo
	v_cmp_gt_u32_e32 vcc_lo, 30, v2
	s_delay_alu instid0(VALU_DEP_3) | instskip(NEXT) | instid1(VALU_DEP_3)
	v_add3_u32 v1, v1, v8, v11
	v_lshlrev_b32_e32 v3, 2, v3
	s_wait_alu 0xfffd
	v_cndmask_b32_e64 v6, 0, 2, vcc_lo
	s_delay_alu instid0(VALU_DEP_3) | instskip(NEXT) | instid1(VALU_DEP_1)
	v_add3_u32 v1, v1, v10, v13
	v_add3_u32 v1, v1, v12, v15
	s_delay_alu instid0(VALU_DEP_1) | instskip(NEXT) | instid1(VALU_DEP_1)
	v_add3_u32 v1, v1, v14, v17
	v_add3_u32 v1, v1, v16, v19
	s_delay_alu instid0(VALU_DEP_1) | instskip(NEXT) | instid1(VALU_DEP_1)
	;; [unrolled: 3-line block ×12, first 2 shown]
	v_add3_u32 v1, v1, v58, v61
	v_add3_u32 v1, v1, v60, v63
	s_delay_alu instid0(VALU_DEP_1) | instskip(SKIP_3) | instid1(VALU_DEP_1)
	v_add3_u32 v1, v1, v62, v64
	ds_bpermute_b32 v3, v3, v1
	v_and_b32_e32 v4, 0xe0, v0
	s_wait_alu 0xfffe
	v_sub_nc_u32_e64 v4, s2, v4 clamp
	s_delay_alu instid0(VALU_DEP_1)
	v_cmp_lt_u32_e32 vcc_lo, v5, v4
	v_add_lshl_u32 v5, v6, v2, 2
	s_wait_dscnt 0x0
	s_wait_alu 0xfffd
	v_cndmask_b32_e32 v3, 0, v3, vcc_lo
	v_cmp_gt_u32_e32 vcc_lo, 28, v2
	s_delay_alu instid0(VALU_DEP_2) | instskip(SKIP_4) | instid1(VALU_DEP_1)
	v_add_nc_u32_e32 v1, v3, v1
	s_wait_alu 0xfffd
	v_cndmask_b32_e64 v6, 0, 4, vcc_lo
	ds_bpermute_b32 v3, v5, v1
	v_add_nc_u32_e32 v5, 2, v2
	v_cmp_lt_u32_e32 vcc_lo, v5, v4
	v_add_lshl_u32 v5, v6, v2, 2
	s_wait_dscnt 0x0
	s_wait_alu 0xfffd
	v_cndmask_b32_e32 v3, 0, v3, vcc_lo
	v_cmp_gt_u32_e32 vcc_lo, 24, v2
	s_delay_alu instid0(VALU_DEP_2) | instskip(SKIP_4) | instid1(VALU_DEP_1)
	v_add_nc_u32_e32 v1, v1, v3
	s_wait_alu 0xfffd
	v_cndmask_b32_e64 v6, 0, 8, vcc_lo
	ds_bpermute_b32 v3, v5, v1
	v_add_nc_u32_e32 v5, 4, v2
	v_cmp_lt_u32_e32 vcc_lo, v5, v4
	v_add_lshl_u32 v5, v6, v2, 2
	s_wait_dscnt 0x0
	s_wait_alu 0xfffd
	v_dual_cndmask_b32 v3, 0, v3 :: v_dual_add_nc_u32 v6, 8, v2
	s_delay_alu instid0(VALU_DEP_1) | instskip(NEXT) | instid1(VALU_DEP_2)
	v_cmp_lt_u32_e32 vcc_lo, v6, v4
	v_add_nc_u32_e32 v1, v1, v3
	v_lshlrev_b32_e32 v3, 2, v2
	ds_bpermute_b32 v5, v5, v1
	v_or_b32_e32 v6, 64, v3
	s_wait_dscnt 0x0
	s_wait_alu 0xfffd
	v_cndmask_b32_e32 v5, 0, v5, vcc_lo
	s_delay_alu instid0(VALU_DEP_1) | instskip(SKIP_2) | instid1(VALU_DEP_1)
	v_add_nc_u32_e32 v1, v1, v5
	ds_bpermute_b32 v5, v6, v1
	v_add_nc_u32_e32 v6, 16, v2
	v_cmp_lt_u32_e32 vcc_lo, v6, v4
	s_wait_dscnt 0x0
	s_wait_alu 0xfffd
	v_cndmask_b32_e32 v4, 0, v5, vcc_lo
	s_delay_alu instid0(VALU_DEP_1)
	v_add_nc_u32_e32 v1, v1, v4
	v_cmpx_eq_u32_e32 0, v2
; %bb.507:
	v_lshrrev_b32_e32 v4, 3, v0
	s_delay_alu instid0(VALU_DEP_1)
	v_and_b32_e32 v4, 28, v4
	ds_store_b32 v4, v1 offset:256
; %bb.508:
	s_or_b32 exec_lo, exec_lo, s3
	s_delay_alu instid0(SALU_CYCLE_1)
	s_mov_b32 s3, exec_lo
	s_wait_loadcnt_dscnt 0x0
	s_barrier_signal -1
	s_barrier_wait -1
	global_inv scope:SCOPE_SE
	v_cmpx_gt_u32_e32 8, v0
	s_cbranch_execz .LBB386_510
; %bb.509:
	ds_load_b32 v1, v3 offset:256
	v_and_b32_e32 v4, 7, v2
	s_add_co_i32 s2, s2, 31
	s_wait_alu 0xfffe
	s_lshr_b32 s2, s2, 5
	s_delay_alu instid0(VALU_DEP_1) | instskip(SKIP_4) | instid1(VALU_DEP_2)
	v_cmp_ne_u32_e32 vcc_lo, 7, v4
	v_add_nc_u32_e32 v6, 1, v4
	s_wait_alu 0xfffd
	v_add_co_ci_u32_e64 v5, null, 0, v2, vcc_lo
	v_cmp_gt_u32_e32 vcc_lo, 6, v4
	v_lshlrev_b32_e32 v5, 2, v5
	s_wait_alu 0xfffd
	v_cndmask_b32_e64 v7, 0, 2, vcc_lo
	s_wait_alu 0xfffe
	v_cmp_gt_u32_e32 vcc_lo, s2, v6
	s_wait_dscnt 0x0
	ds_bpermute_b32 v5, v5, v1
	v_add_lshl_u32 v2, v7, v2, 2
	s_wait_dscnt 0x0
	s_wait_alu 0xfffd
	v_cndmask_b32_e32 v5, 0, v5, vcc_lo
	s_delay_alu instid0(VALU_DEP_1)
	v_add_nc_u32_e32 v1, v5, v1
	v_add_nc_u32_e32 v5, 2, v4
	ds_bpermute_b32 v2, v2, v1
	v_cmp_gt_u32_e32 vcc_lo, s2, v5
	s_wait_dscnt 0x0
	s_wait_alu 0xfffd
	v_cndmask_b32_e32 v2, 0, v2, vcc_lo
	s_delay_alu instid0(VALU_DEP_1)
	v_add_nc_u32_e32 v1, v1, v2
	v_or_b32_e32 v2, 16, v3
	v_add_nc_u32_e32 v3, 4, v4
	ds_bpermute_b32 v2, v2, v1
	v_cmp_gt_u32_e32 vcc_lo, s2, v3
	s_wait_dscnt 0x0
	s_wait_alu 0xfffd
	v_cndmask_b32_e32 v2, 0, v2, vcc_lo
	s_delay_alu instid0(VALU_DEP_1)
	v_add_nc_u32_e32 v1, v1, v2
.LBB386_510:
	s_wait_alu 0xfffe
	s_or_b32 exec_lo, exec_lo, s3
.LBB386_511:
	v_cmp_eq_u32_e64 s2, 0, v0
.LBB386_512:
	s_branch .LBB386_623
.LBB386_513:
	s_cmp_gt_i32 s44, 3
	s_cbranch_scc0 .LBB386_522
; %bb.514:
	s_cmp_gt_i32 s44, 7
	s_cbranch_scc0 .LBB386_523
; %bb.515:
	s_cmp_eq_u32 s44, 8
	s_cbranch_scc0 .LBB386_531
; %bb.516:
	s_mov_b32 s35, 0
	s_lshl_b32 s2, s34, 11
	s_mov_b32 s3, s35
	s_lshr_b64 s[4:5], s[36:37], 11
	s_lshl_b64 s[6:7], s[2:3], 3
	s_cmp_lg_u64 s[4:5], s[34:35]
	s_add_nc_u64 s[8:9], s[40:41], s[6:7]
	s_cbranch_scc0 .LBB386_573
; %bb.517:
	v_lshlrev_b32_e32 v15, 3, v0
	s_mov_b32 s3, exec_lo
	s_clause 0x7
	global_load_b64 v[1:2], v15, s[8:9]
	global_load_b64 v[3:4], v15, s[8:9] offset:4096
	global_load_b64 v[5:6], v15, s[8:9] offset:2048
	;; [unrolled: 1-line block ×7, first 2 shown]
	s_wait_loadcnt 0x7
	v_cmp_neq_f64_e32 vcc_lo, 0, v[1:2]
	v_cndmask_b32_e64 v1, 0, 1, vcc_lo
	s_wait_loadcnt 0x6
	v_cmp_neq_f64_e32 vcc_lo, 0, v[3:4]
	s_wait_alu 0xfffd
	v_cndmask_b32_e64 v2, 0, 1, vcc_lo
	s_wait_loadcnt 0x5
	v_cmp_neq_f64_e32 vcc_lo, 0, v[5:6]
	s_wait_alu 0xfffd
	v_add_co_ci_u32_e64 v1, null, 0, v1, vcc_lo
	s_wait_loadcnt 0x4
	v_cmp_neq_f64_e32 vcc_lo, 0, v[7:8]
	s_wait_alu 0xfffd
	v_cndmask_b32_e64 v3, 0, 1, vcc_lo
	s_wait_loadcnt 0x3
	v_cmp_neq_f64_e32 vcc_lo, 0, v[9:10]
	s_wait_alu 0xfffd
	v_add_co_ci_u32_e64 v1, null, v1, v2, vcc_lo
	;; [unrolled: 8-line block ×3, first 2 shown]
	s_wait_loadcnt 0x0
	v_cmp_neq_f64_e32 vcc_lo, 0, v[15:16]
	s_wait_alu 0xfffd
	s_delay_alu instid0(VALU_DEP_2) | instskip(NEXT) | instid1(VALU_DEP_1)
	v_add_co_ci_u32_e64 v1, null, v1, v2, vcc_lo
	v_mov_b32_dpp v2, v1 quad_perm:[1,0,3,2] row_mask:0xf bank_mask:0xf
	s_delay_alu instid0(VALU_DEP_1) | instskip(NEXT) | instid1(VALU_DEP_1)
	v_add_nc_u32_e32 v1, v1, v2
	v_mov_b32_dpp v2, v1 quad_perm:[2,3,0,1] row_mask:0xf bank_mask:0xf
	s_delay_alu instid0(VALU_DEP_1) | instskip(NEXT) | instid1(VALU_DEP_1)
	v_add_nc_u32_e32 v1, v1, v2
	v_mov_b32_dpp v2, v1 row_ror:4 row_mask:0xf bank_mask:0xf
	s_delay_alu instid0(VALU_DEP_1) | instskip(NEXT) | instid1(VALU_DEP_1)
	v_add_nc_u32_e32 v1, v1, v2
	v_mov_b32_dpp v2, v1 row_ror:8 row_mask:0xf bank_mask:0xf
	s_delay_alu instid0(VALU_DEP_1)
	v_add_nc_u32_e32 v1, v1, v2
	ds_swizzle_b32 v2, v1 offset:swizzle(BROADCAST,32,15)
	s_wait_dscnt 0x0
	v_dual_mov_b32 v2, 0 :: v_dual_add_nc_u32 v1, v1, v2
	ds_bpermute_b32 v1, v2, v1 offset:124
	v_mbcnt_lo_u32_b32 v2, -1, 0
	s_delay_alu instid0(VALU_DEP_1)
	v_cmpx_eq_u32_e32 0, v2
	s_cbranch_execz .LBB386_519
; %bb.518:
	v_lshrrev_b32_e32 v3, 3, v0
	s_delay_alu instid0(VALU_DEP_1)
	v_and_b32_e32 v3, 28, v3
	s_wait_dscnt 0x0
	ds_store_b32 v3, v1 offset:224
.LBB386_519:
	s_or_b32 exec_lo, exec_lo, s3
	s_delay_alu instid0(SALU_CYCLE_1)
	s_mov_b32 s3, exec_lo
	s_wait_dscnt 0x0
	s_barrier_signal -1
	s_barrier_wait -1
	global_inv scope:SCOPE_SE
	v_cmpx_gt_u32_e32 32, v0
	s_cbranch_execz .LBB386_521
; %bb.520:
	v_lshl_or_b32 v1, v2, 2, 0xe0
	v_and_b32_e32 v3, 7, v2
	ds_load_b32 v1, v1
	v_cmp_ne_u32_e32 vcc_lo, 7, v3
	s_wait_alu 0xfffd
	v_add_co_ci_u32_e64 v4, null, 0, v2, vcc_lo
	v_cmp_gt_u32_e32 vcc_lo, 6, v3
	s_delay_alu instid0(VALU_DEP_2) | instskip(SKIP_2) | instid1(VALU_DEP_1)
	v_lshlrev_b32_e32 v4, 2, v4
	s_wait_alu 0xfffd
	v_cndmask_b32_e64 v3, 0, 2, vcc_lo
	v_add_lshl_u32 v3, v3, v2, 2
	v_lshlrev_b32_e32 v2, 2, v2
	s_wait_dscnt 0x0
	ds_bpermute_b32 v4, v4, v1
	v_or_b32_e32 v2, 16, v2
	s_wait_dscnt 0x0
	v_add_nc_u32_e32 v1, v4, v1
	ds_bpermute_b32 v3, v3, v1
	s_wait_dscnt 0x0
	v_add_nc_u32_e32 v1, v3, v1
	ds_bpermute_b32 v2, v2, v1
	s_wait_dscnt 0x0
	v_add_nc_u32_e32 v1, v2, v1
.LBB386_521:
	s_or_b32 exec_lo, exec_lo, s3
	s_mov_b32 s3, 0
	s_branch .LBB386_574
.LBB386_522:
                                        ; implicit-def: $vgpr1
	s_cbranch_execnz .LBB386_614
	s_branch .LBB386_623
.LBB386_523:
                                        ; implicit-def: $vgpr1
	s_cbranch_execz .LBB386_597
; %bb.524:
	s_cmp_eq_u32 s44, 4
	s_cbranch_scc0 .LBB386_532
; %bb.525:
	s_mov_b32 s35, 0
	s_lshl_b32 s2, s34, 10
	s_mov_b32 s3, s35
	s_lshr_b64 s[4:5], s[36:37], 10
	s_lshl_b64 s[6:7], s[2:3], 3
	s_cmp_lg_u64 s[4:5], s[34:35]
	s_add_nc_u64 s[4:5], s[40:41], s[6:7]
	s_cbranch_scc0 .LBB386_598
; %bb.526:
	v_lshlrev_b32_e32 v7, 3, v0
	s_mov_b32 s3, exec_lo
	s_clause 0x3
	global_load_b64 v[1:2], v7, s[4:5]
	global_load_b64 v[3:4], v7, s[4:5] offset:4096
	global_load_b64 v[5:6], v7, s[4:5] offset:2048
	;; [unrolled: 1-line block ×3, first 2 shown]
	s_wait_loadcnt 0x3
	v_cmp_neq_f64_e32 vcc_lo, 0, v[1:2]
	v_cndmask_b32_e64 v1, 0, 1, vcc_lo
	s_wait_loadcnt 0x2
	v_cmp_neq_f64_e32 vcc_lo, 0, v[3:4]
	s_wait_alu 0xfffd
	v_cndmask_b32_e64 v2, 0, 1, vcc_lo
	s_wait_loadcnt 0x1
	v_cmp_neq_f64_e32 vcc_lo, 0, v[5:6]
	s_wait_alu 0xfffd
	v_add_co_ci_u32_e64 v1, null, 0, v1, vcc_lo
	s_wait_loadcnt 0x0
	v_cmp_neq_f64_e32 vcc_lo, 0, v[7:8]
	s_wait_alu 0xfffd
	s_delay_alu instid0(VALU_DEP_2) | instskip(NEXT) | instid1(VALU_DEP_1)
	v_add_co_ci_u32_e64 v1, null, v1, v2, vcc_lo
	v_mov_b32_dpp v2, v1 quad_perm:[1,0,3,2] row_mask:0xf bank_mask:0xf
	s_delay_alu instid0(VALU_DEP_1) | instskip(NEXT) | instid1(VALU_DEP_1)
	v_add_nc_u32_e32 v1, v1, v2
	v_mov_b32_dpp v2, v1 quad_perm:[2,3,0,1] row_mask:0xf bank_mask:0xf
	s_delay_alu instid0(VALU_DEP_1) | instskip(NEXT) | instid1(VALU_DEP_1)
	v_add_nc_u32_e32 v1, v1, v2
	v_mov_b32_dpp v2, v1 row_ror:4 row_mask:0xf bank_mask:0xf
	s_delay_alu instid0(VALU_DEP_1) | instskip(NEXT) | instid1(VALU_DEP_1)
	v_add_nc_u32_e32 v1, v1, v2
	v_mov_b32_dpp v2, v1 row_ror:8 row_mask:0xf bank_mask:0xf
	s_delay_alu instid0(VALU_DEP_1)
	v_add_nc_u32_e32 v1, v1, v2
	ds_swizzle_b32 v2, v1 offset:swizzle(BROADCAST,32,15)
	s_wait_dscnt 0x0
	v_dual_mov_b32 v2, 0 :: v_dual_add_nc_u32 v1, v1, v2
	ds_bpermute_b32 v1, v2, v1 offset:124
	v_mbcnt_lo_u32_b32 v2, -1, 0
	s_delay_alu instid0(VALU_DEP_1)
	v_cmpx_eq_u32_e32 0, v2
	s_cbranch_execz .LBB386_528
; %bb.527:
	v_lshrrev_b32_e32 v3, 3, v0
	s_delay_alu instid0(VALU_DEP_1)
	v_and_b32_e32 v3, 28, v3
	s_wait_dscnt 0x0
	ds_store_b32 v3, v1 offset:160
.LBB386_528:
	s_or_b32 exec_lo, exec_lo, s3
	s_delay_alu instid0(SALU_CYCLE_1)
	s_mov_b32 s3, exec_lo
	s_wait_dscnt 0x0
	s_barrier_signal -1
	s_barrier_wait -1
	global_inv scope:SCOPE_SE
	v_cmpx_gt_u32_e32 32, v0
	s_cbranch_execz .LBB386_530
; %bb.529:
	v_and_b32_e32 v1, 7, v2
	s_delay_alu instid0(VALU_DEP_1)
	v_lshlrev_b32_e32 v3, 2, v1
	v_cmp_ne_u32_e32 vcc_lo, 7, v1
	ds_load_b32 v3, v3 offset:160
	s_wait_alu 0xfffd
	v_add_co_ci_u32_e64 v4, null, 0, v2, vcc_lo
	v_cmp_gt_u32_e32 vcc_lo, 6, v1
	s_delay_alu instid0(VALU_DEP_2) | instskip(SKIP_2) | instid1(VALU_DEP_1)
	v_lshlrev_b32_e32 v4, 2, v4
	s_wait_alu 0xfffd
	v_cndmask_b32_e64 v1, 0, 2, vcc_lo
	v_add_lshl_u32 v1, v1, v2, 2
	v_lshlrev_b32_e32 v2, 2, v2
	s_delay_alu instid0(VALU_DEP_1)
	v_or_b32_e32 v2, 16, v2
	s_wait_dscnt 0x0
	ds_bpermute_b32 v4, v4, v3
	s_wait_dscnt 0x0
	v_add_nc_u32_e32 v3, v4, v3
	ds_bpermute_b32 v1, v1, v3
	s_wait_dscnt 0x0
	v_add_nc_u32_e32 v1, v1, v3
	;; [unrolled: 3-line block ×3, first 2 shown]
.LBB386_530:
	s_or_b32 exec_lo, exec_lo, s3
	s_mov_b32 s3, 0
	s_branch .LBB386_599
.LBB386_531:
                                        ; implicit-def: $vgpr1
	s_branch .LBB386_597
.LBB386_532:
                                        ; implicit-def: $vgpr1
	s_branch .LBB386_623
.LBB386_533:
	s_mov_b32 s3, -1
                                        ; implicit-def: $vgpr1
.LBB386_534:
	s_delay_alu instid0(SALU_CYCLE_1)
	s_and_b32 vcc_lo, exec_lo, s3
	s_wait_alu 0xfffe
	s_cbranch_vccz .LBB386_572
; %bb.535:
	v_mov_b32_e32 v1, 0
	s_sub_co_i32 s18, s36, s2
	s_mov_b32 s2, exec_lo
	s_delay_alu instid0(VALU_DEP_1)
	v_dual_mov_b32 v2, v1 :: v_dual_mov_b32 v3, v1
	v_dual_mov_b32 v4, v1 :: v_dual_mov_b32 v5, v1
	;; [unrolled: 1-line block ×7, first 2 shown]
	v_mov_b32_e32 v16, v1
	v_cmpx_gt_u32_e64 s18, v0
	s_cbranch_execz .LBB386_537
; %bb.536:
	v_dual_mov_b32 v3, v1 :: v_dual_lshlrev_b32 v2, 3, v0
	v_dual_mov_b32 v16, v1 :: v_dual_mov_b32 v17, v1
	v_dual_mov_b32 v4, v1 :: v_dual_mov_b32 v5, v1
	global_load_b64 v[13:14], v2, s[16:17]
	v_dual_mov_b32 v6, v1 :: v_dual_mov_b32 v7, v1
	v_dual_mov_b32 v8, v1 :: v_dual_mov_b32 v9, v1
	;; [unrolled: 1-line block ×4, first 2 shown]
	s_wait_loadcnt 0x0
	v_cmp_neq_f64_e32 vcc_lo, 0, v[13:14]
	v_dual_mov_b32 v13, v1 :: v_dual_mov_b32 v14, v1
	s_wait_alu 0xfffd
	v_cndmask_b32_e64 v2, 0, 1, vcc_lo
	s_delay_alu instid0(VALU_DEP_1) | instskip(NEXT) | instid1(VALU_DEP_1)
	v_and_b32_e32 v2, 0xffff, v2
	v_mov_b32_e32 v1, v2
	v_mov_b32_e32 v2, v3
	;; [unrolled: 1-line block ×16, first 2 shown]
.LBB386_537:
	s_or_b32 exec_lo, exec_lo, s2
	v_or_b32_e32 v17, 0x100, v0
	s_delay_alu instid0(VALU_DEP_1)
	v_cmp_gt_u32_e32 vcc_lo, s18, v17
	s_and_saveexec_b32 s3, vcc_lo
	s_cbranch_execz .LBB386_539
; %bb.538:
	v_lshlrev_b32_e32 v2, 3, v0
	global_load_b64 v[17:18], v2, s[16:17] offset:2048
	s_wait_loadcnt 0x0
	v_cmp_neq_f64_e64 s2, 0, v[17:18]
	s_delay_alu instid0(VALU_DEP_1)
	v_cndmask_b32_e64 v2, 0, 1, s2
.LBB386_539:
	s_or_b32 exec_lo, exec_lo, s3
	v_or_b32_e32 v17, 0x200, v0
	s_delay_alu instid0(VALU_DEP_1)
	v_cmp_gt_u32_e64 s2, s18, v17
	s_and_saveexec_b32 s4, s2
	s_cbranch_execz .LBB386_541
; %bb.540:
	v_lshlrev_b32_e32 v3, 3, v0
	global_load_b64 v[17:18], v3, s[16:17] offset:4096
	s_wait_loadcnt 0x0
	v_cmp_neq_f64_e64 s3, 0, v[17:18]
	s_wait_alu 0xf1ff
	s_delay_alu instid0(VALU_DEP_1)
	v_cndmask_b32_e64 v3, 0, 1, s3
.LBB386_541:
	s_or_b32 exec_lo, exec_lo, s4
	v_or_b32_e32 v17, 0x300, v0
	s_delay_alu instid0(VALU_DEP_1)
	v_cmp_gt_u32_e64 s3, s18, v17
	s_and_saveexec_b32 s5, s3
	s_cbranch_execz .LBB386_543
; %bb.542:
	v_lshlrev_b32_e32 v4, 3, v0
	global_load_b64 v[17:18], v4, s[16:17] offset:6144
	s_wait_loadcnt 0x0
	v_cmp_neq_f64_e64 s4, 0, v[17:18]
	s_delay_alu instid0(VALU_DEP_1)
	v_cndmask_b32_e64 v4, 0, 1, s4
.LBB386_543:
	s_or_b32 exec_lo, exec_lo, s5
	v_or_b32_e32 v17, 0x400, v0
	s_delay_alu instid0(VALU_DEP_1)
	v_cmp_gt_u32_e64 s4, s18, v17
	s_and_saveexec_b32 s6, s4
	s_cbranch_execz .LBB386_545
; %bb.544:
	v_lshlrev_b32_e32 v5, 3, v0
	global_load_b64 v[17:18], v5, s[16:17] offset:8192
	s_wait_loadcnt 0x0
	v_cmp_neq_f64_e64 s5, 0, v[17:18]
	s_wait_alu 0xf1ff
	s_delay_alu instid0(VALU_DEP_1)
	v_cndmask_b32_e64 v5, 0, 1, s5
.LBB386_545:
	s_or_b32 exec_lo, exec_lo, s6
	v_or_b32_e32 v17, 0x500, v0
	s_delay_alu instid0(VALU_DEP_1)
	v_cmp_gt_u32_e64 s5, s18, v17
	s_and_saveexec_b32 s7, s5
	s_cbranch_execz .LBB386_547
; %bb.546:
	v_lshlrev_b32_e32 v6, 3, v0
	global_load_b64 v[17:18], v6, s[16:17] offset:10240
	s_wait_loadcnt 0x0
	v_cmp_neq_f64_e64 s6, 0, v[17:18]
	s_delay_alu instid0(VALU_DEP_1)
	v_cndmask_b32_e64 v6, 0, 1, s6
.LBB386_547:
	s_or_b32 exec_lo, exec_lo, s7
	v_or_b32_e32 v17, 0x600, v0
	s_delay_alu instid0(VALU_DEP_1)
	v_cmp_gt_u32_e64 s6, s18, v17
	s_and_saveexec_b32 s8, s6
	s_cbranch_execz .LBB386_549
; %bb.548:
	v_lshlrev_b32_e32 v7, 3, v0
	global_load_b64 v[17:18], v7, s[16:17] offset:12288
	s_wait_loadcnt 0x0
	v_cmp_neq_f64_e64 s7, 0, v[17:18]
	s_wait_alu 0xf1ff
	s_delay_alu instid0(VALU_DEP_1)
	v_cndmask_b32_e64 v7, 0, 1, s7
.LBB386_549:
	s_or_b32 exec_lo, exec_lo, s8
	v_or_b32_e32 v17, 0x700, v0
	s_delay_alu instid0(VALU_DEP_1)
	v_cmp_gt_u32_e64 s7, s18, v17
	s_and_saveexec_b32 s9, s7
	s_cbranch_execz .LBB386_551
; %bb.550:
	v_lshlrev_b32_e32 v8, 3, v0
	global_load_b64 v[17:18], v8, s[16:17] offset:14336
	s_wait_loadcnt 0x0
	v_cmp_neq_f64_e64 s8, 0, v[17:18]
	s_delay_alu instid0(VALU_DEP_1)
	v_cndmask_b32_e64 v8, 0, 1, s8
.LBB386_551:
	s_or_b32 exec_lo, exec_lo, s9
	v_or_b32_e32 v17, 0x800, v0
	s_delay_alu instid0(VALU_DEP_1)
	v_cmp_gt_u32_e64 s8, s18, v17
	s_and_saveexec_b32 s10, s8
	s_cbranch_execz .LBB386_553
; %bb.552:
	v_lshlrev_b32_e32 v9, 3, v0
	global_load_b64 v[17:18], v9, s[16:17] offset:16384
	s_wait_loadcnt 0x0
	v_cmp_neq_f64_e64 s9, 0, v[17:18]
	s_wait_alu 0xf1ff
	s_delay_alu instid0(VALU_DEP_1)
	v_cndmask_b32_e64 v9, 0, 1, s9
.LBB386_553:
	s_or_b32 exec_lo, exec_lo, s10
	v_or_b32_e32 v17, 0x900, v0
	s_delay_alu instid0(VALU_DEP_1)
	v_cmp_gt_u32_e64 s9, s18, v17
	s_and_saveexec_b32 s11, s9
	s_cbranch_execz .LBB386_555
; %bb.554:
	v_lshlrev_b32_e32 v10, 3, v0
	global_load_b64 v[17:18], v10, s[16:17] offset:18432
	s_wait_loadcnt 0x0
	v_cmp_neq_f64_e64 s10, 0, v[17:18]
	s_delay_alu instid0(VALU_DEP_1)
	v_cndmask_b32_e64 v10, 0, 1, s10
.LBB386_555:
	s_or_b32 exec_lo, exec_lo, s11
	v_or_b32_e32 v17, 0xa00, v0
	s_delay_alu instid0(VALU_DEP_1)
	v_cmp_gt_u32_e64 s10, s18, v17
	s_and_saveexec_b32 s12, s10
	s_cbranch_execz .LBB386_557
; %bb.556:
	v_lshlrev_b32_e32 v11, 3, v0
	global_load_b64 v[17:18], v11, s[16:17] offset:20480
	s_wait_loadcnt 0x0
	v_cmp_neq_f64_e64 s11, 0, v[17:18]
	s_wait_alu 0xf1ff
	s_delay_alu instid0(VALU_DEP_1)
	v_cndmask_b32_e64 v11, 0, 1, s11
.LBB386_557:
	s_or_b32 exec_lo, exec_lo, s12
	v_or_b32_e32 v17, 0xb00, v0
	s_delay_alu instid0(VALU_DEP_1)
	v_cmp_gt_u32_e64 s11, s18, v17
	s_and_saveexec_b32 s13, s11
	s_cbranch_execz .LBB386_559
; %bb.558:
	v_lshlrev_b32_e32 v12, 3, v0
	global_load_b64 v[17:18], v12, s[16:17] offset:22528
	s_wait_loadcnt 0x0
	v_cmp_neq_f64_e64 s12, 0, v[17:18]
	s_delay_alu instid0(VALU_DEP_1)
	v_cndmask_b32_e64 v12, 0, 1, s12
.LBB386_559:
	s_or_b32 exec_lo, exec_lo, s13
	v_or_b32_e32 v17, 0xc00, v0
	s_delay_alu instid0(VALU_DEP_1)
	v_cmp_gt_u32_e64 s12, s18, v17
	s_and_saveexec_b32 s14, s12
	s_cbranch_execz .LBB386_561
; %bb.560:
	v_lshlrev_b32_e32 v13, 3, v0
	global_load_b64 v[17:18], v13, s[16:17] offset:24576
	s_wait_loadcnt 0x0
	v_cmp_neq_f64_e64 s13, 0, v[17:18]
	s_wait_alu 0xf1ff
	s_delay_alu instid0(VALU_DEP_1)
	v_cndmask_b32_e64 v13, 0, 1, s13
.LBB386_561:
	s_or_b32 exec_lo, exec_lo, s14
	v_or_b32_e32 v17, 0xd00, v0
	s_delay_alu instid0(VALU_DEP_1)
	v_cmp_gt_u32_e64 s13, s18, v17
	s_and_saveexec_b32 s15, s13
	s_cbranch_execz .LBB386_563
; %bb.562:
	v_lshlrev_b32_e32 v14, 3, v0
	global_load_b64 v[17:18], v14, s[16:17] offset:26624
	s_wait_loadcnt 0x0
	v_cmp_neq_f64_e64 s14, 0, v[17:18]
	s_delay_alu instid0(VALU_DEP_1)
	v_cndmask_b32_e64 v14, 0, 1, s14
.LBB386_563:
	s_or_b32 exec_lo, exec_lo, s15
	v_or_b32_e32 v17, 0xe00, v0
	s_delay_alu instid0(VALU_DEP_1)
	v_cmp_gt_u32_e64 s14, s18, v17
	s_and_saveexec_b32 s19, s14
	s_cbranch_execz .LBB386_565
; %bb.564:
	v_lshlrev_b32_e32 v15, 3, v0
	global_load_b64 v[17:18], v15, s[16:17] offset:28672
	s_wait_loadcnt 0x0
	v_cmp_neq_f64_e64 s15, 0, v[17:18]
	s_wait_alu 0xf1ff
	s_delay_alu instid0(VALU_DEP_1)
	v_cndmask_b32_e64 v15, 0, 1, s15
.LBB386_565:
	s_wait_alu 0xfffe
	s_or_b32 exec_lo, exec_lo, s19
	v_or_b32_e32 v17, 0xf00, v0
	s_delay_alu instid0(VALU_DEP_1)
	v_cmp_gt_u32_e64 s15, s18, v17
	s_and_saveexec_b32 s19, s15
	s_cbranch_execz .LBB386_567
; %bb.566:
	v_lshlrev_b32_e32 v16, 3, v0
	global_load_b64 v[16:17], v16, s[16:17] offset:30720
	s_wait_loadcnt 0x0
	v_cmp_neq_f64_e64 s16, 0, v[16:17]
	s_delay_alu instid0(VALU_DEP_1)
	v_cndmask_b32_e64 v16, 0, 1, s16
.LBB386_567:
	s_wait_alu 0xfffe
	s_or_b32 exec_lo, exec_lo, s19
	v_cndmask_b32_e32 v2, 0, v2, vcc_lo
	v_cndmask_b32_e64 v3, 0, v3, s2
	v_cndmask_b32_e64 v4, 0, v4, s3
	s_min_u32 s2, s18, 0x100
	s_mov_b32 s3, exec_lo
	v_add_nc_u32_e32 v1, v2, v1
	v_cndmask_b32_e64 v2, 0, v5, s4
	v_cndmask_b32_e64 v5, 0, v6, s5
	;; [unrolled: 1-line block ×3, first 2 shown]
	s_delay_alu instid0(VALU_DEP_4) | instskip(SKIP_3) | instid1(VALU_DEP_4)
	v_add3_u32 v1, v1, v3, v4
	v_cndmask_b32_e64 v3, 0, v7, s6
	v_cndmask_b32_e64 v4, 0, v8, s7
	;; [unrolled: 1-line block ×3, first 2 shown]
	v_add3_u32 v1, v1, v2, v5
	v_cndmask_b32_e64 v2, 0, v9, s8
	v_cndmask_b32_e64 v5, 0, v10, s9
	s_delay_alu instid0(VALU_DEP_3) | instskip(SKIP_2) | instid1(VALU_DEP_3)
	v_add3_u32 v1, v1, v3, v4
	v_cndmask_b32_e64 v3, 0, v11, s10
	v_cndmask_b32_e64 v4, 0, v12, s11
	v_add3_u32 v1, v1, v2, v5
	v_mbcnt_lo_u32_b32 v2, -1, 0
	v_cndmask_b32_e64 v5, 0, v13, s12
	s_delay_alu instid0(VALU_DEP_3) | instskip(NEXT) | instid1(VALU_DEP_3)
	v_add3_u32 v1, v1, v3, v4
	v_cmp_ne_u32_e32 vcc_lo, 31, v2
	v_cndmask_b32_e64 v3, 0, v16, s15
	s_delay_alu instid0(VALU_DEP_3)
	v_add3_u32 v1, v1, v5, v6
	s_wait_alu 0xfffd
	v_add_co_ci_u32_e64 v4, null, 0, v2, vcc_lo
	v_add_nc_u32_e32 v5, 1, v2
	v_cmp_gt_u32_e32 vcc_lo, 30, v2
	v_add3_u32 v1, v1, v7, v3
	s_delay_alu instid0(VALU_DEP_4)
	v_lshlrev_b32_e32 v4, 2, v4
	s_wait_alu 0xfffd
	v_cndmask_b32_e64 v6, 0, 2, vcc_lo
	ds_bpermute_b32 v3, v4, v1
	v_and_b32_e32 v4, 0xe0, v0
	s_wait_alu 0xfffe
	s_delay_alu instid0(VALU_DEP_1) | instskip(NEXT) | instid1(VALU_DEP_1)
	v_sub_nc_u32_e64 v4, s2, v4 clamp
	v_cmp_lt_u32_e32 vcc_lo, v5, v4
	v_add_lshl_u32 v5, v6, v2, 2
	s_wait_dscnt 0x0
	s_wait_alu 0xfffd
	v_cndmask_b32_e32 v3, 0, v3, vcc_lo
	v_cmp_gt_u32_e32 vcc_lo, 28, v2
	s_delay_alu instid0(VALU_DEP_2) | instskip(SKIP_4) | instid1(VALU_DEP_1)
	v_add_nc_u32_e32 v1, v1, v3
	s_wait_alu 0xfffd
	v_cndmask_b32_e64 v6, 0, 4, vcc_lo
	ds_bpermute_b32 v3, v5, v1
	v_add_nc_u32_e32 v5, 2, v2
	v_cmp_lt_u32_e32 vcc_lo, v5, v4
	v_add_lshl_u32 v5, v6, v2, 2
	s_wait_dscnt 0x0
	s_wait_alu 0xfffd
	v_cndmask_b32_e32 v3, 0, v3, vcc_lo
	v_cmp_gt_u32_e32 vcc_lo, 24, v2
	s_delay_alu instid0(VALU_DEP_2) | instskip(SKIP_4) | instid1(VALU_DEP_1)
	v_add_nc_u32_e32 v1, v1, v3
	s_wait_alu 0xfffd
	v_cndmask_b32_e64 v6, 0, 8, vcc_lo
	ds_bpermute_b32 v3, v5, v1
	v_add_nc_u32_e32 v5, 4, v2
	v_cmp_lt_u32_e32 vcc_lo, v5, v4
	v_add_lshl_u32 v5, v6, v2, 2
	s_wait_dscnt 0x0
	s_wait_alu 0xfffd
	v_cndmask_b32_e32 v3, 0, v3, vcc_lo
	s_delay_alu instid0(VALU_DEP_1) | instskip(SKIP_3) | instid1(VALU_DEP_1)
	v_add_nc_u32_e32 v1, v1, v3
	v_lshlrev_b32_e32 v3, 2, v2
	ds_bpermute_b32 v5, v5, v1
	v_add_nc_u32_e32 v6, 8, v2
	v_cmp_lt_u32_e32 vcc_lo, v6, v4
	v_or_b32_e32 v6, 64, v3
	s_wait_dscnt 0x0
	s_wait_alu 0xfffd
	v_cndmask_b32_e32 v5, 0, v5, vcc_lo
	s_delay_alu instid0(VALU_DEP_1) | instskip(SKIP_2) | instid1(VALU_DEP_1)
	v_add_nc_u32_e32 v1, v1, v5
	ds_bpermute_b32 v5, v6, v1
	v_add_nc_u32_e32 v6, 16, v2
	v_cmp_lt_u32_e32 vcc_lo, v6, v4
	s_wait_dscnt 0x0
	s_wait_alu 0xfffd
	v_cndmask_b32_e32 v4, 0, v5, vcc_lo
	s_delay_alu instid0(VALU_DEP_1)
	v_add_nc_u32_e32 v1, v1, v4
	v_cmpx_eq_u32_e32 0, v2
; %bb.568:
	v_lshrrev_b32_e32 v4, 3, v0
	s_delay_alu instid0(VALU_DEP_1)
	v_and_b32_e32 v4, 28, v4
	ds_store_b32 v4, v1 offset:256
; %bb.569:
	s_or_b32 exec_lo, exec_lo, s3
	s_delay_alu instid0(SALU_CYCLE_1)
	s_mov_b32 s3, exec_lo
	s_wait_loadcnt_dscnt 0x0
	s_barrier_signal -1
	s_barrier_wait -1
	global_inv scope:SCOPE_SE
	v_cmpx_gt_u32_e32 8, v0
	s_cbranch_execz .LBB386_571
; %bb.570:
	ds_load_b32 v1, v3 offset:256
	v_and_b32_e32 v4, 7, v2
	s_add_co_i32 s2, s2, 31
	s_wait_alu 0xfffe
	s_lshr_b32 s2, s2, 5
	s_delay_alu instid0(VALU_DEP_1) | instskip(SKIP_4) | instid1(VALU_DEP_2)
	v_cmp_ne_u32_e32 vcc_lo, 7, v4
	v_add_nc_u32_e32 v6, 1, v4
	s_wait_alu 0xfffd
	v_add_co_ci_u32_e64 v5, null, 0, v2, vcc_lo
	v_cmp_gt_u32_e32 vcc_lo, 6, v4
	v_lshlrev_b32_e32 v5, 2, v5
	s_wait_alu 0xfffd
	v_cndmask_b32_e64 v7, 0, 2, vcc_lo
	s_wait_alu 0xfffe
	v_cmp_gt_u32_e32 vcc_lo, s2, v6
	s_wait_dscnt 0x0
	ds_bpermute_b32 v5, v5, v1
	v_add_lshl_u32 v2, v7, v2, 2
	s_wait_dscnt 0x0
	s_wait_alu 0xfffd
	v_cndmask_b32_e32 v5, 0, v5, vcc_lo
	s_delay_alu instid0(VALU_DEP_1)
	v_add_nc_u32_e32 v1, v5, v1
	v_add_nc_u32_e32 v5, 2, v4
	ds_bpermute_b32 v2, v2, v1
	v_cmp_gt_u32_e32 vcc_lo, s2, v5
	s_wait_dscnt 0x0
	s_wait_alu 0xfffd
	v_cndmask_b32_e32 v2, 0, v2, vcc_lo
	s_delay_alu instid0(VALU_DEP_1)
	v_add_nc_u32_e32 v1, v1, v2
	v_or_b32_e32 v2, 16, v3
	v_add_nc_u32_e32 v3, 4, v4
	ds_bpermute_b32 v2, v2, v1
	v_cmp_gt_u32_e32 vcc_lo, s2, v3
	s_wait_dscnt 0x0
	s_wait_alu 0xfffd
	v_cndmask_b32_e32 v2, 0, v2, vcc_lo
	s_delay_alu instid0(VALU_DEP_1)
	v_add_nc_u32_e32 v1, v1, v2
.LBB386_571:
	s_wait_alu 0xfffe
	s_or_b32 exec_lo, exec_lo, s3
.LBB386_572:
	v_cmp_eq_u32_e64 s2, 0, v0
	s_branch .LBB386_623
.LBB386_573:
	s_mov_b32 s3, -1
                                        ; implicit-def: $vgpr1
.LBB386_574:
	s_delay_alu instid0(SALU_CYCLE_1)
	s_and_b32 vcc_lo, exec_lo, s3
	s_wait_alu 0xfffe
	s_cbranch_vccz .LBB386_596
; %bb.575:
	v_mov_b32_e32 v1, 0
	s_sub_co_i32 s10, s36, s2
	s_mov_b32 s2, exec_lo
	s_delay_alu instid0(VALU_DEP_1)
	v_dual_mov_b32 v2, v1 :: v_dual_mov_b32 v3, v1
	v_dual_mov_b32 v4, v1 :: v_dual_mov_b32 v5, v1
	;; [unrolled: 1-line block ×3, first 2 shown]
	v_mov_b32_e32 v8, v1
	v_cmpx_gt_u32_e64 s10, v0
	s_cbranch_execz .LBB386_577
; %bb.576:
	v_dual_mov_b32 v3, v1 :: v_dual_lshlrev_b32 v2, 3, v0
	v_dual_mov_b32 v8, v1 :: v_dual_mov_b32 v9, v1
	v_mov_b32_e32 v4, v1
	global_load_b64 v[5:6], v2, s[8:9]
	v_mov_b32_e32 v7, v1
	s_wait_loadcnt 0x0
	v_cmp_neq_f64_e32 vcc_lo, 0, v[5:6]
	v_dual_mov_b32 v5, v1 :: v_dual_mov_b32 v6, v1
	s_wait_alu 0xfffd
	v_cndmask_b32_e64 v2, 0, 1, vcc_lo
	s_delay_alu instid0(VALU_DEP_1) | instskip(NEXT) | instid1(VALU_DEP_1)
	v_and_b32_e32 v2, 0xffff, v2
	v_mov_b32_e32 v1, v2
	v_mov_b32_e32 v2, v3
	;; [unrolled: 1-line block ×8, first 2 shown]
.LBB386_577:
	s_or_b32 exec_lo, exec_lo, s2
	v_or_b32_e32 v9, 0x100, v0
	s_delay_alu instid0(VALU_DEP_1)
	v_cmp_gt_u32_e32 vcc_lo, s10, v9
	s_and_saveexec_b32 s3, vcc_lo
	s_cbranch_execz .LBB386_579
; %bb.578:
	v_lshlrev_b32_e32 v2, 3, v0
	global_load_b64 v[9:10], v2, s[8:9] offset:2048
	s_wait_loadcnt 0x0
	v_cmp_neq_f64_e64 s2, 0, v[9:10]
	s_delay_alu instid0(VALU_DEP_1)
	v_cndmask_b32_e64 v2, 0, 1, s2
.LBB386_579:
	s_or_b32 exec_lo, exec_lo, s3
	v_or_b32_e32 v9, 0x200, v0
	s_delay_alu instid0(VALU_DEP_1)
	v_cmp_gt_u32_e64 s2, s10, v9
	s_and_saveexec_b32 s4, s2
	s_cbranch_execz .LBB386_581
; %bb.580:
	v_lshlrev_b32_e32 v3, 3, v0
	global_load_b64 v[9:10], v3, s[8:9] offset:4096
	s_wait_loadcnt 0x0
	v_cmp_neq_f64_e64 s3, 0, v[9:10]
	s_wait_alu 0xf1ff
	s_delay_alu instid0(VALU_DEP_1)
	v_cndmask_b32_e64 v3, 0, 1, s3
.LBB386_581:
	s_or_b32 exec_lo, exec_lo, s4
	v_or_b32_e32 v9, 0x300, v0
	s_delay_alu instid0(VALU_DEP_1)
	v_cmp_gt_u32_e64 s3, s10, v9
	s_and_saveexec_b32 s5, s3
	s_cbranch_execz .LBB386_583
; %bb.582:
	v_lshlrev_b32_e32 v4, 3, v0
	global_load_b64 v[9:10], v4, s[8:9] offset:6144
	s_wait_loadcnt 0x0
	v_cmp_neq_f64_e64 s4, 0, v[9:10]
	s_delay_alu instid0(VALU_DEP_1)
	v_cndmask_b32_e64 v4, 0, 1, s4
.LBB386_583:
	s_or_b32 exec_lo, exec_lo, s5
	v_or_b32_e32 v9, 0x400, v0
	s_delay_alu instid0(VALU_DEP_1)
	v_cmp_gt_u32_e64 s4, s10, v9
	s_and_saveexec_b32 s6, s4
	s_cbranch_execz .LBB386_585
; %bb.584:
	v_lshlrev_b32_e32 v5, 3, v0
	global_load_b64 v[9:10], v5, s[8:9] offset:8192
	s_wait_loadcnt 0x0
	v_cmp_neq_f64_e64 s5, 0, v[9:10]
	s_wait_alu 0xf1ff
	s_delay_alu instid0(VALU_DEP_1)
	v_cndmask_b32_e64 v5, 0, 1, s5
.LBB386_585:
	s_or_b32 exec_lo, exec_lo, s6
	v_or_b32_e32 v9, 0x500, v0
	s_delay_alu instid0(VALU_DEP_1)
	v_cmp_gt_u32_e64 s5, s10, v9
	s_and_saveexec_b32 s7, s5
	s_cbranch_execz .LBB386_587
; %bb.586:
	v_lshlrev_b32_e32 v6, 3, v0
	global_load_b64 v[9:10], v6, s[8:9] offset:10240
	s_wait_loadcnt 0x0
	v_cmp_neq_f64_e64 s6, 0, v[9:10]
	s_delay_alu instid0(VALU_DEP_1)
	v_cndmask_b32_e64 v6, 0, 1, s6
.LBB386_587:
	s_or_b32 exec_lo, exec_lo, s7
	v_or_b32_e32 v9, 0x600, v0
	s_delay_alu instid0(VALU_DEP_1)
	v_cmp_gt_u32_e64 s6, s10, v9
	s_and_saveexec_b32 s11, s6
	s_cbranch_execz .LBB386_589
; %bb.588:
	v_lshlrev_b32_e32 v7, 3, v0
	global_load_b64 v[9:10], v7, s[8:9] offset:12288
	s_wait_loadcnt 0x0
	v_cmp_neq_f64_e64 s7, 0, v[9:10]
	s_wait_alu 0xf1ff
	s_delay_alu instid0(VALU_DEP_1)
	v_cndmask_b32_e64 v7, 0, 1, s7
.LBB386_589:
	s_wait_alu 0xfffe
	s_or_b32 exec_lo, exec_lo, s11
	v_or_b32_e32 v9, 0x700, v0
	s_delay_alu instid0(VALU_DEP_1)
	v_cmp_gt_u32_e64 s7, s10, v9
	s_and_saveexec_b32 s11, s7
	s_cbranch_execz .LBB386_591
; %bb.590:
	v_lshlrev_b32_e32 v8, 3, v0
	global_load_b64 v[8:9], v8, s[8:9] offset:14336
	s_wait_loadcnt 0x0
	v_cmp_neq_f64_e64 s8, 0, v[8:9]
	s_delay_alu instid0(VALU_DEP_1)
	v_cndmask_b32_e64 v8, 0, 1, s8
.LBB386_591:
	s_wait_alu 0xfffe
	s_or_b32 exec_lo, exec_lo, s11
	v_cndmask_b32_e32 v2, 0, v2, vcc_lo
	v_cndmask_b32_e64 v3, 0, v3, s2
	v_cndmask_b32_e64 v4, 0, v4, s3
	v_cndmask_b32_e64 v5, 0, v5, s4
	v_cndmask_b32_e64 v6, 0, v6, s5
	v_add_nc_u32_e32 v1, v2, v1
	v_mbcnt_lo_u32_b32 v2, -1, 0
	v_cndmask_b32_e64 v7, 0, v7, s6
	s_min_u32 s2, s10, 0x100
	s_mov_b32 s3, exec_lo
	v_add3_u32 v1, v1, v3, v4
	v_cmp_ne_u32_e32 vcc_lo, 31, v2
	v_cndmask_b32_e64 v3, 0, v8, s7
	s_delay_alu instid0(VALU_DEP_3)
	v_add3_u32 v1, v1, v5, v6
	s_wait_alu 0xfffd
	v_add_co_ci_u32_e64 v4, null, 0, v2, vcc_lo
	v_add_nc_u32_e32 v5, 1, v2
	v_cmp_gt_u32_e32 vcc_lo, 30, v2
	v_add3_u32 v1, v1, v7, v3
	s_delay_alu instid0(VALU_DEP_4)
	v_lshlrev_b32_e32 v4, 2, v4
	s_wait_alu 0xfffd
	v_cndmask_b32_e64 v6, 0, 2, vcc_lo
	ds_bpermute_b32 v3, v4, v1
	v_and_b32_e32 v4, 0xe0, v0
	s_wait_alu 0xfffe
	s_delay_alu instid0(VALU_DEP_1) | instskip(NEXT) | instid1(VALU_DEP_1)
	v_sub_nc_u32_e64 v4, s2, v4 clamp
	v_cmp_lt_u32_e32 vcc_lo, v5, v4
	v_add_lshl_u32 v5, v6, v2, 2
	s_wait_dscnt 0x0
	s_wait_alu 0xfffd
	v_cndmask_b32_e32 v3, 0, v3, vcc_lo
	v_cmp_gt_u32_e32 vcc_lo, 28, v2
	s_delay_alu instid0(VALU_DEP_2) | instskip(SKIP_4) | instid1(VALU_DEP_1)
	v_add_nc_u32_e32 v1, v1, v3
	s_wait_alu 0xfffd
	v_cndmask_b32_e64 v6, 0, 4, vcc_lo
	ds_bpermute_b32 v3, v5, v1
	v_add_nc_u32_e32 v5, 2, v2
	v_cmp_lt_u32_e32 vcc_lo, v5, v4
	v_add_lshl_u32 v5, v6, v2, 2
	s_wait_dscnt 0x0
	s_wait_alu 0xfffd
	v_cndmask_b32_e32 v3, 0, v3, vcc_lo
	v_cmp_gt_u32_e32 vcc_lo, 24, v2
	s_delay_alu instid0(VALU_DEP_2) | instskip(SKIP_4) | instid1(VALU_DEP_1)
	v_add_nc_u32_e32 v1, v1, v3
	s_wait_alu 0xfffd
	v_cndmask_b32_e64 v6, 0, 8, vcc_lo
	ds_bpermute_b32 v3, v5, v1
	v_add_nc_u32_e32 v5, 4, v2
	v_cmp_lt_u32_e32 vcc_lo, v5, v4
	v_add_lshl_u32 v5, v6, v2, 2
	s_wait_dscnt 0x0
	s_wait_alu 0xfffd
	v_cndmask_b32_e32 v3, 0, v3, vcc_lo
	s_delay_alu instid0(VALU_DEP_1) | instskip(SKIP_3) | instid1(VALU_DEP_1)
	v_add_nc_u32_e32 v1, v1, v3
	v_lshlrev_b32_e32 v3, 2, v2
	ds_bpermute_b32 v5, v5, v1
	v_add_nc_u32_e32 v6, 8, v2
	v_cmp_lt_u32_e32 vcc_lo, v6, v4
	v_or_b32_e32 v6, 64, v3
	s_wait_dscnt 0x0
	s_wait_alu 0xfffd
	v_cndmask_b32_e32 v5, 0, v5, vcc_lo
	s_delay_alu instid0(VALU_DEP_1) | instskip(SKIP_2) | instid1(VALU_DEP_1)
	v_add_nc_u32_e32 v1, v1, v5
	ds_bpermute_b32 v5, v6, v1
	v_add_nc_u32_e32 v6, 16, v2
	v_cmp_lt_u32_e32 vcc_lo, v6, v4
	s_wait_dscnt 0x0
	s_wait_alu 0xfffd
	v_cndmask_b32_e32 v4, 0, v5, vcc_lo
	s_delay_alu instid0(VALU_DEP_1)
	v_add_nc_u32_e32 v1, v1, v4
	v_cmpx_eq_u32_e32 0, v2
; %bb.592:
	v_lshrrev_b32_e32 v4, 3, v0
	s_delay_alu instid0(VALU_DEP_1)
	v_and_b32_e32 v4, 28, v4
	ds_store_b32 v4, v1 offset:256
; %bb.593:
	s_or_b32 exec_lo, exec_lo, s3
	s_delay_alu instid0(SALU_CYCLE_1)
	s_mov_b32 s3, exec_lo
	s_wait_loadcnt_dscnt 0x0
	s_barrier_signal -1
	s_barrier_wait -1
	global_inv scope:SCOPE_SE
	v_cmpx_gt_u32_e32 8, v0
	s_cbranch_execz .LBB386_595
; %bb.594:
	ds_load_b32 v1, v3 offset:256
	v_and_b32_e32 v4, 7, v2
	s_add_co_i32 s2, s2, 31
	s_wait_alu 0xfffe
	s_lshr_b32 s2, s2, 5
	s_delay_alu instid0(VALU_DEP_1) | instskip(SKIP_4) | instid1(VALU_DEP_2)
	v_cmp_ne_u32_e32 vcc_lo, 7, v4
	v_add_nc_u32_e32 v6, 1, v4
	s_wait_alu 0xfffd
	v_add_co_ci_u32_e64 v5, null, 0, v2, vcc_lo
	v_cmp_gt_u32_e32 vcc_lo, 6, v4
	v_lshlrev_b32_e32 v5, 2, v5
	s_wait_alu 0xfffd
	v_cndmask_b32_e64 v7, 0, 2, vcc_lo
	s_wait_alu 0xfffe
	v_cmp_gt_u32_e32 vcc_lo, s2, v6
	s_wait_dscnt 0x0
	ds_bpermute_b32 v5, v5, v1
	v_add_lshl_u32 v2, v7, v2, 2
	s_wait_dscnt 0x0
	s_wait_alu 0xfffd
	v_cndmask_b32_e32 v5, 0, v5, vcc_lo
	s_delay_alu instid0(VALU_DEP_1)
	v_add_nc_u32_e32 v1, v5, v1
	v_add_nc_u32_e32 v5, 2, v4
	ds_bpermute_b32 v2, v2, v1
	v_cmp_gt_u32_e32 vcc_lo, s2, v5
	s_wait_dscnt 0x0
	s_wait_alu 0xfffd
	v_cndmask_b32_e32 v2, 0, v2, vcc_lo
	s_delay_alu instid0(VALU_DEP_1)
	v_add_nc_u32_e32 v1, v1, v2
	v_or_b32_e32 v2, 16, v3
	v_add_nc_u32_e32 v3, 4, v4
	ds_bpermute_b32 v2, v2, v1
	v_cmp_gt_u32_e32 vcc_lo, s2, v3
	s_wait_dscnt 0x0
	s_wait_alu 0xfffd
	v_cndmask_b32_e32 v2, 0, v2, vcc_lo
	s_delay_alu instid0(VALU_DEP_1)
	v_add_nc_u32_e32 v1, v1, v2
.LBB386_595:
	s_wait_alu 0xfffe
	s_or_b32 exec_lo, exec_lo, s3
.LBB386_596:
	v_cmp_eq_u32_e64 s2, 0, v0
.LBB386_597:
	s_branch .LBB386_623
.LBB386_598:
	s_mov_b32 s3, -1
                                        ; implicit-def: $vgpr1
.LBB386_599:
	s_delay_alu instid0(SALU_CYCLE_1)
	s_and_b32 vcc_lo, exec_lo, s3
	s_wait_alu 0xfffe
	s_cbranch_vccz .LBB386_613
; %bb.600:
	v_mov_b32_e32 v1, 0
	s_sub_co_i32 s6, s36, s2
	s_mov_b32 s2, exec_lo
	s_delay_alu instid0(VALU_DEP_1)
	v_dual_mov_b32 v2, v1 :: v_dual_mov_b32 v3, v1
	v_mov_b32_e32 v4, v1
	v_cmpx_gt_u32_e64 s6, v0
	s_cbranch_execz .LBB386_602
; %bb.601:
	v_lshlrev_b32_e32 v2, 3, v0
	v_dual_mov_b32 v4, v1 :: v_dual_mov_b32 v5, v1
	global_load_b64 v[2:3], v2, s[4:5]
	s_wait_loadcnt 0x0
	v_cmp_neq_f64_e32 vcc_lo, 0, v[2:3]
	v_mov_b32_e32 v3, v1
	s_wait_alu 0xfffd
	v_cndmask_b32_e64 v2, 0, 1, vcc_lo
	s_delay_alu instid0(VALU_DEP_1) | instskip(NEXT) | instid1(VALU_DEP_1)
	v_and_b32_e32 v2, 0xffff, v2
	v_mov_b32_e32 v1, v2
	v_mov_b32_e32 v2, v3
	;; [unrolled: 1-line block ×4, first 2 shown]
.LBB386_602:
	s_or_b32 exec_lo, exec_lo, s2
	v_or_b32_e32 v5, 0x100, v0
	s_delay_alu instid0(VALU_DEP_1)
	v_cmp_gt_u32_e32 vcc_lo, s6, v5
	s_and_saveexec_b32 s3, vcc_lo
	s_cbranch_execz .LBB386_604
; %bb.603:
	v_lshlrev_b32_e32 v2, 3, v0
	global_load_b64 v[5:6], v2, s[4:5] offset:2048
	s_wait_loadcnt 0x0
	v_cmp_neq_f64_e64 s2, 0, v[5:6]
	s_delay_alu instid0(VALU_DEP_1)
	v_cndmask_b32_e64 v2, 0, 1, s2
.LBB386_604:
	s_or_b32 exec_lo, exec_lo, s3
	v_or_b32_e32 v5, 0x200, v0
	s_delay_alu instid0(VALU_DEP_1)
	v_cmp_gt_u32_e64 s2, s6, v5
	s_and_saveexec_b32 s7, s2
	s_cbranch_execz .LBB386_606
; %bb.605:
	v_lshlrev_b32_e32 v3, 3, v0
	global_load_b64 v[5:6], v3, s[4:5] offset:4096
	s_wait_loadcnt 0x0
	v_cmp_neq_f64_e64 s3, 0, v[5:6]
	s_wait_alu 0xf1ff
	s_delay_alu instid0(VALU_DEP_1)
	v_cndmask_b32_e64 v3, 0, 1, s3
.LBB386_606:
	s_wait_alu 0xfffe
	s_or_b32 exec_lo, exec_lo, s7
	v_or_b32_e32 v5, 0x300, v0
	s_delay_alu instid0(VALU_DEP_1)
	v_cmp_gt_u32_e64 s3, s6, v5
	s_and_saveexec_b32 s7, s3
	s_cbranch_execz .LBB386_608
; %bb.607:
	v_lshlrev_b32_e32 v4, 3, v0
	global_load_b64 v[4:5], v4, s[4:5] offset:6144
	s_wait_loadcnt 0x0
	v_cmp_neq_f64_e64 s4, 0, v[4:5]
	s_delay_alu instid0(VALU_DEP_1)
	v_cndmask_b32_e64 v4, 0, 1, s4
.LBB386_608:
	s_wait_alu 0xfffe
	s_or_b32 exec_lo, exec_lo, s7
	v_cndmask_b32_e32 v5, 0, v2, vcc_lo
	v_mbcnt_lo_u32_b32 v2, -1, 0
	v_cndmask_b32_e64 v3, 0, v3, s2
	v_cndmask_b32_e64 v4, 0, v4, s3
	s_min_u32 s2, s6, 0x100
	v_add_nc_u32_e32 v1, v5, v1
	v_cmp_ne_u32_e32 vcc_lo, 31, v2
	s_mov_b32 s3, exec_lo
	s_delay_alu instid0(VALU_DEP_2) | instskip(SKIP_4) | instid1(VALU_DEP_3)
	v_add3_u32 v1, v1, v3, v4
	s_wait_alu 0xfffd
	v_add_co_ci_u32_e64 v5, null, 0, v2, vcc_lo
	v_and_b32_e32 v4, 0xe0, v0
	v_cmp_gt_u32_e32 vcc_lo, 30, v2
	v_lshlrev_b32_e32 v3, 2, v5
	v_add_nc_u32_e32 v5, 1, v2
	s_wait_alu 0xfffe
	v_sub_nc_u32_e64 v4, s2, v4 clamp
	s_wait_alu 0xfffd
	v_cndmask_b32_e64 v6, 0, 2, vcc_lo
	ds_bpermute_b32 v3, v3, v1
	v_cmp_lt_u32_e32 vcc_lo, v5, v4
	v_add_lshl_u32 v5, v6, v2, 2
	s_wait_dscnt 0x0
	s_wait_alu 0xfffd
	v_cndmask_b32_e32 v3, 0, v3, vcc_lo
	v_cmp_gt_u32_e32 vcc_lo, 28, v2
	s_delay_alu instid0(VALU_DEP_2) | instskip(SKIP_4) | instid1(VALU_DEP_1)
	v_add_nc_u32_e32 v1, v3, v1
	s_wait_alu 0xfffd
	v_cndmask_b32_e64 v6, 0, 4, vcc_lo
	ds_bpermute_b32 v3, v5, v1
	v_add_nc_u32_e32 v5, 2, v2
	v_cmp_lt_u32_e32 vcc_lo, v5, v4
	v_add_lshl_u32 v5, v6, v2, 2
	s_wait_dscnt 0x0
	s_wait_alu 0xfffd
	v_cndmask_b32_e32 v3, 0, v3, vcc_lo
	v_cmp_gt_u32_e32 vcc_lo, 24, v2
	s_delay_alu instid0(VALU_DEP_2) | instskip(SKIP_4) | instid1(VALU_DEP_1)
	v_add_nc_u32_e32 v1, v1, v3
	s_wait_alu 0xfffd
	v_cndmask_b32_e64 v6, 0, 8, vcc_lo
	ds_bpermute_b32 v3, v5, v1
	v_add_nc_u32_e32 v5, 4, v2
	v_cmp_lt_u32_e32 vcc_lo, v5, v4
	v_add_lshl_u32 v5, v6, v2, 2
	s_wait_dscnt 0x0
	s_wait_alu 0xfffd
	v_dual_cndmask_b32 v3, 0, v3 :: v_dual_add_nc_u32 v6, 8, v2
	s_delay_alu instid0(VALU_DEP_1) | instskip(NEXT) | instid1(VALU_DEP_2)
	v_cmp_lt_u32_e32 vcc_lo, v6, v4
	v_add_nc_u32_e32 v1, v1, v3
	v_lshlrev_b32_e32 v3, 2, v2
	ds_bpermute_b32 v5, v5, v1
	v_or_b32_e32 v6, 64, v3
	s_wait_dscnt 0x0
	s_wait_alu 0xfffd
	v_cndmask_b32_e32 v5, 0, v5, vcc_lo
	s_delay_alu instid0(VALU_DEP_1) | instskip(SKIP_2) | instid1(VALU_DEP_1)
	v_add_nc_u32_e32 v1, v1, v5
	ds_bpermute_b32 v5, v6, v1
	v_add_nc_u32_e32 v6, 16, v2
	v_cmp_lt_u32_e32 vcc_lo, v6, v4
	s_wait_dscnt 0x0
	s_wait_alu 0xfffd
	v_cndmask_b32_e32 v4, 0, v5, vcc_lo
	s_delay_alu instid0(VALU_DEP_1)
	v_add_nc_u32_e32 v1, v1, v4
	v_cmpx_eq_u32_e32 0, v2
; %bb.609:
	v_lshrrev_b32_e32 v4, 3, v0
	s_delay_alu instid0(VALU_DEP_1)
	v_and_b32_e32 v4, 28, v4
	ds_store_b32 v4, v1 offset:256
; %bb.610:
	s_or_b32 exec_lo, exec_lo, s3
	s_delay_alu instid0(SALU_CYCLE_1)
	s_mov_b32 s3, exec_lo
	s_wait_loadcnt_dscnt 0x0
	s_barrier_signal -1
	s_barrier_wait -1
	global_inv scope:SCOPE_SE
	v_cmpx_gt_u32_e32 8, v0
	s_cbranch_execz .LBB386_612
; %bb.611:
	ds_load_b32 v1, v3 offset:256
	v_and_b32_e32 v4, 7, v2
	s_add_co_i32 s2, s2, 31
	s_wait_alu 0xfffe
	s_lshr_b32 s2, s2, 5
	s_delay_alu instid0(VALU_DEP_1) | instskip(SKIP_4) | instid1(VALU_DEP_2)
	v_cmp_ne_u32_e32 vcc_lo, 7, v4
	v_add_nc_u32_e32 v6, 1, v4
	s_wait_alu 0xfffd
	v_add_co_ci_u32_e64 v5, null, 0, v2, vcc_lo
	v_cmp_gt_u32_e32 vcc_lo, 6, v4
	v_lshlrev_b32_e32 v5, 2, v5
	s_wait_alu 0xfffd
	v_cndmask_b32_e64 v7, 0, 2, vcc_lo
	s_wait_alu 0xfffe
	v_cmp_gt_u32_e32 vcc_lo, s2, v6
	s_wait_dscnt 0x0
	ds_bpermute_b32 v5, v5, v1
	v_add_lshl_u32 v2, v7, v2, 2
	s_wait_dscnt 0x0
	s_wait_alu 0xfffd
	v_cndmask_b32_e32 v5, 0, v5, vcc_lo
	s_delay_alu instid0(VALU_DEP_1)
	v_add_nc_u32_e32 v1, v5, v1
	v_add_nc_u32_e32 v5, 2, v4
	ds_bpermute_b32 v2, v2, v1
	v_cmp_gt_u32_e32 vcc_lo, s2, v5
	s_wait_dscnt 0x0
	s_wait_alu 0xfffd
	v_cndmask_b32_e32 v2, 0, v2, vcc_lo
	s_delay_alu instid0(VALU_DEP_1)
	v_add_nc_u32_e32 v1, v1, v2
	v_or_b32_e32 v2, 16, v3
	v_add_nc_u32_e32 v3, 4, v4
	ds_bpermute_b32 v2, v2, v1
	v_cmp_gt_u32_e32 vcc_lo, s2, v3
	s_wait_dscnt 0x0
	s_wait_alu 0xfffd
	v_cndmask_b32_e32 v2, 0, v2, vcc_lo
	s_delay_alu instid0(VALU_DEP_1)
	v_add_nc_u32_e32 v1, v1, v2
.LBB386_612:
	s_wait_alu 0xfffe
	s_or_b32 exec_lo, exec_lo, s3
.LBB386_613:
	v_cmp_eq_u32_e64 s2, 0, v0
	s_branch .LBB386_623
.LBB386_614:
	s_cmp_gt_i32 s44, 1
	s_cbranch_scc0 .LBB386_622
; %bb.615:
	s_cmp_eq_u32 s44, 2
	s_cbranch_scc0 .LBB386_626
; %bb.616:
	s_mov_b32 s35, 0
	s_lshl_b32 s4, s34, 9
	s_mov_b32 s5, s35
	s_lshr_b64 s[2:3], s[36:37], 9
	s_lshl_b64 s[6:7], s[4:5], 3
	s_cmp_lg_u64 s[2:3], s[34:35]
	s_add_nc_u64 s[2:3], s[40:41], s[6:7]
	s_cbranch_scc0 .LBB386_627
; %bb.617:
	v_lshlrev_b32_e32 v3, 3, v0
	s_mov_b32 s5, exec_lo
	s_clause 0x1
	global_load_b64 v[1:2], v3, s[2:3]
	global_load_b64 v[3:4], v3, s[2:3] offset:2048
	s_wait_loadcnt 0x1
	v_cmp_neq_f64_e32 vcc_lo, 0, v[1:2]
	v_cndmask_b32_e64 v1, 0, 1, vcc_lo
	s_wait_loadcnt 0x0
	v_cmp_neq_f64_e32 vcc_lo, 0, v[3:4]
	s_wait_alu 0xfffd
	s_delay_alu instid0(VALU_DEP_2) | instskip(NEXT) | instid1(VALU_DEP_1)
	v_add_co_ci_u32_e64 v2, null, 0, v1, vcc_lo
	v_mov_b32_dpp v2, v2 quad_perm:[1,0,3,2] row_mask:0xf bank_mask:0xf
	s_delay_alu instid0(VALU_DEP_1) | instskip(NEXT) | instid1(VALU_DEP_1)
	v_add_co_ci_u32_e64 v1, null, v2, v1, vcc_lo
	v_mov_b32_dpp v2, v1 quad_perm:[2,3,0,1] row_mask:0xf bank_mask:0xf
	s_delay_alu instid0(VALU_DEP_1) | instskip(NEXT) | instid1(VALU_DEP_1)
	v_add_nc_u32_e32 v1, v1, v2
	v_mov_b32_dpp v2, v1 row_ror:4 row_mask:0xf bank_mask:0xf
	s_delay_alu instid0(VALU_DEP_1) | instskip(NEXT) | instid1(VALU_DEP_1)
	v_add_nc_u32_e32 v1, v1, v2
	v_mov_b32_dpp v2, v1 row_ror:8 row_mask:0xf bank_mask:0xf
	s_delay_alu instid0(VALU_DEP_1)
	v_add_nc_u32_e32 v1, v1, v2
	ds_swizzle_b32 v2, v1 offset:swizzle(BROADCAST,32,15)
	s_wait_dscnt 0x0
	v_dual_mov_b32 v2, 0 :: v_dual_add_nc_u32 v1, v1, v2
	ds_bpermute_b32 v1, v2, v1 offset:124
	v_mbcnt_lo_u32_b32 v2, -1, 0
	s_delay_alu instid0(VALU_DEP_1)
	v_cmpx_eq_u32_e32 0, v2
	s_cbranch_execz .LBB386_619
; %bb.618:
	v_lshrrev_b32_e32 v3, 3, v0
	s_delay_alu instid0(VALU_DEP_1)
	v_and_b32_e32 v3, 28, v3
	s_wait_dscnt 0x0
	ds_store_b32 v3, v1 offset:96
.LBB386_619:
	s_or_b32 exec_lo, exec_lo, s5
	s_delay_alu instid0(SALU_CYCLE_1)
	s_mov_b32 s5, exec_lo
	s_wait_dscnt 0x0
	s_barrier_signal -1
	s_barrier_wait -1
	global_inv scope:SCOPE_SE
	v_cmpx_gt_u32_e32 32, v0
	s_cbranch_execz .LBB386_621
; %bb.620:
	v_lshl_or_b32 v1, v2, 2, 0x60
	v_and_b32_e32 v3, 7, v2
	ds_load_b32 v1, v1
	v_cmp_ne_u32_e32 vcc_lo, 7, v3
	s_wait_alu 0xfffd
	v_add_co_ci_u32_e64 v4, null, 0, v2, vcc_lo
	v_cmp_gt_u32_e32 vcc_lo, 6, v3
	s_delay_alu instid0(VALU_DEP_2) | instskip(SKIP_2) | instid1(VALU_DEP_1)
	v_lshlrev_b32_e32 v4, 2, v4
	s_wait_alu 0xfffd
	v_cndmask_b32_e64 v3, 0, 2, vcc_lo
	v_add_lshl_u32 v3, v3, v2, 2
	v_lshlrev_b32_e32 v2, 2, v2
	s_wait_dscnt 0x0
	ds_bpermute_b32 v4, v4, v1
	v_or_b32_e32 v2, 16, v2
	s_wait_dscnt 0x0
	v_add_nc_u32_e32 v1, v4, v1
	ds_bpermute_b32 v3, v3, v1
	s_wait_dscnt 0x0
	v_add_nc_u32_e32 v1, v3, v1
	ds_bpermute_b32 v2, v2, v1
	s_wait_dscnt 0x0
	v_add_nc_u32_e32 v1, v2, v1
.LBB386_621:
	s_or_b32 exec_lo, exec_lo, s5
	s_mov_b32 s5, 0
	s_branch .LBB386_628
.LBB386_622:
                                        ; implicit-def: $vgpr1
	s_cbranch_execnz .LBB386_639
.LBB386_623:
	s_delay_alu instid0(VALU_DEP_1)
	s_and_saveexec_b32 s3, s2
	s_cbranch_execz .LBB386_625
.LBB386_624:
	s_load_b32 s2, s[0:1], 0x28
	s_lshl_b64 s[0:1], s[34:35], 2
	s_cmp_lg_u64 s[36:37], 0
	s_add_nc_u64 s[0:1], s[38:39], s[0:1]
	s_cselect_b32 vcc_lo, -1, 0
	s_wait_alu 0xfffe
	v_dual_cndmask_b32 v0, 0, v1 :: v_dual_mov_b32 v1, 0
	s_wait_kmcnt 0x0
	s_delay_alu instid0(VALU_DEP_1)
	v_add_nc_u32_e32 v0, s2, v0
	global_store_b32 v1, v0, s[0:1]
.LBB386_625:
	s_nop 0
	s_sendmsg sendmsg(MSG_DEALLOC_VGPRS)
	s_endpgm
.LBB386_626:
                                        ; implicit-def: $vgpr1
	s_branch .LBB386_623
.LBB386_627:
	s_mov_b32 s5, -1
                                        ; implicit-def: $vgpr1
.LBB386_628:
	s_delay_alu instid0(SALU_CYCLE_1)
	s_and_b32 vcc_lo, exec_lo, s5
	s_wait_alu 0xfffe
	s_cbranch_vccz .LBB386_638
; %bb.629:
	v_mov_b32_e32 v1, 0
	s_sub_co_i32 s4, s36, s4
	s_mov_b32 s5, exec_lo
	s_delay_alu instid0(VALU_DEP_1)
	v_mov_b32_e32 v2, v1
	v_cmpx_gt_u32_e64 s4, v0
	s_cbranch_execz .LBB386_631
; %bb.630:
	v_lshlrev_b32_e32 v2, 3, v0
	global_load_b64 v[2:3], v2, s[2:3]
	s_wait_loadcnt 0x0
	v_cmp_neq_f64_e32 vcc_lo, 0, v[2:3]
	v_mov_b32_e32 v3, v1
	s_wait_alu 0xfffd
	v_cndmask_b32_e64 v2, 0, 1, vcc_lo
	s_delay_alu instid0(VALU_DEP_1) | instskip(NEXT) | instid1(VALU_DEP_1)
	v_and_b32_e32 v2, 0xffff, v2
	v_mov_b32_e32 v1, v2
	v_mov_b32_e32 v2, v3
.LBB386_631:
	s_or_b32 exec_lo, exec_lo, s5
	v_or_b32_e32 v3, 0x100, v0
	s_delay_alu instid0(VALU_DEP_1)
	v_cmp_gt_u32_e32 vcc_lo, s4, v3
	s_and_saveexec_b32 s5, vcc_lo
	s_cbranch_execz .LBB386_633
; %bb.632:
	v_lshlrev_b32_e32 v2, 3, v0
	global_load_b64 v[2:3], v2, s[2:3] offset:2048
	s_wait_loadcnt 0x0
	v_cmp_neq_f64_e64 s2, 0, v[2:3]
	s_delay_alu instid0(VALU_DEP_1)
	v_cndmask_b32_e64 v2, 0, 1, s2
.LBB386_633:
	s_wait_alu 0xfffe
	s_or_b32 exec_lo, exec_lo, s5
	v_mbcnt_lo_u32_b32 v3, -1, 0
	s_delay_alu instid0(VALU_DEP_2) | instskip(SKIP_2) | instid1(VALU_DEP_2)
	v_cndmask_b32_e32 v2, 0, v2, vcc_lo
	s_min_u32 s2, s4, 0x100
	s_mov_b32 s3, exec_lo
	v_cmp_ne_u32_e32 vcc_lo, 31, v3
	v_add_nc_u32_e32 v5, 1, v3
	v_add_nc_u32_e32 v1, v2, v1
	s_wait_alu 0xfffd
	v_add_co_ci_u32_e64 v4, null, 0, v3, vcc_lo
	v_cmp_gt_u32_e32 vcc_lo, 30, v3
	s_delay_alu instid0(VALU_DEP_2)
	v_lshlrev_b32_e32 v2, 2, v4
	v_and_b32_e32 v4, 0xe0, v0
	s_wait_alu 0xfffd
	v_cndmask_b32_e64 v6, 0, 2, vcc_lo
	ds_bpermute_b32 v2, v2, v1
	s_wait_alu 0xfffe
	v_sub_nc_u32_e64 v4, s2, v4 clamp
	s_delay_alu instid0(VALU_DEP_1)
	v_cmp_lt_u32_e32 vcc_lo, v5, v4
	v_add_lshl_u32 v5, v6, v3, 2
	s_wait_dscnt 0x0
	s_wait_alu 0xfffd
	v_cndmask_b32_e32 v2, 0, v2, vcc_lo
	v_cmp_gt_u32_e32 vcc_lo, 28, v3
	s_delay_alu instid0(VALU_DEP_2) | instskip(SKIP_4) | instid1(VALU_DEP_1)
	v_add_nc_u32_e32 v1, v2, v1
	s_wait_alu 0xfffd
	v_cndmask_b32_e64 v6, 0, 4, vcc_lo
	ds_bpermute_b32 v2, v5, v1
	v_add_nc_u32_e32 v5, 2, v3
	v_cmp_lt_u32_e32 vcc_lo, v5, v4
	v_add_lshl_u32 v5, v6, v3, 2
	s_wait_dscnt 0x0
	s_wait_alu 0xfffd
	v_cndmask_b32_e32 v2, 0, v2, vcc_lo
	v_cmp_gt_u32_e32 vcc_lo, 24, v3
	s_delay_alu instid0(VALU_DEP_2) | instskip(SKIP_4) | instid1(VALU_DEP_1)
	v_add_nc_u32_e32 v1, v1, v2
	s_wait_alu 0xfffd
	v_cndmask_b32_e64 v6, 0, 8, vcc_lo
	ds_bpermute_b32 v2, v5, v1
	v_add_nc_u32_e32 v5, 4, v3
	v_cmp_lt_u32_e32 vcc_lo, v5, v4
	v_add_lshl_u32 v5, v6, v3, 2
	v_add_nc_u32_e32 v6, 8, v3
	s_wait_dscnt 0x0
	s_wait_alu 0xfffd
	v_cndmask_b32_e32 v2, 0, v2, vcc_lo
	s_delay_alu instid0(VALU_DEP_2) | instskip(NEXT) | instid1(VALU_DEP_2)
	v_cmp_lt_u32_e32 vcc_lo, v6, v4
	v_add_nc_u32_e32 v1, v1, v2
	v_lshlrev_b32_e32 v2, 2, v3
	ds_bpermute_b32 v5, v5, v1
	v_or_b32_e32 v6, 64, v2
	s_wait_dscnt 0x0
	s_wait_alu 0xfffd
	v_cndmask_b32_e32 v5, 0, v5, vcc_lo
	s_delay_alu instid0(VALU_DEP_1) | instskip(SKIP_2) | instid1(VALU_DEP_1)
	v_add_nc_u32_e32 v1, v1, v5
	ds_bpermute_b32 v5, v6, v1
	v_add_nc_u32_e32 v6, 16, v3
	v_cmp_lt_u32_e32 vcc_lo, v6, v4
	s_wait_dscnt 0x0
	s_wait_alu 0xfffd
	v_cndmask_b32_e32 v4, 0, v5, vcc_lo
	s_delay_alu instid0(VALU_DEP_1)
	v_add_nc_u32_e32 v1, v1, v4
	v_cmpx_eq_u32_e32 0, v3
; %bb.634:
	v_lshrrev_b32_e32 v4, 3, v0
	s_delay_alu instid0(VALU_DEP_1)
	v_and_b32_e32 v4, 28, v4
	ds_store_b32 v4, v1 offset:256
; %bb.635:
	s_or_b32 exec_lo, exec_lo, s3
	s_delay_alu instid0(SALU_CYCLE_1)
	s_mov_b32 s3, exec_lo
	s_wait_loadcnt_dscnt 0x0
	s_barrier_signal -1
	s_barrier_wait -1
	global_inv scope:SCOPE_SE
	v_cmpx_gt_u32_e32 8, v0
	s_cbranch_execz .LBB386_637
; %bb.636:
	ds_load_b32 v1, v2 offset:256
	v_and_b32_e32 v4, 7, v3
	s_add_co_i32 s2, s2, 31
	v_or_b32_e32 v2, 16, v2
	s_wait_alu 0xfffe
	s_lshr_b32 s2, s2, 5
	v_cmp_ne_u32_e32 vcc_lo, 7, v4
	v_add_nc_u32_e32 v6, 1, v4
	s_wait_alu 0xfffd
	v_add_co_ci_u32_e64 v5, null, 0, v3, vcc_lo
	v_cmp_gt_u32_e32 vcc_lo, 6, v4
	s_delay_alu instid0(VALU_DEP_2)
	v_lshlrev_b32_e32 v5, 2, v5
	s_wait_alu 0xfffd
	v_cndmask_b32_e64 v7, 0, 2, vcc_lo
	s_wait_alu 0xfffe
	v_cmp_gt_u32_e32 vcc_lo, s2, v6
	s_wait_dscnt 0x0
	ds_bpermute_b32 v5, v5, v1
	v_add_lshl_u32 v3, v7, v3, 2
	s_wait_dscnt 0x0
	s_wait_alu 0xfffd
	v_cndmask_b32_e32 v5, 0, v5, vcc_lo
	s_delay_alu instid0(VALU_DEP_1)
	v_add_nc_u32_e32 v1, v5, v1
	v_add_nc_u32_e32 v5, 2, v4
	ds_bpermute_b32 v3, v3, v1
	v_cmp_gt_u32_e32 vcc_lo, s2, v5
	s_wait_dscnt 0x0
	s_wait_alu 0xfffd
	v_cndmask_b32_e32 v3, 0, v3, vcc_lo
	s_delay_alu instid0(VALU_DEP_1)
	v_add_nc_u32_e32 v1, v1, v3
	v_add_nc_u32_e32 v3, 4, v4
	ds_bpermute_b32 v2, v2, v1
	v_cmp_gt_u32_e32 vcc_lo, s2, v3
	s_wait_dscnt 0x0
	s_wait_alu 0xfffd
	v_cndmask_b32_e32 v2, 0, v2, vcc_lo
	s_delay_alu instid0(VALU_DEP_1)
	v_add_nc_u32_e32 v1, v1, v2
.LBB386_637:
	s_wait_alu 0xfffe
	s_or_b32 exec_lo, exec_lo, s3
.LBB386_638:
	v_cmp_eq_u32_e64 s2, 0, v0
	s_branch .LBB386_623
.LBB386_639:
	s_cmp_eq_u32 s44, 1
	s_cbranch_scc0 .LBB386_647
; %bb.640:
	s_mov_b32 s3, 0
	v_mbcnt_lo_u32_b32 v2, -1, 0
	s_lshr_b64 s[4:5], s[36:37], 8
	s_mov_b32 s35, s3
	s_lshl_b32 s2, s34, 8
	s_cmp_lg_u64 s[4:5], s[34:35]
	s_cbranch_scc0 .LBB386_648
; %bb.641:
	v_lshlrev_b32_e32 v1, 3, v0
	s_lshl_b64 s[4:5], s[2:3], 3
	s_delay_alu instid0(SALU_CYCLE_1)
	s_add_nc_u64 s[4:5], s[40:41], s[4:5]
	global_load_b64 v[3:4], v1, s[4:5]
	s_mov_b32 s4, exec_lo
	s_wait_loadcnt 0x0
	v_cmp_neq_f64_e32 vcc_lo, 0, v[3:4]
	v_cndmask_b32_e64 v1, 0, 1, vcc_lo
	s_delay_alu instid0(VALU_DEP_1) | instskip(NEXT) | instid1(VALU_DEP_1)
	v_mov_b32_dpp v1, v1 quad_perm:[1,0,3,2] row_mask:0xf bank_mask:0xf
	v_add_co_ci_u32_e64 v3, null, 0, v1, vcc_lo
	s_delay_alu instid0(VALU_DEP_1) | instskip(NEXT) | instid1(VALU_DEP_1)
	v_mov_b32_dpp v3, v3 quad_perm:[2,3,0,1] row_mask:0xf bank_mask:0xf
	v_add_co_ci_u32_e64 v1, null, v3, v1, vcc_lo
	s_delay_alu instid0(VALU_DEP_1) | instskip(NEXT) | instid1(VALU_DEP_1)
	v_mov_b32_dpp v3, v1 row_ror:4 row_mask:0xf bank_mask:0xf
	v_add_nc_u32_e32 v1, v1, v3
	s_delay_alu instid0(VALU_DEP_1) | instskip(NEXT) | instid1(VALU_DEP_1)
	v_mov_b32_dpp v3, v1 row_ror:8 row_mask:0xf bank_mask:0xf
	v_add_nc_u32_e32 v1, v1, v3
	ds_swizzle_b32 v3, v1 offset:swizzle(BROADCAST,32,15)
	s_wait_dscnt 0x0
	v_add_nc_u32_e32 v1, v1, v3
	v_mov_b32_e32 v3, 0
	ds_bpermute_b32 v1, v3, v1 offset:124
	v_cmpx_eq_u32_e32 0, v2
	s_cbranch_execz .LBB386_643
; %bb.642:
	v_lshrrev_b32_e32 v3, 3, v0
	s_delay_alu instid0(VALU_DEP_1)
	v_and_b32_e32 v3, 28, v3
	s_wait_dscnt 0x0
	ds_store_b32 v3, v1 offset:64
.LBB386_643:
	s_or_b32 exec_lo, exec_lo, s4
	s_delay_alu instid0(SALU_CYCLE_1)
	s_mov_b32 s4, exec_lo
	s_wait_dscnt 0x0
	s_barrier_signal -1
	s_barrier_wait -1
	global_inv scope:SCOPE_SE
	v_cmpx_gt_u32_e32 32, v0
	s_cbranch_execz .LBB386_645
; %bb.644:
	v_and_b32_e32 v1, 7, v2
	s_delay_alu instid0(VALU_DEP_1)
	v_lshlrev_b32_e32 v3, 2, v1
	v_cmp_ne_u32_e32 vcc_lo, 7, v1
	ds_load_b32 v3, v3 offset:64
	s_wait_alu 0xfffd
	v_add_co_ci_u32_e64 v4, null, 0, v2, vcc_lo
	v_cmp_gt_u32_e32 vcc_lo, 6, v1
	s_delay_alu instid0(VALU_DEP_2) | instskip(SKIP_2) | instid1(VALU_DEP_1)
	v_lshlrev_b32_e32 v4, 2, v4
	s_wait_alu 0xfffd
	v_cndmask_b32_e64 v1, 0, 2, vcc_lo
	v_add_lshl_u32 v1, v1, v2, 2
	s_wait_dscnt 0x0
	ds_bpermute_b32 v4, v4, v3
	s_wait_dscnt 0x0
	v_add_nc_u32_e32 v3, v4, v3
	v_lshlrev_b32_e32 v4, 2, v2
	ds_bpermute_b32 v1, v1, v3
	s_wait_dscnt 0x0
	v_add_nc_u32_e32 v1, v1, v3
	v_or_b32_e32 v3, 16, v4
	ds_bpermute_b32 v3, v3, v1
	s_wait_dscnt 0x0
	v_add_nc_u32_e32 v1, v3, v1
.LBB386_645:
	s_or_b32 exec_lo, exec_lo, s4
.LBB386_646:
	v_cmp_eq_u32_e64 s2, 0, v0
	s_and_saveexec_b32 s3, s2
	s_cbranch_execnz .LBB386_624
	s_branch .LBB386_625
.LBB386_647:
                                        ; implicit-def: $vgpr1
                                        ; implicit-def: $sgpr34_sgpr35
	s_and_saveexec_b32 s3, s2
	s_cbranch_execz .LBB386_625
	s_branch .LBB386_624
.LBB386_648:
                                        ; implicit-def: $vgpr1
	s_cbranch_execz .LBB386_646
; %bb.649:
	s_sub_co_i32 s4, s36, s2
	s_mov_b32 s5, exec_lo
                                        ; implicit-def: $vgpr1
	v_cmpx_gt_u32_e64 s4, v0
	s_cbranch_execz .LBB386_651
; %bb.650:
	v_lshlrev_b32_e32 v1, 3, v0
	s_lshl_b64 s[2:3], s[2:3], 3
	s_delay_alu instid0(SALU_CYCLE_1)
	s_add_nc_u64 s[2:3], s[40:41], s[2:3]
	global_load_b64 v[3:4], v1, s[2:3]
	s_wait_loadcnt 0x0
	v_cmp_neq_f64_e32 vcc_lo, 0, v[3:4]
	v_cndmask_b32_e64 v1, 0, 1, vcc_lo
.LBB386_651:
	s_or_b32 exec_lo, exec_lo, s5
	v_cmp_ne_u32_e32 vcc_lo, 31, v2
	s_min_u32 s2, s4, 0x100
	v_add_nc_u32_e32 v5, 1, v2
	s_mov_b32 s3, exec_lo
	s_wait_alu 0xfffd
	v_add_co_ci_u32_e64 v3, null, 0, v2, vcc_lo
	v_cmp_gt_u32_e32 vcc_lo, 30, v2
	s_delay_alu instid0(VALU_DEP_2) | instskip(SKIP_4) | instid1(VALU_DEP_1)
	v_lshlrev_b32_e32 v3, 2, v3
	s_wait_alu 0xfffd
	v_cndmask_b32_e64 v6, 0, 2, vcc_lo
	ds_bpermute_b32 v3, v3, v1
	v_and_b32_e32 v4, 0xe0, v0
	v_sub_nc_u32_e64 v4, s2, v4 clamp
	s_delay_alu instid0(VALU_DEP_1)
	v_cmp_lt_u32_e32 vcc_lo, v5, v4
	v_add_lshl_u32 v5, v6, v2, 2
	s_wait_dscnt 0x0
	s_wait_alu 0xfffd
	v_cndmask_b32_e32 v3, 0, v3, vcc_lo
	v_cmp_gt_u32_e32 vcc_lo, 28, v2
	s_delay_alu instid0(VALU_DEP_2) | instskip(SKIP_4) | instid1(VALU_DEP_1)
	v_add_nc_u32_e32 v1, v3, v1
	s_wait_alu 0xfffd
	v_cndmask_b32_e64 v6, 0, 4, vcc_lo
	ds_bpermute_b32 v3, v5, v1
	v_add_nc_u32_e32 v5, 2, v2
	v_cmp_lt_u32_e32 vcc_lo, v5, v4
	v_add_lshl_u32 v5, v6, v2, 2
	s_wait_dscnt 0x0
	s_wait_alu 0xfffd
	v_cndmask_b32_e32 v3, 0, v3, vcc_lo
	v_cmp_gt_u32_e32 vcc_lo, 24, v2
	s_delay_alu instid0(VALU_DEP_2) | instskip(SKIP_4) | instid1(VALU_DEP_1)
	v_add_nc_u32_e32 v1, v1, v3
	s_wait_alu 0xfffd
	v_cndmask_b32_e64 v6, 0, 8, vcc_lo
	ds_bpermute_b32 v3, v5, v1
	v_add_nc_u32_e32 v5, 4, v2
	v_cmp_lt_u32_e32 vcc_lo, v5, v4
	v_add_lshl_u32 v5, v6, v2, 2
	s_wait_dscnt 0x0
	s_wait_alu 0xfffd
	v_dual_cndmask_b32 v3, 0, v3 :: v_dual_add_nc_u32 v6, 8, v2
	s_delay_alu instid0(VALU_DEP_1) | instskip(NEXT) | instid1(VALU_DEP_2)
	v_cmp_lt_u32_e32 vcc_lo, v6, v4
	v_add_nc_u32_e32 v1, v1, v3
	v_lshlrev_b32_e32 v3, 2, v2
	ds_bpermute_b32 v5, v5, v1
	v_or_b32_e32 v6, 64, v3
	s_wait_dscnt 0x0
	s_wait_alu 0xfffd
	v_cndmask_b32_e32 v5, 0, v5, vcc_lo
	s_delay_alu instid0(VALU_DEP_1) | instskip(SKIP_2) | instid1(VALU_DEP_1)
	v_add_nc_u32_e32 v1, v1, v5
	ds_bpermute_b32 v5, v6, v1
	v_add_nc_u32_e32 v6, 16, v2
	v_cmp_lt_u32_e32 vcc_lo, v6, v4
	s_wait_dscnt 0x0
	s_wait_alu 0xfffd
	v_cndmask_b32_e32 v4, 0, v5, vcc_lo
	s_delay_alu instid0(VALU_DEP_1)
	v_add_nc_u32_e32 v1, v1, v4
	v_cmpx_eq_u32_e32 0, v2
; %bb.652:
	v_lshrrev_b32_e32 v4, 3, v0
	s_delay_alu instid0(VALU_DEP_1)
	v_and_b32_e32 v4, 28, v4
	ds_store_b32 v4, v1 offset:256
; %bb.653:
	s_or_b32 exec_lo, exec_lo, s3
	s_delay_alu instid0(SALU_CYCLE_1)
	s_mov_b32 s3, exec_lo
	s_wait_loadcnt_dscnt 0x0
	s_barrier_signal -1
	s_barrier_wait -1
	global_inv scope:SCOPE_SE
	v_cmpx_gt_u32_e32 8, v0
	s_cbranch_execz .LBB386_655
; %bb.654:
	ds_load_b32 v1, v3 offset:256
	v_and_b32_e32 v4, 7, v2
	s_add_co_i32 s2, s2, 31
	s_wait_alu 0xfffe
	s_lshr_b32 s2, s2, 5
	s_delay_alu instid0(VALU_DEP_1) | instskip(SKIP_4) | instid1(VALU_DEP_2)
	v_cmp_ne_u32_e32 vcc_lo, 7, v4
	v_add_nc_u32_e32 v6, 1, v4
	s_wait_alu 0xfffd
	v_add_co_ci_u32_e64 v5, null, 0, v2, vcc_lo
	v_cmp_gt_u32_e32 vcc_lo, 6, v4
	v_lshlrev_b32_e32 v5, 2, v5
	s_wait_alu 0xfffd
	v_cndmask_b32_e64 v7, 0, 2, vcc_lo
	s_wait_alu 0xfffe
	v_cmp_gt_u32_e32 vcc_lo, s2, v6
	s_wait_dscnt 0x0
	ds_bpermute_b32 v5, v5, v1
	v_add_lshl_u32 v2, v7, v2, 2
	s_wait_dscnt 0x0
	s_wait_alu 0xfffd
	v_cndmask_b32_e32 v5, 0, v5, vcc_lo
	s_delay_alu instid0(VALU_DEP_1)
	v_add_nc_u32_e32 v1, v5, v1
	v_add_nc_u32_e32 v5, 2, v4
	ds_bpermute_b32 v2, v2, v1
	v_cmp_gt_u32_e32 vcc_lo, s2, v5
	s_wait_dscnt 0x0
	s_wait_alu 0xfffd
	v_cndmask_b32_e32 v2, 0, v2, vcc_lo
	s_delay_alu instid0(VALU_DEP_1)
	v_add_nc_u32_e32 v1, v1, v2
	v_or_b32_e32 v2, 16, v3
	v_add_nc_u32_e32 v3, 4, v4
	ds_bpermute_b32 v2, v2, v1
	v_cmp_gt_u32_e32 vcc_lo, s2, v3
	s_wait_dscnt 0x0
	s_wait_alu 0xfffd
	v_cndmask_b32_e32 v2, 0, v2, vcc_lo
	s_delay_alu instid0(VALU_DEP_1)
	v_add_nc_u32_e32 v1, v1, v2
.LBB386_655:
	s_wait_alu 0xfffe
	s_or_b32 exec_lo, exec_lo, s3
	v_cmp_eq_u32_e64 s2, 0, v0
	s_and_saveexec_b32 s3, s2
	s_cbranch_execnz .LBB386_624
	s_branch .LBB386_625
	.section	.rodata,"a",@progbits
	.p2align	6, 0x0
	.amdhsa_kernel _ZN7rocprim17ROCPRIM_400000_NS6detail17trampoline_kernelINS0_14default_configENS1_22reduce_config_selectorIbEEZNS1_11reduce_implILb1ES3_N6hipcub16HIPCUB_304000_NS22TransformInputIteratorIbN2at6native12_GLOBAL__N_19NonZeroOpIdEEPKdlEEPiiNS8_6detail34convert_binary_result_type_wrapperINS8_3SumESH_iEEEE10hipError_tPvRmT1_T2_T3_mT4_P12ihipStream_tbEUlT_E1_NS1_11comp_targetILNS1_3genE10ELNS1_11target_archE1201ELNS1_3gpuE5ELNS1_3repE0EEENS1_30default_config_static_selectorELNS0_4arch9wavefront6targetE0EEEvSQ_
		.amdhsa_group_segment_fixed_size 288
		.amdhsa_private_segment_fixed_size 0
		.amdhsa_kernarg_size 48
		.amdhsa_user_sgpr_count 2
		.amdhsa_user_sgpr_dispatch_ptr 0
		.amdhsa_user_sgpr_queue_ptr 0
		.amdhsa_user_sgpr_kernarg_segment_ptr 1
		.amdhsa_user_sgpr_dispatch_id 0
		.amdhsa_user_sgpr_private_segment_size 0
		.amdhsa_wavefront_size32 1
		.amdhsa_uses_dynamic_stack 0
		.amdhsa_enable_private_segment 0
		.amdhsa_system_sgpr_workgroup_id_x 1
		.amdhsa_system_sgpr_workgroup_id_y 0
		.amdhsa_system_sgpr_workgroup_id_z 0
		.amdhsa_system_sgpr_workgroup_info 0
		.amdhsa_system_vgpr_workitem_id 0
		.amdhsa_next_free_vgpr 141
		.amdhsa_next_free_sgpr 47
		.amdhsa_reserve_vcc 1
		.amdhsa_float_round_mode_32 0
		.amdhsa_float_round_mode_16_64 0
		.amdhsa_float_denorm_mode_32 3
		.amdhsa_float_denorm_mode_16_64 3
		.amdhsa_fp16_overflow 0
		.amdhsa_workgroup_processor_mode 1
		.amdhsa_memory_ordered 1
		.amdhsa_forward_progress 1
		.amdhsa_inst_pref_size 255
		.amdhsa_round_robin_scheduling 0
		.amdhsa_exception_fp_ieee_invalid_op 0
		.amdhsa_exception_fp_denorm_src 0
		.amdhsa_exception_fp_ieee_div_zero 0
		.amdhsa_exception_fp_ieee_overflow 0
		.amdhsa_exception_fp_ieee_underflow 0
		.amdhsa_exception_fp_ieee_inexact 0
		.amdhsa_exception_int_div_zero 0
	.end_amdhsa_kernel
	.section	.text._ZN7rocprim17ROCPRIM_400000_NS6detail17trampoline_kernelINS0_14default_configENS1_22reduce_config_selectorIbEEZNS1_11reduce_implILb1ES3_N6hipcub16HIPCUB_304000_NS22TransformInputIteratorIbN2at6native12_GLOBAL__N_19NonZeroOpIdEEPKdlEEPiiNS8_6detail34convert_binary_result_type_wrapperINS8_3SumESH_iEEEE10hipError_tPvRmT1_T2_T3_mT4_P12ihipStream_tbEUlT_E1_NS1_11comp_targetILNS1_3genE10ELNS1_11target_archE1201ELNS1_3gpuE5ELNS1_3repE0EEENS1_30default_config_static_selectorELNS0_4arch9wavefront6targetE0EEEvSQ_,"axG",@progbits,_ZN7rocprim17ROCPRIM_400000_NS6detail17trampoline_kernelINS0_14default_configENS1_22reduce_config_selectorIbEEZNS1_11reduce_implILb1ES3_N6hipcub16HIPCUB_304000_NS22TransformInputIteratorIbN2at6native12_GLOBAL__N_19NonZeroOpIdEEPKdlEEPiiNS8_6detail34convert_binary_result_type_wrapperINS8_3SumESH_iEEEE10hipError_tPvRmT1_T2_T3_mT4_P12ihipStream_tbEUlT_E1_NS1_11comp_targetILNS1_3genE10ELNS1_11target_archE1201ELNS1_3gpuE5ELNS1_3repE0EEENS1_30default_config_static_selectorELNS0_4arch9wavefront6targetE0EEEvSQ_,comdat
.Lfunc_end386:
	.size	_ZN7rocprim17ROCPRIM_400000_NS6detail17trampoline_kernelINS0_14default_configENS1_22reduce_config_selectorIbEEZNS1_11reduce_implILb1ES3_N6hipcub16HIPCUB_304000_NS22TransformInputIteratorIbN2at6native12_GLOBAL__N_19NonZeroOpIdEEPKdlEEPiiNS8_6detail34convert_binary_result_type_wrapperINS8_3SumESH_iEEEE10hipError_tPvRmT1_T2_T3_mT4_P12ihipStream_tbEUlT_E1_NS1_11comp_targetILNS1_3genE10ELNS1_11target_archE1201ELNS1_3gpuE5ELNS1_3repE0EEENS1_30default_config_static_selectorELNS0_4arch9wavefront6targetE0EEEvSQ_, .Lfunc_end386-_ZN7rocprim17ROCPRIM_400000_NS6detail17trampoline_kernelINS0_14default_configENS1_22reduce_config_selectorIbEEZNS1_11reduce_implILb1ES3_N6hipcub16HIPCUB_304000_NS22TransformInputIteratorIbN2at6native12_GLOBAL__N_19NonZeroOpIdEEPKdlEEPiiNS8_6detail34convert_binary_result_type_wrapperINS8_3SumESH_iEEEE10hipError_tPvRmT1_T2_T3_mT4_P12ihipStream_tbEUlT_E1_NS1_11comp_targetILNS1_3genE10ELNS1_11target_archE1201ELNS1_3gpuE5ELNS1_3repE0EEENS1_30default_config_static_selectorELNS0_4arch9wavefront6targetE0EEEvSQ_
                                        ; -- End function
	.set _ZN7rocprim17ROCPRIM_400000_NS6detail17trampoline_kernelINS0_14default_configENS1_22reduce_config_selectorIbEEZNS1_11reduce_implILb1ES3_N6hipcub16HIPCUB_304000_NS22TransformInputIteratorIbN2at6native12_GLOBAL__N_19NonZeroOpIdEEPKdlEEPiiNS8_6detail34convert_binary_result_type_wrapperINS8_3SumESH_iEEEE10hipError_tPvRmT1_T2_T3_mT4_P12ihipStream_tbEUlT_E1_NS1_11comp_targetILNS1_3genE10ELNS1_11target_archE1201ELNS1_3gpuE5ELNS1_3repE0EEENS1_30default_config_static_selectorELNS0_4arch9wavefront6targetE0EEEvSQ_.num_vgpr, 141
	.set _ZN7rocprim17ROCPRIM_400000_NS6detail17trampoline_kernelINS0_14default_configENS1_22reduce_config_selectorIbEEZNS1_11reduce_implILb1ES3_N6hipcub16HIPCUB_304000_NS22TransformInputIteratorIbN2at6native12_GLOBAL__N_19NonZeroOpIdEEPKdlEEPiiNS8_6detail34convert_binary_result_type_wrapperINS8_3SumESH_iEEEE10hipError_tPvRmT1_T2_T3_mT4_P12ihipStream_tbEUlT_E1_NS1_11comp_targetILNS1_3genE10ELNS1_11target_archE1201ELNS1_3gpuE5ELNS1_3repE0EEENS1_30default_config_static_selectorELNS0_4arch9wavefront6targetE0EEEvSQ_.num_agpr, 0
	.set _ZN7rocprim17ROCPRIM_400000_NS6detail17trampoline_kernelINS0_14default_configENS1_22reduce_config_selectorIbEEZNS1_11reduce_implILb1ES3_N6hipcub16HIPCUB_304000_NS22TransformInputIteratorIbN2at6native12_GLOBAL__N_19NonZeroOpIdEEPKdlEEPiiNS8_6detail34convert_binary_result_type_wrapperINS8_3SumESH_iEEEE10hipError_tPvRmT1_T2_T3_mT4_P12ihipStream_tbEUlT_E1_NS1_11comp_targetILNS1_3genE10ELNS1_11target_archE1201ELNS1_3gpuE5ELNS1_3repE0EEENS1_30default_config_static_selectorELNS0_4arch9wavefront6targetE0EEEvSQ_.numbered_sgpr, 47
	.set _ZN7rocprim17ROCPRIM_400000_NS6detail17trampoline_kernelINS0_14default_configENS1_22reduce_config_selectorIbEEZNS1_11reduce_implILb1ES3_N6hipcub16HIPCUB_304000_NS22TransformInputIteratorIbN2at6native12_GLOBAL__N_19NonZeroOpIdEEPKdlEEPiiNS8_6detail34convert_binary_result_type_wrapperINS8_3SumESH_iEEEE10hipError_tPvRmT1_T2_T3_mT4_P12ihipStream_tbEUlT_E1_NS1_11comp_targetILNS1_3genE10ELNS1_11target_archE1201ELNS1_3gpuE5ELNS1_3repE0EEENS1_30default_config_static_selectorELNS0_4arch9wavefront6targetE0EEEvSQ_.num_named_barrier, 0
	.set _ZN7rocprim17ROCPRIM_400000_NS6detail17trampoline_kernelINS0_14default_configENS1_22reduce_config_selectorIbEEZNS1_11reduce_implILb1ES3_N6hipcub16HIPCUB_304000_NS22TransformInputIteratorIbN2at6native12_GLOBAL__N_19NonZeroOpIdEEPKdlEEPiiNS8_6detail34convert_binary_result_type_wrapperINS8_3SumESH_iEEEE10hipError_tPvRmT1_T2_T3_mT4_P12ihipStream_tbEUlT_E1_NS1_11comp_targetILNS1_3genE10ELNS1_11target_archE1201ELNS1_3gpuE5ELNS1_3repE0EEENS1_30default_config_static_selectorELNS0_4arch9wavefront6targetE0EEEvSQ_.private_seg_size, 0
	.set _ZN7rocprim17ROCPRIM_400000_NS6detail17trampoline_kernelINS0_14default_configENS1_22reduce_config_selectorIbEEZNS1_11reduce_implILb1ES3_N6hipcub16HIPCUB_304000_NS22TransformInputIteratorIbN2at6native12_GLOBAL__N_19NonZeroOpIdEEPKdlEEPiiNS8_6detail34convert_binary_result_type_wrapperINS8_3SumESH_iEEEE10hipError_tPvRmT1_T2_T3_mT4_P12ihipStream_tbEUlT_E1_NS1_11comp_targetILNS1_3genE10ELNS1_11target_archE1201ELNS1_3gpuE5ELNS1_3repE0EEENS1_30default_config_static_selectorELNS0_4arch9wavefront6targetE0EEEvSQ_.uses_vcc, 1
	.set _ZN7rocprim17ROCPRIM_400000_NS6detail17trampoline_kernelINS0_14default_configENS1_22reduce_config_selectorIbEEZNS1_11reduce_implILb1ES3_N6hipcub16HIPCUB_304000_NS22TransformInputIteratorIbN2at6native12_GLOBAL__N_19NonZeroOpIdEEPKdlEEPiiNS8_6detail34convert_binary_result_type_wrapperINS8_3SumESH_iEEEE10hipError_tPvRmT1_T2_T3_mT4_P12ihipStream_tbEUlT_E1_NS1_11comp_targetILNS1_3genE10ELNS1_11target_archE1201ELNS1_3gpuE5ELNS1_3repE0EEENS1_30default_config_static_selectorELNS0_4arch9wavefront6targetE0EEEvSQ_.uses_flat_scratch, 0
	.set _ZN7rocprim17ROCPRIM_400000_NS6detail17trampoline_kernelINS0_14default_configENS1_22reduce_config_selectorIbEEZNS1_11reduce_implILb1ES3_N6hipcub16HIPCUB_304000_NS22TransformInputIteratorIbN2at6native12_GLOBAL__N_19NonZeroOpIdEEPKdlEEPiiNS8_6detail34convert_binary_result_type_wrapperINS8_3SumESH_iEEEE10hipError_tPvRmT1_T2_T3_mT4_P12ihipStream_tbEUlT_E1_NS1_11comp_targetILNS1_3genE10ELNS1_11target_archE1201ELNS1_3gpuE5ELNS1_3repE0EEENS1_30default_config_static_selectorELNS0_4arch9wavefront6targetE0EEEvSQ_.has_dyn_sized_stack, 0
	.set _ZN7rocprim17ROCPRIM_400000_NS6detail17trampoline_kernelINS0_14default_configENS1_22reduce_config_selectorIbEEZNS1_11reduce_implILb1ES3_N6hipcub16HIPCUB_304000_NS22TransformInputIteratorIbN2at6native12_GLOBAL__N_19NonZeroOpIdEEPKdlEEPiiNS8_6detail34convert_binary_result_type_wrapperINS8_3SumESH_iEEEE10hipError_tPvRmT1_T2_T3_mT4_P12ihipStream_tbEUlT_E1_NS1_11comp_targetILNS1_3genE10ELNS1_11target_archE1201ELNS1_3gpuE5ELNS1_3repE0EEENS1_30default_config_static_selectorELNS0_4arch9wavefront6targetE0EEEvSQ_.has_recursion, 0
	.set _ZN7rocprim17ROCPRIM_400000_NS6detail17trampoline_kernelINS0_14default_configENS1_22reduce_config_selectorIbEEZNS1_11reduce_implILb1ES3_N6hipcub16HIPCUB_304000_NS22TransformInputIteratorIbN2at6native12_GLOBAL__N_19NonZeroOpIdEEPKdlEEPiiNS8_6detail34convert_binary_result_type_wrapperINS8_3SumESH_iEEEE10hipError_tPvRmT1_T2_T3_mT4_P12ihipStream_tbEUlT_E1_NS1_11comp_targetILNS1_3genE10ELNS1_11target_archE1201ELNS1_3gpuE5ELNS1_3repE0EEENS1_30default_config_static_selectorELNS0_4arch9wavefront6targetE0EEEvSQ_.has_indirect_call, 0
	.section	.AMDGPU.csdata,"",@progbits
; Kernel info:
; codeLenInByte = 37576
; TotalNumSgprs: 49
; NumVgprs: 141
; ScratchSize: 0
; MemoryBound: 0
; FloatMode: 240
; IeeeMode: 1
; LDSByteSize: 288 bytes/workgroup (compile time only)
; SGPRBlocks: 0
; VGPRBlocks: 17
; NumSGPRsForWavesPerEU: 49
; NumVGPRsForWavesPerEU: 141
; Occupancy: 10
; WaveLimiterHint : 1
; COMPUTE_PGM_RSRC2:SCRATCH_EN: 0
; COMPUTE_PGM_RSRC2:USER_SGPR: 2
; COMPUTE_PGM_RSRC2:TRAP_HANDLER: 0
; COMPUTE_PGM_RSRC2:TGID_X_EN: 1
; COMPUTE_PGM_RSRC2:TGID_Y_EN: 0
; COMPUTE_PGM_RSRC2:TGID_Z_EN: 0
; COMPUTE_PGM_RSRC2:TIDIG_COMP_CNT: 0
	.section	.text._ZN7rocprim17ROCPRIM_400000_NS6detail17trampoline_kernelINS0_14default_configENS1_22reduce_config_selectorIbEEZNS1_11reduce_implILb1ES3_N6hipcub16HIPCUB_304000_NS22TransformInputIteratorIbN2at6native12_GLOBAL__N_19NonZeroOpIdEEPKdlEEPiiNS8_6detail34convert_binary_result_type_wrapperINS8_3SumESH_iEEEE10hipError_tPvRmT1_T2_T3_mT4_P12ihipStream_tbEUlT_E1_NS1_11comp_targetILNS1_3genE10ELNS1_11target_archE1200ELNS1_3gpuE4ELNS1_3repE0EEENS1_30default_config_static_selectorELNS0_4arch9wavefront6targetE0EEEvSQ_,"axG",@progbits,_ZN7rocprim17ROCPRIM_400000_NS6detail17trampoline_kernelINS0_14default_configENS1_22reduce_config_selectorIbEEZNS1_11reduce_implILb1ES3_N6hipcub16HIPCUB_304000_NS22TransformInputIteratorIbN2at6native12_GLOBAL__N_19NonZeroOpIdEEPKdlEEPiiNS8_6detail34convert_binary_result_type_wrapperINS8_3SumESH_iEEEE10hipError_tPvRmT1_T2_T3_mT4_P12ihipStream_tbEUlT_E1_NS1_11comp_targetILNS1_3genE10ELNS1_11target_archE1200ELNS1_3gpuE4ELNS1_3repE0EEENS1_30default_config_static_selectorELNS0_4arch9wavefront6targetE0EEEvSQ_,comdat
	.globl	_ZN7rocprim17ROCPRIM_400000_NS6detail17trampoline_kernelINS0_14default_configENS1_22reduce_config_selectorIbEEZNS1_11reduce_implILb1ES3_N6hipcub16HIPCUB_304000_NS22TransformInputIteratorIbN2at6native12_GLOBAL__N_19NonZeroOpIdEEPKdlEEPiiNS8_6detail34convert_binary_result_type_wrapperINS8_3SumESH_iEEEE10hipError_tPvRmT1_T2_T3_mT4_P12ihipStream_tbEUlT_E1_NS1_11comp_targetILNS1_3genE10ELNS1_11target_archE1200ELNS1_3gpuE4ELNS1_3repE0EEENS1_30default_config_static_selectorELNS0_4arch9wavefront6targetE0EEEvSQ_ ; -- Begin function _ZN7rocprim17ROCPRIM_400000_NS6detail17trampoline_kernelINS0_14default_configENS1_22reduce_config_selectorIbEEZNS1_11reduce_implILb1ES3_N6hipcub16HIPCUB_304000_NS22TransformInputIteratorIbN2at6native12_GLOBAL__N_19NonZeroOpIdEEPKdlEEPiiNS8_6detail34convert_binary_result_type_wrapperINS8_3SumESH_iEEEE10hipError_tPvRmT1_T2_T3_mT4_P12ihipStream_tbEUlT_E1_NS1_11comp_targetILNS1_3genE10ELNS1_11target_archE1200ELNS1_3gpuE4ELNS1_3repE0EEENS1_30default_config_static_selectorELNS0_4arch9wavefront6targetE0EEEvSQ_
	.p2align	8
	.type	_ZN7rocprim17ROCPRIM_400000_NS6detail17trampoline_kernelINS0_14default_configENS1_22reduce_config_selectorIbEEZNS1_11reduce_implILb1ES3_N6hipcub16HIPCUB_304000_NS22TransformInputIteratorIbN2at6native12_GLOBAL__N_19NonZeroOpIdEEPKdlEEPiiNS8_6detail34convert_binary_result_type_wrapperINS8_3SumESH_iEEEE10hipError_tPvRmT1_T2_T3_mT4_P12ihipStream_tbEUlT_E1_NS1_11comp_targetILNS1_3genE10ELNS1_11target_archE1200ELNS1_3gpuE4ELNS1_3repE0EEENS1_30default_config_static_selectorELNS0_4arch9wavefront6targetE0EEEvSQ_,@function
_ZN7rocprim17ROCPRIM_400000_NS6detail17trampoline_kernelINS0_14default_configENS1_22reduce_config_selectorIbEEZNS1_11reduce_implILb1ES3_N6hipcub16HIPCUB_304000_NS22TransformInputIteratorIbN2at6native12_GLOBAL__N_19NonZeroOpIdEEPKdlEEPiiNS8_6detail34convert_binary_result_type_wrapperINS8_3SumESH_iEEEE10hipError_tPvRmT1_T2_T3_mT4_P12ihipStream_tbEUlT_E1_NS1_11comp_targetILNS1_3genE10ELNS1_11target_archE1200ELNS1_3gpuE4ELNS1_3repE0EEENS1_30default_config_static_selectorELNS0_4arch9wavefront6targetE0EEEvSQ_: ; @_ZN7rocprim17ROCPRIM_400000_NS6detail17trampoline_kernelINS0_14default_configENS1_22reduce_config_selectorIbEEZNS1_11reduce_implILb1ES3_N6hipcub16HIPCUB_304000_NS22TransformInputIteratorIbN2at6native12_GLOBAL__N_19NonZeroOpIdEEPKdlEEPiiNS8_6detail34convert_binary_result_type_wrapperINS8_3SumESH_iEEEE10hipError_tPvRmT1_T2_T3_mT4_P12ihipStream_tbEUlT_E1_NS1_11comp_targetILNS1_3genE10ELNS1_11target_archE1200ELNS1_3gpuE4ELNS1_3repE0EEENS1_30default_config_static_selectorELNS0_4arch9wavefront6targetE0EEEvSQ_
; %bb.0:
	.section	.rodata,"a",@progbits
	.p2align	6, 0x0
	.amdhsa_kernel _ZN7rocprim17ROCPRIM_400000_NS6detail17trampoline_kernelINS0_14default_configENS1_22reduce_config_selectorIbEEZNS1_11reduce_implILb1ES3_N6hipcub16HIPCUB_304000_NS22TransformInputIteratorIbN2at6native12_GLOBAL__N_19NonZeroOpIdEEPKdlEEPiiNS8_6detail34convert_binary_result_type_wrapperINS8_3SumESH_iEEEE10hipError_tPvRmT1_T2_T3_mT4_P12ihipStream_tbEUlT_E1_NS1_11comp_targetILNS1_3genE10ELNS1_11target_archE1200ELNS1_3gpuE4ELNS1_3repE0EEENS1_30default_config_static_selectorELNS0_4arch9wavefront6targetE0EEEvSQ_
		.amdhsa_group_segment_fixed_size 0
		.amdhsa_private_segment_fixed_size 0
		.amdhsa_kernarg_size 48
		.amdhsa_user_sgpr_count 2
		.amdhsa_user_sgpr_dispatch_ptr 0
		.amdhsa_user_sgpr_queue_ptr 0
		.amdhsa_user_sgpr_kernarg_segment_ptr 1
		.amdhsa_user_sgpr_dispatch_id 0
		.amdhsa_user_sgpr_private_segment_size 0
		.amdhsa_wavefront_size32 1
		.amdhsa_uses_dynamic_stack 0
		.amdhsa_enable_private_segment 0
		.amdhsa_system_sgpr_workgroup_id_x 1
		.amdhsa_system_sgpr_workgroup_id_y 0
		.amdhsa_system_sgpr_workgroup_id_z 0
		.amdhsa_system_sgpr_workgroup_info 0
		.amdhsa_system_vgpr_workitem_id 0
		.amdhsa_next_free_vgpr 1
		.amdhsa_next_free_sgpr 1
		.amdhsa_reserve_vcc 0
		.amdhsa_float_round_mode_32 0
		.amdhsa_float_round_mode_16_64 0
		.amdhsa_float_denorm_mode_32 3
		.amdhsa_float_denorm_mode_16_64 3
		.amdhsa_fp16_overflow 0
		.amdhsa_workgroup_processor_mode 1
		.amdhsa_memory_ordered 1
		.amdhsa_forward_progress 1
		.amdhsa_inst_pref_size 0
		.amdhsa_round_robin_scheduling 0
		.amdhsa_exception_fp_ieee_invalid_op 0
		.amdhsa_exception_fp_denorm_src 0
		.amdhsa_exception_fp_ieee_div_zero 0
		.amdhsa_exception_fp_ieee_overflow 0
		.amdhsa_exception_fp_ieee_underflow 0
		.amdhsa_exception_fp_ieee_inexact 0
		.amdhsa_exception_int_div_zero 0
	.end_amdhsa_kernel
	.section	.text._ZN7rocprim17ROCPRIM_400000_NS6detail17trampoline_kernelINS0_14default_configENS1_22reduce_config_selectorIbEEZNS1_11reduce_implILb1ES3_N6hipcub16HIPCUB_304000_NS22TransformInputIteratorIbN2at6native12_GLOBAL__N_19NonZeroOpIdEEPKdlEEPiiNS8_6detail34convert_binary_result_type_wrapperINS8_3SumESH_iEEEE10hipError_tPvRmT1_T2_T3_mT4_P12ihipStream_tbEUlT_E1_NS1_11comp_targetILNS1_3genE10ELNS1_11target_archE1200ELNS1_3gpuE4ELNS1_3repE0EEENS1_30default_config_static_selectorELNS0_4arch9wavefront6targetE0EEEvSQ_,"axG",@progbits,_ZN7rocprim17ROCPRIM_400000_NS6detail17trampoline_kernelINS0_14default_configENS1_22reduce_config_selectorIbEEZNS1_11reduce_implILb1ES3_N6hipcub16HIPCUB_304000_NS22TransformInputIteratorIbN2at6native12_GLOBAL__N_19NonZeroOpIdEEPKdlEEPiiNS8_6detail34convert_binary_result_type_wrapperINS8_3SumESH_iEEEE10hipError_tPvRmT1_T2_T3_mT4_P12ihipStream_tbEUlT_E1_NS1_11comp_targetILNS1_3genE10ELNS1_11target_archE1200ELNS1_3gpuE4ELNS1_3repE0EEENS1_30default_config_static_selectorELNS0_4arch9wavefront6targetE0EEEvSQ_,comdat
.Lfunc_end387:
	.size	_ZN7rocprim17ROCPRIM_400000_NS6detail17trampoline_kernelINS0_14default_configENS1_22reduce_config_selectorIbEEZNS1_11reduce_implILb1ES3_N6hipcub16HIPCUB_304000_NS22TransformInputIteratorIbN2at6native12_GLOBAL__N_19NonZeroOpIdEEPKdlEEPiiNS8_6detail34convert_binary_result_type_wrapperINS8_3SumESH_iEEEE10hipError_tPvRmT1_T2_T3_mT4_P12ihipStream_tbEUlT_E1_NS1_11comp_targetILNS1_3genE10ELNS1_11target_archE1200ELNS1_3gpuE4ELNS1_3repE0EEENS1_30default_config_static_selectorELNS0_4arch9wavefront6targetE0EEEvSQ_, .Lfunc_end387-_ZN7rocprim17ROCPRIM_400000_NS6detail17trampoline_kernelINS0_14default_configENS1_22reduce_config_selectorIbEEZNS1_11reduce_implILb1ES3_N6hipcub16HIPCUB_304000_NS22TransformInputIteratorIbN2at6native12_GLOBAL__N_19NonZeroOpIdEEPKdlEEPiiNS8_6detail34convert_binary_result_type_wrapperINS8_3SumESH_iEEEE10hipError_tPvRmT1_T2_T3_mT4_P12ihipStream_tbEUlT_E1_NS1_11comp_targetILNS1_3genE10ELNS1_11target_archE1200ELNS1_3gpuE4ELNS1_3repE0EEENS1_30default_config_static_selectorELNS0_4arch9wavefront6targetE0EEEvSQ_
                                        ; -- End function
	.set _ZN7rocprim17ROCPRIM_400000_NS6detail17trampoline_kernelINS0_14default_configENS1_22reduce_config_selectorIbEEZNS1_11reduce_implILb1ES3_N6hipcub16HIPCUB_304000_NS22TransformInputIteratorIbN2at6native12_GLOBAL__N_19NonZeroOpIdEEPKdlEEPiiNS8_6detail34convert_binary_result_type_wrapperINS8_3SumESH_iEEEE10hipError_tPvRmT1_T2_T3_mT4_P12ihipStream_tbEUlT_E1_NS1_11comp_targetILNS1_3genE10ELNS1_11target_archE1200ELNS1_3gpuE4ELNS1_3repE0EEENS1_30default_config_static_selectorELNS0_4arch9wavefront6targetE0EEEvSQ_.num_vgpr, 0
	.set _ZN7rocprim17ROCPRIM_400000_NS6detail17trampoline_kernelINS0_14default_configENS1_22reduce_config_selectorIbEEZNS1_11reduce_implILb1ES3_N6hipcub16HIPCUB_304000_NS22TransformInputIteratorIbN2at6native12_GLOBAL__N_19NonZeroOpIdEEPKdlEEPiiNS8_6detail34convert_binary_result_type_wrapperINS8_3SumESH_iEEEE10hipError_tPvRmT1_T2_T3_mT4_P12ihipStream_tbEUlT_E1_NS1_11comp_targetILNS1_3genE10ELNS1_11target_archE1200ELNS1_3gpuE4ELNS1_3repE0EEENS1_30default_config_static_selectorELNS0_4arch9wavefront6targetE0EEEvSQ_.num_agpr, 0
	.set _ZN7rocprim17ROCPRIM_400000_NS6detail17trampoline_kernelINS0_14default_configENS1_22reduce_config_selectorIbEEZNS1_11reduce_implILb1ES3_N6hipcub16HIPCUB_304000_NS22TransformInputIteratorIbN2at6native12_GLOBAL__N_19NonZeroOpIdEEPKdlEEPiiNS8_6detail34convert_binary_result_type_wrapperINS8_3SumESH_iEEEE10hipError_tPvRmT1_T2_T3_mT4_P12ihipStream_tbEUlT_E1_NS1_11comp_targetILNS1_3genE10ELNS1_11target_archE1200ELNS1_3gpuE4ELNS1_3repE0EEENS1_30default_config_static_selectorELNS0_4arch9wavefront6targetE0EEEvSQ_.numbered_sgpr, 0
	.set _ZN7rocprim17ROCPRIM_400000_NS6detail17trampoline_kernelINS0_14default_configENS1_22reduce_config_selectorIbEEZNS1_11reduce_implILb1ES3_N6hipcub16HIPCUB_304000_NS22TransformInputIteratorIbN2at6native12_GLOBAL__N_19NonZeroOpIdEEPKdlEEPiiNS8_6detail34convert_binary_result_type_wrapperINS8_3SumESH_iEEEE10hipError_tPvRmT1_T2_T3_mT4_P12ihipStream_tbEUlT_E1_NS1_11comp_targetILNS1_3genE10ELNS1_11target_archE1200ELNS1_3gpuE4ELNS1_3repE0EEENS1_30default_config_static_selectorELNS0_4arch9wavefront6targetE0EEEvSQ_.num_named_barrier, 0
	.set _ZN7rocprim17ROCPRIM_400000_NS6detail17trampoline_kernelINS0_14default_configENS1_22reduce_config_selectorIbEEZNS1_11reduce_implILb1ES3_N6hipcub16HIPCUB_304000_NS22TransformInputIteratorIbN2at6native12_GLOBAL__N_19NonZeroOpIdEEPKdlEEPiiNS8_6detail34convert_binary_result_type_wrapperINS8_3SumESH_iEEEE10hipError_tPvRmT1_T2_T3_mT4_P12ihipStream_tbEUlT_E1_NS1_11comp_targetILNS1_3genE10ELNS1_11target_archE1200ELNS1_3gpuE4ELNS1_3repE0EEENS1_30default_config_static_selectorELNS0_4arch9wavefront6targetE0EEEvSQ_.private_seg_size, 0
	.set _ZN7rocprim17ROCPRIM_400000_NS6detail17trampoline_kernelINS0_14default_configENS1_22reduce_config_selectorIbEEZNS1_11reduce_implILb1ES3_N6hipcub16HIPCUB_304000_NS22TransformInputIteratorIbN2at6native12_GLOBAL__N_19NonZeroOpIdEEPKdlEEPiiNS8_6detail34convert_binary_result_type_wrapperINS8_3SumESH_iEEEE10hipError_tPvRmT1_T2_T3_mT4_P12ihipStream_tbEUlT_E1_NS1_11comp_targetILNS1_3genE10ELNS1_11target_archE1200ELNS1_3gpuE4ELNS1_3repE0EEENS1_30default_config_static_selectorELNS0_4arch9wavefront6targetE0EEEvSQ_.uses_vcc, 0
	.set _ZN7rocprim17ROCPRIM_400000_NS6detail17trampoline_kernelINS0_14default_configENS1_22reduce_config_selectorIbEEZNS1_11reduce_implILb1ES3_N6hipcub16HIPCUB_304000_NS22TransformInputIteratorIbN2at6native12_GLOBAL__N_19NonZeroOpIdEEPKdlEEPiiNS8_6detail34convert_binary_result_type_wrapperINS8_3SumESH_iEEEE10hipError_tPvRmT1_T2_T3_mT4_P12ihipStream_tbEUlT_E1_NS1_11comp_targetILNS1_3genE10ELNS1_11target_archE1200ELNS1_3gpuE4ELNS1_3repE0EEENS1_30default_config_static_selectorELNS0_4arch9wavefront6targetE0EEEvSQ_.uses_flat_scratch, 0
	.set _ZN7rocprim17ROCPRIM_400000_NS6detail17trampoline_kernelINS0_14default_configENS1_22reduce_config_selectorIbEEZNS1_11reduce_implILb1ES3_N6hipcub16HIPCUB_304000_NS22TransformInputIteratorIbN2at6native12_GLOBAL__N_19NonZeroOpIdEEPKdlEEPiiNS8_6detail34convert_binary_result_type_wrapperINS8_3SumESH_iEEEE10hipError_tPvRmT1_T2_T3_mT4_P12ihipStream_tbEUlT_E1_NS1_11comp_targetILNS1_3genE10ELNS1_11target_archE1200ELNS1_3gpuE4ELNS1_3repE0EEENS1_30default_config_static_selectorELNS0_4arch9wavefront6targetE0EEEvSQ_.has_dyn_sized_stack, 0
	.set _ZN7rocprim17ROCPRIM_400000_NS6detail17trampoline_kernelINS0_14default_configENS1_22reduce_config_selectorIbEEZNS1_11reduce_implILb1ES3_N6hipcub16HIPCUB_304000_NS22TransformInputIteratorIbN2at6native12_GLOBAL__N_19NonZeroOpIdEEPKdlEEPiiNS8_6detail34convert_binary_result_type_wrapperINS8_3SumESH_iEEEE10hipError_tPvRmT1_T2_T3_mT4_P12ihipStream_tbEUlT_E1_NS1_11comp_targetILNS1_3genE10ELNS1_11target_archE1200ELNS1_3gpuE4ELNS1_3repE0EEENS1_30default_config_static_selectorELNS0_4arch9wavefront6targetE0EEEvSQ_.has_recursion, 0
	.set _ZN7rocprim17ROCPRIM_400000_NS6detail17trampoline_kernelINS0_14default_configENS1_22reduce_config_selectorIbEEZNS1_11reduce_implILb1ES3_N6hipcub16HIPCUB_304000_NS22TransformInputIteratorIbN2at6native12_GLOBAL__N_19NonZeroOpIdEEPKdlEEPiiNS8_6detail34convert_binary_result_type_wrapperINS8_3SumESH_iEEEE10hipError_tPvRmT1_T2_T3_mT4_P12ihipStream_tbEUlT_E1_NS1_11comp_targetILNS1_3genE10ELNS1_11target_archE1200ELNS1_3gpuE4ELNS1_3repE0EEENS1_30default_config_static_selectorELNS0_4arch9wavefront6targetE0EEEvSQ_.has_indirect_call, 0
	.section	.AMDGPU.csdata,"",@progbits
; Kernel info:
; codeLenInByte = 0
; TotalNumSgprs: 0
; NumVgprs: 0
; ScratchSize: 0
; MemoryBound: 0
; FloatMode: 240
; IeeeMode: 1
; LDSByteSize: 0 bytes/workgroup (compile time only)
; SGPRBlocks: 0
; VGPRBlocks: 0
; NumSGPRsForWavesPerEU: 1
; NumVGPRsForWavesPerEU: 1
; Occupancy: 16
; WaveLimiterHint : 0
; COMPUTE_PGM_RSRC2:SCRATCH_EN: 0
; COMPUTE_PGM_RSRC2:USER_SGPR: 2
; COMPUTE_PGM_RSRC2:TRAP_HANDLER: 0
; COMPUTE_PGM_RSRC2:TGID_X_EN: 1
; COMPUTE_PGM_RSRC2:TGID_Y_EN: 0
; COMPUTE_PGM_RSRC2:TGID_Z_EN: 0
; COMPUTE_PGM_RSRC2:TIDIG_COMP_CNT: 0
	.section	.text._ZN7rocprim17ROCPRIM_400000_NS6detail17trampoline_kernelINS0_14default_configENS1_22reduce_config_selectorIbEEZNS1_11reduce_implILb1ES3_N6hipcub16HIPCUB_304000_NS22TransformInputIteratorIbN2at6native12_GLOBAL__N_19NonZeroOpIdEEPKdlEEPiiNS8_6detail34convert_binary_result_type_wrapperINS8_3SumESH_iEEEE10hipError_tPvRmT1_T2_T3_mT4_P12ihipStream_tbEUlT_E1_NS1_11comp_targetILNS1_3genE9ELNS1_11target_archE1100ELNS1_3gpuE3ELNS1_3repE0EEENS1_30default_config_static_selectorELNS0_4arch9wavefront6targetE0EEEvSQ_,"axG",@progbits,_ZN7rocprim17ROCPRIM_400000_NS6detail17trampoline_kernelINS0_14default_configENS1_22reduce_config_selectorIbEEZNS1_11reduce_implILb1ES3_N6hipcub16HIPCUB_304000_NS22TransformInputIteratorIbN2at6native12_GLOBAL__N_19NonZeroOpIdEEPKdlEEPiiNS8_6detail34convert_binary_result_type_wrapperINS8_3SumESH_iEEEE10hipError_tPvRmT1_T2_T3_mT4_P12ihipStream_tbEUlT_E1_NS1_11comp_targetILNS1_3genE9ELNS1_11target_archE1100ELNS1_3gpuE3ELNS1_3repE0EEENS1_30default_config_static_selectorELNS0_4arch9wavefront6targetE0EEEvSQ_,comdat
	.globl	_ZN7rocprim17ROCPRIM_400000_NS6detail17trampoline_kernelINS0_14default_configENS1_22reduce_config_selectorIbEEZNS1_11reduce_implILb1ES3_N6hipcub16HIPCUB_304000_NS22TransformInputIteratorIbN2at6native12_GLOBAL__N_19NonZeroOpIdEEPKdlEEPiiNS8_6detail34convert_binary_result_type_wrapperINS8_3SumESH_iEEEE10hipError_tPvRmT1_T2_T3_mT4_P12ihipStream_tbEUlT_E1_NS1_11comp_targetILNS1_3genE9ELNS1_11target_archE1100ELNS1_3gpuE3ELNS1_3repE0EEENS1_30default_config_static_selectorELNS0_4arch9wavefront6targetE0EEEvSQ_ ; -- Begin function _ZN7rocprim17ROCPRIM_400000_NS6detail17trampoline_kernelINS0_14default_configENS1_22reduce_config_selectorIbEEZNS1_11reduce_implILb1ES3_N6hipcub16HIPCUB_304000_NS22TransformInputIteratorIbN2at6native12_GLOBAL__N_19NonZeroOpIdEEPKdlEEPiiNS8_6detail34convert_binary_result_type_wrapperINS8_3SumESH_iEEEE10hipError_tPvRmT1_T2_T3_mT4_P12ihipStream_tbEUlT_E1_NS1_11comp_targetILNS1_3genE9ELNS1_11target_archE1100ELNS1_3gpuE3ELNS1_3repE0EEENS1_30default_config_static_selectorELNS0_4arch9wavefront6targetE0EEEvSQ_
	.p2align	8
	.type	_ZN7rocprim17ROCPRIM_400000_NS6detail17trampoline_kernelINS0_14default_configENS1_22reduce_config_selectorIbEEZNS1_11reduce_implILb1ES3_N6hipcub16HIPCUB_304000_NS22TransformInputIteratorIbN2at6native12_GLOBAL__N_19NonZeroOpIdEEPKdlEEPiiNS8_6detail34convert_binary_result_type_wrapperINS8_3SumESH_iEEEE10hipError_tPvRmT1_T2_T3_mT4_P12ihipStream_tbEUlT_E1_NS1_11comp_targetILNS1_3genE9ELNS1_11target_archE1100ELNS1_3gpuE3ELNS1_3repE0EEENS1_30default_config_static_selectorELNS0_4arch9wavefront6targetE0EEEvSQ_,@function
_ZN7rocprim17ROCPRIM_400000_NS6detail17trampoline_kernelINS0_14default_configENS1_22reduce_config_selectorIbEEZNS1_11reduce_implILb1ES3_N6hipcub16HIPCUB_304000_NS22TransformInputIteratorIbN2at6native12_GLOBAL__N_19NonZeroOpIdEEPKdlEEPiiNS8_6detail34convert_binary_result_type_wrapperINS8_3SumESH_iEEEE10hipError_tPvRmT1_T2_T3_mT4_P12ihipStream_tbEUlT_E1_NS1_11comp_targetILNS1_3genE9ELNS1_11target_archE1100ELNS1_3gpuE3ELNS1_3repE0EEENS1_30default_config_static_selectorELNS0_4arch9wavefront6targetE0EEEvSQ_: ; @_ZN7rocprim17ROCPRIM_400000_NS6detail17trampoline_kernelINS0_14default_configENS1_22reduce_config_selectorIbEEZNS1_11reduce_implILb1ES3_N6hipcub16HIPCUB_304000_NS22TransformInputIteratorIbN2at6native12_GLOBAL__N_19NonZeroOpIdEEPKdlEEPiiNS8_6detail34convert_binary_result_type_wrapperINS8_3SumESH_iEEEE10hipError_tPvRmT1_T2_T3_mT4_P12ihipStream_tbEUlT_E1_NS1_11comp_targetILNS1_3genE9ELNS1_11target_archE1100ELNS1_3gpuE3ELNS1_3repE0EEENS1_30default_config_static_selectorELNS0_4arch9wavefront6targetE0EEEvSQ_
; %bb.0:
	.section	.rodata,"a",@progbits
	.p2align	6, 0x0
	.amdhsa_kernel _ZN7rocprim17ROCPRIM_400000_NS6detail17trampoline_kernelINS0_14default_configENS1_22reduce_config_selectorIbEEZNS1_11reduce_implILb1ES3_N6hipcub16HIPCUB_304000_NS22TransformInputIteratorIbN2at6native12_GLOBAL__N_19NonZeroOpIdEEPKdlEEPiiNS8_6detail34convert_binary_result_type_wrapperINS8_3SumESH_iEEEE10hipError_tPvRmT1_T2_T3_mT4_P12ihipStream_tbEUlT_E1_NS1_11comp_targetILNS1_3genE9ELNS1_11target_archE1100ELNS1_3gpuE3ELNS1_3repE0EEENS1_30default_config_static_selectorELNS0_4arch9wavefront6targetE0EEEvSQ_
		.amdhsa_group_segment_fixed_size 0
		.amdhsa_private_segment_fixed_size 0
		.amdhsa_kernarg_size 48
		.amdhsa_user_sgpr_count 2
		.amdhsa_user_sgpr_dispatch_ptr 0
		.amdhsa_user_sgpr_queue_ptr 0
		.amdhsa_user_sgpr_kernarg_segment_ptr 1
		.amdhsa_user_sgpr_dispatch_id 0
		.amdhsa_user_sgpr_private_segment_size 0
		.amdhsa_wavefront_size32 1
		.amdhsa_uses_dynamic_stack 0
		.amdhsa_enable_private_segment 0
		.amdhsa_system_sgpr_workgroup_id_x 1
		.amdhsa_system_sgpr_workgroup_id_y 0
		.amdhsa_system_sgpr_workgroup_id_z 0
		.amdhsa_system_sgpr_workgroup_info 0
		.amdhsa_system_vgpr_workitem_id 0
		.amdhsa_next_free_vgpr 1
		.amdhsa_next_free_sgpr 1
		.amdhsa_reserve_vcc 0
		.amdhsa_float_round_mode_32 0
		.amdhsa_float_round_mode_16_64 0
		.amdhsa_float_denorm_mode_32 3
		.amdhsa_float_denorm_mode_16_64 3
		.amdhsa_fp16_overflow 0
		.amdhsa_workgroup_processor_mode 1
		.amdhsa_memory_ordered 1
		.amdhsa_forward_progress 1
		.amdhsa_inst_pref_size 0
		.amdhsa_round_robin_scheduling 0
		.amdhsa_exception_fp_ieee_invalid_op 0
		.amdhsa_exception_fp_denorm_src 0
		.amdhsa_exception_fp_ieee_div_zero 0
		.amdhsa_exception_fp_ieee_overflow 0
		.amdhsa_exception_fp_ieee_underflow 0
		.amdhsa_exception_fp_ieee_inexact 0
		.amdhsa_exception_int_div_zero 0
	.end_amdhsa_kernel
	.section	.text._ZN7rocprim17ROCPRIM_400000_NS6detail17trampoline_kernelINS0_14default_configENS1_22reduce_config_selectorIbEEZNS1_11reduce_implILb1ES3_N6hipcub16HIPCUB_304000_NS22TransformInputIteratorIbN2at6native12_GLOBAL__N_19NonZeroOpIdEEPKdlEEPiiNS8_6detail34convert_binary_result_type_wrapperINS8_3SumESH_iEEEE10hipError_tPvRmT1_T2_T3_mT4_P12ihipStream_tbEUlT_E1_NS1_11comp_targetILNS1_3genE9ELNS1_11target_archE1100ELNS1_3gpuE3ELNS1_3repE0EEENS1_30default_config_static_selectorELNS0_4arch9wavefront6targetE0EEEvSQ_,"axG",@progbits,_ZN7rocprim17ROCPRIM_400000_NS6detail17trampoline_kernelINS0_14default_configENS1_22reduce_config_selectorIbEEZNS1_11reduce_implILb1ES3_N6hipcub16HIPCUB_304000_NS22TransformInputIteratorIbN2at6native12_GLOBAL__N_19NonZeroOpIdEEPKdlEEPiiNS8_6detail34convert_binary_result_type_wrapperINS8_3SumESH_iEEEE10hipError_tPvRmT1_T2_T3_mT4_P12ihipStream_tbEUlT_E1_NS1_11comp_targetILNS1_3genE9ELNS1_11target_archE1100ELNS1_3gpuE3ELNS1_3repE0EEENS1_30default_config_static_selectorELNS0_4arch9wavefront6targetE0EEEvSQ_,comdat
.Lfunc_end388:
	.size	_ZN7rocprim17ROCPRIM_400000_NS6detail17trampoline_kernelINS0_14default_configENS1_22reduce_config_selectorIbEEZNS1_11reduce_implILb1ES3_N6hipcub16HIPCUB_304000_NS22TransformInputIteratorIbN2at6native12_GLOBAL__N_19NonZeroOpIdEEPKdlEEPiiNS8_6detail34convert_binary_result_type_wrapperINS8_3SumESH_iEEEE10hipError_tPvRmT1_T2_T3_mT4_P12ihipStream_tbEUlT_E1_NS1_11comp_targetILNS1_3genE9ELNS1_11target_archE1100ELNS1_3gpuE3ELNS1_3repE0EEENS1_30default_config_static_selectorELNS0_4arch9wavefront6targetE0EEEvSQ_, .Lfunc_end388-_ZN7rocprim17ROCPRIM_400000_NS6detail17trampoline_kernelINS0_14default_configENS1_22reduce_config_selectorIbEEZNS1_11reduce_implILb1ES3_N6hipcub16HIPCUB_304000_NS22TransformInputIteratorIbN2at6native12_GLOBAL__N_19NonZeroOpIdEEPKdlEEPiiNS8_6detail34convert_binary_result_type_wrapperINS8_3SumESH_iEEEE10hipError_tPvRmT1_T2_T3_mT4_P12ihipStream_tbEUlT_E1_NS1_11comp_targetILNS1_3genE9ELNS1_11target_archE1100ELNS1_3gpuE3ELNS1_3repE0EEENS1_30default_config_static_selectorELNS0_4arch9wavefront6targetE0EEEvSQ_
                                        ; -- End function
	.set _ZN7rocprim17ROCPRIM_400000_NS6detail17trampoline_kernelINS0_14default_configENS1_22reduce_config_selectorIbEEZNS1_11reduce_implILb1ES3_N6hipcub16HIPCUB_304000_NS22TransformInputIteratorIbN2at6native12_GLOBAL__N_19NonZeroOpIdEEPKdlEEPiiNS8_6detail34convert_binary_result_type_wrapperINS8_3SumESH_iEEEE10hipError_tPvRmT1_T2_T3_mT4_P12ihipStream_tbEUlT_E1_NS1_11comp_targetILNS1_3genE9ELNS1_11target_archE1100ELNS1_3gpuE3ELNS1_3repE0EEENS1_30default_config_static_selectorELNS0_4arch9wavefront6targetE0EEEvSQ_.num_vgpr, 0
	.set _ZN7rocprim17ROCPRIM_400000_NS6detail17trampoline_kernelINS0_14default_configENS1_22reduce_config_selectorIbEEZNS1_11reduce_implILb1ES3_N6hipcub16HIPCUB_304000_NS22TransformInputIteratorIbN2at6native12_GLOBAL__N_19NonZeroOpIdEEPKdlEEPiiNS8_6detail34convert_binary_result_type_wrapperINS8_3SumESH_iEEEE10hipError_tPvRmT1_T2_T3_mT4_P12ihipStream_tbEUlT_E1_NS1_11comp_targetILNS1_3genE9ELNS1_11target_archE1100ELNS1_3gpuE3ELNS1_3repE0EEENS1_30default_config_static_selectorELNS0_4arch9wavefront6targetE0EEEvSQ_.num_agpr, 0
	.set _ZN7rocprim17ROCPRIM_400000_NS6detail17trampoline_kernelINS0_14default_configENS1_22reduce_config_selectorIbEEZNS1_11reduce_implILb1ES3_N6hipcub16HIPCUB_304000_NS22TransformInputIteratorIbN2at6native12_GLOBAL__N_19NonZeroOpIdEEPKdlEEPiiNS8_6detail34convert_binary_result_type_wrapperINS8_3SumESH_iEEEE10hipError_tPvRmT1_T2_T3_mT4_P12ihipStream_tbEUlT_E1_NS1_11comp_targetILNS1_3genE9ELNS1_11target_archE1100ELNS1_3gpuE3ELNS1_3repE0EEENS1_30default_config_static_selectorELNS0_4arch9wavefront6targetE0EEEvSQ_.numbered_sgpr, 0
	.set _ZN7rocprim17ROCPRIM_400000_NS6detail17trampoline_kernelINS0_14default_configENS1_22reduce_config_selectorIbEEZNS1_11reduce_implILb1ES3_N6hipcub16HIPCUB_304000_NS22TransformInputIteratorIbN2at6native12_GLOBAL__N_19NonZeroOpIdEEPKdlEEPiiNS8_6detail34convert_binary_result_type_wrapperINS8_3SumESH_iEEEE10hipError_tPvRmT1_T2_T3_mT4_P12ihipStream_tbEUlT_E1_NS1_11comp_targetILNS1_3genE9ELNS1_11target_archE1100ELNS1_3gpuE3ELNS1_3repE0EEENS1_30default_config_static_selectorELNS0_4arch9wavefront6targetE0EEEvSQ_.num_named_barrier, 0
	.set _ZN7rocprim17ROCPRIM_400000_NS6detail17trampoline_kernelINS0_14default_configENS1_22reduce_config_selectorIbEEZNS1_11reduce_implILb1ES3_N6hipcub16HIPCUB_304000_NS22TransformInputIteratorIbN2at6native12_GLOBAL__N_19NonZeroOpIdEEPKdlEEPiiNS8_6detail34convert_binary_result_type_wrapperINS8_3SumESH_iEEEE10hipError_tPvRmT1_T2_T3_mT4_P12ihipStream_tbEUlT_E1_NS1_11comp_targetILNS1_3genE9ELNS1_11target_archE1100ELNS1_3gpuE3ELNS1_3repE0EEENS1_30default_config_static_selectorELNS0_4arch9wavefront6targetE0EEEvSQ_.private_seg_size, 0
	.set _ZN7rocprim17ROCPRIM_400000_NS6detail17trampoline_kernelINS0_14default_configENS1_22reduce_config_selectorIbEEZNS1_11reduce_implILb1ES3_N6hipcub16HIPCUB_304000_NS22TransformInputIteratorIbN2at6native12_GLOBAL__N_19NonZeroOpIdEEPKdlEEPiiNS8_6detail34convert_binary_result_type_wrapperINS8_3SumESH_iEEEE10hipError_tPvRmT1_T2_T3_mT4_P12ihipStream_tbEUlT_E1_NS1_11comp_targetILNS1_3genE9ELNS1_11target_archE1100ELNS1_3gpuE3ELNS1_3repE0EEENS1_30default_config_static_selectorELNS0_4arch9wavefront6targetE0EEEvSQ_.uses_vcc, 0
	.set _ZN7rocprim17ROCPRIM_400000_NS6detail17trampoline_kernelINS0_14default_configENS1_22reduce_config_selectorIbEEZNS1_11reduce_implILb1ES3_N6hipcub16HIPCUB_304000_NS22TransformInputIteratorIbN2at6native12_GLOBAL__N_19NonZeroOpIdEEPKdlEEPiiNS8_6detail34convert_binary_result_type_wrapperINS8_3SumESH_iEEEE10hipError_tPvRmT1_T2_T3_mT4_P12ihipStream_tbEUlT_E1_NS1_11comp_targetILNS1_3genE9ELNS1_11target_archE1100ELNS1_3gpuE3ELNS1_3repE0EEENS1_30default_config_static_selectorELNS0_4arch9wavefront6targetE0EEEvSQ_.uses_flat_scratch, 0
	.set _ZN7rocprim17ROCPRIM_400000_NS6detail17trampoline_kernelINS0_14default_configENS1_22reduce_config_selectorIbEEZNS1_11reduce_implILb1ES3_N6hipcub16HIPCUB_304000_NS22TransformInputIteratorIbN2at6native12_GLOBAL__N_19NonZeroOpIdEEPKdlEEPiiNS8_6detail34convert_binary_result_type_wrapperINS8_3SumESH_iEEEE10hipError_tPvRmT1_T2_T3_mT4_P12ihipStream_tbEUlT_E1_NS1_11comp_targetILNS1_3genE9ELNS1_11target_archE1100ELNS1_3gpuE3ELNS1_3repE0EEENS1_30default_config_static_selectorELNS0_4arch9wavefront6targetE0EEEvSQ_.has_dyn_sized_stack, 0
	.set _ZN7rocprim17ROCPRIM_400000_NS6detail17trampoline_kernelINS0_14default_configENS1_22reduce_config_selectorIbEEZNS1_11reduce_implILb1ES3_N6hipcub16HIPCUB_304000_NS22TransformInputIteratorIbN2at6native12_GLOBAL__N_19NonZeroOpIdEEPKdlEEPiiNS8_6detail34convert_binary_result_type_wrapperINS8_3SumESH_iEEEE10hipError_tPvRmT1_T2_T3_mT4_P12ihipStream_tbEUlT_E1_NS1_11comp_targetILNS1_3genE9ELNS1_11target_archE1100ELNS1_3gpuE3ELNS1_3repE0EEENS1_30default_config_static_selectorELNS0_4arch9wavefront6targetE0EEEvSQ_.has_recursion, 0
	.set _ZN7rocprim17ROCPRIM_400000_NS6detail17trampoline_kernelINS0_14default_configENS1_22reduce_config_selectorIbEEZNS1_11reduce_implILb1ES3_N6hipcub16HIPCUB_304000_NS22TransformInputIteratorIbN2at6native12_GLOBAL__N_19NonZeroOpIdEEPKdlEEPiiNS8_6detail34convert_binary_result_type_wrapperINS8_3SumESH_iEEEE10hipError_tPvRmT1_T2_T3_mT4_P12ihipStream_tbEUlT_E1_NS1_11comp_targetILNS1_3genE9ELNS1_11target_archE1100ELNS1_3gpuE3ELNS1_3repE0EEENS1_30default_config_static_selectorELNS0_4arch9wavefront6targetE0EEEvSQ_.has_indirect_call, 0
	.section	.AMDGPU.csdata,"",@progbits
; Kernel info:
; codeLenInByte = 0
; TotalNumSgprs: 0
; NumVgprs: 0
; ScratchSize: 0
; MemoryBound: 0
; FloatMode: 240
; IeeeMode: 1
; LDSByteSize: 0 bytes/workgroup (compile time only)
; SGPRBlocks: 0
; VGPRBlocks: 0
; NumSGPRsForWavesPerEU: 1
; NumVGPRsForWavesPerEU: 1
; Occupancy: 16
; WaveLimiterHint : 0
; COMPUTE_PGM_RSRC2:SCRATCH_EN: 0
; COMPUTE_PGM_RSRC2:USER_SGPR: 2
; COMPUTE_PGM_RSRC2:TRAP_HANDLER: 0
; COMPUTE_PGM_RSRC2:TGID_X_EN: 1
; COMPUTE_PGM_RSRC2:TGID_Y_EN: 0
; COMPUTE_PGM_RSRC2:TGID_Z_EN: 0
; COMPUTE_PGM_RSRC2:TIDIG_COMP_CNT: 0
	.section	.text._ZN7rocprim17ROCPRIM_400000_NS6detail17trampoline_kernelINS0_14default_configENS1_22reduce_config_selectorIbEEZNS1_11reduce_implILb1ES3_N6hipcub16HIPCUB_304000_NS22TransformInputIteratorIbN2at6native12_GLOBAL__N_19NonZeroOpIdEEPKdlEEPiiNS8_6detail34convert_binary_result_type_wrapperINS8_3SumESH_iEEEE10hipError_tPvRmT1_T2_T3_mT4_P12ihipStream_tbEUlT_E1_NS1_11comp_targetILNS1_3genE8ELNS1_11target_archE1030ELNS1_3gpuE2ELNS1_3repE0EEENS1_30default_config_static_selectorELNS0_4arch9wavefront6targetE0EEEvSQ_,"axG",@progbits,_ZN7rocprim17ROCPRIM_400000_NS6detail17trampoline_kernelINS0_14default_configENS1_22reduce_config_selectorIbEEZNS1_11reduce_implILb1ES3_N6hipcub16HIPCUB_304000_NS22TransformInputIteratorIbN2at6native12_GLOBAL__N_19NonZeroOpIdEEPKdlEEPiiNS8_6detail34convert_binary_result_type_wrapperINS8_3SumESH_iEEEE10hipError_tPvRmT1_T2_T3_mT4_P12ihipStream_tbEUlT_E1_NS1_11comp_targetILNS1_3genE8ELNS1_11target_archE1030ELNS1_3gpuE2ELNS1_3repE0EEENS1_30default_config_static_selectorELNS0_4arch9wavefront6targetE0EEEvSQ_,comdat
	.globl	_ZN7rocprim17ROCPRIM_400000_NS6detail17trampoline_kernelINS0_14default_configENS1_22reduce_config_selectorIbEEZNS1_11reduce_implILb1ES3_N6hipcub16HIPCUB_304000_NS22TransformInputIteratorIbN2at6native12_GLOBAL__N_19NonZeroOpIdEEPKdlEEPiiNS8_6detail34convert_binary_result_type_wrapperINS8_3SumESH_iEEEE10hipError_tPvRmT1_T2_T3_mT4_P12ihipStream_tbEUlT_E1_NS1_11comp_targetILNS1_3genE8ELNS1_11target_archE1030ELNS1_3gpuE2ELNS1_3repE0EEENS1_30default_config_static_selectorELNS0_4arch9wavefront6targetE0EEEvSQ_ ; -- Begin function _ZN7rocprim17ROCPRIM_400000_NS6detail17trampoline_kernelINS0_14default_configENS1_22reduce_config_selectorIbEEZNS1_11reduce_implILb1ES3_N6hipcub16HIPCUB_304000_NS22TransformInputIteratorIbN2at6native12_GLOBAL__N_19NonZeroOpIdEEPKdlEEPiiNS8_6detail34convert_binary_result_type_wrapperINS8_3SumESH_iEEEE10hipError_tPvRmT1_T2_T3_mT4_P12ihipStream_tbEUlT_E1_NS1_11comp_targetILNS1_3genE8ELNS1_11target_archE1030ELNS1_3gpuE2ELNS1_3repE0EEENS1_30default_config_static_selectorELNS0_4arch9wavefront6targetE0EEEvSQ_
	.p2align	8
	.type	_ZN7rocprim17ROCPRIM_400000_NS6detail17trampoline_kernelINS0_14default_configENS1_22reduce_config_selectorIbEEZNS1_11reduce_implILb1ES3_N6hipcub16HIPCUB_304000_NS22TransformInputIteratorIbN2at6native12_GLOBAL__N_19NonZeroOpIdEEPKdlEEPiiNS8_6detail34convert_binary_result_type_wrapperINS8_3SumESH_iEEEE10hipError_tPvRmT1_T2_T3_mT4_P12ihipStream_tbEUlT_E1_NS1_11comp_targetILNS1_3genE8ELNS1_11target_archE1030ELNS1_3gpuE2ELNS1_3repE0EEENS1_30default_config_static_selectorELNS0_4arch9wavefront6targetE0EEEvSQ_,@function
_ZN7rocprim17ROCPRIM_400000_NS6detail17trampoline_kernelINS0_14default_configENS1_22reduce_config_selectorIbEEZNS1_11reduce_implILb1ES3_N6hipcub16HIPCUB_304000_NS22TransformInputIteratorIbN2at6native12_GLOBAL__N_19NonZeroOpIdEEPKdlEEPiiNS8_6detail34convert_binary_result_type_wrapperINS8_3SumESH_iEEEE10hipError_tPvRmT1_T2_T3_mT4_P12ihipStream_tbEUlT_E1_NS1_11comp_targetILNS1_3genE8ELNS1_11target_archE1030ELNS1_3gpuE2ELNS1_3repE0EEENS1_30default_config_static_selectorELNS0_4arch9wavefront6targetE0EEEvSQ_: ; @_ZN7rocprim17ROCPRIM_400000_NS6detail17trampoline_kernelINS0_14default_configENS1_22reduce_config_selectorIbEEZNS1_11reduce_implILb1ES3_N6hipcub16HIPCUB_304000_NS22TransformInputIteratorIbN2at6native12_GLOBAL__N_19NonZeroOpIdEEPKdlEEPiiNS8_6detail34convert_binary_result_type_wrapperINS8_3SumESH_iEEEE10hipError_tPvRmT1_T2_T3_mT4_P12ihipStream_tbEUlT_E1_NS1_11comp_targetILNS1_3genE8ELNS1_11target_archE1030ELNS1_3gpuE2ELNS1_3repE0EEENS1_30default_config_static_selectorELNS0_4arch9wavefront6targetE0EEEvSQ_
; %bb.0:
	.section	.rodata,"a",@progbits
	.p2align	6, 0x0
	.amdhsa_kernel _ZN7rocprim17ROCPRIM_400000_NS6detail17trampoline_kernelINS0_14default_configENS1_22reduce_config_selectorIbEEZNS1_11reduce_implILb1ES3_N6hipcub16HIPCUB_304000_NS22TransformInputIteratorIbN2at6native12_GLOBAL__N_19NonZeroOpIdEEPKdlEEPiiNS8_6detail34convert_binary_result_type_wrapperINS8_3SumESH_iEEEE10hipError_tPvRmT1_T2_T3_mT4_P12ihipStream_tbEUlT_E1_NS1_11comp_targetILNS1_3genE8ELNS1_11target_archE1030ELNS1_3gpuE2ELNS1_3repE0EEENS1_30default_config_static_selectorELNS0_4arch9wavefront6targetE0EEEvSQ_
		.amdhsa_group_segment_fixed_size 0
		.amdhsa_private_segment_fixed_size 0
		.amdhsa_kernarg_size 48
		.amdhsa_user_sgpr_count 2
		.amdhsa_user_sgpr_dispatch_ptr 0
		.amdhsa_user_sgpr_queue_ptr 0
		.amdhsa_user_sgpr_kernarg_segment_ptr 1
		.amdhsa_user_sgpr_dispatch_id 0
		.amdhsa_user_sgpr_private_segment_size 0
		.amdhsa_wavefront_size32 1
		.amdhsa_uses_dynamic_stack 0
		.amdhsa_enable_private_segment 0
		.amdhsa_system_sgpr_workgroup_id_x 1
		.amdhsa_system_sgpr_workgroup_id_y 0
		.amdhsa_system_sgpr_workgroup_id_z 0
		.amdhsa_system_sgpr_workgroup_info 0
		.amdhsa_system_vgpr_workitem_id 0
		.amdhsa_next_free_vgpr 1
		.amdhsa_next_free_sgpr 1
		.amdhsa_reserve_vcc 0
		.amdhsa_float_round_mode_32 0
		.amdhsa_float_round_mode_16_64 0
		.amdhsa_float_denorm_mode_32 3
		.amdhsa_float_denorm_mode_16_64 3
		.amdhsa_fp16_overflow 0
		.amdhsa_workgroup_processor_mode 1
		.amdhsa_memory_ordered 1
		.amdhsa_forward_progress 1
		.amdhsa_inst_pref_size 0
		.amdhsa_round_robin_scheduling 0
		.amdhsa_exception_fp_ieee_invalid_op 0
		.amdhsa_exception_fp_denorm_src 0
		.amdhsa_exception_fp_ieee_div_zero 0
		.amdhsa_exception_fp_ieee_overflow 0
		.amdhsa_exception_fp_ieee_underflow 0
		.amdhsa_exception_fp_ieee_inexact 0
		.amdhsa_exception_int_div_zero 0
	.end_amdhsa_kernel
	.section	.text._ZN7rocprim17ROCPRIM_400000_NS6detail17trampoline_kernelINS0_14default_configENS1_22reduce_config_selectorIbEEZNS1_11reduce_implILb1ES3_N6hipcub16HIPCUB_304000_NS22TransformInputIteratorIbN2at6native12_GLOBAL__N_19NonZeroOpIdEEPKdlEEPiiNS8_6detail34convert_binary_result_type_wrapperINS8_3SumESH_iEEEE10hipError_tPvRmT1_T2_T3_mT4_P12ihipStream_tbEUlT_E1_NS1_11comp_targetILNS1_3genE8ELNS1_11target_archE1030ELNS1_3gpuE2ELNS1_3repE0EEENS1_30default_config_static_selectorELNS0_4arch9wavefront6targetE0EEEvSQ_,"axG",@progbits,_ZN7rocprim17ROCPRIM_400000_NS6detail17trampoline_kernelINS0_14default_configENS1_22reduce_config_selectorIbEEZNS1_11reduce_implILb1ES3_N6hipcub16HIPCUB_304000_NS22TransformInputIteratorIbN2at6native12_GLOBAL__N_19NonZeroOpIdEEPKdlEEPiiNS8_6detail34convert_binary_result_type_wrapperINS8_3SumESH_iEEEE10hipError_tPvRmT1_T2_T3_mT4_P12ihipStream_tbEUlT_E1_NS1_11comp_targetILNS1_3genE8ELNS1_11target_archE1030ELNS1_3gpuE2ELNS1_3repE0EEENS1_30default_config_static_selectorELNS0_4arch9wavefront6targetE0EEEvSQ_,comdat
.Lfunc_end389:
	.size	_ZN7rocprim17ROCPRIM_400000_NS6detail17trampoline_kernelINS0_14default_configENS1_22reduce_config_selectorIbEEZNS1_11reduce_implILb1ES3_N6hipcub16HIPCUB_304000_NS22TransformInputIteratorIbN2at6native12_GLOBAL__N_19NonZeroOpIdEEPKdlEEPiiNS8_6detail34convert_binary_result_type_wrapperINS8_3SumESH_iEEEE10hipError_tPvRmT1_T2_T3_mT4_P12ihipStream_tbEUlT_E1_NS1_11comp_targetILNS1_3genE8ELNS1_11target_archE1030ELNS1_3gpuE2ELNS1_3repE0EEENS1_30default_config_static_selectorELNS0_4arch9wavefront6targetE0EEEvSQ_, .Lfunc_end389-_ZN7rocprim17ROCPRIM_400000_NS6detail17trampoline_kernelINS0_14default_configENS1_22reduce_config_selectorIbEEZNS1_11reduce_implILb1ES3_N6hipcub16HIPCUB_304000_NS22TransformInputIteratorIbN2at6native12_GLOBAL__N_19NonZeroOpIdEEPKdlEEPiiNS8_6detail34convert_binary_result_type_wrapperINS8_3SumESH_iEEEE10hipError_tPvRmT1_T2_T3_mT4_P12ihipStream_tbEUlT_E1_NS1_11comp_targetILNS1_3genE8ELNS1_11target_archE1030ELNS1_3gpuE2ELNS1_3repE0EEENS1_30default_config_static_selectorELNS0_4arch9wavefront6targetE0EEEvSQ_
                                        ; -- End function
	.set _ZN7rocprim17ROCPRIM_400000_NS6detail17trampoline_kernelINS0_14default_configENS1_22reduce_config_selectorIbEEZNS1_11reduce_implILb1ES3_N6hipcub16HIPCUB_304000_NS22TransformInputIteratorIbN2at6native12_GLOBAL__N_19NonZeroOpIdEEPKdlEEPiiNS8_6detail34convert_binary_result_type_wrapperINS8_3SumESH_iEEEE10hipError_tPvRmT1_T2_T3_mT4_P12ihipStream_tbEUlT_E1_NS1_11comp_targetILNS1_3genE8ELNS1_11target_archE1030ELNS1_3gpuE2ELNS1_3repE0EEENS1_30default_config_static_selectorELNS0_4arch9wavefront6targetE0EEEvSQ_.num_vgpr, 0
	.set _ZN7rocprim17ROCPRIM_400000_NS6detail17trampoline_kernelINS0_14default_configENS1_22reduce_config_selectorIbEEZNS1_11reduce_implILb1ES3_N6hipcub16HIPCUB_304000_NS22TransformInputIteratorIbN2at6native12_GLOBAL__N_19NonZeroOpIdEEPKdlEEPiiNS8_6detail34convert_binary_result_type_wrapperINS8_3SumESH_iEEEE10hipError_tPvRmT1_T2_T3_mT4_P12ihipStream_tbEUlT_E1_NS1_11comp_targetILNS1_3genE8ELNS1_11target_archE1030ELNS1_3gpuE2ELNS1_3repE0EEENS1_30default_config_static_selectorELNS0_4arch9wavefront6targetE0EEEvSQ_.num_agpr, 0
	.set _ZN7rocprim17ROCPRIM_400000_NS6detail17trampoline_kernelINS0_14default_configENS1_22reduce_config_selectorIbEEZNS1_11reduce_implILb1ES3_N6hipcub16HIPCUB_304000_NS22TransformInputIteratorIbN2at6native12_GLOBAL__N_19NonZeroOpIdEEPKdlEEPiiNS8_6detail34convert_binary_result_type_wrapperINS8_3SumESH_iEEEE10hipError_tPvRmT1_T2_T3_mT4_P12ihipStream_tbEUlT_E1_NS1_11comp_targetILNS1_3genE8ELNS1_11target_archE1030ELNS1_3gpuE2ELNS1_3repE0EEENS1_30default_config_static_selectorELNS0_4arch9wavefront6targetE0EEEvSQ_.numbered_sgpr, 0
	.set _ZN7rocprim17ROCPRIM_400000_NS6detail17trampoline_kernelINS0_14default_configENS1_22reduce_config_selectorIbEEZNS1_11reduce_implILb1ES3_N6hipcub16HIPCUB_304000_NS22TransformInputIteratorIbN2at6native12_GLOBAL__N_19NonZeroOpIdEEPKdlEEPiiNS8_6detail34convert_binary_result_type_wrapperINS8_3SumESH_iEEEE10hipError_tPvRmT1_T2_T3_mT4_P12ihipStream_tbEUlT_E1_NS1_11comp_targetILNS1_3genE8ELNS1_11target_archE1030ELNS1_3gpuE2ELNS1_3repE0EEENS1_30default_config_static_selectorELNS0_4arch9wavefront6targetE0EEEvSQ_.num_named_barrier, 0
	.set _ZN7rocprim17ROCPRIM_400000_NS6detail17trampoline_kernelINS0_14default_configENS1_22reduce_config_selectorIbEEZNS1_11reduce_implILb1ES3_N6hipcub16HIPCUB_304000_NS22TransformInputIteratorIbN2at6native12_GLOBAL__N_19NonZeroOpIdEEPKdlEEPiiNS8_6detail34convert_binary_result_type_wrapperINS8_3SumESH_iEEEE10hipError_tPvRmT1_T2_T3_mT4_P12ihipStream_tbEUlT_E1_NS1_11comp_targetILNS1_3genE8ELNS1_11target_archE1030ELNS1_3gpuE2ELNS1_3repE0EEENS1_30default_config_static_selectorELNS0_4arch9wavefront6targetE0EEEvSQ_.private_seg_size, 0
	.set _ZN7rocprim17ROCPRIM_400000_NS6detail17trampoline_kernelINS0_14default_configENS1_22reduce_config_selectorIbEEZNS1_11reduce_implILb1ES3_N6hipcub16HIPCUB_304000_NS22TransformInputIteratorIbN2at6native12_GLOBAL__N_19NonZeroOpIdEEPKdlEEPiiNS8_6detail34convert_binary_result_type_wrapperINS8_3SumESH_iEEEE10hipError_tPvRmT1_T2_T3_mT4_P12ihipStream_tbEUlT_E1_NS1_11comp_targetILNS1_3genE8ELNS1_11target_archE1030ELNS1_3gpuE2ELNS1_3repE0EEENS1_30default_config_static_selectorELNS0_4arch9wavefront6targetE0EEEvSQ_.uses_vcc, 0
	.set _ZN7rocprim17ROCPRIM_400000_NS6detail17trampoline_kernelINS0_14default_configENS1_22reduce_config_selectorIbEEZNS1_11reduce_implILb1ES3_N6hipcub16HIPCUB_304000_NS22TransformInputIteratorIbN2at6native12_GLOBAL__N_19NonZeroOpIdEEPKdlEEPiiNS8_6detail34convert_binary_result_type_wrapperINS8_3SumESH_iEEEE10hipError_tPvRmT1_T2_T3_mT4_P12ihipStream_tbEUlT_E1_NS1_11comp_targetILNS1_3genE8ELNS1_11target_archE1030ELNS1_3gpuE2ELNS1_3repE0EEENS1_30default_config_static_selectorELNS0_4arch9wavefront6targetE0EEEvSQ_.uses_flat_scratch, 0
	.set _ZN7rocprim17ROCPRIM_400000_NS6detail17trampoline_kernelINS0_14default_configENS1_22reduce_config_selectorIbEEZNS1_11reduce_implILb1ES3_N6hipcub16HIPCUB_304000_NS22TransformInputIteratorIbN2at6native12_GLOBAL__N_19NonZeroOpIdEEPKdlEEPiiNS8_6detail34convert_binary_result_type_wrapperINS8_3SumESH_iEEEE10hipError_tPvRmT1_T2_T3_mT4_P12ihipStream_tbEUlT_E1_NS1_11comp_targetILNS1_3genE8ELNS1_11target_archE1030ELNS1_3gpuE2ELNS1_3repE0EEENS1_30default_config_static_selectorELNS0_4arch9wavefront6targetE0EEEvSQ_.has_dyn_sized_stack, 0
	.set _ZN7rocprim17ROCPRIM_400000_NS6detail17trampoline_kernelINS0_14default_configENS1_22reduce_config_selectorIbEEZNS1_11reduce_implILb1ES3_N6hipcub16HIPCUB_304000_NS22TransformInputIteratorIbN2at6native12_GLOBAL__N_19NonZeroOpIdEEPKdlEEPiiNS8_6detail34convert_binary_result_type_wrapperINS8_3SumESH_iEEEE10hipError_tPvRmT1_T2_T3_mT4_P12ihipStream_tbEUlT_E1_NS1_11comp_targetILNS1_3genE8ELNS1_11target_archE1030ELNS1_3gpuE2ELNS1_3repE0EEENS1_30default_config_static_selectorELNS0_4arch9wavefront6targetE0EEEvSQ_.has_recursion, 0
	.set _ZN7rocprim17ROCPRIM_400000_NS6detail17trampoline_kernelINS0_14default_configENS1_22reduce_config_selectorIbEEZNS1_11reduce_implILb1ES3_N6hipcub16HIPCUB_304000_NS22TransformInputIteratorIbN2at6native12_GLOBAL__N_19NonZeroOpIdEEPKdlEEPiiNS8_6detail34convert_binary_result_type_wrapperINS8_3SumESH_iEEEE10hipError_tPvRmT1_T2_T3_mT4_P12ihipStream_tbEUlT_E1_NS1_11comp_targetILNS1_3genE8ELNS1_11target_archE1030ELNS1_3gpuE2ELNS1_3repE0EEENS1_30default_config_static_selectorELNS0_4arch9wavefront6targetE0EEEvSQ_.has_indirect_call, 0
	.section	.AMDGPU.csdata,"",@progbits
; Kernel info:
; codeLenInByte = 0
; TotalNumSgprs: 0
; NumVgprs: 0
; ScratchSize: 0
; MemoryBound: 0
; FloatMode: 240
; IeeeMode: 1
; LDSByteSize: 0 bytes/workgroup (compile time only)
; SGPRBlocks: 0
; VGPRBlocks: 0
; NumSGPRsForWavesPerEU: 1
; NumVGPRsForWavesPerEU: 1
; Occupancy: 16
; WaveLimiterHint : 0
; COMPUTE_PGM_RSRC2:SCRATCH_EN: 0
; COMPUTE_PGM_RSRC2:USER_SGPR: 2
; COMPUTE_PGM_RSRC2:TRAP_HANDLER: 0
; COMPUTE_PGM_RSRC2:TGID_X_EN: 1
; COMPUTE_PGM_RSRC2:TGID_Y_EN: 0
; COMPUTE_PGM_RSRC2:TGID_Z_EN: 0
; COMPUTE_PGM_RSRC2:TIDIG_COMP_CNT: 0
	.section	.text._ZN7rocprim17ROCPRIM_400000_NS6detail17trampoline_kernelINS0_14default_configENS1_25partition_config_selectorILNS1_17partition_subalgoE5ElNS0_10empty_typeEbEEZZNS1_14partition_implILS5_5ELb0ES3_mN6hipcub16HIPCUB_304000_NS21CountingInputIteratorIllEEPS6_NSA_22TransformInputIteratorIbN2at6native12_GLOBAL__N_19NonZeroOpIdEEPKdlEENS0_5tupleIJPlS6_EEENSN_IJSD_SD_EEES6_PiJS6_EEE10hipError_tPvRmT3_T4_T5_T6_T7_T9_mT8_P12ihipStream_tbDpT10_ENKUlT_T0_E_clISt17integral_constantIbLb0EES1B_EEDaS16_S17_EUlS16_E_NS1_11comp_targetILNS1_3genE0ELNS1_11target_archE4294967295ELNS1_3gpuE0ELNS1_3repE0EEENS1_30default_config_static_selectorELNS0_4arch9wavefront6targetE0EEEvT1_,"axG",@progbits,_ZN7rocprim17ROCPRIM_400000_NS6detail17trampoline_kernelINS0_14default_configENS1_25partition_config_selectorILNS1_17partition_subalgoE5ElNS0_10empty_typeEbEEZZNS1_14partition_implILS5_5ELb0ES3_mN6hipcub16HIPCUB_304000_NS21CountingInputIteratorIllEEPS6_NSA_22TransformInputIteratorIbN2at6native12_GLOBAL__N_19NonZeroOpIdEEPKdlEENS0_5tupleIJPlS6_EEENSN_IJSD_SD_EEES6_PiJS6_EEE10hipError_tPvRmT3_T4_T5_T6_T7_T9_mT8_P12ihipStream_tbDpT10_ENKUlT_T0_E_clISt17integral_constantIbLb0EES1B_EEDaS16_S17_EUlS16_E_NS1_11comp_targetILNS1_3genE0ELNS1_11target_archE4294967295ELNS1_3gpuE0ELNS1_3repE0EEENS1_30default_config_static_selectorELNS0_4arch9wavefront6targetE0EEEvT1_,comdat
	.globl	_ZN7rocprim17ROCPRIM_400000_NS6detail17trampoline_kernelINS0_14default_configENS1_25partition_config_selectorILNS1_17partition_subalgoE5ElNS0_10empty_typeEbEEZZNS1_14partition_implILS5_5ELb0ES3_mN6hipcub16HIPCUB_304000_NS21CountingInputIteratorIllEEPS6_NSA_22TransformInputIteratorIbN2at6native12_GLOBAL__N_19NonZeroOpIdEEPKdlEENS0_5tupleIJPlS6_EEENSN_IJSD_SD_EEES6_PiJS6_EEE10hipError_tPvRmT3_T4_T5_T6_T7_T9_mT8_P12ihipStream_tbDpT10_ENKUlT_T0_E_clISt17integral_constantIbLb0EES1B_EEDaS16_S17_EUlS16_E_NS1_11comp_targetILNS1_3genE0ELNS1_11target_archE4294967295ELNS1_3gpuE0ELNS1_3repE0EEENS1_30default_config_static_selectorELNS0_4arch9wavefront6targetE0EEEvT1_ ; -- Begin function _ZN7rocprim17ROCPRIM_400000_NS6detail17trampoline_kernelINS0_14default_configENS1_25partition_config_selectorILNS1_17partition_subalgoE5ElNS0_10empty_typeEbEEZZNS1_14partition_implILS5_5ELb0ES3_mN6hipcub16HIPCUB_304000_NS21CountingInputIteratorIllEEPS6_NSA_22TransformInputIteratorIbN2at6native12_GLOBAL__N_19NonZeroOpIdEEPKdlEENS0_5tupleIJPlS6_EEENSN_IJSD_SD_EEES6_PiJS6_EEE10hipError_tPvRmT3_T4_T5_T6_T7_T9_mT8_P12ihipStream_tbDpT10_ENKUlT_T0_E_clISt17integral_constantIbLb0EES1B_EEDaS16_S17_EUlS16_E_NS1_11comp_targetILNS1_3genE0ELNS1_11target_archE4294967295ELNS1_3gpuE0ELNS1_3repE0EEENS1_30default_config_static_selectorELNS0_4arch9wavefront6targetE0EEEvT1_
	.p2align	8
	.type	_ZN7rocprim17ROCPRIM_400000_NS6detail17trampoline_kernelINS0_14default_configENS1_25partition_config_selectorILNS1_17partition_subalgoE5ElNS0_10empty_typeEbEEZZNS1_14partition_implILS5_5ELb0ES3_mN6hipcub16HIPCUB_304000_NS21CountingInputIteratorIllEEPS6_NSA_22TransformInputIteratorIbN2at6native12_GLOBAL__N_19NonZeroOpIdEEPKdlEENS0_5tupleIJPlS6_EEENSN_IJSD_SD_EEES6_PiJS6_EEE10hipError_tPvRmT3_T4_T5_T6_T7_T9_mT8_P12ihipStream_tbDpT10_ENKUlT_T0_E_clISt17integral_constantIbLb0EES1B_EEDaS16_S17_EUlS16_E_NS1_11comp_targetILNS1_3genE0ELNS1_11target_archE4294967295ELNS1_3gpuE0ELNS1_3repE0EEENS1_30default_config_static_selectorELNS0_4arch9wavefront6targetE0EEEvT1_,@function
_ZN7rocprim17ROCPRIM_400000_NS6detail17trampoline_kernelINS0_14default_configENS1_25partition_config_selectorILNS1_17partition_subalgoE5ElNS0_10empty_typeEbEEZZNS1_14partition_implILS5_5ELb0ES3_mN6hipcub16HIPCUB_304000_NS21CountingInputIteratorIllEEPS6_NSA_22TransformInputIteratorIbN2at6native12_GLOBAL__N_19NonZeroOpIdEEPKdlEENS0_5tupleIJPlS6_EEENSN_IJSD_SD_EEES6_PiJS6_EEE10hipError_tPvRmT3_T4_T5_T6_T7_T9_mT8_P12ihipStream_tbDpT10_ENKUlT_T0_E_clISt17integral_constantIbLb0EES1B_EEDaS16_S17_EUlS16_E_NS1_11comp_targetILNS1_3genE0ELNS1_11target_archE4294967295ELNS1_3gpuE0ELNS1_3repE0EEENS1_30default_config_static_selectorELNS0_4arch9wavefront6targetE0EEEvT1_: ; @_ZN7rocprim17ROCPRIM_400000_NS6detail17trampoline_kernelINS0_14default_configENS1_25partition_config_selectorILNS1_17partition_subalgoE5ElNS0_10empty_typeEbEEZZNS1_14partition_implILS5_5ELb0ES3_mN6hipcub16HIPCUB_304000_NS21CountingInputIteratorIllEEPS6_NSA_22TransformInputIteratorIbN2at6native12_GLOBAL__N_19NonZeroOpIdEEPKdlEENS0_5tupleIJPlS6_EEENSN_IJSD_SD_EEES6_PiJS6_EEE10hipError_tPvRmT3_T4_T5_T6_T7_T9_mT8_P12ihipStream_tbDpT10_ENKUlT_T0_E_clISt17integral_constantIbLb0EES1B_EEDaS16_S17_EUlS16_E_NS1_11comp_targetILNS1_3genE0ELNS1_11target_archE4294967295ELNS1_3gpuE0ELNS1_3repE0EEENS1_30default_config_static_selectorELNS0_4arch9wavefront6targetE0EEEvT1_
; %bb.0:
	.section	.rodata,"a",@progbits
	.p2align	6, 0x0
	.amdhsa_kernel _ZN7rocprim17ROCPRIM_400000_NS6detail17trampoline_kernelINS0_14default_configENS1_25partition_config_selectorILNS1_17partition_subalgoE5ElNS0_10empty_typeEbEEZZNS1_14partition_implILS5_5ELb0ES3_mN6hipcub16HIPCUB_304000_NS21CountingInputIteratorIllEEPS6_NSA_22TransformInputIteratorIbN2at6native12_GLOBAL__N_19NonZeroOpIdEEPKdlEENS0_5tupleIJPlS6_EEENSN_IJSD_SD_EEES6_PiJS6_EEE10hipError_tPvRmT3_T4_T5_T6_T7_T9_mT8_P12ihipStream_tbDpT10_ENKUlT_T0_E_clISt17integral_constantIbLb0EES1B_EEDaS16_S17_EUlS16_E_NS1_11comp_targetILNS1_3genE0ELNS1_11target_archE4294967295ELNS1_3gpuE0ELNS1_3repE0EEENS1_30default_config_static_selectorELNS0_4arch9wavefront6targetE0EEEvT1_
		.amdhsa_group_segment_fixed_size 0
		.amdhsa_private_segment_fixed_size 0
		.amdhsa_kernarg_size 120
		.amdhsa_user_sgpr_count 2
		.amdhsa_user_sgpr_dispatch_ptr 0
		.amdhsa_user_sgpr_queue_ptr 0
		.amdhsa_user_sgpr_kernarg_segment_ptr 1
		.amdhsa_user_sgpr_dispatch_id 0
		.amdhsa_user_sgpr_private_segment_size 0
		.amdhsa_wavefront_size32 1
		.amdhsa_uses_dynamic_stack 0
		.amdhsa_enable_private_segment 0
		.amdhsa_system_sgpr_workgroup_id_x 1
		.amdhsa_system_sgpr_workgroup_id_y 0
		.amdhsa_system_sgpr_workgroup_id_z 0
		.amdhsa_system_sgpr_workgroup_info 0
		.amdhsa_system_vgpr_workitem_id 0
		.amdhsa_next_free_vgpr 1
		.amdhsa_next_free_sgpr 1
		.amdhsa_reserve_vcc 0
		.amdhsa_float_round_mode_32 0
		.amdhsa_float_round_mode_16_64 0
		.amdhsa_float_denorm_mode_32 3
		.amdhsa_float_denorm_mode_16_64 3
		.amdhsa_fp16_overflow 0
		.amdhsa_workgroup_processor_mode 1
		.amdhsa_memory_ordered 1
		.amdhsa_forward_progress 1
		.amdhsa_inst_pref_size 0
		.amdhsa_round_robin_scheduling 0
		.amdhsa_exception_fp_ieee_invalid_op 0
		.amdhsa_exception_fp_denorm_src 0
		.amdhsa_exception_fp_ieee_div_zero 0
		.amdhsa_exception_fp_ieee_overflow 0
		.amdhsa_exception_fp_ieee_underflow 0
		.amdhsa_exception_fp_ieee_inexact 0
		.amdhsa_exception_int_div_zero 0
	.end_amdhsa_kernel
	.section	.text._ZN7rocprim17ROCPRIM_400000_NS6detail17trampoline_kernelINS0_14default_configENS1_25partition_config_selectorILNS1_17partition_subalgoE5ElNS0_10empty_typeEbEEZZNS1_14partition_implILS5_5ELb0ES3_mN6hipcub16HIPCUB_304000_NS21CountingInputIteratorIllEEPS6_NSA_22TransformInputIteratorIbN2at6native12_GLOBAL__N_19NonZeroOpIdEEPKdlEENS0_5tupleIJPlS6_EEENSN_IJSD_SD_EEES6_PiJS6_EEE10hipError_tPvRmT3_T4_T5_T6_T7_T9_mT8_P12ihipStream_tbDpT10_ENKUlT_T0_E_clISt17integral_constantIbLb0EES1B_EEDaS16_S17_EUlS16_E_NS1_11comp_targetILNS1_3genE0ELNS1_11target_archE4294967295ELNS1_3gpuE0ELNS1_3repE0EEENS1_30default_config_static_selectorELNS0_4arch9wavefront6targetE0EEEvT1_,"axG",@progbits,_ZN7rocprim17ROCPRIM_400000_NS6detail17trampoline_kernelINS0_14default_configENS1_25partition_config_selectorILNS1_17partition_subalgoE5ElNS0_10empty_typeEbEEZZNS1_14partition_implILS5_5ELb0ES3_mN6hipcub16HIPCUB_304000_NS21CountingInputIteratorIllEEPS6_NSA_22TransformInputIteratorIbN2at6native12_GLOBAL__N_19NonZeroOpIdEEPKdlEENS0_5tupleIJPlS6_EEENSN_IJSD_SD_EEES6_PiJS6_EEE10hipError_tPvRmT3_T4_T5_T6_T7_T9_mT8_P12ihipStream_tbDpT10_ENKUlT_T0_E_clISt17integral_constantIbLb0EES1B_EEDaS16_S17_EUlS16_E_NS1_11comp_targetILNS1_3genE0ELNS1_11target_archE4294967295ELNS1_3gpuE0ELNS1_3repE0EEENS1_30default_config_static_selectorELNS0_4arch9wavefront6targetE0EEEvT1_,comdat
.Lfunc_end390:
	.size	_ZN7rocprim17ROCPRIM_400000_NS6detail17trampoline_kernelINS0_14default_configENS1_25partition_config_selectorILNS1_17partition_subalgoE5ElNS0_10empty_typeEbEEZZNS1_14partition_implILS5_5ELb0ES3_mN6hipcub16HIPCUB_304000_NS21CountingInputIteratorIllEEPS6_NSA_22TransformInputIteratorIbN2at6native12_GLOBAL__N_19NonZeroOpIdEEPKdlEENS0_5tupleIJPlS6_EEENSN_IJSD_SD_EEES6_PiJS6_EEE10hipError_tPvRmT3_T4_T5_T6_T7_T9_mT8_P12ihipStream_tbDpT10_ENKUlT_T0_E_clISt17integral_constantIbLb0EES1B_EEDaS16_S17_EUlS16_E_NS1_11comp_targetILNS1_3genE0ELNS1_11target_archE4294967295ELNS1_3gpuE0ELNS1_3repE0EEENS1_30default_config_static_selectorELNS0_4arch9wavefront6targetE0EEEvT1_, .Lfunc_end390-_ZN7rocprim17ROCPRIM_400000_NS6detail17trampoline_kernelINS0_14default_configENS1_25partition_config_selectorILNS1_17partition_subalgoE5ElNS0_10empty_typeEbEEZZNS1_14partition_implILS5_5ELb0ES3_mN6hipcub16HIPCUB_304000_NS21CountingInputIteratorIllEEPS6_NSA_22TransformInputIteratorIbN2at6native12_GLOBAL__N_19NonZeroOpIdEEPKdlEENS0_5tupleIJPlS6_EEENSN_IJSD_SD_EEES6_PiJS6_EEE10hipError_tPvRmT3_T4_T5_T6_T7_T9_mT8_P12ihipStream_tbDpT10_ENKUlT_T0_E_clISt17integral_constantIbLb0EES1B_EEDaS16_S17_EUlS16_E_NS1_11comp_targetILNS1_3genE0ELNS1_11target_archE4294967295ELNS1_3gpuE0ELNS1_3repE0EEENS1_30default_config_static_selectorELNS0_4arch9wavefront6targetE0EEEvT1_
                                        ; -- End function
	.set _ZN7rocprim17ROCPRIM_400000_NS6detail17trampoline_kernelINS0_14default_configENS1_25partition_config_selectorILNS1_17partition_subalgoE5ElNS0_10empty_typeEbEEZZNS1_14partition_implILS5_5ELb0ES3_mN6hipcub16HIPCUB_304000_NS21CountingInputIteratorIllEEPS6_NSA_22TransformInputIteratorIbN2at6native12_GLOBAL__N_19NonZeroOpIdEEPKdlEENS0_5tupleIJPlS6_EEENSN_IJSD_SD_EEES6_PiJS6_EEE10hipError_tPvRmT3_T4_T5_T6_T7_T9_mT8_P12ihipStream_tbDpT10_ENKUlT_T0_E_clISt17integral_constantIbLb0EES1B_EEDaS16_S17_EUlS16_E_NS1_11comp_targetILNS1_3genE0ELNS1_11target_archE4294967295ELNS1_3gpuE0ELNS1_3repE0EEENS1_30default_config_static_selectorELNS0_4arch9wavefront6targetE0EEEvT1_.num_vgpr, 0
	.set _ZN7rocprim17ROCPRIM_400000_NS6detail17trampoline_kernelINS0_14default_configENS1_25partition_config_selectorILNS1_17partition_subalgoE5ElNS0_10empty_typeEbEEZZNS1_14partition_implILS5_5ELb0ES3_mN6hipcub16HIPCUB_304000_NS21CountingInputIteratorIllEEPS6_NSA_22TransformInputIteratorIbN2at6native12_GLOBAL__N_19NonZeroOpIdEEPKdlEENS0_5tupleIJPlS6_EEENSN_IJSD_SD_EEES6_PiJS6_EEE10hipError_tPvRmT3_T4_T5_T6_T7_T9_mT8_P12ihipStream_tbDpT10_ENKUlT_T0_E_clISt17integral_constantIbLb0EES1B_EEDaS16_S17_EUlS16_E_NS1_11comp_targetILNS1_3genE0ELNS1_11target_archE4294967295ELNS1_3gpuE0ELNS1_3repE0EEENS1_30default_config_static_selectorELNS0_4arch9wavefront6targetE0EEEvT1_.num_agpr, 0
	.set _ZN7rocprim17ROCPRIM_400000_NS6detail17trampoline_kernelINS0_14default_configENS1_25partition_config_selectorILNS1_17partition_subalgoE5ElNS0_10empty_typeEbEEZZNS1_14partition_implILS5_5ELb0ES3_mN6hipcub16HIPCUB_304000_NS21CountingInputIteratorIllEEPS6_NSA_22TransformInputIteratorIbN2at6native12_GLOBAL__N_19NonZeroOpIdEEPKdlEENS0_5tupleIJPlS6_EEENSN_IJSD_SD_EEES6_PiJS6_EEE10hipError_tPvRmT3_T4_T5_T6_T7_T9_mT8_P12ihipStream_tbDpT10_ENKUlT_T0_E_clISt17integral_constantIbLb0EES1B_EEDaS16_S17_EUlS16_E_NS1_11comp_targetILNS1_3genE0ELNS1_11target_archE4294967295ELNS1_3gpuE0ELNS1_3repE0EEENS1_30default_config_static_selectorELNS0_4arch9wavefront6targetE0EEEvT1_.numbered_sgpr, 0
	.set _ZN7rocprim17ROCPRIM_400000_NS6detail17trampoline_kernelINS0_14default_configENS1_25partition_config_selectorILNS1_17partition_subalgoE5ElNS0_10empty_typeEbEEZZNS1_14partition_implILS5_5ELb0ES3_mN6hipcub16HIPCUB_304000_NS21CountingInputIteratorIllEEPS6_NSA_22TransformInputIteratorIbN2at6native12_GLOBAL__N_19NonZeroOpIdEEPKdlEENS0_5tupleIJPlS6_EEENSN_IJSD_SD_EEES6_PiJS6_EEE10hipError_tPvRmT3_T4_T5_T6_T7_T9_mT8_P12ihipStream_tbDpT10_ENKUlT_T0_E_clISt17integral_constantIbLb0EES1B_EEDaS16_S17_EUlS16_E_NS1_11comp_targetILNS1_3genE0ELNS1_11target_archE4294967295ELNS1_3gpuE0ELNS1_3repE0EEENS1_30default_config_static_selectorELNS0_4arch9wavefront6targetE0EEEvT1_.num_named_barrier, 0
	.set _ZN7rocprim17ROCPRIM_400000_NS6detail17trampoline_kernelINS0_14default_configENS1_25partition_config_selectorILNS1_17partition_subalgoE5ElNS0_10empty_typeEbEEZZNS1_14partition_implILS5_5ELb0ES3_mN6hipcub16HIPCUB_304000_NS21CountingInputIteratorIllEEPS6_NSA_22TransformInputIteratorIbN2at6native12_GLOBAL__N_19NonZeroOpIdEEPKdlEENS0_5tupleIJPlS6_EEENSN_IJSD_SD_EEES6_PiJS6_EEE10hipError_tPvRmT3_T4_T5_T6_T7_T9_mT8_P12ihipStream_tbDpT10_ENKUlT_T0_E_clISt17integral_constantIbLb0EES1B_EEDaS16_S17_EUlS16_E_NS1_11comp_targetILNS1_3genE0ELNS1_11target_archE4294967295ELNS1_3gpuE0ELNS1_3repE0EEENS1_30default_config_static_selectorELNS0_4arch9wavefront6targetE0EEEvT1_.private_seg_size, 0
	.set _ZN7rocprim17ROCPRIM_400000_NS6detail17trampoline_kernelINS0_14default_configENS1_25partition_config_selectorILNS1_17partition_subalgoE5ElNS0_10empty_typeEbEEZZNS1_14partition_implILS5_5ELb0ES3_mN6hipcub16HIPCUB_304000_NS21CountingInputIteratorIllEEPS6_NSA_22TransformInputIteratorIbN2at6native12_GLOBAL__N_19NonZeroOpIdEEPKdlEENS0_5tupleIJPlS6_EEENSN_IJSD_SD_EEES6_PiJS6_EEE10hipError_tPvRmT3_T4_T5_T6_T7_T9_mT8_P12ihipStream_tbDpT10_ENKUlT_T0_E_clISt17integral_constantIbLb0EES1B_EEDaS16_S17_EUlS16_E_NS1_11comp_targetILNS1_3genE0ELNS1_11target_archE4294967295ELNS1_3gpuE0ELNS1_3repE0EEENS1_30default_config_static_selectorELNS0_4arch9wavefront6targetE0EEEvT1_.uses_vcc, 0
	.set _ZN7rocprim17ROCPRIM_400000_NS6detail17trampoline_kernelINS0_14default_configENS1_25partition_config_selectorILNS1_17partition_subalgoE5ElNS0_10empty_typeEbEEZZNS1_14partition_implILS5_5ELb0ES3_mN6hipcub16HIPCUB_304000_NS21CountingInputIteratorIllEEPS6_NSA_22TransformInputIteratorIbN2at6native12_GLOBAL__N_19NonZeroOpIdEEPKdlEENS0_5tupleIJPlS6_EEENSN_IJSD_SD_EEES6_PiJS6_EEE10hipError_tPvRmT3_T4_T5_T6_T7_T9_mT8_P12ihipStream_tbDpT10_ENKUlT_T0_E_clISt17integral_constantIbLb0EES1B_EEDaS16_S17_EUlS16_E_NS1_11comp_targetILNS1_3genE0ELNS1_11target_archE4294967295ELNS1_3gpuE0ELNS1_3repE0EEENS1_30default_config_static_selectorELNS0_4arch9wavefront6targetE0EEEvT1_.uses_flat_scratch, 0
	.set _ZN7rocprim17ROCPRIM_400000_NS6detail17trampoline_kernelINS0_14default_configENS1_25partition_config_selectorILNS1_17partition_subalgoE5ElNS0_10empty_typeEbEEZZNS1_14partition_implILS5_5ELb0ES3_mN6hipcub16HIPCUB_304000_NS21CountingInputIteratorIllEEPS6_NSA_22TransformInputIteratorIbN2at6native12_GLOBAL__N_19NonZeroOpIdEEPKdlEENS0_5tupleIJPlS6_EEENSN_IJSD_SD_EEES6_PiJS6_EEE10hipError_tPvRmT3_T4_T5_T6_T7_T9_mT8_P12ihipStream_tbDpT10_ENKUlT_T0_E_clISt17integral_constantIbLb0EES1B_EEDaS16_S17_EUlS16_E_NS1_11comp_targetILNS1_3genE0ELNS1_11target_archE4294967295ELNS1_3gpuE0ELNS1_3repE0EEENS1_30default_config_static_selectorELNS0_4arch9wavefront6targetE0EEEvT1_.has_dyn_sized_stack, 0
	.set _ZN7rocprim17ROCPRIM_400000_NS6detail17trampoline_kernelINS0_14default_configENS1_25partition_config_selectorILNS1_17partition_subalgoE5ElNS0_10empty_typeEbEEZZNS1_14partition_implILS5_5ELb0ES3_mN6hipcub16HIPCUB_304000_NS21CountingInputIteratorIllEEPS6_NSA_22TransformInputIteratorIbN2at6native12_GLOBAL__N_19NonZeroOpIdEEPKdlEENS0_5tupleIJPlS6_EEENSN_IJSD_SD_EEES6_PiJS6_EEE10hipError_tPvRmT3_T4_T5_T6_T7_T9_mT8_P12ihipStream_tbDpT10_ENKUlT_T0_E_clISt17integral_constantIbLb0EES1B_EEDaS16_S17_EUlS16_E_NS1_11comp_targetILNS1_3genE0ELNS1_11target_archE4294967295ELNS1_3gpuE0ELNS1_3repE0EEENS1_30default_config_static_selectorELNS0_4arch9wavefront6targetE0EEEvT1_.has_recursion, 0
	.set _ZN7rocprim17ROCPRIM_400000_NS6detail17trampoline_kernelINS0_14default_configENS1_25partition_config_selectorILNS1_17partition_subalgoE5ElNS0_10empty_typeEbEEZZNS1_14partition_implILS5_5ELb0ES3_mN6hipcub16HIPCUB_304000_NS21CountingInputIteratorIllEEPS6_NSA_22TransformInputIteratorIbN2at6native12_GLOBAL__N_19NonZeroOpIdEEPKdlEENS0_5tupleIJPlS6_EEENSN_IJSD_SD_EEES6_PiJS6_EEE10hipError_tPvRmT3_T4_T5_T6_T7_T9_mT8_P12ihipStream_tbDpT10_ENKUlT_T0_E_clISt17integral_constantIbLb0EES1B_EEDaS16_S17_EUlS16_E_NS1_11comp_targetILNS1_3genE0ELNS1_11target_archE4294967295ELNS1_3gpuE0ELNS1_3repE0EEENS1_30default_config_static_selectorELNS0_4arch9wavefront6targetE0EEEvT1_.has_indirect_call, 0
	.section	.AMDGPU.csdata,"",@progbits
; Kernel info:
; codeLenInByte = 0
; TotalNumSgprs: 0
; NumVgprs: 0
; ScratchSize: 0
; MemoryBound: 0
; FloatMode: 240
; IeeeMode: 1
; LDSByteSize: 0 bytes/workgroup (compile time only)
; SGPRBlocks: 0
; VGPRBlocks: 0
; NumSGPRsForWavesPerEU: 1
; NumVGPRsForWavesPerEU: 1
; Occupancy: 16
; WaveLimiterHint : 0
; COMPUTE_PGM_RSRC2:SCRATCH_EN: 0
; COMPUTE_PGM_RSRC2:USER_SGPR: 2
; COMPUTE_PGM_RSRC2:TRAP_HANDLER: 0
; COMPUTE_PGM_RSRC2:TGID_X_EN: 1
; COMPUTE_PGM_RSRC2:TGID_Y_EN: 0
; COMPUTE_PGM_RSRC2:TGID_Z_EN: 0
; COMPUTE_PGM_RSRC2:TIDIG_COMP_CNT: 0
	.section	.text._ZN7rocprim17ROCPRIM_400000_NS6detail17trampoline_kernelINS0_14default_configENS1_25partition_config_selectorILNS1_17partition_subalgoE5ElNS0_10empty_typeEbEEZZNS1_14partition_implILS5_5ELb0ES3_mN6hipcub16HIPCUB_304000_NS21CountingInputIteratorIllEEPS6_NSA_22TransformInputIteratorIbN2at6native12_GLOBAL__N_19NonZeroOpIdEEPKdlEENS0_5tupleIJPlS6_EEENSN_IJSD_SD_EEES6_PiJS6_EEE10hipError_tPvRmT3_T4_T5_T6_T7_T9_mT8_P12ihipStream_tbDpT10_ENKUlT_T0_E_clISt17integral_constantIbLb0EES1B_EEDaS16_S17_EUlS16_E_NS1_11comp_targetILNS1_3genE5ELNS1_11target_archE942ELNS1_3gpuE9ELNS1_3repE0EEENS1_30default_config_static_selectorELNS0_4arch9wavefront6targetE0EEEvT1_,"axG",@progbits,_ZN7rocprim17ROCPRIM_400000_NS6detail17trampoline_kernelINS0_14default_configENS1_25partition_config_selectorILNS1_17partition_subalgoE5ElNS0_10empty_typeEbEEZZNS1_14partition_implILS5_5ELb0ES3_mN6hipcub16HIPCUB_304000_NS21CountingInputIteratorIllEEPS6_NSA_22TransformInputIteratorIbN2at6native12_GLOBAL__N_19NonZeroOpIdEEPKdlEENS0_5tupleIJPlS6_EEENSN_IJSD_SD_EEES6_PiJS6_EEE10hipError_tPvRmT3_T4_T5_T6_T7_T9_mT8_P12ihipStream_tbDpT10_ENKUlT_T0_E_clISt17integral_constantIbLb0EES1B_EEDaS16_S17_EUlS16_E_NS1_11comp_targetILNS1_3genE5ELNS1_11target_archE942ELNS1_3gpuE9ELNS1_3repE0EEENS1_30default_config_static_selectorELNS0_4arch9wavefront6targetE0EEEvT1_,comdat
	.globl	_ZN7rocprim17ROCPRIM_400000_NS6detail17trampoline_kernelINS0_14default_configENS1_25partition_config_selectorILNS1_17partition_subalgoE5ElNS0_10empty_typeEbEEZZNS1_14partition_implILS5_5ELb0ES3_mN6hipcub16HIPCUB_304000_NS21CountingInputIteratorIllEEPS6_NSA_22TransformInputIteratorIbN2at6native12_GLOBAL__N_19NonZeroOpIdEEPKdlEENS0_5tupleIJPlS6_EEENSN_IJSD_SD_EEES6_PiJS6_EEE10hipError_tPvRmT3_T4_T5_T6_T7_T9_mT8_P12ihipStream_tbDpT10_ENKUlT_T0_E_clISt17integral_constantIbLb0EES1B_EEDaS16_S17_EUlS16_E_NS1_11comp_targetILNS1_3genE5ELNS1_11target_archE942ELNS1_3gpuE9ELNS1_3repE0EEENS1_30default_config_static_selectorELNS0_4arch9wavefront6targetE0EEEvT1_ ; -- Begin function _ZN7rocprim17ROCPRIM_400000_NS6detail17trampoline_kernelINS0_14default_configENS1_25partition_config_selectorILNS1_17partition_subalgoE5ElNS0_10empty_typeEbEEZZNS1_14partition_implILS5_5ELb0ES3_mN6hipcub16HIPCUB_304000_NS21CountingInputIteratorIllEEPS6_NSA_22TransformInputIteratorIbN2at6native12_GLOBAL__N_19NonZeroOpIdEEPKdlEENS0_5tupleIJPlS6_EEENSN_IJSD_SD_EEES6_PiJS6_EEE10hipError_tPvRmT3_T4_T5_T6_T7_T9_mT8_P12ihipStream_tbDpT10_ENKUlT_T0_E_clISt17integral_constantIbLb0EES1B_EEDaS16_S17_EUlS16_E_NS1_11comp_targetILNS1_3genE5ELNS1_11target_archE942ELNS1_3gpuE9ELNS1_3repE0EEENS1_30default_config_static_selectorELNS0_4arch9wavefront6targetE0EEEvT1_
	.p2align	8
	.type	_ZN7rocprim17ROCPRIM_400000_NS6detail17trampoline_kernelINS0_14default_configENS1_25partition_config_selectorILNS1_17partition_subalgoE5ElNS0_10empty_typeEbEEZZNS1_14partition_implILS5_5ELb0ES3_mN6hipcub16HIPCUB_304000_NS21CountingInputIteratorIllEEPS6_NSA_22TransformInputIteratorIbN2at6native12_GLOBAL__N_19NonZeroOpIdEEPKdlEENS0_5tupleIJPlS6_EEENSN_IJSD_SD_EEES6_PiJS6_EEE10hipError_tPvRmT3_T4_T5_T6_T7_T9_mT8_P12ihipStream_tbDpT10_ENKUlT_T0_E_clISt17integral_constantIbLb0EES1B_EEDaS16_S17_EUlS16_E_NS1_11comp_targetILNS1_3genE5ELNS1_11target_archE942ELNS1_3gpuE9ELNS1_3repE0EEENS1_30default_config_static_selectorELNS0_4arch9wavefront6targetE0EEEvT1_,@function
_ZN7rocprim17ROCPRIM_400000_NS6detail17trampoline_kernelINS0_14default_configENS1_25partition_config_selectorILNS1_17partition_subalgoE5ElNS0_10empty_typeEbEEZZNS1_14partition_implILS5_5ELb0ES3_mN6hipcub16HIPCUB_304000_NS21CountingInputIteratorIllEEPS6_NSA_22TransformInputIteratorIbN2at6native12_GLOBAL__N_19NonZeroOpIdEEPKdlEENS0_5tupleIJPlS6_EEENSN_IJSD_SD_EEES6_PiJS6_EEE10hipError_tPvRmT3_T4_T5_T6_T7_T9_mT8_P12ihipStream_tbDpT10_ENKUlT_T0_E_clISt17integral_constantIbLb0EES1B_EEDaS16_S17_EUlS16_E_NS1_11comp_targetILNS1_3genE5ELNS1_11target_archE942ELNS1_3gpuE9ELNS1_3repE0EEENS1_30default_config_static_selectorELNS0_4arch9wavefront6targetE0EEEvT1_: ; @_ZN7rocprim17ROCPRIM_400000_NS6detail17trampoline_kernelINS0_14default_configENS1_25partition_config_selectorILNS1_17partition_subalgoE5ElNS0_10empty_typeEbEEZZNS1_14partition_implILS5_5ELb0ES3_mN6hipcub16HIPCUB_304000_NS21CountingInputIteratorIllEEPS6_NSA_22TransformInputIteratorIbN2at6native12_GLOBAL__N_19NonZeroOpIdEEPKdlEENS0_5tupleIJPlS6_EEENSN_IJSD_SD_EEES6_PiJS6_EEE10hipError_tPvRmT3_T4_T5_T6_T7_T9_mT8_P12ihipStream_tbDpT10_ENKUlT_T0_E_clISt17integral_constantIbLb0EES1B_EEDaS16_S17_EUlS16_E_NS1_11comp_targetILNS1_3genE5ELNS1_11target_archE942ELNS1_3gpuE9ELNS1_3repE0EEENS1_30default_config_static_selectorELNS0_4arch9wavefront6targetE0EEEvT1_
; %bb.0:
	.section	.rodata,"a",@progbits
	.p2align	6, 0x0
	.amdhsa_kernel _ZN7rocprim17ROCPRIM_400000_NS6detail17trampoline_kernelINS0_14default_configENS1_25partition_config_selectorILNS1_17partition_subalgoE5ElNS0_10empty_typeEbEEZZNS1_14partition_implILS5_5ELb0ES3_mN6hipcub16HIPCUB_304000_NS21CountingInputIteratorIllEEPS6_NSA_22TransformInputIteratorIbN2at6native12_GLOBAL__N_19NonZeroOpIdEEPKdlEENS0_5tupleIJPlS6_EEENSN_IJSD_SD_EEES6_PiJS6_EEE10hipError_tPvRmT3_T4_T5_T6_T7_T9_mT8_P12ihipStream_tbDpT10_ENKUlT_T0_E_clISt17integral_constantIbLb0EES1B_EEDaS16_S17_EUlS16_E_NS1_11comp_targetILNS1_3genE5ELNS1_11target_archE942ELNS1_3gpuE9ELNS1_3repE0EEENS1_30default_config_static_selectorELNS0_4arch9wavefront6targetE0EEEvT1_
		.amdhsa_group_segment_fixed_size 0
		.amdhsa_private_segment_fixed_size 0
		.amdhsa_kernarg_size 120
		.amdhsa_user_sgpr_count 2
		.amdhsa_user_sgpr_dispatch_ptr 0
		.amdhsa_user_sgpr_queue_ptr 0
		.amdhsa_user_sgpr_kernarg_segment_ptr 1
		.amdhsa_user_sgpr_dispatch_id 0
		.amdhsa_user_sgpr_private_segment_size 0
		.amdhsa_wavefront_size32 1
		.amdhsa_uses_dynamic_stack 0
		.amdhsa_enable_private_segment 0
		.amdhsa_system_sgpr_workgroup_id_x 1
		.amdhsa_system_sgpr_workgroup_id_y 0
		.amdhsa_system_sgpr_workgroup_id_z 0
		.amdhsa_system_sgpr_workgroup_info 0
		.amdhsa_system_vgpr_workitem_id 0
		.amdhsa_next_free_vgpr 1
		.amdhsa_next_free_sgpr 1
		.amdhsa_reserve_vcc 0
		.amdhsa_float_round_mode_32 0
		.amdhsa_float_round_mode_16_64 0
		.amdhsa_float_denorm_mode_32 3
		.amdhsa_float_denorm_mode_16_64 3
		.amdhsa_fp16_overflow 0
		.amdhsa_workgroup_processor_mode 1
		.amdhsa_memory_ordered 1
		.amdhsa_forward_progress 1
		.amdhsa_inst_pref_size 0
		.amdhsa_round_robin_scheduling 0
		.amdhsa_exception_fp_ieee_invalid_op 0
		.amdhsa_exception_fp_denorm_src 0
		.amdhsa_exception_fp_ieee_div_zero 0
		.amdhsa_exception_fp_ieee_overflow 0
		.amdhsa_exception_fp_ieee_underflow 0
		.amdhsa_exception_fp_ieee_inexact 0
		.amdhsa_exception_int_div_zero 0
	.end_amdhsa_kernel
	.section	.text._ZN7rocprim17ROCPRIM_400000_NS6detail17trampoline_kernelINS0_14default_configENS1_25partition_config_selectorILNS1_17partition_subalgoE5ElNS0_10empty_typeEbEEZZNS1_14partition_implILS5_5ELb0ES3_mN6hipcub16HIPCUB_304000_NS21CountingInputIteratorIllEEPS6_NSA_22TransformInputIteratorIbN2at6native12_GLOBAL__N_19NonZeroOpIdEEPKdlEENS0_5tupleIJPlS6_EEENSN_IJSD_SD_EEES6_PiJS6_EEE10hipError_tPvRmT3_T4_T5_T6_T7_T9_mT8_P12ihipStream_tbDpT10_ENKUlT_T0_E_clISt17integral_constantIbLb0EES1B_EEDaS16_S17_EUlS16_E_NS1_11comp_targetILNS1_3genE5ELNS1_11target_archE942ELNS1_3gpuE9ELNS1_3repE0EEENS1_30default_config_static_selectorELNS0_4arch9wavefront6targetE0EEEvT1_,"axG",@progbits,_ZN7rocprim17ROCPRIM_400000_NS6detail17trampoline_kernelINS0_14default_configENS1_25partition_config_selectorILNS1_17partition_subalgoE5ElNS0_10empty_typeEbEEZZNS1_14partition_implILS5_5ELb0ES3_mN6hipcub16HIPCUB_304000_NS21CountingInputIteratorIllEEPS6_NSA_22TransformInputIteratorIbN2at6native12_GLOBAL__N_19NonZeroOpIdEEPKdlEENS0_5tupleIJPlS6_EEENSN_IJSD_SD_EEES6_PiJS6_EEE10hipError_tPvRmT3_T4_T5_T6_T7_T9_mT8_P12ihipStream_tbDpT10_ENKUlT_T0_E_clISt17integral_constantIbLb0EES1B_EEDaS16_S17_EUlS16_E_NS1_11comp_targetILNS1_3genE5ELNS1_11target_archE942ELNS1_3gpuE9ELNS1_3repE0EEENS1_30default_config_static_selectorELNS0_4arch9wavefront6targetE0EEEvT1_,comdat
.Lfunc_end391:
	.size	_ZN7rocprim17ROCPRIM_400000_NS6detail17trampoline_kernelINS0_14default_configENS1_25partition_config_selectorILNS1_17partition_subalgoE5ElNS0_10empty_typeEbEEZZNS1_14partition_implILS5_5ELb0ES3_mN6hipcub16HIPCUB_304000_NS21CountingInputIteratorIllEEPS6_NSA_22TransformInputIteratorIbN2at6native12_GLOBAL__N_19NonZeroOpIdEEPKdlEENS0_5tupleIJPlS6_EEENSN_IJSD_SD_EEES6_PiJS6_EEE10hipError_tPvRmT3_T4_T5_T6_T7_T9_mT8_P12ihipStream_tbDpT10_ENKUlT_T0_E_clISt17integral_constantIbLb0EES1B_EEDaS16_S17_EUlS16_E_NS1_11comp_targetILNS1_3genE5ELNS1_11target_archE942ELNS1_3gpuE9ELNS1_3repE0EEENS1_30default_config_static_selectorELNS0_4arch9wavefront6targetE0EEEvT1_, .Lfunc_end391-_ZN7rocprim17ROCPRIM_400000_NS6detail17trampoline_kernelINS0_14default_configENS1_25partition_config_selectorILNS1_17partition_subalgoE5ElNS0_10empty_typeEbEEZZNS1_14partition_implILS5_5ELb0ES3_mN6hipcub16HIPCUB_304000_NS21CountingInputIteratorIllEEPS6_NSA_22TransformInputIteratorIbN2at6native12_GLOBAL__N_19NonZeroOpIdEEPKdlEENS0_5tupleIJPlS6_EEENSN_IJSD_SD_EEES6_PiJS6_EEE10hipError_tPvRmT3_T4_T5_T6_T7_T9_mT8_P12ihipStream_tbDpT10_ENKUlT_T0_E_clISt17integral_constantIbLb0EES1B_EEDaS16_S17_EUlS16_E_NS1_11comp_targetILNS1_3genE5ELNS1_11target_archE942ELNS1_3gpuE9ELNS1_3repE0EEENS1_30default_config_static_selectorELNS0_4arch9wavefront6targetE0EEEvT1_
                                        ; -- End function
	.set _ZN7rocprim17ROCPRIM_400000_NS6detail17trampoline_kernelINS0_14default_configENS1_25partition_config_selectorILNS1_17partition_subalgoE5ElNS0_10empty_typeEbEEZZNS1_14partition_implILS5_5ELb0ES3_mN6hipcub16HIPCUB_304000_NS21CountingInputIteratorIllEEPS6_NSA_22TransformInputIteratorIbN2at6native12_GLOBAL__N_19NonZeroOpIdEEPKdlEENS0_5tupleIJPlS6_EEENSN_IJSD_SD_EEES6_PiJS6_EEE10hipError_tPvRmT3_T4_T5_T6_T7_T9_mT8_P12ihipStream_tbDpT10_ENKUlT_T0_E_clISt17integral_constantIbLb0EES1B_EEDaS16_S17_EUlS16_E_NS1_11comp_targetILNS1_3genE5ELNS1_11target_archE942ELNS1_3gpuE9ELNS1_3repE0EEENS1_30default_config_static_selectorELNS0_4arch9wavefront6targetE0EEEvT1_.num_vgpr, 0
	.set _ZN7rocprim17ROCPRIM_400000_NS6detail17trampoline_kernelINS0_14default_configENS1_25partition_config_selectorILNS1_17partition_subalgoE5ElNS0_10empty_typeEbEEZZNS1_14partition_implILS5_5ELb0ES3_mN6hipcub16HIPCUB_304000_NS21CountingInputIteratorIllEEPS6_NSA_22TransformInputIteratorIbN2at6native12_GLOBAL__N_19NonZeroOpIdEEPKdlEENS0_5tupleIJPlS6_EEENSN_IJSD_SD_EEES6_PiJS6_EEE10hipError_tPvRmT3_T4_T5_T6_T7_T9_mT8_P12ihipStream_tbDpT10_ENKUlT_T0_E_clISt17integral_constantIbLb0EES1B_EEDaS16_S17_EUlS16_E_NS1_11comp_targetILNS1_3genE5ELNS1_11target_archE942ELNS1_3gpuE9ELNS1_3repE0EEENS1_30default_config_static_selectorELNS0_4arch9wavefront6targetE0EEEvT1_.num_agpr, 0
	.set _ZN7rocprim17ROCPRIM_400000_NS6detail17trampoline_kernelINS0_14default_configENS1_25partition_config_selectorILNS1_17partition_subalgoE5ElNS0_10empty_typeEbEEZZNS1_14partition_implILS5_5ELb0ES3_mN6hipcub16HIPCUB_304000_NS21CountingInputIteratorIllEEPS6_NSA_22TransformInputIteratorIbN2at6native12_GLOBAL__N_19NonZeroOpIdEEPKdlEENS0_5tupleIJPlS6_EEENSN_IJSD_SD_EEES6_PiJS6_EEE10hipError_tPvRmT3_T4_T5_T6_T7_T9_mT8_P12ihipStream_tbDpT10_ENKUlT_T0_E_clISt17integral_constantIbLb0EES1B_EEDaS16_S17_EUlS16_E_NS1_11comp_targetILNS1_3genE5ELNS1_11target_archE942ELNS1_3gpuE9ELNS1_3repE0EEENS1_30default_config_static_selectorELNS0_4arch9wavefront6targetE0EEEvT1_.numbered_sgpr, 0
	.set _ZN7rocprim17ROCPRIM_400000_NS6detail17trampoline_kernelINS0_14default_configENS1_25partition_config_selectorILNS1_17partition_subalgoE5ElNS0_10empty_typeEbEEZZNS1_14partition_implILS5_5ELb0ES3_mN6hipcub16HIPCUB_304000_NS21CountingInputIteratorIllEEPS6_NSA_22TransformInputIteratorIbN2at6native12_GLOBAL__N_19NonZeroOpIdEEPKdlEENS0_5tupleIJPlS6_EEENSN_IJSD_SD_EEES6_PiJS6_EEE10hipError_tPvRmT3_T4_T5_T6_T7_T9_mT8_P12ihipStream_tbDpT10_ENKUlT_T0_E_clISt17integral_constantIbLb0EES1B_EEDaS16_S17_EUlS16_E_NS1_11comp_targetILNS1_3genE5ELNS1_11target_archE942ELNS1_3gpuE9ELNS1_3repE0EEENS1_30default_config_static_selectorELNS0_4arch9wavefront6targetE0EEEvT1_.num_named_barrier, 0
	.set _ZN7rocprim17ROCPRIM_400000_NS6detail17trampoline_kernelINS0_14default_configENS1_25partition_config_selectorILNS1_17partition_subalgoE5ElNS0_10empty_typeEbEEZZNS1_14partition_implILS5_5ELb0ES3_mN6hipcub16HIPCUB_304000_NS21CountingInputIteratorIllEEPS6_NSA_22TransformInputIteratorIbN2at6native12_GLOBAL__N_19NonZeroOpIdEEPKdlEENS0_5tupleIJPlS6_EEENSN_IJSD_SD_EEES6_PiJS6_EEE10hipError_tPvRmT3_T4_T5_T6_T7_T9_mT8_P12ihipStream_tbDpT10_ENKUlT_T0_E_clISt17integral_constantIbLb0EES1B_EEDaS16_S17_EUlS16_E_NS1_11comp_targetILNS1_3genE5ELNS1_11target_archE942ELNS1_3gpuE9ELNS1_3repE0EEENS1_30default_config_static_selectorELNS0_4arch9wavefront6targetE0EEEvT1_.private_seg_size, 0
	.set _ZN7rocprim17ROCPRIM_400000_NS6detail17trampoline_kernelINS0_14default_configENS1_25partition_config_selectorILNS1_17partition_subalgoE5ElNS0_10empty_typeEbEEZZNS1_14partition_implILS5_5ELb0ES3_mN6hipcub16HIPCUB_304000_NS21CountingInputIteratorIllEEPS6_NSA_22TransformInputIteratorIbN2at6native12_GLOBAL__N_19NonZeroOpIdEEPKdlEENS0_5tupleIJPlS6_EEENSN_IJSD_SD_EEES6_PiJS6_EEE10hipError_tPvRmT3_T4_T5_T6_T7_T9_mT8_P12ihipStream_tbDpT10_ENKUlT_T0_E_clISt17integral_constantIbLb0EES1B_EEDaS16_S17_EUlS16_E_NS1_11comp_targetILNS1_3genE5ELNS1_11target_archE942ELNS1_3gpuE9ELNS1_3repE0EEENS1_30default_config_static_selectorELNS0_4arch9wavefront6targetE0EEEvT1_.uses_vcc, 0
	.set _ZN7rocprim17ROCPRIM_400000_NS6detail17trampoline_kernelINS0_14default_configENS1_25partition_config_selectorILNS1_17partition_subalgoE5ElNS0_10empty_typeEbEEZZNS1_14partition_implILS5_5ELb0ES3_mN6hipcub16HIPCUB_304000_NS21CountingInputIteratorIllEEPS6_NSA_22TransformInputIteratorIbN2at6native12_GLOBAL__N_19NonZeroOpIdEEPKdlEENS0_5tupleIJPlS6_EEENSN_IJSD_SD_EEES6_PiJS6_EEE10hipError_tPvRmT3_T4_T5_T6_T7_T9_mT8_P12ihipStream_tbDpT10_ENKUlT_T0_E_clISt17integral_constantIbLb0EES1B_EEDaS16_S17_EUlS16_E_NS1_11comp_targetILNS1_3genE5ELNS1_11target_archE942ELNS1_3gpuE9ELNS1_3repE0EEENS1_30default_config_static_selectorELNS0_4arch9wavefront6targetE0EEEvT1_.uses_flat_scratch, 0
	.set _ZN7rocprim17ROCPRIM_400000_NS6detail17trampoline_kernelINS0_14default_configENS1_25partition_config_selectorILNS1_17partition_subalgoE5ElNS0_10empty_typeEbEEZZNS1_14partition_implILS5_5ELb0ES3_mN6hipcub16HIPCUB_304000_NS21CountingInputIteratorIllEEPS6_NSA_22TransformInputIteratorIbN2at6native12_GLOBAL__N_19NonZeroOpIdEEPKdlEENS0_5tupleIJPlS6_EEENSN_IJSD_SD_EEES6_PiJS6_EEE10hipError_tPvRmT3_T4_T5_T6_T7_T9_mT8_P12ihipStream_tbDpT10_ENKUlT_T0_E_clISt17integral_constantIbLb0EES1B_EEDaS16_S17_EUlS16_E_NS1_11comp_targetILNS1_3genE5ELNS1_11target_archE942ELNS1_3gpuE9ELNS1_3repE0EEENS1_30default_config_static_selectorELNS0_4arch9wavefront6targetE0EEEvT1_.has_dyn_sized_stack, 0
	.set _ZN7rocprim17ROCPRIM_400000_NS6detail17trampoline_kernelINS0_14default_configENS1_25partition_config_selectorILNS1_17partition_subalgoE5ElNS0_10empty_typeEbEEZZNS1_14partition_implILS5_5ELb0ES3_mN6hipcub16HIPCUB_304000_NS21CountingInputIteratorIllEEPS6_NSA_22TransformInputIteratorIbN2at6native12_GLOBAL__N_19NonZeroOpIdEEPKdlEENS0_5tupleIJPlS6_EEENSN_IJSD_SD_EEES6_PiJS6_EEE10hipError_tPvRmT3_T4_T5_T6_T7_T9_mT8_P12ihipStream_tbDpT10_ENKUlT_T0_E_clISt17integral_constantIbLb0EES1B_EEDaS16_S17_EUlS16_E_NS1_11comp_targetILNS1_3genE5ELNS1_11target_archE942ELNS1_3gpuE9ELNS1_3repE0EEENS1_30default_config_static_selectorELNS0_4arch9wavefront6targetE0EEEvT1_.has_recursion, 0
	.set _ZN7rocprim17ROCPRIM_400000_NS6detail17trampoline_kernelINS0_14default_configENS1_25partition_config_selectorILNS1_17partition_subalgoE5ElNS0_10empty_typeEbEEZZNS1_14partition_implILS5_5ELb0ES3_mN6hipcub16HIPCUB_304000_NS21CountingInputIteratorIllEEPS6_NSA_22TransformInputIteratorIbN2at6native12_GLOBAL__N_19NonZeroOpIdEEPKdlEENS0_5tupleIJPlS6_EEENSN_IJSD_SD_EEES6_PiJS6_EEE10hipError_tPvRmT3_T4_T5_T6_T7_T9_mT8_P12ihipStream_tbDpT10_ENKUlT_T0_E_clISt17integral_constantIbLb0EES1B_EEDaS16_S17_EUlS16_E_NS1_11comp_targetILNS1_3genE5ELNS1_11target_archE942ELNS1_3gpuE9ELNS1_3repE0EEENS1_30default_config_static_selectorELNS0_4arch9wavefront6targetE0EEEvT1_.has_indirect_call, 0
	.section	.AMDGPU.csdata,"",@progbits
; Kernel info:
; codeLenInByte = 0
; TotalNumSgprs: 0
; NumVgprs: 0
; ScratchSize: 0
; MemoryBound: 0
; FloatMode: 240
; IeeeMode: 1
; LDSByteSize: 0 bytes/workgroup (compile time only)
; SGPRBlocks: 0
; VGPRBlocks: 0
; NumSGPRsForWavesPerEU: 1
; NumVGPRsForWavesPerEU: 1
; Occupancy: 16
; WaveLimiterHint : 0
; COMPUTE_PGM_RSRC2:SCRATCH_EN: 0
; COMPUTE_PGM_RSRC2:USER_SGPR: 2
; COMPUTE_PGM_RSRC2:TRAP_HANDLER: 0
; COMPUTE_PGM_RSRC2:TGID_X_EN: 1
; COMPUTE_PGM_RSRC2:TGID_Y_EN: 0
; COMPUTE_PGM_RSRC2:TGID_Z_EN: 0
; COMPUTE_PGM_RSRC2:TIDIG_COMP_CNT: 0
	.section	.text._ZN7rocprim17ROCPRIM_400000_NS6detail17trampoline_kernelINS0_14default_configENS1_25partition_config_selectorILNS1_17partition_subalgoE5ElNS0_10empty_typeEbEEZZNS1_14partition_implILS5_5ELb0ES3_mN6hipcub16HIPCUB_304000_NS21CountingInputIteratorIllEEPS6_NSA_22TransformInputIteratorIbN2at6native12_GLOBAL__N_19NonZeroOpIdEEPKdlEENS0_5tupleIJPlS6_EEENSN_IJSD_SD_EEES6_PiJS6_EEE10hipError_tPvRmT3_T4_T5_T6_T7_T9_mT8_P12ihipStream_tbDpT10_ENKUlT_T0_E_clISt17integral_constantIbLb0EES1B_EEDaS16_S17_EUlS16_E_NS1_11comp_targetILNS1_3genE4ELNS1_11target_archE910ELNS1_3gpuE8ELNS1_3repE0EEENS1_30default_config_static_selectorELNS0_4arch9wavefront6targetE0EEEvT1_,"axG",@progbits,_ZN7rocprim17ROCPRIM_400000_NS6detail17trampoline_kernelINS0_14default_configENS1_25partition_config_selectorILNS1_17partition_subalgoE5ElNS0_10empty_typeEbEEZZNS1_14partition_implILS5_5ELb0ES3_mN6hipcub16HIPCUB_304000_NS21CountingInputIteratorIllEEPS6_NSA_22TransformInputIteratorIbN2at6native12_GLOBAL__N_19NonZeroOpIdEEPKdlEENS0_5tupleIJPlS6_EEENSN_IJSD_SD_EEES6_PiJS6_EEE10hipError_tPvRmT3_T4_T5_T6_T7_T9_mT8_P12ihipStream_tbDpT10_ENKUlT_T0_E_clISt17integral_constantIbLb0EES1B_EEDaS16_S17_EUlS16_E_NS1_11comp_targetILNS1_3genE4ELNS1_11target_archE910ELNS1_3gpuE8ELNS1_3repE0EEENS1_30default_config_static_selectorELNS0_4arch9wavefront6targetE0EEEvT1_,comdat
	.globl	_ZN7rocprim17ROCPRIM_400000_NS6detail17trampoline_kernelINS0_14default_configENS1_25partition_config_selectorILNS1_17partition_subalgoE5ElNS0_10empty_typeEbEEZZNS1_14partition_implILS5_5ELb0ES3_mN6hipcub16HIPCUB_304000_NS21CountingInputIteratorIllEEPS6_NSA_22TransformInputIteratorIbN2at6native12_GLOBAL__N_19NonZeroOpIdEEPKdlEENS0_5tupleIJPlS6_EEENSN_IJSD_SD_EEES6_PiJS6_EEE10hipError_tPvRmT3_T4_T5_T6_T7_T9_mT8_P12ihipStream_tbDpT10_ENKUlT_T0_E_clISt17integral_constantIbLb0EES1B_EEDaS16_S17_EUlS16_E_NS1_11comp_targetILNS1_3genE4ELNS1_11target_archE910ELNS1_3gpuE8ELNS1_3repE0EEENS1_30default_config_static_selectorELNS0_4arch9wavefront6targetE0EEEvT1_ ; -- Begin function _ZN7rocprim17ROCPRIM_400000_NS6detail17trampoline_kernelINS0_14default_configENS1_25partition_config_selectorILNS1_17partition_subalgoE5ElNS0_10empty_typeEbEEZZNS1_14partition_implILS5_5ELb0ES3_mN6hipcub16HIPCUB_304000_NS21CountingInputIteratorIllEEPS6_NSA_22TransformInputIteratorIbN2at6native12_GLOBAL__N_19NonZeroOpIdEEPKdlEENS0_5tupleIJPlS6_EEENSN_IJSD_SD_EEES6_PiJS6_EEE10hipError_tPvRmT3_T4_T5_T6_T7_T9_mT8_P12ihipStream_tbDpT10_ENKUlT_T0_E_clISt17integral_constantIbLb0EES1B_EEDaS16_S17_EUlS16_E_NS1_11comp_targetILNS1_3genE4ELNS1_11target_archE910ELNS1_3gpuE8ELNS1_3repE0EEENS1_30default_config_static_selectorELNS0_4arch9wavefront6targetE0EEEvT1_
	.p2align	8
	.type	_ZN7rocprim17ROCPRIM_400000_NS6detail17trampoline_kernelINS0_14default_configENS1_25partition_config_selectorILNS1_17partition_subalgoE5ElNS0_10empty_typeEbEEZZNS1_14partition_implILS5_5ELb0ES3_mN6hipcub16HIPCUB_304000_NS21CountingInputIteratorIllEEPS6_NSA_22TransformInputIteratorIbN2at6native12_GLOBAL__N_19NonZeroOpIdEEPKdlEENS0_5tupleIJPlS6_EEENSN_IJSD_SD_EEES6_PiJS6_EEE10hipError_tPvRmT3_T4_T5_T6_T7_T9_mT8_P12ihipStream_tbDpT10_ENKUlT_T0_E_clISt17integral_constantIbLb0EES1B_EEDaS16_S17_EUlS16_E_NS1_11comp_targetILNS1_3genE4ELNS1_11target_archE910ELNS1_3gpuE8ELNS1_3repE0EEENS1_30default_config_static_selectorELNS0_4arch9wavefront6targetE0EEEvT1_,@function
_ZN7rocprim17ROCPRIM_400000_NS6detail17trampoline_kernelINS0_14default_configENS1_25partition_config_selectorILNS1_17partition_subalgoE5ElNS0_10empty_typeEbEEZZNS1_14partition_implILS5_5ELb0ES3_mN6hipcub16HIPCUB_304000_NS21CountingInputIteratorIllEEPS6_NSA_22TransformInputIteratorIbN2at6native12_GLOBAL__N_19NonZeroOpIdEEPKdlEENS0_5tupleIJPlS6_EEENSN_IJSD_SD_EEES6_PiJS6_EEE10hipError_tPvRmT3_T4_T5_T6_T7_T9_mT8_P12ihipStream_tbDpT10_ENKUlT_T0_E_clISt17integral_constantIbLb0EES1B_EEDaS16_S17_EUlS16_E_NS1_11comp_targetILNS1_3genE4ELNS1_11target_archE910ELNS1_3gpuE8ELNS1_3repE0EEENS1_30default_config_static_selectorELNS0_4arch9wavefront6targetE0EEEvT1_: ; @_ZN7rocprim17ROCPRIM_400000_NS6detail17trampoline_kernelINS0_14default_configENS1_25partition_config_selectorILNS1_17partition_subalgoE5ElNS0_10empty_typeEbEEZZNS1_14partition_implILS5_5ELb0ES3_mN6hipcub16HIPCUB_304000_NS21CountingInputIteratorIllEEPS6_NSA_22TransformInputIteratorIbN2at6native12_GLOBAL__N_19NonZeroOpIdEEPKdlEENS0_5tupleIJPlS6_EEENSN_IJSD_SD_EEES6_PiJS6_EEE10hipError_tPvRmT3_T4_T5_T6_T7_T9_mT8_P12ihipStream_tbDpT10_ENKUlT_T0_E_clISt17integral_constantIbLb0EES1B_EEDaS16_S17_EUlS16_E_NS1_11comp_targetILNS1_3genE4ELNS1_11target_archE910ELNS1_3gpuE8ELNS1_3repE0EEENS1_30default_config_static_selectorELNS0_4arch9wavefront6targetE0EEEvT1_
; %bb.0:
	.section	.rodata,"a",@progbits
	.p2align	6, 0x0
	.amdhsa_kernel _ZN7rocprim17ROCPRIM_400000_NS6detail17trampoline_kernelINS0_14default_configENS1_25partition_config_selectorILNS1_17partition_subalgoE5ElNS0_10empty_typeEbEEZZNS1_14partition_implILS5_5ELb0ES3_mN6hipcub16HIPCUB_304000_NS21CountingInputIteratorIllEEPS6_NSA_22TransformInputIteratorIbN2at6native12_GLOBAL__N_19NonZeroOpIdEEPKdlEENS0_5tupleIJPlS6_EEENSN_IJSD_SD_EEES6_PiJS6_EEE10hipError_tPvRmT3_T4_T5_T6_T7_T9_mT8_P12ihipStream_tbDpT10_ENKUlT_T0_E_clISt17integral_constantIbLb0EES1B_EEDaS16_S17_EUlS16_E_NS1_11comp_targetILNS1_3genE4ELNS1_11target_archE910ELNS1_3gpuE8ELNS1_3repE0EEENS1_30default_config_static_selectorELNS0_4arch9wavefront6targetE0EEEvT1_
		.amdhsa_group_segment_fixed_size 0
		.amdhsa_private_segment_fixed_size 0
		.amdhsa_kernarg_size 120
		.amdhsa_user_sgpr_count 2
		.amdhsa_user_sgpr_dispatch_ptr 0
		.amdhsa_user_sgpr_queue_ptr 0
		.amdhsa_user_sgpr_kernarg_segment_ptr 1
		.amdhsa_user_sgpr_dispatch_id 0
		.amdhsa_user_sgpr_private_segment_size 0
		.amdhsa_wavefront_size32 1
		.amdhsa_uses_dynamic_stack 0
		.amdhsa_enable_private_segment 0
		.amdhsa_system_sgpr_workgroup_id_x 1
		.amdhsa_system_sgpr_workgroup_id_y 0
		.amdhsa_system_sgpr_workgroup_id_z 0
		.amdhsa_system_sgpr_workgroup_info 0
		.amdhsa_system_vgpr_workitem_id 0
		.amdhsa_next_free_vgpr 1
		.amdhsa_next_free_sgpr 1
		.amdhsa_reserve_vcc 0
		.amdhsa_float_round_mode_32 0
		.amdhsa_float_round_mode_16_64 0
		.amdhsa_float_denorm_mode_32 3
		.amdhsa_float_denorm_mode_16_64 3
		.amdhsa_fp16_overflow 0
		.amdhsa_workgroup_processor_mode 1
		.amdhsa_memory_ordered 1
		.amdhsa_forward_progress 1
		.amdhsa_inst_pref_size 0
		.amdhsa_round_robin_scheduling 0
		.amdhsa_exception_fp_ieee_invalid_op 0
		.amdhsa_exception_fp_denorm_src 0
		.amdhsa_exception_fp_ieee_div_zero 0
		.amdhsa_exception_fp_ieee_overflow 0
		.amdhsa_exception_fp_ieee_underflow 0
		.amdhsa_exception_fp_ieee_inexact 0
		.amdhsa_exception_int_div_zero 0
	.end_amdhsa_kernel
	.section	.text._ZN7rocprim17ROCPRIM_400000_NS6detail17trampoline_kernelINS0_14default_configENS1_25partition_config_selectorILNS1_17partition_subalgoE5ElNS0_10empty_typeEbEEZZNS1_14partition_implILS5_5ELb0ES3_mN6hipcub16HIPCUB_304000_NS21CountingInputIteratorIllEEPS6_NSA_22TransformInputIteratorIbN2at6native12_GLOBAL__N_19NonZeroOpIdEEPKdlEENS0_5tupleIJPlS6_EEENSN_IJSD_SD_EEES6_PiJS6_EEE10hipError_tPvRmT3_T4_T5_T6_T7_T9_mT8_P12ihipStream_tbDpT10_ENKUlT_T0_E_clISt17integral_constantIbLb0EES1B_EEDaS16_S17_EUlS16_E_NS1_11comp_targetILNS1_3genE4ELNS1_11target_archE910ELNS1_3gpuE8ELNS1_3repE0EEENS1_30default_config_static_selectorELNS0_4arch9wavefront6targetE0EEEvT1_,"axG",@progbits,_ZN7rocprim17ROCPRIM_400000_NS6detail17trampoline_kernelINS0_14default_configENS1_25partition_config_selectorILNS1_17partition_subalgoE5ElNS0_10empty_typeEbEEZZNS1_14partition_implILS5_5ELb0ES3_mN6hipcub16HIPCUB_304000_NS21CountingInputIteratorIllEEPS6_NSA_22TransformInputIteratorIbN2at6native12_GLOBAL__N_19NonZeroOpIdEEPKdlEENS0_5tupleIJPlS6_EEENSN_IJSD_SD_EEES6_PiJS6_EEE10hipError_tPvRmT3_T4_T5_T6_T7_T9_mT8_P12ihipStream_tbDpT10_ENKUlT_T0_E_clISt17integral_constantIbLb0EES1B_EEDaS16_S17_EUlS16_E_NS1_11comp_targetILNS1_3genE4ELNS1_11target_archE910ELNS1_3gpuE8ELNS1_3repE0EEENS1_30default_config_static_selectorELNS0_4arch9wavefront6targetE0EEEvT1_,comdat
.Lfunc_end392:
	.size	_ZN7rocprim17ROCPRIM_400000_NS6detail17trampoline_kernelINS0_14default_configENS1_25partition_config_selectorILNS1_17partition_subalgoE5ElNS0_10empty_typeEbEEZZNS1_14partition_implILS5_5ELb0ES3_mN6hipcub16HIPCUB_304000_NS21CountingInputIteratorIllEEPS6_NSA_22TransformInputIteratorIbN2at6native12_GLOBAL__N_19NonZeroOpIdEEPKdlEENS0_5tupleIJPlS6_EEENSN_IJSD_SD_EEES6_PiJS6_EEE10hipError_tPvRmT3_T4_T5_T6_T7_T9_mT8_P12ihipStream_tbDpT10_ENKUlT_T0_E_clISt17integral_constantIbLb0EES1B_EEDaS16_S17_EUlS16_E_NS1_11comp_targetILNS1_3genE4ELNS1_11target_archE910ELNS1_3gpuE8ELNS1_3repE0EEENS1_30default_config_static_selectorELNS0_4arch9wavefront6targetE0EEEvT1_, .Lfunc_end392-_ZN7rocprim17ROCPRIM_400000_NS6detail17trampoline_kernelINS0_14default_configENS1_25partition_config_selectorILNS1_17partition_subalgoE5ElNS0_10empty_typeEbEEZZNS1_14partition_implILS5_5ELb0ES3_mN6hipcub16HIPCUB_304000_NS21CountingInputIteratorIllEEPS6_NSA_22TransformInputIteratorIbN2at6native12_GLOBAL__N_19NonZeroOpIdEEPKdlEENS0_5tupleIJPlS6_EEENSN_IJSD_SD_EEES6_PiJS6_EEE10hipError_tPvRmT3_T4_T5_T6_T7_T9_mT8_P12ihipStream_tbDpT10_ENKUlT_T0_E_clISt17integral_constantIbLb0EES1B_EEDaS16_S17_EUlS16_E_NS1_11comp_targetILNS1_3genE4ELNS1_11target_archE910ELNS1_3gpuE8ELNS1_3repE0EEENS1_30default_config_static_selectorELNS0_4arch9wavefront6targetE0EEEvT1_
                                        ; -- End function
	.set _ZN7rocprim17ROCPRIM_400000_NS6detail17trampoline_kernelINS0_14default_configENS1_25partition_config_selectorILNS1_17partition_subalgoE5ElNS0_10empty_typeEbEEZZNS1_14partition_implILS5_5ELb0ES3_mN6hipcub16HIPCUB_304000_NS21CountingInputIteratorIllEEPS6_NSA_22TransformInputIteratorIbN2at6native12_GLOBAL__N_19NonZeroOpIdEEPKdlEENS0_5tupleIJPlS6_EEENSN_IJSD_SD_EEES6_PiJS6_EEE10hipError_tPvRmT3_T4_T5_T6_T7_T9_mT8_P12ihipStream_tbDpT10_ENKUlT_T0_E_clISt17integral_constantIbLb0EES1B_EEDaS16_S17_EUlS16_E_NS1_11comp_targetILNS1_3genE4ELNS1_11target_archE910ELNS1_3gpuE8ELNS1_3repE0EEENS1_30default_config_static_selectorELNS0_4arch9wavefront6targetE0EEEvT1_.num_vgpr, 0
	.set _ZN7rocprim17ROCPRIM_400000_NS6detail17trampoline_kernelINS0_14default_configENS1_25partition_config_selectorILNS1_17partition_subalgoE5ElNS0_10empty_typeEbEEZZNS1_14partition_implILS5_5ELb0ES3_mN6hipcub16HIPCUB_304000_NS21CountingInputIteratorIllEEPS6_NSA_22TransformInputIteratorIbN2at6native12_GLOBAL__N_19NonZeroOpIdEEPKdlEENS0_5tupleIJPlS6_EEENSN_IJSD_SD_EEES6_PiJS6_EEE10hipError_tPvRmT3_T4_T5_T6_T7_T9_mT8_P12ihipStream_tbDpT10_ENKUlT_T0_E_clISt17integral_constantIbLb0EES1B_EEDaS16_S17_EUlS16_E_NS1_11comp_targetILNS1_3genE4ELNS1_11target_archE910ELNS1_3gpuE8ELNS1_3repE0EEENS1_30default_config_static_selectorELNS0_4arch9wavefront6targetE0EEEvT1_.num_agpr, 0
	.set _ZN7rocprim17ROCPRIM_400000_NS6detail17trampoline_kernelINS0_14default_configENS1_25partition_config_selectorILNS1_17partition_subalgoE5ElNS0_10empty_typeEbEEZZNS1_14partition_implILS5_5ELb0ES3_mN6hipcub16HIPCUB_304000_NS21CountingInputIteratorIllEEPS6_NSA_22TransformInputIteratorIbN2at6native12_GLOBAL__N_19NonZeroOpIdEEPKdlEENS0_5tupleIJPlS6_EEENSN_IJSD_SD_EEES6_PiJS6_EEE10hipError_tPvRmT3_T4_T5_T6_T7_T9_mT8_P12ihipStream_tbDpT10_ENKUlT_T0_E_clISt17integral_constantIbLb0EES1B_EEDaS16_S17_EUlS16_E_NS1_11comp_targetILNS1_3genE4ELNS1_11target_archE910ELNS1_3gpuE8ELNS1_3repE0EEENS1_30default_config_static_selectorELNS0_4arch9wavefront6targetE0EEEvT1_.numbered_sgpr, 0
	.set _ZN7rocprim17ROCPRIM_400000_NS6detail17trampoline_kernelINS0_14default_configENS1_25partition_config_selectorILNS1_17partition_subalgoE5ElNS0_10empty_typeEbEEZZNS1_14partition_implILS5_5ELb0ES3_mN6hipcub16HIPCUB_304000_NS21CountingInputIteratorIllEEPS6_NSA_22TransformInputIteratorIbN2at6native12_GLOBAL__N_19NonZeroOpIdEEPKdlEENS0_5tupleIJPlS6_EEENSN_IJSD_SD_EEES6_PiJS6_EEE10hipError_tPvRmT3_T4_T5_T6_T7_T9_mT8_P12ihipStream_tbDpT10_ENKUlT_T0_E_clISt17integral_constantIbLb0EES1B_EEDaS16_S17_EUlS16_E_NS1_11comp_targetILNS1_3genE4ELNS1_11target_archE910ELNS1_3gpuE8ELNS1_3repE0EEENS1_30default_config_static_selectorELNS0_4arch9wavefront6targetE0EEEvT1_.num_named_barrier, 0
	.set _ZN7rocprim17ROCPRIM_400000_NS6detail17trampoline_kernelINS0_14default_configENS1_25partition_config_selectorILNS1_17partition_subalgoE5ElNS0_10empty_typeEbEEZZNS1_14partition_implILS5_5ELb0ES3_mN6hipcub16HIPCUB_304000_NS21CountingInputIteratorIllEEPS6_NSA_22TransformInputIteratorIbN2at6native12_GLOBAL__N_19NonZeroOpIdEEPKdlEENS0_5tupleIJPlS6_EEENSN_IJSD_SD_EEES6_PiJS6_EEE10hipError_tPvRmT3_T4_T5_T6_T7_T9_mT8_P12ihipStream_tbDpT10_ENKUlT_T0_E_clISt17integral_constantIbLb0EES1B_EEDaS16_S17_EUlS16_E_NS1_11comp_targetILNS1_3genE4ELNS1_11target_archE910ELNS1_3gpuE8ELNS1_3repE0EEENS1_30default_config_static_selectorELNS0_4arch9wavefront6targetE0EEEvT1_.private_seg_size, 0
	.set _ZN7rocprim17ROCPRIM_400000_NS6detail17trampoline_kernelINS0_14default_configENS1_25partition_config_selectorILNS1_17partition_subalgoE5ElNS0_10empty_typeEbEEZZNS1_14partition_implILS5_5ELb0ES3_mN6hipcub16HIPCUB_304000_NS21CountingInputIteratorIllEEPS6_NSA_22TransformInputIteratorIbN2at6native12_GLOBAL__N_19NonZeroOpIdEEPKdlEENS0_5tupleIJPlS6_EEENSN_IJSD_SD_EEES6_PiJS6_EEE10hipError_tPvRmT3_T4_T5_T6_T7_T9_mT8_P12ihipStream_tbDpT10_ENKUlT_T0_E_clISt17integral_constantIbLb0EES1B_EEDaS16_S17_EUlS16_E_NS1_11comp_targetILNS1_3genE4ELNS1_11target_archE910ELNS1_3gpuE8ELNS1_3repE0EEENS1_30default_config_static_selectorELNS0_4arch9wavefront6targetE0EEEvT1_.uses_vcc, 0
	.set _ZN7rocprim17ROCPRIM_400000_NS6detail17trampoline_kernelINS0_14default_configENS1_25partition_config_selectorILNS1_17partition_subalgoE5ElNS0_10empty_typeEbEEZZNS1_14partition_implILS5_5ELb0ES3_mN6hipcub16HIPCUB_304000_NS21CountingInputIteratorIllEEPS6_NSA_22TransformInputIteratorIbN2at6native12_GLOBAL__N_19NonZeroOpIdEEPKdlEENS0_5tupleIJPlS6_EEENSN_IJSD_SD_EEES6_PiJS6_EEE10hipError_tPvRmT3_T4_T5_T6_T7_T9_mT8_P12ihipStream_tbDpT10_ENKUlT_T0_E_clISt17integral_constantIbLb0EES1B_EEDaS16_S17_EUlS16_E_NS1_11comp_targetILNS1_3genE4ELNS1_11target_archE910ELNS1_3gpuE8ELNS1_3repE0EEENS1_30default_config_static_selectorELNS0_4arch9wavefront6targetE0EEEvT1_.uses_flat_scratch, 0
	.set _ZN7rocprim17ROCPRIM_400000_NS6detail17trampoline_kernelINS0_14default_configENS1_25partition_config_selectorILNS1_17partition_subalgoE5ElNS0_10empty_typeEbEEZZNS1_14partition_implILS5_5ELb0ES3_mN6hipcub16HIPCUB_304000_NS21CountingInputIteratorIllEEPS6_NSA_22TransformInputIteratorIbN2at6native12_GLOBAL__N_19NonZeroOpIdEEPKdlEENS0_5tupleIJPlS6_EEENSN_IJSD_SD_EEES6_PiJS6_EEE10hipError_tPvRmT3_T4_T5_T6_T7_T9_mT8_P12ihipStream_tbDpT10_ENKUlT_T0_E_clISt17integral_constantIbLb0EES1B_EEDaS16_S17_EUlS16_E_NS1_11comp_targetILNS1_3genE4ELNS1_11target_archE910ELNS1_3gpuE8ELNS1_3repE0EEENS1_30default_config_static_selectorELNS0_4arch9wavefront6targetE0EEEvT1_.has_dyn_sized_stack, 0
	.set _ZN7rocprim17ROCPRIM_400000_NS6detail17trampoline_kernelINS0_14default_configENS1_25partition_config_selectorILNS1_17partition_subalgoE5ElNS0_10empty_typeEbEEZZNS1_14partition_implILS5_5ELb0ES3_mN6hipcub16HIPCUB_304000_NS21CountingInputIteratorIllEEPS6_NSA_22TransformInputIteratorIbN2at6native12_GLOBAL__N_19NonZeroOpIdEEPKdlEENS0_5tupleIJPlS6_EEENSN_IJSD_SD_EEES6_PiJS6_EEE10hipError_tPvRmT3_T4_T5_T6_T7_T9_mT8_P12ihipStream_tbDpT10_ENKUlT_T0_E_clISt17integral_constantIbLb0EES1B_EEDaS16_S17_EUlS16_E_NS1_11comp_targetILNS1_3genE4ELNS1_11target_archE910ELNS1_3gpuE8ELNS1_3repE0EEENS1_30default_config_static_selectorELNS0_4arch9wavefront6targetE0EEEvT1_.has_recursion, 0
	.set _ZN7rocprim17ROCPRIM_400000_NS6detail17trampoline_kernelINS0_14default_configENS1_25partition_config_selectorILNS1_17partition_subalgoE5ElNS0_10empty_typeEbEEZZNS1_14partition_implILS5_5ELb0ES3_mN6hipcub16HIPCUB_304000_NS21CountingInputIteratorIllEEPS6_NSA_22TransformInputIteratorIbN2at6native12_GLOBAL__N_19NonZeroOpIdEEPKdlEENS0_5tupleIJPlS6_EEENSN_IJSD_SD_EEES6_PiJS6_EEE10hipError_tPvRmT3_T4_T5_T6_T7_T9_mT8_P12ihipStream_tbDpT10_ENKUlT_T0_E_clISt17integral_constantIbLb0EES1B_EEDaS16_S17_EUlS16_E_NS1_11comp_targetILNS1_3genE4ELNS1_11target_archE910ELNS1_3gpuE8ELNS1_3repE0EEENS1_30default_config_static_selectorELNS0_4arch9wavefront6targetE0EEEvT1_.has_indirect_call, 0
	.section	.AMDGPU.csdata,"",@progbits
; Kernel info:
; codeLenInByte = 0
; TotalNumSgprs: 0
; NumVgprs: 0
; ScratchSize: 0
; MemoryBound: 0
; FloatMode: 240
; IeeeMode: 1
; LDSByteSize: 0 bytes/workgroup (compile time only)
; SGPRBlocks: 0
; VGPRBlocks: 0
; NumSGPRsForWavesPerEU: 1
; NumVGPRsForWavesPerEU: 1
; Occupancy: 16
; WaveLimiterHint : 0
; COMPUTE_PGM_RSRC2:SCRATCH_EN: 0
; COMPUTE_PGM_RSRC2:USER_SGPR: 2
; COMPUTE_PGM_RSRC2:TRAP_HANDLER: 0
; COMPUTE_PGM_RSRC2:TGID_X_EN: 1
; COMPUTE_PGM_RSRC2:TGID_Y_EN: 0
; COMPUTE_PGM_RSRC2:TGID_Z_EN: 0
; COMPUTE_PGM_RSRC2:TIDIG_COMP_CNT: 0
	.section	.text._ZN7rocprim17ROCPRIM_400000_NS6detail17trampoline_kernelINS0_14default_configENS1_25partition_config_selectorILNS1_17partition_subalgoE5ElNS0_10empty_typeEbEEZZNS1_14partition_implILS5_5ELb0ES3_mN6hipcub16HIPCUB_304000_NS21CountingInputIteratorIllEEPS6_NSA_22TransformInputIteratorIbN2at6native12_GLOBAL__N_19NonZeroOpIdEEPKdlEENS0_5tupleIJPlS6_EEENSN_IJSD_SD_EEES6_PiJS6_EEE10hipError_tPvRmT3_T4_T5_T6_T7_T9_mT8_P12ihipStream_tbDpT10_ENKUlT_T0_E_clISt17integral_constantIbLb0EES1B_EEDaS16_S17_EUlS16_E_NS1_11comp_targetILNS1_3genE3ELNS1_11target_archE908ELNS1_3gpuE7ELNS1_3repE0EEENS1_30default_config_static_selectorELNS0_4arch9wavefront6targetE0EEEvT1_,"axG",@progbits,_ZN7rocprim17ROCPRIM_400000_NS6detail17trampoline_kernelINS0_14default_configENS1_25partition_config_selectorILNS1_17partition_subalgoE5ElNS0_10empty_typeEbEEZZNS1_14partition_implILS5_5ELb0ES3_mN6hipcub16HIPCUB_304000_NS21CountingInputIteratorIllEEPS6_NSA_22TransformInputIteratorIbN2at6native12_GLOBAL__N_19NonZeroOpIdEEPKdlEENS0_5tupleIJPlS6_EEENSN_IJSD_SD_EEES6_PiJS6_EEE10hipError_tPvRmT3_T4_T5_T6_T7_T9_mT8_P12ihipStream_tbDpT10_ENKUlT_T0_E_clISt17integral_constantIbLb0EES1B_EEDaS16_S17_EUlS16_E_NS1_11comp_targetILNS1_3genE3ELNS1_11target_archE908ELNS1_3gpuE7ELNS1_3repE0EEENS1_30default_config_static_selectorELNS0_4arch9wavefront6targetE0EEEvT1_,comdat
	.globl	_ZN7rocprim17ROCPRIM_400000_NS6detail17trampoline_kernelINS0_14default_configENS1_25partition_config_selectorILNS1_17partition_subalgoE5ElNS0_10empty_typeEbEEZZNS1_14partition_implILS5_5ELb0ES3_mN6hipcub16HIPCUB_304000_NS21CountingInputIteratorIllEEPS6_NSA_22TransformInputIteratorIbN2at6native12_GLOBAL__N_19NonZeroOpIdEEPKdlEENS0_5tupleIJPlS6_EEENSN_IJSD_SD_EEES6_PiJS6_EEE10hipError_tPvRmT3_T4_T5_T6_T7_T9_mT8_P12ihipStream_tbDpT10_ENKUlT_T0_E_clISt17integral_constantIbLb0EES1B_EEDaS16_S17_EUlS16_E_NS1_11comp_targetILNS1_3genE3ELNS1_11target_archE908ELNS1_3gpuE7ELNS1_3repE0EEENS1_30default_config_static_selectorELNS0_4arch9wavefront6targetE0EEEvT1_ ; -- Begin function _ZN7rocprim17ROCPRIM_400000_NS6detail17trampoline_kernelINS0_14default_configENS1_25partition_config_selectorILNS1_17partition_subalgoE5ElNS0_10empty_typeEbEEZZNS1_14partition_implILS5_5ELb0ES3_mN6hipcub16HIPCUB_304000_NS21CountingInputIteratorIllEEPS6_NSA_22TransformInputIteratorIbN2at6native12_GLOBAL__N_19NonZeroOpIdEEPKdlEENS0_5tupleIJPlS6_EEENSN_IJSD_SD_EEES6_PiJS6_EEE10hipError_tPvRmT3_T4_T5_T6_T7_T9_mT8_P12ihipStream_tbDpT10_ENKUlT_T0_E_clISt17integral_constantIbLb0EES1B_EEDaS16_S17_EUlS16_E_NS1_11comp_targetILNS1_3genE3ELNS1_11target_archE908ELNS1_3gpuE7ELNS1_3repE0EEENS1_30default_config_static_selectorELNS0_4arch9wavefront6targetE0EEEvT1_
	.p2align	8
	.type	_ZN7rocprim17ROCPRIM_400000_NS6detail17trampoline_kernelINS0_14default_configENS1_25partition_config_selectorILNS1_17partition_subalgoE5ElNS0_10empty_typeEbEEZZNS1_14partition_implILS5_5ELb0ES3_mN6hipcub16HIPCUB_304000_NS21CountingInputIteratorIllEEPS6_NSA_22TransformInputIteratorIbN2at6native12_GLOBAL__N_19NonZeroOpIdEEPKdlEENS0_5tupleIJPlS6_EEENSN_IJSD_SD_EEES6_PiJS6_EEE10hipError_tPvRmT3_T4_T5_T6_T7_T9_mT8_P12ihipStream_tbDpT10_ENKUlT_T0_E_clISt17integral_constantIbLb0EES1B_EEDaS16_S17_EUlS16_E_NS1_11comp_targetILNS1_3genE3ELNS1_11target_archE908ELNS1_3gpuE7ELNS1_3repE0EEENS1_30default_config_static_selectorELNS0_4arch9wavefront6targetE0EEEvT1_,@function
_ZN7rocprim17ROCPRIM_400000_NS6detail17trampoline_kernelINS0_14default_configENS1_25partition_config_selectorILNS1_17partition_subalgoE5ElNS0_10empty_typeEbEEZZNS1_14partition_implILS5_5ELb0ES3_mN6hipcub16HIPCUB_304000_NS21CountingInputIteratorIllEEPS6_NSA_22TransformInputIteratorIbN2at6native12_GLOBAL__N_19NonZeroOpIdEEPKdlEENS0_5tupleIJPlS6_EEENSN_IJSD_SD_EEES6_PiJS6_EEE10hipError_tPvRmT3_T4_T5_T6_T7_T9_mT8_P12ihipStream_tbDpT10_ENKUlT_T0_E_clISt17integral_constantIbLb0EES1B_EEDaS16_S17_EUlS16_E_NS1_11comp_targetILNS1_3genE3ELNS1_11target_archE908ELNS1_3gpuE7ELNS1_3repE0EEENS1_30default_config_static_selectorELNS0_4arch9wavefront6targetE0EEEvT1_: ; @_ZN7rocprim17ROCPRIM_400000_NS6detail17trampoline_kernelINS0_14default_configENS1_25partition_config_selectorILNS1_17partition_subalgoE5ElNS0_10empty_typeEbEEZZNS1_14partition_implILS5_5ELb0ES3_mN6hipcub16HIPCUB_304000_NS21CountingInputIteratorIllEEPS6_NSA_22TransformInputIteratorIbN2at6native12_GLOBAL__N_19NonZeroOpIdEEPKdlEENS0_5tupleIJPlS6_EEENSN_IJSD_SD_EEES6_PiJS6_EEE10hipError_tPvRmT3_T4_T5_T6_T7_T9_mT8_P12ihipStream_tbDpT10_ENKUlT_T0_E_clISt17integral_constantIbLb0EES1B_EEDaS16_S17_EUlS16_E_NS1_11comp_targetILNS1_3genE3ELNS1_11target_archE908ELNS1_3gpuE7ELNS1_3repE0EEENS1_30default_config_static_selectorELNS0_4arch9wavefront6targetE0EEEvT1_
; %bb.0:
	.section	.rodata,"a",@progbits
	.p2align	6, 0x0
	.amdhsa_kernel _ZN7rocprim17ROCPRIM_400000_NS6detail17trampoline_kernelINS0_14default_configENS1_25partition_config_selectorILNS1_17partition_subalgoE5ElNS0_10empty_typeEbEEZZNS1_14partition_implILS5_5ELb0ES3_mN6hipcub16HIPCUB_304000_NS21CountingInputIteratorIllEEPS6_NSA_22TransformInputIteratorIbN2at6native12_GLOBAL__N_19NonZeroOpIdEEPKdlEENS0_5tupleIJPlS6_EEENSN_IJSD_SD_EEES6_PiJS6_EEE10hipError_tPvRmT3_T4_T5_T6_T7_T9_mT8_P12ihipStream_tbDpT10_ENKUlT_T0_E_clISt17integral_constantIbLb0EES1B_EEDaS16_S17_EUlS16_E_NS1_11comp_targetILNS1_3genE3ELNS1_11target_archE908ELNS1_3gpuE7ELNS1_3repE0EEENS1_30default_config_static_selectorELNS0_4arch9wavefront6targetE0EEEvT1_
		.amdhsa_group_segment_fixed_size 0
		.amdhsa_private_segment_fixed_size 0
		.amdhsa_kernarg_size 120
		.amdhsa_user_sgpr_count 2
		.amdhsa_user_sgpr_dispatch_ptr 0
		.amdhsa_user_sgpr_queue_ptr 0
		.amdhsa_user_sgpr_kernarg_segment_ptr 1
		.amdhsa_user_sgpr_dispatch_id 0
		.amdhsa_user_sgpr_private_segment_size 0
		.amdhsa_wavefront_size32 1
		.amdhsa_uses_dynamic_stack 0
		.amdhsa_enable_private_segment 0
		.amdhsa_system_sgpr_workgroup_id_x 1
		.amdhsa_system_sgpr_workgroup_id_y 0
		.amdhsa_system_sgpr_workgroup_id_z 0
		.amdhsa_system_sgpr_workgroup_info 0
		.amdhsa_system_vgpr_workitem_id 0
		.amdhsa_next_free_vgpr 1
		.amdhsa_next_free_sgpr 1
		.amdhsa_reserve_vcc 0
		.amdhsa_float_round_mode_32 0
		.amdhsa_float_round_mode_16_64 0
		.amdhsa_float_denorm_mode_32 3
		.amdhsa_float_denorm_mode_16_64 3
		.amdhsa_fp16_overflow 0
		.amdhsa_workgroup_processor_mode 1
		.amdhsa_memory_ordered 1
		.amdhsa_forward_progress 1
		.amdhsa_inst_pref_size 0
		.amdhsa_round_robin_scheduling 0
		.amdhsa_exception_fp_ieee_invalid_op 0
		.amdhsa_exception_fp_denorm_src 0
		.amdhsa_exception_fp_ieee_div_zero 0
		.amdhsa_exception_fp_ieee_overflow 0
		.amdhsa_exception_fp_ieee_underflow 0
		.amdhsa_exception_fp_ieee_inexact 0
		.amdhsa_exception_int_div_zero 0
	.end_amdhsa_kernel
	.section	.text._ZN7rocprim17ROCPRIM_400000_NS6detail17trampoline_kernelINS0_14default_configENS1_25partition_config_selectorILNS1_17partition_subalgoE5ElNS0_10empty_typeEbEEZZNS1_14partition_implILS5_5ELb0ES3_mN6hipcub16HIPCUB_304000_NS21CountingInputIteratorIllEEPS6_NSA_22TransformInputIteratorIbN2at6native12_GLOBAL__N_19NonZeroOpIdEEPKdlEENS0_5tupleIJPlS6_EEENSN_IJSD_SD_EEES6_PiJS6_EEE10hipError_tPvRmT3_T4_T5_T6_T7_T9_mT8_P12ihipStream_tbDpT10_ENKUlT_T0_E_clISt17integral_constantIbLb0EES1B_EEDaS16_S17_EUlS16_E_NS1_11comp_targetILNS1_3genE3ELNS1_11target_archE908ELNS1_3gpuE7ELNS1_3repE0EEENS1_30default_config_static_selectorELNS0_4arch9wavefront6targetE0EEEvT1_,"axG",@progbits,_ZN7rocprim17ROCPRIM_400000_NS6detail17trampoline_kernelINS0_14default_configENS1_25partition_config_selectorILNS1_17partition_subalgoE5ElNS0_10empty_typeEbEEZZNS1_14partition_implILS5_5ELb0ES3_mN6hipcub16HIPCUB_304000_NS21CountingInputIteratorIllEEPS6_NSA_22TransformInputIteratorIbN2at6native12_GLOBAL__N_19NonZeroOpIdEEPKdlEENS0_5tupleIJPlS6_EEENSN_IJSD_SD_EEES6_PiJS6_EEE10hipError_tPvRmT3_T4_T5_T6_T7_T9_mT8_P12ihipStream_tbDpT10_ENKUlT_T0_E_clISt17integral_constantIbLb0EES1B_EEDaS16_S17_EUlS16_E_NS1_11comp_targetILNS1_3genE3ELNS1_11target_archE908ELNS1_3gpuE7ELNS1_3repE0EEENS1_30default_config_static_selectorELNS0_4arch9wavefront6targetE0EEEvT1_,comdat
.Lfunc_end393:
	.size	_ZN7rocprim17ROCPRIM_400000_NS6detail17trampoline_kernelINS0_14default_configENS1_25partition_config_selectorILNS1_17partition_subalgoE5ElNS0_10empty_typeEbEEZZNS1_14partition_implILS5_5ELb0ES3_mN6hipcub16HIPCUB_304000_NS21CountingInputIteratorIllEEPS6_NSA_22TransformInputIteratorIbN2at6native12_GLOBAL__N_19NonZeroOpIdEEPKdlEENS0_5tupleIJPlS6_EEENSN_IJSD_SD_EEES6_PiJS6_EEE10hipError_tPvRmT3_T4_T5_T6_T7_T9_mT8_P12ihipStream_tbDpT10_ENKUlT_T0_E_clISt17integral_constantIbLb0EES1B_EEDaS16_S17_EUlS16_E_NS1_11comp_targetILNS1_3genE3ELNS1_11target_archE908ELNS1_3gpuE7ELNS1_3repE0EEENS1_30default_config_static_selectorELNS0_4arch9wavefront6targetE0EEEvT1_, .Lfunc_end393-_ZN7rocprim17ROCPRIM_400000_NS6detail17trampoline_kernelINS0_14default_configENS1_25partition_config_selectorILNS1_17partition_subalgoE5ElNS0_10empty_typeEbEEZZNS1_14partition_implILS5_5ELb0ES3_mN6hipcub16HIPCUB_304000_NS21CountingInputIteratorIllEEPS6_NSA_22TransformInputIteratorIbN2at6native12_GLOBAL__N_19NonZeroOpIdEEPKdlEENS0_5tupleIJPlS6_EEENSN_IJSD_SD_EEES6_PiJS6_EEE10hipError_tPvRmT3_T4_T5_T6_T7_T9_mT8_P12ihipStream_tbDpT10_ENKUlT_T0_E_clISt17integral_constantIbLb0EES1B_EEDaS16_S17_EUlS16_E_NS1_11comp_targetILNS1_3genE3ELNS1_11target_archE908ELNS1_3gpuE7ELNS1_3repE0EEENS1_30default_config_static_selectorELNS0_4arch9wavefront6targetE0EEEvT1_
                                        ; -- End function
	.set _ZN7rocprim17ROCPRIM_400000_NS6detail17trampoline_kernelINS0_14default_configENS1_25partition_config_selectorILNS1_17partition_subalgoE5ElNS0_10empty_typeEbEEZZNS1_14partition_implILS5_5ELb0ES3_mN6hipcub16HIPCUB_304000_NS21CountingInputIteratorIllEEPS6_NSA_22TransformInputIteratorIbN2at6native12_GLOBAL__N_19NonZeroOpIdEEPKdlEENS0_5tupleIJPlS6_EEENSN_IJSD_SD_EEES6_PiJS6_EEE10hipError_tPvRmT3_T4_T5_T6_T7_T9_mT8_P12ihipStream_tbDpT10_ENKUlT_T0_E_clISt17integral_constantIbLb0EES1B_EEDaS16_S17_EUlS16_E_NS1_11comp_targetILNS1_3genE3ELNS1_11target_archE908ELNS1_3gpuE7ELNS1_3repE0EEENS1_30default_config_static_selectorELNS0_4arch9wavefront6targetE0EEEvT1_.num_vgpr, 0
	.set _ZN7rocprim17ROCPRIM_400000_NS6detail17trampoline_kernelINS0_14default_configENS1_25partition_config_selectorILNS1_17partition_subalgoE5ElNS0_10empty_typeEbEEZZNS1_14partition_implILS5_5ELb0ES3_mN6hipcub16HIPCUB_304000_NS21CountingInputIteratorIllEEPS6_NSA_22TransformInputIteratorIbN2at6native12_GLOBAL__N_19NonZeroOpIdEEPKdlEENS0_5tupleIJPlS6_EEENSN_IJSD_SD_EEES6_PiJS6_EEE10hipError_tPvRmT3_T4_T5_T6_T7_T9_mT8_P12ihipStream_tbDpT10_ENKUlT_T0_E_clISt17integral_constantIbLb0EES1B_EEDaS16_S17_EUlS16_E_NS1_11comp_targetILNS1_3genE3ELNS1_11target_archE908ELNS1_3gpuE7ELNS1_3repE0EEENS1_30default_config_static_selectorELNS0_4arch9wavefront6targetE0EEEvT1_.num_agpr, 0
	.set _ZN7rocprim17ROCPRIM_400000_NS6detail17trampoline_kernelINS0_14default_configENS1_25partition_config_selectorILNS1_17partition_subalgoE5ElNS0_10empty_typeEbEEZZNS1_14partition_implILS5_5ELb0ES3_mN6hipcub16HIPCUB_304000_NS21CountingInputIteratorIllEEPS6_NSA_22TransformInputIteratorIbN2at6native12_GLOBAL__N_19NonZeroOpIdEEPKdlEENS0_5tupleIJPlS6_EEENSN_IJSD_SD_EEES6_PiJS6_EEE10hipError_tPvRmT3_T4_T5_T6_T7_T9_mT8_P12ihipStream_tbDpT10_ENKUlT_T0_E_clISt17integral_constantIbLb0EES1B_EEDaS16_S17_EUlS16_E_NS1_11comp_targetILNS1_3genE3ELNS1_11target_archE908ELNS1_3gpuE7ELNS1_3repE0EEENS1_30default_config_static_selectorELNS0_4arch9wavefront6targetE0EEEvT1_.numbered_sgpr, 0
	.set _ZN7rocprim17ROCPRIM_400000_NS6detail17trampoline_kernelINS0_14default_configENS1_25partition_config_selectorILNS1_17partition_subalgoE5ElNS0_10empty_typeEbEEZZNS1_14partition_implILS5_5ELb0ES3_mN6hipcub16HIPCUB_304000_NS21CountingInputIteratorIllEEPS6_NSA_22TransformInputIteratorIbN2at6native12_GLOBAL__N_19NonZeroOpIdEEPKdlEENS0_5tupleIJPlS6_EEENSN_IJSD_SD_EEES6_PiJS6_EEE10hipError_tPvRmT3_T4_T5_T6_T7_T9_mT8_P12ihipStream_tbDpT10_ENKUlT_T0_E_clISt17integral_constantIbLb0EES1B_EEDaS16_S17_EUlS16_E_NS1_11comp_targetILNS1_3genE3ELNS1_11target_archE908ELNS1_3gpuE7ELNS1_3repE0EEENS1_30default_config_static_selectorELNS0_4arch9wavefront6targetE0EEEvT1_.num_named_barrier, 0
	.set _ZN7rocprim17ROCPRIM_400000_NS6detail17trampoline_kernelINS0_14default_configENS1_25partition_config_selectorILNS1_17partition_subalgoE5ElNS0_10empty_typeEbEEZZNS1_14partition_implILS5_5ELb0ES3_mN6hipcub16HIPCUB_304000_NS21CountingInputIteratorIllEEPS6_NSA_22TransformInputIteratorIbN2at6native12_GLOBAL__N_19NonZeroOpIdEEPKdlEENS0_5tupleIJPlS6_EEENSN_IJSD_SD_EEES6_PiJS6_EEE10hipError_tPvRmT3_T4_T5_T6_T7_T9_mT8_P12ihipStream_tbDpT10_ENKUlT_T0_E_clISt17integral_constantIbLb0EES1B_EEDaS16_S17_EUlS16_E_NS1_11comp_targetILNS1_3genE3ELNS1_11target_archE908ELNS1_3gpuE7ELNS1_3repE0EEENS1_30default_config_static_selectorELNS0_4arch9wavefront6targetE0EEEvT1_.private_seg_size, 0
	.set _ZN7rocprim17ROCPRIM_400000_NS6detail17trampoline_kernelINS0_14default_configENS1_25partition_config_selectorILNS1_17partition_subalgoE5ElNS0_10empty_typeEbEEZZNS1_14partition_implILS5_5ELb0ES3_mN6hipcub16HIPCUB_304000_NS21CountingInputIteratorIllEEPS6_NSA_22TransformInputIteratorIbN2at6native12_GLOBAL__N_19NonZeroOpIdEEPKdlEENS0_5tupleIJPlS6_EEENSN_IJSD_SD_EEES6_PiJS6_EEE10hipError_tPvRmT3_T4_T5_T6_T7_T9_mT8_P12ihipStream_tbDpT10_ENKUlT_T0_E_clISt17integral_constantIbLb0EES1B_EEDaS16_S17_EUlS16_E_NS1_11comp_targetILNS1_3genE3ELNS1_11target_archE908ELNS1_3gpuE7ELNS1_3repE0EEENS1_30default_config_static_selectorELNS0_4arch9wavefront6targetE0EEEvT1_.uses_vcc, 0
	.set _ZN7rocprim17ROCPRIM_400000_NS6detail17trampoline_kernelINS0_14default_configENS1_25partition_config_selectorILNS1_17partition_subalgoE5ElNS0_10empty_typeEbEEZZNS1_14partition_implILS5_5ELb0ES3_mN6hipcub16HIPCUB_304000_NS21CountingInputIteratorIllEEPS6_NSA_22TransformInputIteratorIbN2at6native12_GLOBAL__N_19NonZeroOpIdEEPKdlEENS0_5tupleIJPlS6_EEENSN_IJSD_SD_EEES6_PiJS6_EEE10hipError_tPvRmT3_T4_T5_T6_T7_T9_mT8_P12ihipStream_tbDpT10_ENKUlT_T0_E_clISt17integral_constantIbLb0EES1B_EEDaS16_S17_EUlS16_E_NS1_11comp_targetILNS1_3genE3ELNS1_11target_archE908ELNS1_3gpuE7ELNS1_3repE0EEENS1_30default_config_static_selectorELNS0_4arch9wavefront6targetE0EEEvT1_.uses_flat_scratch, 0
	.set _ZN7rocprim17ROCPRIM_400000_NS6detail17trampoline_kernelINS0_14default_configENS1_25partition_config_selectorILNS1_17partition_subalgoE5ElNS0_10empty_typeEbEEZZNS1_14partition_implILS5_5ELb0ES3_mN6hipcub16HIPCUB_304000_NS21CountingInputIteratorIllEEPS6_NSA_22TransformInputIteratorIbN2at6native12_GLOBAL__N_19NonZeroOpIdEEPKdlEENS0_5tupleIJPlS6_EEENSN_IJSD_SD_EEES6_PiJS6_EEE10hipError_tPvRmT3_T4_T5_T6_T7_T9_mT8_P12ihipStream_tbDpT10_ENKUlT_T0_E_clISt17integral_constantIbLb0EES1B_EEDaS16_S17_EUlS16_E_NS1_11comp_targetILNS1_3genE3ELNS1_11target_archE908ELNS1_3gpuE7ELNS1_3repE0EEENS1_30default_config_static_selectorELNS0_4arch9wavefront6targetE0EEEvT1_.has_dyn_sized_stack, 0
	.set _ZN7rocprim17ROCPRIM_400000_NS6detail17trampoline_kernelINS0_14default_configENS1_25partition_config_selectorILNS1_17partition_subalgoE5ElNS0_10empty_typeEbEEZZNS1_14partition_implILS5_5ELb0ES3_mN6hipcub16HIPCUB_304000_NS21CountingInputIteratorIllEEPS6_NSA_22TransformInputIteratorIbN2at6native12_GLOBAL__N_19NonZeroOpIdEEPKdlEENS0_5tupleIJPlS6_EEENSN_IJSD_SD_EEES6_PiJS6_EEE10hipError_tPvRmT3_T4_T5_T6_T7_T9_mT8_P12ihipStream_tbDpT10_ENKUlT_T0_E_clISt17integral_constantIbLb0EES1B_EEDaS16_S17_EUlS16_E_NS1_11comp_targetILNS1_3genE3ELNS1_11target_archE908ELNS1_3gpuE7ELNS1_3repE0EEENS1_30default_config_static_selectorELNS0_4arch9wavefront6targetE0EEEvT1_.has_recursion, 0
	.set _ZN7rocprim17ROCPRIM_400000_NS6detail17trampoline_kernelINS0_14default_configENS1_25partition_config_selectorILNS1_17partition_subalgoE5ElNS0_10empty_typeEbEEZZNS1_14partition_implILS5_5ELb0ES3_mN6hipcub16HIPCUB_304000_NS21CountingInputIteratorIllEEPS6_NSA_22TransformInputIteratorIbN2at6native12_GLOBAL__N_19NonZeroOpIdEEPKdlEENS0_5tupleIJPlS6_EEENSN_IJSD_SD_EEES6_PiJS6_EEE10hipError_tPvRmT3_T4_T5_T6_T7_T9_mT8_P12ihipStream_tbDpT10_ENKUlT_T0_E_clISt17integral_constantIbLb0EES1B_EEDaS16_S17_EUlS16_E_NS1_11comp_targetILNS1_3genE3ELNS1_11target_archE908ELNS1_3gpuE7ELNS1_3repE0EEENS1_30default_config_static_selectorELNS0_4arch9wavefront6targetE0EEEvT1_.has_indirect_call, 0
	.section	.AMDGPU.csdata,"",@progbits
; Kernel info:
; codeLenInByte = 0
; TotalNumSgprs: 0
; NumVgprs: 0
; ScratchSize: 0
; MemoryBound: 0
; FloatMode: 240
; IeeeMode: 1
; LDSByteSize: 0 bytes/workgroup (compile time only)
; SGPRBlocks: 0
; VGPRBlocks: 0
; NumSGPRsForWavesPerEU: 1
; NumVGPRsForWavesPerEU: 1
; Occupancy: 16
; WaveLimiterHint : 0
; COMPUTE_PGM_RSRC2:SCRATCH_EN: 0
; COMPUTE_PGM_RSRC2:USER_SGPR: 2
; COMPUTE_PGM_RSRC2:TRAP_HANDLER: 0
; COMPUTE_PGM_RSRC2:TGID_X_EN: 1
; COMPUTE_PGM_RSRC2:TGID_Y_EN: 0
; COMPUTE_PGM_RSRC2:TGID_Z_EN: 0
; COMPUTE_PGM_RSRC2:TIDIG_COMP_CNT: 0
	.section	.text._ZN7rocprim17ROCPRIM_400000_NS6detail17trampoline_kernelINS0_14default_configENS1_25partition_config_selectorILNS1_17partition_subalgoE5ElNS0_10empty_typeEbEEZZNS1_14partition_implILS5_5ELb0ES3_mN6hipcub16HIPCUB_304000_NS21CountingInputIteratorIllEEPS6_NSA_22TransformInputIteratorIbN2at6native12_GLOBAL__N_19NonZeroOpIdEEPKdlEENS0_5tupleIJPlS6_EEENSN_IJSD_SD_EEES6_PiJS6_EEE10hipError_tPvRmT3_T4_T5_T6_T7_T9_mT8_P12ihipStream_tbDpT10_ENKUlT_T0_E_clISt17integral_constantIbLb0EES1B_EEDaS16_S17_EUlS16_E_NS1_11comp_targetILNS1_3genE2ELNS1_11target_archE906ELNS1_3gpuE6ELNS1_3repE0EEENS1_30default_config_static_selectorELNS0_4arch9wavefront6targetE0EEEvT1_,"axG",@progbits,_ZN7rocprim17ROCPRIM_400000_NS6detail17trampoline_kernelINS0_14default_configENS1_25partition_config_selectorILNS1_17partition_subalgoE5ElNS0_10empty_typeEbEEZZNS1_14partition_implILS5_5ELb0ES3_mN6hipcub16HIPCUB_304000_NS21CountingInputIteratorIllEEPS6_NSA_22TransformInputIteratorIbN2at6native12_GLOBAL__N_19NonZeroOpIdEEPKdlEENS0_5tupleIJPlS6_EEENSN_IJSD_SD_EEES6_PiJS6_EEE10hipError_tPvRmT3_T4_T5_T6_T7_T9_mT8_P12ihipStream_tbDpT10_ENKUlT_T0_E_clISt17integral_constantIbLb0EES1B_EEDaS16_S17_EUlS16_E_NS1_11comp_targetILNS1_3genE2ELNS1_11target_archE906ELNS1_3gpuE6ELNS1_3repE0EEENS1_30default_config_static_selectorELNS0_4arch9wavefront6targetE0EEEvT1_,comdat
	.globl	_ZN7rocprim17ROCPRIM_400000_NS6detail17trampoline_kernelINS0_14default_configENS1_25partition_config_selectorILNS1_17partition_subalgoE5ElNS0_10empty_typeEbEEZZNS1_14partition_implILS5_5ELb0ES3_mN6hipcub16HIPCUB_304000_NS21CountingInputIteratorIllEEPS6_NSA_22TransformInputIteratorIbN2at6native12_GLOBAL__N_19NonZeroOpIdEEPKdlEENS0_5tupleIJPlS6_EEENSN_IJSD_SD_EEES6_PiJS6_EEE10hipError_tPvRmT3_T4_T5_T6_T7_T9_mT8_P12ihipStream_tbDpT10_ENKUlT_T0_E_clISt17integral_constantIbLb0EES1B_EEDaS16_S17_EUlS16_E_NS1_11comp_targetILNS1_3genE2ELNS1_11target_archE906ELNS1_3gpuE6ELNS1_3repE0EEENS1_30default_config_static_selectorELNS0_4arch9wavefront6targetE0EEEvT1_ ; -- Begin function _ZN7rocprim17ROCPRIM_400000_NS6detail17trampoline_kernelINS0_14default_configENS1_25partition_config_selectorILNS1_17partition_subalgoE5ElNS0_10empty_typeEbEEZZNS1_14partition_implILS5_5ELb0ES3_mN6hipcub16HIPCUB_304000_NS21CountingInputIteratorIllEEPS6_NSA_22TransformInputIteratorIbN2at6native12_GLOBAL__N_19NonZeroOpIdEEPKdlEENS0_5tupleIJPlS6_EEENSN_IJSD_SD_EEES6_PiJS6_EEE10hipError_tPvRmT3_T4_T5_T6_T7_T9_mT8_P12ihipStream_tbDpT10_ENKUlT_T0_E_clISt17integral_constantIbLb0EES1B_EEDaS16_S17_EUlS16_E_NS1_11comp_targetILNS1_3genE2ELNS1_11target_archE906ELNS1_3gpuE6ELNS1_3repE0EEENS1_30default_config_static_selectorELNS0_4arch9wavefront6targetE0EEEvT1_
	.p2align	8
	.type	_ZN7rocprim17ROCPRIM_400000_NS6detail17trampoline_kernelINS0_14default_configENS1_25partition_config_selectorILNS1_17partition_subalgoE5ElNS0_10empty_typeEbEEZZNS1_14partition_implILS5_5ELb0ES3_mN6hipcub16HIPCUB_304000_NS21CountingInputIteratorIllEEPS6_NSA_22TransformInputIteratorIbN2at6native12_GLOBAL__N_19NonZeroOpIdEEPKdlEENS0_5tupleIJPlS6_EEENSN_IJSD_SD_EEES6_PiJS6_EEE10hipError_tPvRmT3_T4_T5_T6_T7_T9_mT8_P12ihipStream_tbDpT10_ENKUlT_T0_E_clISt17integral_constantIbLb0EES1B_EEDaS16_S17_EUlS16_E_NS1_11comp_targetILNS1_3genE2ELNS1_11target_archE906ELNS1_3gpuE6ELNS1_3repE0EEENS1_30default_config_static_selectorELNS0_4arch9wavefront6targetE0EEEvT1_,@function
_ZN7rocprim17ROCPRIM_400000_NS6detail17trampoline_kernelINS0_14default_configENS1_25partition_config_selectorILNS1_17partition_subalgoE5ElNS0_10empty_typeEbEEZZNS1_14partition_implILS5_5ELb0ES3_mN6hipcub16HIPCUB_304000_NS21CountingInputIteratorIllEEPS6_NSA_22TransformInputIteratorIbN2at6native12_GLOBAL__N_19NonZeroOpIdEEPKdlEENS0_5tupleIJPlS6_EEENSN_IJSD_SD_EEES6_PiJS6_EEE10hipError_tPvRmT3_T4_T5_T6_T7_T9_mT8_P12ihipStream_tbDpT10_ENKUlT_T0_E_clISt17integral_constantIbLb0EES1B_EEDaS16_S17_EUlS16_E_NS1_11comp_targetILNS1_3genE2ELNS1_11target_archE906ELNS1_3gpuE6ELNS1_3repE0EEENS1_30default_config_static_selectorELNS0_4arch9wavefront6targetE0EEEvT1_: ; @_ZN7rocprim17ROCPRIM_400000_NS6detail17trampoline_kernelINS0_14default_configENS1_25partition_config_selectorILNS1_17partition_subalgoE5ElNS0_10empty_typeEbEEZZNS1_14partition_implILS5_5ELb0ES3_mN6hipcub16HIPCUB_304000_NS21CountingInputIteratorIllEEPS6_NSA_22TransformInputIteratorIbN2at6native12_GLOBAL__N_19NonZeroOpIdEEPKdlEENS0_5tupleIJPlS6_EEENSN_IJSD_SD_EEES6_PiJS6_EEE10hipError_tPvRmT3_T4_T5_T6_T7_T9_mT8_P12ihipStream_tbDpT10_ENKUlT_T0_E_clISt17integral_constantIbLb0EES1B_EEDaS16_S17_EUlS16_E_NS1_11comp_targetILNS1_3genE2ELNS1_11target_archE906ELNS1_3gpuE6ELNS1_3repE0EEENS1_30default_config_static_selectorELNS0_4arch9wavefront6targetE0EEEvT1_
; %bb.0:
	.section	.rodata,"a",@progbits
	.p2align	6, 0x0
	.amdhsa_kernel _ZN7rocprim17ROCPRIM_400000_NS6detail17trampoline_kernelINS0_14default_configENS1_25partition_config_selectorILNS1_17partition_subalgoE5ElNS0_10empty_typeEbEEZZNS1_14partition_implILS5_5ELb0ES3_mN6hipcub16HIPCUB_304000_NS21CountingInputIteratorIllEEPS6_NSA_22TransformInputIteratorIbN2at6native12_GLOBAL__N_19NonZeroOpIdEEPKdlEENS0_5tupleIJPlS6_EEENSN_IJSD_SD_EEES6_PiJS6_EEE10hipError_tPvRmT3_T4_T5_T6_T7_T9_mT8_P12ihipStream_tbDpT10_ENKUlT_T0_E_clISt17integral_constantIbLb0EES1B_EEDaS16_S17_EUlS16_E_NS1_11comp_targetILNS1_3genE2ELNS1_11target_archE906ELNS1_3gpuE6ELNS1_3repE0EEENS1_30default_config_static_selectorELNS0_4arch9wavefront6targetE0EEEvT1_
		.amdhsa_group_segment_fixed_size 0
		.amdhsa_private_segment_fixed_size 0
		.amdhsa_kernarg_size 120
		.amdhsa_user_sgpr_count 2
		.amdhsa_user_sgpr_dispatch_ptr 0
		.amdhsa_user_sgpr_queue_ptr 0
		.amdhsa_user_sgpr_kernarg_segment_ptr 1
		.amdhsa_user_sgpr_dispatch_id 0
		.amdhsa_user_sgpr_private_segment_size 0
		.amdhsa_wavefront_size32 1
		.amdhsa_uses_dynamic_stack 0
		.amdhsa_enable_private_segment 0
		.amdhsa_system_sgpr_workgroup_id_x 1
		.amdhsa_system_sgpr_workgroup_id_y 0
		.amdhsa_system_sgpr_workgroup_id_z 0
		.amdhsa_system_sgpr_workgroup_info 0
		.amdhsa_system_vgpr_workitem_id 0
		.amdhsa_next_free_vgpr 1
		.amdhsa_next_free_sgpr 1
		.amdhsa_reserve_vcc 0
		.amdhsa_float_round_mode_32 0
		.amdhsa_float_round_mode_16_64 0
		.amdhsa_float_denorm_mode_32 3
		.amdhsa_float_denorm_mode_16_64 3
		.amdhsa_fp16_overflow 0
		.amdhsa_workgroup_processor_mode 1
		.amdhsa_memory_ordered 1
		.amdhsa_forward_progress 1
		.amdhsa_inst_pref_size 0
		.amdhsa_round_robin_scheduling 0
		.amdhsa_exception_fp_ieee_invalid_op 0
		.amdhsa_exception_fp_denorm_src 0
		.amdhsa_exception_fp_ieee_div_zero 0
		.amdhsa_exception_fp_ieee_overflow 0
		.amdhsa_exception_fp_ieee_underflow 0
		.amdhsa_exception_fp_ieee_inexact 0
		.amdhsa_exception_int_div_zero 0
	.end_amdhsa_kernel
	.section	.text._ZN7rocprim17ROCPRIM_400000_NS6detail17trampoline_kernelINS0_14default_configENS1_25partition_config_selectorILNS1_17partition_subalgoE5ElNS0_10empty_typeEbEEZZNS1_14partition_implILS5_5ELb0ES3_mN6hipcub16HIPCUB_304000_NS21CountingInputIteratorIllEEPS6_NSA_22TransformInputIteratorIbN2at6native12_GLOBAL__N_19NonZeroOpIdEEPKdlEENS0_5tupleIJPlS6_EEENSN_IJSD_SD_EEES6_PiJS6_EEE10hipError_tPvRmT3_T4_T5_T6_T7_T9_mT8_P12ihipStream_tbDpT10_ENKUlT_T0_E_clISt17integral_constantIbLb0EES1B_EEDaS16_S17_EUlS16_E_NS1_11comp_targetILNS1_3genE2ELNS1_11target_archE906ELNS1_3gpuE6ELNS1_3repE0EEENS1_30default_config_static_selectorELNS0_4arch9wavefront6targetE0EEEvT1_,"axG",@progbits,_ZN7rocprim17ROCPRIM_400000_NS6detail17trampoline_kernelINS0_14default_configENS1_25partition_config_selectorILNS1_17partition_subalgoE5ElNS0_10empty_typeEbEEZZNS1_14partition_implILS5_5ELb0ES3_mN6hipcub16HIPCUB_304000_NS21CountingInputIteratorIllEEPS6_NSA_22TransformInputIteratorIbN2at6native12_GLOBAL__N_19NonZeroOpIdEEPKdlEENS0_5tupleIJPlS6_EEENSN_IJSD_SD_EEES6_PiJS6_EEE10hipError_tPvRmT3_T4_T5_T6_T7_T9_mT8_P12ihipStream_tbDpT10_ENKUlT_T0_E_clISt17integral_constantIbLb0EES1B_EEDaS16_S17_EUlS16_E_NS1_11comp_targetILNS1_3genE2ELNS1_11target_archE906ELNS1_3gpuE6ELNS1_3repE0EEENS1_30default_config_static_selectorELNS0_4arch9wavefront6targetE0EEEvT1_,comdat
.Lfunc_end394:
	.size	_ZN7rocprim17ROCPRIM_400000_NS6detail17trampoline_kernelINS0_14default_configENS1_25partition_config_selectorILNS1_17partition_subalgoE5ElNS0_10empty_typeEbEEZZNS1_14partition_implILS5_5ELb0ES3_mN6hipcub16HIPCUB_304000_NS21CountingInputIteratorIllEEPS6_NSA_22TransformInputIteratorIbN2at6native12_GLOBAL__N_19NonZeroOpIdEEPKdlEENS0_5tupleIJPlS6_EEENSN_IJSD_SD_EEES6_PiJS6_EEE10hipError_tPvRmT3_T4_T5_T6_T7_T9_mT8_P12ihipStream_tbDpT10_ENKUlT_T0_E_clISt17integral_constantIbLb0EES1B_EEDaS16_S17_EUlS16_E_NS1_11comp_targetILNS1_3genE2ELNS1_11target_archE906ELNS1_3gpuE6ELNS1_3repE0EEENS1_30default_config_static_selectorELNS0_4arch9wavefront6targetE0EEEvT1_, .Lfunc_end394-_ZN7rocprim17ROCPRIM_400000_NS6detail17trampoline_kernelINS0_14default_configENS1_25partition_config_selectorILNS1_17partition_subalgoE5ElNS0_10empty_typeEbEEZZNS1_14partition_implILS5_5ELb0ES3_mN6hipcub16HIPCUB_304000_NS21CountingInputIteratorIllEEPS6_NSA_22TransformInputIteratorIbN2at6native12_GLOBAL__N_19NonZeroOpIdEEPKdlEENS0_5tupleIJPlS6_EEENSN_IJSD_SD_EEES6_PiJS6_EEE10hipError_tPvRmT3_T4_T5_T6_T7_T9_mT8_P12ihipStream_tbDpT10_ENKUlT_T0_E_clISt17integral_constantIbLb0EES1B_EEDaS16_S17_EUlS16_E_NS1_11comp_targetILNS1_3genE2ELNS1_11target_archE906ELNS1_3gpuE6ELNS1_3repE0EEENS1_30default_config_static_selectorELNS0_4arch9wavefront6targetE0EEEvT1_
                                        ; -- End function
	.set _ZN7rocprim17ROCPRIM_400000_NS6detail17trampoline_kernelINS0_14default_configENS1_25partition_config_selectorILNS1_17partition_subalgoE5ElNS0_10empty_typeEbEEZZNS1_14partition_implILS5_5ELb0ES3_mN6hipcub16HIPCUB_304000_NS21CountingInputIteratorIllEEPS6_NSA_22TransformInputIteratorIbN2at6native12_GLOBAL__N_19NonZeroOpIdEEPKdlEENS0_5tupleIJPlS6_EEENSN_IJSD_SD_EEES6_PiJS6_EEE10hipError_tPvRmT3_T4_T5_T6_T7_T9_mT8_P12ihipStream_tbDpT10_ENKUlT_T0_E_clISt17integral_constantIbLb0EES1B_EEDaS16_S17_EUlS16_E_NS1_11comp_targetILNS1_3genE2ELNS1_11target_archE906ELNS1_3gpuE6ELNS1_3repE0EEENS1_30default_config_static_selectorELNS0_4arch9wavefront6targetE0EEEvT1_.num_vgpr, 0
	.set _ZN7rocprim17ROCPRIM_400000_NS6detail17trampoline_kernelINS0_14default_configENS1_25partition_config_selectorILNS1_17partition_subalgoE5ElNS0_10empty_typeEbEEZZNS1_14partition_implILS5_5ELb0ES3_mN6hipcub16HIPCUB_304000_NS21CountingInputIteratorIllEEPS6_NSA_22TransformInputIteratorIbN2at6native12_GLOBAL__N_19NonZeroOpIdEEPKdlEENS0_5tupleIJPlS6_EEENSN_IJSD_SD_EEES6_PiJS6_EEE10hipError_tPvRmT3_T4_T5_T6_T7_T9_mT8_P12ihipStream_tbDpT10_ENKUlT_T0_E_clISt17integral_constantIbLb0EES1B_EEDaS16_S17_EUlS16_E_NS1_11comp_targetILNS1_3genE2ELNS1_11target_archE906ELNS1_3gpuE6ELNS1_3repE0EEENS1_30default_config_static_selectorELNS0_4arch9wavefront6targetE0EEEvT1_.num_agpr, 0
	.set _ZN7rocprim17ROCPRIM_400000_NS6detail17trampoline_kernelINS0_14default_configENS1_25partition_config_selectorILNS1_17partition_subalgoE5ElNS0_10empty_typeEbEEZZNS1_14partition_implILS5_5ELb0ES3_mN6hipcub16HIPCUB_304000_NS21CountingInputIteratorIllEEPS6_NSA_22TransformInputIteratorIbN2at6native12_GLOBAL__N_19NonZeroOpIdEEPKdlEENS0_5tupleIJPlS6_EEENSN_IJSD_SD_EEES6_PiJS6_EEE10hipError_tPvRmT3_T4_T5_T6_T7_T9_mT8_P12ihipStream_tbDpT10_ENKUlT_T0_E_clISt17integral_constantIbLb0EES1B_EEDaS16_S17_EUlS16_E_NS1_11comp_targetILNS1_3genE2ELNS1_11target_archE906ELNS1_3gpuE6ELNS1_3repE0EEENS1_30default_config_static_selectorELNS0_4arch9wavefront6targetE0EEEvT1_.numbered_sgpr, 0
	.set _ZN7rocprim17ROCPRIM_400000_NS6detail17trampoline_kernelINS0_14default_configENS1_25partition_config_selectorILNS1_17partition_subalgoE5ElNS0_10empty_typeEbEEZZNS1_14partition_implILS5_5ELb0ES3_mN6hipcub16HIPCUB_304000_NS21CountingInputIteratorIllEEPS6_NSA_22TransformInputIteratorIbN2at6native12_GLOBAL__N_19NonZeroOpIdEEPKdlEENS0_5tupleIJPlS6_EEENSN_IJSD_SD_EEES6_PiJS6_EEE10hipError_tPvRmT3_T4_T5_T6_T7_T9_mT8_P12ihipStream_tbDpT10_ENKUlT_T0_E_clISt17integral_constantIbLb0EES1B_EEDaS16_S17_EUlS16_E_NS1_11comp_targetILNS1_3genE2ELNS1_11target_archE906ELNS1_3gpuE6ELNS1_3repE0EEENS1_30default_config_static_selectorELNS0_4arch9wavefront6targetE0EEEvT1_.num_named_barrier, 0
	.set _ZN7rocprim17ROCPRIM_400000_NS6detail17trampoline_kernelINS0_14default_configENS1_25partition_config_selectorILNS1_17partition_subalgoE5ElNS0_10empty_typeEbEEZZNS1_14partition_implILS5_5ELb0ES3_mN6hipcub16HIPCUB_304000_NS21CountingInputIteratorIllEEPS6_NSA_22TransformInputIteratorIbN2at6native12_GLOBAL__N_19NonZeroOpIdEEPKdlEENS0_5tupleIJPlS6_EEENSN_IJSD_SD_EEES6_PiJS6_EEE10hipError_tPvRmT3_T4_T5_T6_T7_T9_mT8_P12ihipStream_tbDpT10_ENKUlT_T0_E_clISt17integral_constantIbLb0EES1B_EEDaS16_S17_EUlS16_E_NS1_11comp_targetILNS1_3genE2ELNS1_11target_archE906ELNS1_3gpuE6ELNS1_3repE0EEENS1_30default_config_static_selectorELNS0_4arch9wavefront6targetE0EEEvT1_.private_seg_size, 0
	.set _ZN7rocprim17ROCPRIM_400000_NS6detail17trampoline_kernelINS0_14default_configENS1_25partition_config_selectorILNS1_17partition_subalgoE5ElNS0_10empty_typeEbEEZZNS1_14partition_implILS5_5ELb0ES3_mN6hipcub16HIPCUB_304000_NS21CountingInputIteratorIllEEPS6_NSA_22TransformInputIteratorIbN2at6native12_GLOBAL__N_19NonZeroOpIdEEPKdlEENS0_5tupleIJPlS6_EEENSN_IJSD_SD_EEES6_PiJS6_EEE10hipError_tPvRmT3_T4_T5_T6_T7_T9_mT8_P12ihipStream_tbDpT10_ENKUlT_T0_E_clISt17integral_constantIbLb0EES1B_EEDaS16_S17_EUlS16_E_NS1_11comp_targetILNS1_3genE2ELNS1_11target_archE906ELNS1_3gpuE6ELNS1_3repE0EEENS1_30default_config_static_selectorELNS0_4arch9wavefront6targetE0EEEvT1_.uses_vcc, 0
	.set _ZN7rocprim17ROCPRIM_400000_NS6detail17trampoline_kernelINS0_14default_configENS1_25partition_config_selectorILNS1_17partition_subalgoE5ElNS0_10empty_typeEbEEZZNS1_14partition_implILS5_5ELb0ES3_mN6hipcub16HIPCUB_304000_NS21CountingInputIteratorIllEEPS6_NSA_22TransformInputIteratorIbN2at6native12_GLOBAL__N_19NonZeroOpIdEEPKdlEENS0_5tupleIJPlS6_EEENSN_IJSD_SD_EEES6_PiJS6_EEE10hipError_tPvRmT3_T4_T5_T6_T7_T9_mT8_P12ihipStream_tbDpT10_ENKUlT_T0_E_clISt17integral_constantIbLb0EES1B_EEDaS16_S17_EUlS16_E_NS1_11comp_targetILNS1_3genE2ELNS1_11target_archE906ELNS1_3gpuE6ELNS1_3repE0EEENS1_30default_config_static_selectorELNS0_4arch9wavefront6targetE0EEEvT1_.uses_flat_scratch, 0
	.set _ZN7rocprim17ROCPRIM_400000_NS6detail17trampoline_kernelINS0_14default_configENS1_25partition_config_selectorILNS1_17partition_subalgoE5ElNS0_10empty_typeEbEEZZNS1_14partition_implILS5_5ELb0ES3_mN6hipcub16HIPCUB_304000_NS21CountingInputIteratorIllEEPS6_NSA_22TransformInputIteratorIbN2at6native12_GLOBAL__N_19NonZeroOpIdEEPKdlEENS0_5tupleIJPlS6_EEENSN_IJSD_SD_EEES6_PiJS6_EEE10hipError_tPvRmT3_T4_T5_T6_T7_T9_mT8_P12ihipStream_tbDpT10_ENKUlT_T0_E_clISt17integral_constantIbLb0EES1B_EEDaS16_S17_EUlS16_E_NS1_11comp_targetILNS1_3genE2ELNS1_11target_archE906ELNS1_3gpuE6ELNS1_3repE0EEENS1_30default_config_static_selectorELNS0_4arch9wavefront6targetE0EEEvT1_.has_dyn_sized_stack, 0
	.set _ZN7rocprim17ROCPRIM_400000_NS6detail17trampoline_kernelINS0_14default_configENS1_25partition_config_selectorILNS1_17partition_subalgoE5ElNS0_10empty_typeEbEEZZNS1_14partition_implILS5_5ELb0ES3_mN6hipcub16HIPCUB_304000_NS21CountingInputIteratorIllEEPS6_NSA_22TransformInputIteratorIbN2at6native12_GLOBAL__N_19NonZeroOpIdEEPKdlEENS0_5tupleIJPlS6_EEENSN_IJSD_SD_EEES6_PiJS6_EEE10hipError_tPvRmT3_T4_T5_T6_T7_T9_mT8_P12ihipStream_tbDpT10_ENKUlT_T0_E_clISt17integral_constantIbLb0EES1B_EEDaS16_S17_EUlS16_E_NS1_11comp_targetILNS1_3genE2ELNS1_11target_archE906ELNS1_3gpuE6ELNS1_3repE0EEENS1_30default_config_static_selectorELNS0_4arch9wavefront6targetE0EEEvT1_.has_recursion, 0
	.set _ZN7rocprim17ROCPRIM_400000_NS6detail17trampoline_kernelINS0_14default_configENS1_25partition_config_selectorILNS1_17partition_subalgoE5ElNS0_10empty_typeEbEEZZNS1_14partition_implILS5_5ELb0ES3_mN6hipcub16HIPCUB_304000_NS21CountingInputIteratorIllEEPS6_NSA_22TransformInputIteratorIbN2at6native12_GLOBAL__N_19NonZeroOpIdEEPKdlEENS0_5tupleIJPlS6_EEENSN_IJSD_SD_EEES6_PiJS6_EEE10hipError_tPvRmT3_T4_T5_T6_T7_T9_mT8_P12ihipStream_tbDpT10_ENKUlT_T0_E_clISt17integral_constantIbLb0EES1B_EEDaS16_S17_EUlS16_E_NS1_11comp_targetILNS1_3genE2ELNS1_11target_archE906ELNS1_3gpuE6ELNS1_3repE0EEENS1_30default_config_static_selectorELNS0_4arch9wavefront6targetE0EEEvT1_.has_indirect_call, 0
	.section	.AMDGPU.csdata,"",@progbits
; Kernel info:
; codeLenInByte = 0
; TotalNumSgprs: 0
; NumVgprs: 0
; ScratchSize: 0
; MemoryBound: 0
; FloatMode: 240
; IeeeMode: 1
; LDSByteSize: 0 bytes/workgroup (compile time only)
; SGPRBlocks: 0
; VGPRBlocks: 0
; NumSGPRsForWavesPerEU: 1
; NumVGPRsForWavesPerEU: 1
; Occupancy: 16
; WaveLimiterHint : 0
; COMPUTE_PGM_RSRC2:SCRATCH_EN: 0
; COMPUTE_PGM_RSRC2:USER_SGPR: 2
; COMPUTE_PGM_RSRC2:TRAP_HANDLER: 0
; COMPUTE_PGM_RSRC2:TGID_X_EN: 1
; COMPUTE_PGM_RSRC2:TGID_Y_EN: 0
; COMPUTE_PGM_RSRC2:TGID_Z_EN: 0
; COMPUTE_PGM_RSRC2:TIDIG_COMP_CNT: 0
	.section	.text._ZN7rocprim17ROCPRIM_400000_NS6detail17trampoline_kernelINS0_14default_configENS1_25partition_config_selectorILNS1_17partition_subalgoE5ElNS0_10empty_typeEbEEZZNS1_14partition_implILS5_5ELb0ES3_mN6hipcub16HIPCUB_304000_NS21CountingInputIteratorIllEEPS6_NSA_22TransformInputIteratorIbN2at6native12_GLOBAL__N_19NonZeroOpIdEEPKdlEENS0_5tupleIJPlS6_EEENSN_IJSD_SD_EEES6_PiJS6_EEE10hipError_tPvRmT3_T4_T5_T6_T7_T9_mT8_P12ihipStream_tbDpT10_ENKUlT_T0_E_clISt17integral_constantIbLb0EES1B_EEDaS16_S17_EUlS16_E_NS1_11comp_targetILNS1_3genE10ELNS1_11target_archE1200ELNS1_3gpuE4ELNS1_3repE0EEENS1_30default_config_static_selectorELNS0_4arch9wavefront6targetE0EEEvT1_,"axG",@progbits,_ZN7rocprim17ROCPRIM_400000_NS6detail17trampoline_kernelINS0_14default_configENS1_25partition_config_selectorILNS1_17partition_subalgoE5ElNS0_10empty_typeEbEEZZNS1_14partition_implILS5_5ELb0ES3_mN6hipcub16HIPCUB_304000_NS21CountingInputIteratorIllEEPS6_NSA_22TransformInputIteratorIbN2at6native12_GLOBAL__N_19NonZeroOpIdEEPKdlEENS0_5tupleIJPlS6_EEENSN_IJSD_SD_EEES6_PiJS6_EEE10hipError_tPvRmT3_T4_T5_T6_T7_T9_mT8_P12ihipStream_tbDpT10_ENKUlT_T0_E_clISt17integral_constantIbLb0EES1B_EEDaS16_S17_EUlS16_E_NS1_11comp_targetILNS1_3genE10ELNS1_11target_archE1200ELNS1_3gpuE4ELNS1_3repE0EEENS1_30default_config_static_selectorELNS0_4arch9wavefront6targetE0EEEvT1_,comdat
	.globl	_ZN7rocprim17ROCPRIM_400000_NS6detail17trampoline_kernelINS0_14default_configENS1_25partition_config_selectorILNS1_17partition_subalgoE5ElNS0_10empty_typeEbEEZZNS1_14partition_implILS5_5ELb0ES3_mN6hipcub16HIPCUB_304000_NS21CountingInputIteratorIllEEPS6_NSA_22TransformInputIteratorIbN2at6native12_GLOBAL__N_19NonZeroOpIdEEPKdlEENS0_5tupleIJPlS6_EEENSN_IJSD_SD_EEES6_PiJS6_EEE10hipError_tPvRmT3_T4_T5_T6_T7_T9_mT8_P12ihipStream_tbDpT10_ENKUlT_T0_E_clISt17integral_constantIbLb0EES1B_EEDaS16_S17_EUlS16_E_NS1_11comp_targetILNS1_3genE10ELNS1_11target_archE1200ELNS1_3gpuE4ELNS1_3repE0EEENS1_30default_config_static_selectorELNS0_4arch9wavefront6targetE0EEEvT1_ ; -- Begin function _ZN7rocprim17ROCPRIM_400000_NS6detail17trampoline_kernelINS0_14default_configENS1_25partition_config_selectorILNS1_17partition_subalgoE5ElNS0_10empty_typeEbEEZZNS1_14partition_implILS5_5ELb0ES3_mN6hipcub16HIPCUB_304000_NS21CountingInputIteratorIllEEPS6_NSA_22TransformInputIteratorIbN2at6native12_GLOBAL__N_19NonZeroOpIdEEPKdlEENS0_5tupleIJPlS6_EEENSN_IJSD_SD_EEES6_PiJS6_EEE10hipError_tPvRmT3_T4_T5_T6_T7_T9_mT8_P12ihipStream_tbDpT10_ENKUlT_T0_E_clISt17integral_constantIbLb0EES1B_EEDaS16_S17_EUlS16_E_NS1_11comp_targetILNS1_3genE10ELNS1_11target_archE1200ELNS1_3gpuE4ELNS1_3repE0EEENS1_30default_config_static_selectorELNS0_4arch9wavefront6targetE0EEEvT1_
	.p2align	8
	.type	_ZN7rocprim17ROCPRIM_400000_NS6detail17trampoline_kernelINS0_14default_configENS1_25partition_config_selectorILNS1_17partition_subalgoE5ElNS0_10empty_typeEbEEZZNS1_14partition_implILS5_5ELb0ES3_mN6hipcub16HIPCUB_304000_NS21CountingInputIteratorIllEEPS6_NSA_22TransformInputIteratorIbN2at6native12_GLOBAL__N_19NonZeroOpIdEEPKdlEENS0_5tupleIJPlS6_EEENSN_IJSD_SD_EEES6_PiJS6_EEE10hipError_tPvRmT3_T4_T5_T6_T7_T9_mT8_P12ihipStream_tbDpT10_ENKUlT_T0_E_clISt17integral_constantIbLb0EES1B_EEDaS16_S17_EUlS16_E_NS1_11comp_targetILNS1_3genE10ELNS1_11target_archE1200ELNS1_3gpuE4ELNS1_3repE0EEENS1_30default_config_static_selectorELNS0_4arch9wavefront6targetE0EEEvT1_,@function
_ZN7rocprim17ROCPRIM_400000_NS6detail17trampoline_kernelINS0_14default_configENS1_25partition_config_selectorILNS1_17partition_subalgoE5ElNS0_10empty_typeEbEEZZNS1_14partition_implILS5_5ELb0ES3_mN6hipcub16HIPCUB_304000_NS21CountingInputIteratorIllEEPS6_NSA_22TransformInputIteratorIbN2at6native12_GLOBAL__N_19NonZeroOpIdEEPKdlEENS0_5tupleIJPlS6_EEENSN_IJSD_SD_EEES6_PiJS6_EEE10hipError_tPvRmT3_T4_T5_T6_T7_T9_mT8_P12ihipStream_tbDpT10_ENKUlT_T0_E_clISt17integral_constantIbLb0EES1B_EEDaS16_S17_EUlS16_E_NS1_11comp_targetILNS1_3genE10ELNS1_11target_archE1200ELNS1_3gpuE4ELNS1_3repE0EEENS1_30default_config_static_selectorELNS0_4arch9wavefront6targetE0EEEvT1_: ; @_ZN7rocprim17ROCPRIM_400000_NS6detail17trampoline_kernelINS0_14default_configENS1_25partition_config_selectorILNS1_17partition_subalgoE5ElNS0_10empty_typeEbEEZZNS1_14partition_implILS5_5ELb0ES3_mN6hipcub16HIPCUB_304000_NS21CountingInputIteratorIllEEPS6_NSA_22TransformInputIteratorIbN2at6native12_GLOBAL__N_19NonZeroOpIdEEPKdlEENS0_5tupleIJPlS6_EEENSN_IJSD_SD_EEES6_PiJS6_EEE10hipError_tPvRmT3_T4_T5_T6_T7_T9_mT8_P12ihipStream_tbDpT10_ENKUlT_T0_E_clISt17integral_constantIbLb0EES1B_EEDaS16_S17_EUlS16_E_NS1_11comp_targetILNS1_3genE10ELNS1_11target_archE1200ELNS1_3gpuE4ELNS1_3repE0EEENS1_30default_config_static_selectorELNS0_4arch9wavefront6targetE0EEEvT1_
; %bb.0:
	s_clause 0x3
	s_load_b128 s[8:11], s[0:1], 0x48
	s_load_b32 s16, s[0:1], 0x70
	s_load_b128 s[4:7], s[0:1], 0x8
	s_load_b64 s[2:3], s[0:1], 0x58
	s_mov_b32 s13, 0
	s_lshl_b32 s12, ttmp9, 10
	s_mov_b32 s15, s13
	v_lshrrev_b32_e32 v12, 2, v0
	v_or_b32_e32 v9, 0x200, v0
	v_or_b32_e32 v10, 0x300, v0
	v_and_b32_e32 v11, 0xf8, v0
	s_mov_b32 s19, -1
	s_wait_kmcnt 0x0
	s_load_b64 s[10:11], s[10:11], 0x0
	s_lshl_b32 s14, s16, 10
	s_add_co_i32 s16, s16, -1
	s_add_nc_u64 s[14:15], s[6:7], s[14:15]
	s_lshl_b32 s17, s16, 10
	v_cmp_le_u64_e64 s14, s[2:3], s[14:15]
	s_add_co_i32 s3, s6, s17
	s_cmp_eq_u32 ttmp9, s16
	s_add_nc_u64 s[4:5], s[6:7], s[4:5]
	s_cselect_b32 s16, -1, 0
	s_delay_alu instid0(SALU_CYCLE_1) | instskip(SKIP_2) | instid1(SALU_CYCLE_1)
	s_and_b32 s14, s16, s14
	s_wait_alu 0xfffe
	s_xor_b32 s17, s14, -1
	s_and_b32 vcc_lo, exec_lo, s17
	s_cbranch_vccz .LBB395_2
; %bb.1:
	v_or_b32_e32 v7, 0x100, v0
	v_or_b32_e32 v1, s12, v0
	v_lshrrev_b32_e32 v8, 2, v9
	v_lshrrev_b32_e32 v13, 2, v10
	v_and_b32_e32 v14, 56, v12
	v_lshrrev_b32_e32 v7, 2, v7
	v_add_co_u32 v1, s14, s4, v1
	s_wait_alu 0xf1ff
	v_add_co_ci_u32_e64 v2, null, s5, 0, s14
	v_lshlrev_b32_e32 v15, 3, v0
	v_and_b32_e32 v16, 0x78, v7
	v_add_co_u32 v3, vcc_lo, 0x100, v1
	v_and_b32_e32 v17, 0xb8, v8
	v_and_b32_e32 v13, 0xf8, v13
	v_add_co_ci_u32_e64 v4, null, 0, v2, vcc_lo
	v_add_co_u32 v5, vcc_lo, 0x200, v1
	v_add_nc_u32_e32 v14, v14, v15
	s_wait_alu 0xfffd
	v_add_co_ci_u32_e64 v6, null, 0, v2, vcc_lo
	v_add_co_u32 v7, vcc_lo, 0x300, v1
	v_add_nc_u32_e32 v16, v16, v15
	v_add_nc_u32_e32 v17, v17, v15
	s_wait_alu 0xfffd
	v_add_co_ci_u32_e64 v8, null, 0, v2, vcc_lo
	v_add_nc_u32_e32 v13, v13, v15
	ds_store_b64 v14, v[1:2]
	ds_store_b64 v16, v[3:4] offset:2048
	ds_store_b64 v17, v[5:6] offset:4096
	;; [unrolled: 1-line block ×3, first 2 shown]
	v_lshl_add_u32 v1, v0, 5, v11
	s_wait_dscnt 0x0
	s_barrier_signal -1
	s_barrier_wait -1
	global_inv scope:SCOPE_SE
	ds_load_2addr_b64 v[5:8], v1 offset1:1
	ds_load_2addr_b64 v[1:4], v1 offset0:2 offset1:3
	s_mov_b32 s19, s13
	s_branch .LBB395_3
.LBB395_2:
                                        ; implicit-def: $vgpr3_vgpr4
                                        ; implicit-def: $vgpr7_vgpr8
.LBB395_3:
	s_load_b64 s[14:15], s[0:1], 0x20
	s_sub_co_i32 s18, s2, s3
	s_and_not1_b32 vcc_lo, exec_lo, s19
	v_cmp_gt_u32_e64 s2, s18, v0
	s_wait_alu 0xfffe
	s_cbranch_vccnz .LBB395_5
; %bb.4:
	s_wait_dscnt 0x1
	v_or_b32_e32 v7, 0x100, v0
	s_add_nc_u64 s[4:5], s[4:5], s[12:13]
	v_lshrrev_b32_e32 v14, 2, v9
	s_wait_dscnt 0x0
	s_wait_alu 0xfffe
	v_add_co_u32 v1, s3, s4, v0
	s_wait_alu 0xf1ff
	v_add_co_ci_u32_e64 v2, null, s5, 0, s3
	v_add_co_u32 v3, s3, s4, v7
	s_wait_alu 0xf1ff
	v_add_co_ci_u32_e64 v4, null, s5, 0, s3
	v_cmp_gt_u32_e32 vcc_lo, s18, v7
	v_add_co_u32 v13, s3, s4, v10
	s_wait_alu 0xf1ff
	v_add_co_ci_u32_e64 v8, null, s5, 0, s3
	s_wait_alu 0xfffd
	v_dual_cndmask_b32 v4, 0, v4 :: v_dual_cndmask_b32 v3, 0, v3
	v_cmp_gt_u32_e32 vcc_lo, s18, v10
	v_lshrrev_b32_e32 v7, 2, v7
	v_lshrrev_b32_e32 v15, 2, v10
	v_cndmask_b32_e64 v2, 0, v2, s2
	v_cndmask_b32_e64 v1, 0, v1, s2
	v_add_co_u32 v5, s2, s4, v9
	v_and_b32_e32 v12, 56, v12
	v_lshlrev_b32_e32 v16, 3, v0
	s_wait_alu 0xfffd
	v_dual_cndmask_b32 v8, 0, v8 :: v_dual_and_b32 v17, 0x78, v7
	s_wait_alu 0xf1ff
	v_add_co_ci_u32_e64 v6, null, s5, 0, s2
	v_cmp_gt_u32_e64 s2, s18, v9
	v_and_b32_e32 v14, 0xb8, v14
	v_and_b32_e32 v15, 0xf8, v15
	v_dual_cndmask_b32 v7, 0, v13 :: v_dual_add_nc_u32 v12, v12, v16
	v_add_nc_u32_e32 v13, v17, v16
	s_wait_alu 0xf1ff
	v_cndmask_b32_e64 v6, 0, v6, s2
	v_cndmask_b32_e64 v5, 0, v5, s2
	v_add_nc_u32_e32 v14, v14, v16
	v_add_nc_u32_e32 v15, v15, v16
	ds_store_b64 v12, v[1:2]
	ds_store_b64 v13, v[3:4] offset:2048
	ds_store_b64 v14, v[5:6] offset:4096
	;; [unrolled: 1-line block ×3, first 2 shown]
	v_lshl_add_u32 v1, v0, 5, v11
	s_wait_loadcnt_dscnt 0x0
	s_barrier_signal -1
	s_barrier_wait -1
	global_inv scope:SCOPE_SE
	ds_load_2addr_b64 v[5:8], v1 offset1:1
	ds_load_2addr_b64 v[1:4], v1 offset0:2 offset1:3
.LBB395_5:
	s_lshl_b64 s[2:3], s[6:7], 3
	v_lshrrev_b32_e32 v26, 5, v0
	s_wait_kmcnt 0x0
	s_wait_alu 0xfffe
	s_add_nc_u64 s[2:3], s[14:15], s[2:3]
	s_lshl_b64 s[4:5], s[12:13], 3
	s_and_b32 vcc_lo, exec_lo, s17
	s_wait_alu 0xfffe
	s_add_nc_u64 s[2:3], s[2:3], s[4:5]
	s_mov_b32 s4, -1
	s_wait_loadcnt_dscnt 0x0
	s_barrier_signal -1
	s_barrier_wait -1
	global_inv scope:SCOPE_SE
	s_cbranch_vccz .LBB395_7
; %bb.6:
	v_lshlrev_b32_e32 v17, 3, v0
	v_or_b32_e32 v19, 0x100, v0
	v_lshrrev_b32_e32 v20, 5, v9
	v_lshrrev_b32_e32 v21, 5, v10
	v_and_b32_e32 v22, 4, v26
	s_clause 0x3
	global_load_b64 v[11:12], v17, s[2:3]
	global_load_b64 v[13:14], v17, s[2:3] offset:2048
	global_load_b64 v[15:16], v17, s[2:3] offset:4096
	;; [unrolled: 1-line block ×3, first 2 shown]
	v_lshrrev_b32_e32 v19, 5, v19
	v_and_b32_e32 v20, 20, v20
	v_and_b32_e32 v21, 28, v21
	v_add_nc_u32_e32 v22, v22, v0
	s_mov_b32 s4, 0
	v_and_b32_e32 v19, 12, v19
	v_add_nc_u32_e32 v20, v20, v0
	v_add_nc_u32_e32 v21, v21, v0
	s_delay_alu instid0(VALU_DEP_3)
	v_add_nc_u32_e32 v19, v19, v0
	s_wait_loadcnt 0x3
	v_cmp_neq_f64_e32 vcc_lo, 0, v[11:12]
	s_wait_alu 0xfffd
	v_cndmask_b32_e64 v11, 0, 1, vcc_lo
	s_wait_loadcnt 0x2
	v_cmp_neq_f64_e32 vcc_lo, 0, v[13:14]
	s_wait_alu 0xfffd
	v_cndmask_b32_e64 v12, 0, 1, vcc_lo
	;; [unrolled: 4-line block ×4, first 2 shown]
	ds_store_b8 v22, v11
	ds_store_b8 v19, v12 offset:256
	ds_store_b8 v20, v13 offset:512
	;; [unrolled: 1-line block ×3, first 2 shown]
	s_wait_dscnt 0x0
	s_barrier_signal -1
	s_barrier_wait -1
.LBB395_7:
	s_wait_alu 0xfffe
	s_and_not1_b32 vcc_lo, exec_lo, s4
	s_wait_alu 0xfffe
	s_cbranch_vccnz .LBB395_15
; %bb.8:
	v_dual_mov_b32 v11, 0 :: v_dual_mov_b32 v12, 0
	s_mov_b32 s4, exec_lo
	v_cmpx_gt_u32_e64 s18, v0
	s_cbranch_execz .LBB395_10
; %bb.9:
	v_lshlrev_b32_e32 v11, 3, v0
	global_load_b64 v[11:12], v11, s[2:3]
	s_wait_loadcnt 0x0
	v_cmp_neq_f64_e32 vcc_lo, 0, v[11:12]
	s_wait_alu 0xfffd
	v_cndmask_b32_e64 v11, 0, 1, vcc_lo
	v_cndmask_b32_e64 v12, 0, 1, vcc_lo
.LBB395_10:
	s_wait_alu 0xfffe
	s_or_b32 exec_lo, exec_lo, s4
	v_or_b32_e32 v13, 0x100, v0
	s_mov_b32 s4, exec_lo
	s_delay_alu instid0(VALU_DEP_1)
	v_cmpx_gt_u32_e64 s18, v13
	s_cbranch_execnz .LBB395_129
; %bb.11:
	s_wait_alu 0xfffe
	s_or_b32 exec_lo, exec_lo, s4
	s_delay_alu instid0(SALU_CYCLE_1)
	s_mov_b32 s4, exec_lo
	v_cmpx_gt_u32_e64 s18, v9
	s_cbranch_execnz .LBB395_130
.LBB395_12:
	s_wait_alu 0xfffe
	s_or_b32 exec_lo, exec_lo, s4
	s_delay_alu instid0(SALU_CYCLE_1)
	s_mov_b32 s4, exec_lo
	v_cmpx_gt_u32_e64 s18, v10
	s_cbranch_execz .LBB395_14
.LBB395_13:
	v_lshlrev_b32_e32 v14, 3, v0
	global_load_b64 v[14:15], v14, s[2:3] offset:6144
	s_wait_loadcnt 0x0
	v_cmp_neq_f64_e32 vcc_lo, 0, v[14:15]
	v_lshrrev_b32_e32 v15, 16, v12
	s_wait_alu 0xfffd
	v_cndmask_b32_e64 v14, 0, 1, vcc_lo
	s_delay_alu instid0(VALU_DEP_1) | instskip(NEXT) | instid1(VALU_DEP_1)
	v_lshlrev_b16 v14, 8, v14
	v_or_b32_e32 v14, v15, v14
	s_delay_alu instid0(VALU_DEP_1) | instskip(NEXT) | instid1(VALU_DEP_1)
	v_lshlrev_b32_e32 v14, 16, v14
	v_and_or_b32 v12, 0xffff, v12, v14
.LBB395_14:
	s_wait_alu 0xfffe
	s_or_b32 exec_lo, exec_lo, s4
	v_lshrrev_b32_e32 v13, 5, v13
	v_lshrrev_b32_e32 v9, 5, v9
	;; [unrolled: 1-line block ×3, first 2 shown]
	v_and_b32_e32 v14, 4, v26
	v_lshrrev_b32_e32 v15, 8, v12
	v_and_b32_e32 v13, 12, v13
	v_and_b32_e32 v9, 28, v9
	;; [unrolled: 1-line block ×3, first 2 shown]
	v_add_nc_u32_e32 v14, v14, v0
	v_lshrrev_b32_e32 v16, 24, v12
	v_add_nc_u32_e32 v13, v13, v0
	v_add_nc_u32_e32 v9, v9, v0
	;; [unrolled: 1-line block ×3, first 2 shown]
	ds_store_b8 v14, v11
	ds_store_b8 v13, v15 offset:256
	ds_store_b8_d16_hi v9, v12 offset:512
	ds_store_b8 v10, v16 offset:768
	s_wait_loadcnt_dscnt 0x0
	s_barrier_signal -1
	s_barrier_wait -1
.LBB395_15:
	v_lshrrev_b32_e32 v9, 3, v0
	s_wait_loadcnt 0x0
	global_inv scope:SCOPE_SE
	s_load_b64 s[6:7], s[0:1], 0x68
	v_mbcnt_lo_u32_b32 v31, -1, 0
	s_cmp_lg_u32 ttmp9, 0
	v_dual_mov_b32 v10, 0 :: v_dual_and_b32 v9, 28, v9
	s_mov_b32 s3, -1
	s_delay_alu instid0(VALU_DEP_2) | instskip(NEXT) | instid1(VALU_DEP_2)
	v_and_b32_e32 v32, 15, v31
	v_lshl_add_u32 v9, v0, 2, v9
	ds_load_b32 v27, v9
	s_wait_loadcnt_dscnt 0x0
	s_barrier_signal -1
	s_barrier_wait -1
	global_inv scope:SCOPE_SE
	v_and_b32_e32 v30, 0xff, v27
	v_bfe_u32 v29, v27, 8, 8
	v_bfe_u32 v28, v27, 16, 8
	v_lshrrev_b32_e32 v25, 24, v27
	s_delay_alu instid0(VALU_DEP_2) | instskip(NEXT) | instid1(VALU_DEP_1)
	v_add3_u32 v9, v29, v30, v28
	v_add_co_u32 v17, s2, v9, v25
	s_wait_alu 0xf1ff
	v_add_co_ci_u32_e64 v18, null, 0, 0, s2
	v_cmp_ne_u32_e64 s2, 0, v32
	s_cbranch_scc0 .LBB395_72
; %bb.16:
	v_mov_b32_e32 v11, v17
	v_mov_b32_dpp v9, v17 row_shr:1 row_mask:0xf bank_mask:0xf
	v_mov_b32_dpp v14, v10 row_shr:1 row_mask:0xf bank_mask:0xf
	v_dual_mov_b32 v13, v17 :: v_dual_mov_b32 v12, v18
	s_and_saveexec_b32 s3, s2
; %bb.17:
	s_delay_alu instid0(VALU_DEP_3) | instskip(SKIP_2) | instid1(VALU_DEP_2)
	v_add_co_u32 v13, vcc_lo, v17, v9
	s_wait_alu 0xfffd
	v_add_co_ci_u32_e64 v10, null, 0, v18, vcc_lo
	v_add_co_u32 v9, vcc_lo, 0, v13
	s_wait_alu 0xfffd
	s_delay_alu instid0(VALU_DEP_2) | instskip(NEXT) | instid1(VALU_DEP_1)
	v_add_co_ci_u32_e64 v10, null, v14, v10, vcc_lo
	v_dual_mov_b32 v12, v10 :: v_dual_mov_b32 v11, v9
; %bb.18:
	s_wait_alu 0xfffe
	s_or_b32 exec_lo, exec_lo, s3
	v_mov_b32_dpp v9, v13 row_shr:2 row_mask:0xf bank_mask:0xf
	v_mov_b32_dpp v14, v10 row_shr:2 row_mask:0xf bank_mask:0xf
	s_mov_b32 s3, exec_lo
	v_cmpx_lt_u32_e32 1, v32
; %bb.19:
	s_delay_alu instid0(VALU_DEP_3) | instskip(SKIP_2) | instid1(VALU_DEP_2)
	v_add_co_u32 v13, vcc_lo, v11, v9
	s_wait_alu 0xfffd
	v_add_co_ci_u32_e64 v10, null, 0, v12, vcc_lo
	v_add_co_u32 v9, vcc_lo, 0, v13
	s_wait_alu 0xfffd
	s_delay_alu instid0(VALU_DEP_2) | instskip(NEXT) | instid1(VALU_DEP_1)
	v_add_co_ci_u32_e64 v10, null, v14, v10, vcc_lo
	v_dual_mov_b32 v12, v10 :: v_dual_mov_b32 v11, v9
; %bb.20:
	s_wait_alu 0xfffe
	s_or_b32 exec_lo, exec_lo, s3
	v_mov_b32_dpp v9, v13 row_shr:4 row_mask:0xf bank_mask:0xf
	v_mov_b32_dpp v14, v10 row_shr:4 row_mask:0xf bank_mask:0xf
	s_mov_b32 s3, exec_lo
	v_cmpx_lt_u32_e32 3, v32
	;; [unrolled: 17-line block ×3, first 2 shown]
; %bb.23:
	s_delay_alu instid0(VALU_DEP_3) | instskip(SKIP_2) | instid1(VALU_DEP_2)
	v_add_co_u32 v13, vcc_lo, v11, v14
	s_wait_alu 0xfffd
	v_add_co_ci_u32_e64 v10, null, 0, v12, vcc_lo
	v_add_co_u32 v11, vcc_lo, 0, v13
	s_wait_alu 0xfffd
	s_delay_alu instid0(VALU_DEP_2) | instskip(NEXT) | instid1(VALU_DEP_1)
	v_add_co_ci_u32_e64 v12, null, v9, v10, vcc_lo
	v_mov_b32_e32 v10, v12
; %bb.24:
	s_wait_alu 0xfffe
	s_or_b32 exec_lo, exec_lo, s3
	ds_swizzle_b32 v9, v13 offset:swizzle(BROADCAST,32,15)
	ds_swizzle_b32 v14, v10 offset:swizzle(BROADCAST,32,15)
	v_and_b32_e32 v15, 16, v31
	s_mov_b32 s3, exec_lo
	s_delay_alu instid0(VALU_DEP_1)
	v_cmpx_ne_u32_e32 0, v15
	s_cbranch_execz .LBB395_26
; %bb.25:
	s_wait_dscnt 0x1
	v_add_co_u32 v13, vcc_lo, v11, v9
	s_wait_alu 0xfffd
	v_add_co_ci_u32_e64 v10, null, 0, v12, vcc_lo
	s_delay_alu instid0(VALU_DEP_2) | instskip(SKIP_2) | instid1(VALU_DEP_2)
	v_add_co_u32 v9, vcc_lo, 0, v13
	s_wait_dscnt 0x0
	s_wait_alu 0xfffd
	v_add_co_ci_u32_e64 v10, null, v14, v10, vcc_lo
	s_delay_alu instid0(VALU_DEP_1)
	v_dual_mov_b32 v12, v10 :: v_dual_mov_b32 v11, v9
.LBB395_26:
	s_wait_alu 0xfffe
	s_or_b32 exec_lo, exec_lo, s3
	s_wait_dscnt 0x1
	v_or_b32_e32 v9, 31, v0
	s_mov_b32 s3, exec_lo
	s_delay_alu instid0(VALU_DEP_1)
	v_cmpx_eq_u32_e64 v0, v9
; %bb.27:
	v_lshlrev_b32_e32 v9, 3, v26
	ds_store_b64 v9, v[11:12]
; %bb.28:
	s_wait_alu 0xfffe
	s_or_b32 exec_lo, exec_lo, s3
	s_delay_alu instid0(SALU_CYCLE_1)
	s_mov_b32 s3, exec_lo
	s_wait_loadcnt_dscnt 0x0
	s_barrier_signal -1
	s_barrier_wait -1
	global_inv scope:SCOPE_SE
	v_cmpx_gt_u32_e32 8, v0
	s_cbranch_execz .LBB395_36
; %bb.29:
	v_lshlrev_b32_e32 v9, 3, v0
	s_mov_b32 s4, exec_lo
	ds_load_b64 v[11:12], v9
	s_wait_dscnt 0x0
	v_dual_mov_b32 v15, v11 :: v_dual_and_b32 v14, 7, v31
	v_mov_b32_dpp v19, v11 row_shr:1 row_mask:0xf bank_mask:0xf
	v_mov_b32_dpp v16, v12 row_shr:1 row_mask:0xf bank_mask:0xf
	s_delay_alu instid0(VALU_DEP_3)
	v_cmpx_ne_u32_e32 0, v14
; %bb.30:
	s_delay_alu instid0(VALU_DEP_3) | instskip(SKIP_2) | instid1(VALU_DEP_2)
	v_add_co_u32 v15, vcc_lo, v11, v19
	s_wait_alu 0xfffd
	v_add_co_ci_u32_e64 v12, null, 0, v12, vcc_lo
	v_add_co_u32 v11, vcc_lo, 0, v15
	s_wait_alu 0xfffd
	s_delay_alu instid0(VALU_DEP_2)
	v_add_co_ci_u32_e64 v12, null, v16, v12, vcc_lo
; %bb.31:
	s_wait_alu 0xfffe
	s_or_b32 exec_lo, exec_lo, s4
	v_mov_b32_dpp v19, v15 row_shr:2 row_mask:0xf bank_mask:0xf
	s_delay_alu instid0(VALU_DEP_2)
	v_mov_b32_dpp v16, v12 row_shr:2 row_mask:0xf bank_mask:0xf
	s_mov_b32 s4, exec_lo
	v_cmpx_lt_u32_e32 1, v14
; %bb.32:
	s_delay_alu instid0(VALU_DEP_3) | instskip(SKIP_2) | instid1(VALU_DEP_2)
	v_add_co_u32 v15, vcc_lo, v11, v19
	s_wait_alu 0xfffd
	v_add_co_ci_u32_e64 v12, null, 0, v12, vcc_lo
	v_add_co_u32 v11, vcc_lo, 0, v15
	s_wait_alu 0xfffd
	s_delay_alu instid0(VALU_DEP_2)
	v_add_co_ci_u32_e64 v12, null, v16, v12, vcc_lo
; %bb.33:
	s_wait_alu 0xfffe
	s_or_b32 exec_lo, exec_lo, s4
	v_mov_b32_dpp v16, v15 row_shr:4 row_mask:0xf bank_mask:0xf
	s_delay_alu instid0(VALU_DEP_2)
	v_mov_b32_dpp v15, v12 row_shr:4 row_mask:0xf bank_mask:0xf
	s_mov_b32 s4, exec_lo
	v_cmpx_lt_u32_e32 3, v14
; %bb.34:
	s_delay_alu instid0(VALU_DEP_3) | instskip(SKIP_2) | instid1(VALU_DEP_2)
	v_add_co_u32 v11, vcc_lo, v11, v16
	s_wait_alu 0xfffd
	v_add_co_ci_u32_e64 v12, null, 0, v12, vcc_lo
	v_add_co_u32 v11, vcc_lo, v11, 0
	s_wait_alu 0xfffd
	s_delay_alu instid0(VALU_DEP_2)
	v_add_co_ci_u32_e64 v12, null, v12, v15, vcc_lo
; %bb.35:
	s_wait_alu 0xfffe
	s_or_b32 exec_lo, exec_lo, s4
	ds_store_b64 v9, v[11:12]
.LBB395_36:
	s_wait_alu 0xfffe
	s_or_b32 exec_lo, exec_lo, s3
	s_delay_alu instid0(SALU_CYCLE_1)
	s_mov_b32 s4, exec_lo
	v_cmp_gt_u32_e32 vcc_lo, 32, v0
	s_wait_loadcnt_dscnt 0x0
	s_barrier_signal -1
	s_barrier_wait -1
	global_inv scope:SCOPE_SE
                                        ; implicit-def: $vgpr19_vgpr20
	v_cmpx_lt_u32_e32 31, v0
	s_cbranch_execz .LBB395_38
; %bb.37:
	v_lshl_add_u32 v9, v26, 3, -8
	ds_load_b64 v[19:20], v9
	s_wait_dscnt 0x0
	v_add_co_u32 v13, s3, v13, v19
	s_wait_alu 0xf1ff
	v_add_co_ci_u32_e64 v10, null, v10, v20, s3
.LBB395_38:
	s_wait_alu 0xfffe
	s_or_b32 exec_lo, exec_lo, s4
	v_sub_co_u32 v9, s3, v31, 1
	s_delay_alu instid0(VALU_DEP_1) | instskip(SKIP_1) | instid1(VALU_DEP_1)
	v_cmp_gt_i32_e64 s4, 0, v9
	s_wait_alu 0xf1ff
	v_cndmask_b32_e64 v9, v9, v31, s4
	s_delay_alu instid0(VALU_DEP_1)
	v_lshlrev_b32_e32 v9, 2, v9
	ds_bpermute_b32 v33, v9, v13
	ds_bpermute_b32 v34, v9, v10
	s_and_saveexec_b32 s4, vcc_lo
	s_cbranch_execz .LBB395_77
; %bb.39:
	v_mov_b32_e32 v12, 0
	ds_load_b64 v[9:10], v12 offset:56
	s_and_saveexec_b32 s5, s3
	s_cbranch_execz .LBB395_41
; %bb.40:
	s_add_co_i32 s12, ttmp9, 32
	s_wait_alu 0xfffe
	s_lshl_b64 s[12:13], s[12:13], 4
	s_wait_kmcnt 0x0
	s_wait_alu 0xfffe
	s_add_nc_u64 s[12:13], s[6:7], s[12:13]
	s_wait_alu 0xfffe
	v_dual_mov_b32 v11, 1 :: v_dual_mov_b32 v14, s13
	v_mov_b32_e32 v13, s12
	s_wait_dscnt 0x0
	;;#ASMSTART
	global_store_b128 v[13:14], v[9:12] off scope:SCOPE_DEV	
s_wait_storecnt 0x0
	;;#ASMEND
.LBB395_41:
	s_wait_alu 0xfffe
	s_or_b32 exec_lo, exec_lo, s5
	v_xad_u32 v21, v31, -1, ttmp9
	s_mov_b32 s12, 0
	s_mov_b32 s5, exec_lo
	s_delay_alu instid0(VALU_DEP_1) | instskip(NEXT) | instid1(VALU_DEP_1)
	v_add_nc_u32_e32 v11, 32, v21
	v_lshlrev_b64_e32 v[11:12], 4, v[11:12]
	s_wait_kmcnt 0x0
	s_delay_alu instid0(VALU_DEP_1) | instskip(SKIP_1) | instid1(VALU_DEP_2)
	v_add_co_u32 v11, vcc_lo, s6, v11
	s_wait_alu 0xfffd
	v_add_co_ci_u32_e64 v12, null, s7, v12, vcc_lo
	;;#ASMSTART
	global_load_b128 v[13:16], v[11:12] off scope:SCOPE_DEV	
s_wait_loadcnt 0x0
	;;#ASMEND
	v_and_b32_e32 v16, 0xff, v15
	s_delay_alu instid0(VALU_DEP_1)
	v_cmpx_eq_u16_e32 0, v16
	s_cbranch_execz .LBB395_44
.LBB395_42:                             ; =>This Inner Loop Header: Depth=1
	;;#ASMSTART
	global_load_b128 v[13:16], v[11:12] off scope:SCOPE_DEV	
s_wait_loadcnt 0x0
	;;#ASMEND
	v_and_b32_e32 v16, 0xff, v15
	s_delay_alu instid0(VALU_DEP_1)
	v_cmp_ne_u16_e32 vcc_lo, 0, v16
	s_wait_alu 0xfffe
	s_or_b32 s12, vcc_lo, s12
	s_wait_alu 0xfffe
	s_and_not1_b32 exec_lo, exec_lo, s12
	s_cbranch_execnz .LBB395_42
; %bb.43:
	s_or_b32 exec_lo, exec_lo, s12
.LBB395_44:
	s_wait_alu 0xfffe
	s_or_b32 exec_lo, exec_lo, s5
	v_cmp_ne_u32_e32 vcc_lo, 31, v31
	v_and_b32_e32 v12, 0xff, v15
	v_lshlrev_b32_e64 v36, v31, -1
	s_mov_b32 s5, exec_lo
	s_wait_alu 0xfffd
	v_add_co_ci_u32_e64 v11, null, 0, v31, vcc_lo
	v_cmp_eq_u16_e32 vcc_lo, 2, v12
	s_delay_alu instid0(VALU_DEP_2)
	v_dual_mov_b32 v12, v13 :: v_dual_lshlrev_b32 v35, 2, v11
	s_wait_alu 0xfffd
	v_and_or_b32 v11, vcc_lo, v36, 0x80000000
	ds_bpermute_b32 v22, v35, v13
	ds_bpermute_b32 v16, v35, v14
	v_ctz_i32_b32_e32 v11, v11
	s_delay_alu instid0(VALU_DEP_1)
	v_cmpx_lt_u32_e64 v31, v11
	s_cbranch_execz .LBB395_46
; %bb.45:
	s_wait_dscnt 0x1
	v_add_co_u32 v12, vcc_lo, v13, v22
	s_wait_alu 0xfffd
	v_add_co_ci_u32_e64 v14, null, 0, v14, vcc_lo
	s_delay_alu instid0(VALU_DEP_2) | instskip(SKIP_2) | instid1(VALU_DEP_2)
	v_add_co_u32 v13, vcc_lo, 0, v12
	s_wait_dscnt 0x0
	s_wait_alu 0xfffd
	v_add_co_ci_u32_e64 v14, null, v16, v14, vcc_lo
.LBB395_46:
	s_wait_alu 0xfffe
	s_or_b32 exec_lo, exec_lo, s5
	v_cmp_gt_u32_e32 vcc_lo, 30, v31
	v_add_nc_u32_e32 v38, 2, v31
	s_mov_b32 s5, exec_lo
	s_wait_dscnt 0x0
	s_wait_alu 0xfffd
	v_cndmask_b32_e64 v16, 0, 2, vcc_lo
	s_delay_alu instid0(VALU_DEP_1)
	v_add_lshl_u32 v37, v16, v31, 2
	ds_bpermute_b32 v22, v37, v12
	ds_bpermute_b32 v16, v37, v14
	v_cmpx_le_u32_e64 v38, v11
	s_cbranch_execz .LBB395_48
; %bb.47:
	s_wait_dscnt 0x1
	v_add_co_u32 v12, vcc_lo, v13, v22
	s_wait_alu 0xfffd
	v_add_co_ci_u32_e64 v14, null, 0, v14, vcc_lo
	s_delay_alu instid0(VALU_DEP_2) | instskip(SKIP_2) | instid1(VALU_DEP_2)
	v_add_co_u32 v13, vcc_lo, 0, v12
	s_wait_dscnt 0x0
	s_wait_alu 0xfffd
	v_add_co_ci_u32_e64 v14, null, v16, v14, vcc_lo
.LBB395_48:
	s_wait_alu 0xfffe
	s_or_b32 exec_lo, exec_lo, s5
	v_cmp_gt_u32_e32 vcc_lo, 28, v31
	v_add_nc_u32_e32 v40, 4, v31
	s_mov_b32 s5, exec_lo
	s_wait_dscnt 0x0
	s_wait_alu 0xfffd
	v_cndmask_b32_e64 v16, 0, 4, vcc_lo
	s_delay_alu instid0(VALU_DEP_1)
	v_add_lshl_u32 v39, v16, v31, 2
	ds_bpermute_b32 v22, v39, v12
	ds_bpermute_b32 v16, v39, v14
	v_cmpx_le_u32_e64 v40, v11
	;; [unrolled: 25-line block ×3, first 2 shown]
	s_cbranch_execz .LBB395_52
; %bb.51:
	s_wait_dscnt 0x1
	v_add_co_u32 v12, vcc_lo, v13, v22
	s_wait_alu 0xfffd
	v_add_co_ci_u32_e64 v14, null, 0, v14, vcc_lo
	s_delay_alu instid0(VALU_DEP_2) | instskip(SKIP_2) | instid1(VALU_DEP_2)
	v_add_co_u32 v13, vcc_lo, 0, v12
	s_wait_dscnt 0x0
	s_wait_alu 0xfffd
	v_add_co_ci_u32_e64 v14, null, v16, v14, vcc_lo
.LBB395_52:
	s_wait_alu 0xfffe
	s_or_b32 exec_lo, exec_lo, s5
	v_lshl_or_b32 v43, v31, 2, 64
	v_add_nc_u32_e32 v44, 16, v31
	s_mov_b32 s5, exec_lo
	s_wait_dscnt 0x0
	ds_bpermute_b32 v16, v43, v12
	ds_bpermute_b32 v12, v43, v14
	v_cmpx_le_u32_e64 v44, v11
	s_cbranch_execz .LBB395_54
; %bb.53:
	s_wait_dscnt 0x1
	v_add_co_u32 v11, vcc_lo, v13, v16
	s_wait_alu 0xfffd
	v_add_co_ci_u32_e64 v14, null, 0, v14, vcc_lo
	s_delay_alu instid0(VALU_DEP_2) | instskip(SKIP_2) | instid1(VALU_DEP_2)
	v_add_co_u32 v13, vcc_lo, v11, 0
	s_wait_dscnt 0x0
	s_wait_alu 0xfffd
	v_add_co_ci_u32_e64 v14, null, v14, v12, vcc_lo
.LBB395_54:
	s_wait_alu 0xfffe
	s_or_b32 exec_lo, exec_lo, s5
	v_mov_b32_e32 v22, 0
	s_branch .LBB395_57
.LBB395_55:                             ;   in Loop: Header=BB395_57 Depth=1
	s_wait_alu 0xfffe
	s_or_b32 exec_lo, exec_lo, s5
	v_add_co_u32 v13, vcc_lo, v13, v11
	v_subrev_nc_u32_e32 v21, 32, v21
	s_wait_alu 0xfffd
	v_add_co_ci_u32_e64 v14, null, v14, v12, vcc_lo
	s_mov_b32 s5, 0
.LBB395_56:                             ;   in Loop: Header=BB395_57 Depth=1
	s_wait_alu 0xfffe
	s_and_b32 vcc_lo, exec_lo, s5
	s_wait_alu 0xfffe
	s_cbranch_vccnz .LBB395_73
.LBB395_57:                             ; =>This Loop Header: Depth=1
                                        ;     Child Loop BB395_60 Depth 2
	v_and_b32_e32 v11, 0xff, v15
	s_mov_b32 s5, -1
	s_delay_alu instid0(VALU_DEP_1)
	v_cmp_ne_u16_e32 vcc_lo, 2, v11
	s_wait_dscnt 0x0
	v_dual_mov_b32 v11, v13 :: v_dual_mov_b32 v12, v14
                                        ; implicit-def: $vgpr13_vgpr14
	s_cmp_lg_u32 vcc_lo, exec_lo
	s_cbranch_scc1 .LBB395_56
; %bb.58:                               ;   in Loop: Header=BB395_57 Depth=1
	v_lshlrev_b64_e32 v[13:14], 4, v[21:22]
	s_mov_b32 s5, exec_lo
	s_delay_alu instid0(VALU_DEP_1) | instskip(SKIP_1) | instid1(VALU_DEP_2)
	v_add_co_u32 v23, vcc_lo, s6, v13
	s_wait_alu 0xfffd
	v_add_co_ci_u32_e64 v24, null, s7, v14, vcc_lo
	;;#ASMSTART
	global_load_b128 v[13:16], v[23:24] off scope:SCOPE_DEV	
s_wait_loadcnt 0x0
	;;#ASMEND
	v_and_b32_e32 v16, 0xff, v15
	s_delay_alu instid0(VALU_DEP_1)
	v_cmpx_eq_u16_e32 0, v16
	s_cbranch_execz .LBB395_62
; %bb.59:                               ;   in Loop: Header=BB395_57 Depth=1
	s_mov_b32 s12, 0
.LBB395_60:                             ;   Parent Loop BB395_57 Depth=1
                                        ; =>  This Inner Loop Header: Depth=2
	;;#ASMSTART
	global_load_b128 v[13:16], v[23:24] off scope:SCOPE_DEV	
s_wait_loadcnt 0x0
	;;#ASMEND
	v_and_b32_e32 v16, 0xff, v15
	s_delay_alu instid0(VALU_DEP_1)
	v_cmp_ne_u16_e32 vcc_lo, 0, v16
	s_wait_alu 0xfffe
	s_or_b32 s12, vcc_lo, s12
	s_wait_alu 0xfffe
	s_and_not1_b32 exec_lo, exec_lo, s12
	s_cbranch_execnz .LBB395_60
; %bb.61:                               ;   in Loop: Header=BB395_57 Depth=1
	s_or_b32 exec_lo, exec_lo, s12
.LBB395_62:                             ;   in Loop: Header=BB395_57 Depth=1
	s_wait_alu 0xfffe
	s_or_b32 exec_lo, exec_lo, s5
	v_dual_mov_b32 v23, v13 :: v_dual_and_b32 v16, 0xff, v15
	ds_bpermute_b32 v45, v35, v13
	ds_bpermute_b32 v24, v35, v14
	s_mov_b32 s5, exec_lo
	v_cmp_eq_u16_e32 vcc_lo, 2, v16
	s_wait_alu 0xfffd
	v_and_or_b32 v16, vcc_lo, v36, 0x80000000
	s_delay_alu instid0(VALU_DEP_1) | instskip(NEXT) | instid1(VALU_DEP_1)
	v_ctz_i32_b32_e32 v16, v16
	v_cmpx_lt_u32_e64 v31, v16
	s_cbranch_execz .LBB395_64
; %bb.63:                               ;   in Loop: Header=BB395_57 Depth=1
	s_wait_dscnt 0x1
	v_add_co_u32 v23, vcc_lo, v13, v45
	s_wait_alu 0xfffd
	v_add_co_ci_u32_e64 v14, null, 0, v14, vcc_lo
	s_delay_alu instid0(VALU_DEP_2) | instskip(SKIP_2) | instid1(VALU_DEP_2)
	v_add_co_u32 v13, vcc_lo, 0, v23
	s_wait_dscnt 0x0
	s_wait_alu 0xfffd
	v_add_co_ci_u32_e64 v14, null, v24, v14, vcc_lo
.LBB395_64:                             ;   in Loop: Header=BB395_57 Depth=1
	s_wait_alu 0xfffe
	s_or_b32 exec_lo, exec_lo, s5
	s_wait_dscnt 0x1
	ds_bpermute_b32 v45, v37, v23
	s_wait_dscnt 0x1
	ds_bpermute_b32 v24, v37, v14
	s_mov_b32 s5, exec_lo
	v_cmpx_le_u32_e64 v38, v16
	s_cbranch_execz .LBB395_66
; %bb.65:                               ;   in Loop: Header=BB395_57 Depth=1
	s_wait_dscnt 0x1
	v_add_co_u32 v23, vcc_lo, v13, v45
	s_wait_alu 0xfffd
	v_add_co_ci_u32_e64 v14, null, 0, v14, vcc_lo
	s_delay_alu instid0(VALU_DEP_2) | instskip(SKIP_2) | instid1(VALU_DEP_2)
	v_add_co_u32 v13, vcc_lo, 0, v23
	s_wait_dscnt 0x0
	s_wait_alu 0xfffd
	v_add_co_ci_u32_e64 v14, null, v24, v14, vcc_lo
.LBB395_66:                             ;   in Loop: Header=BB395_57 Depth=1
	s_wait_alu 0xfffe
	s_or_b32 exec_lo, exec_lo, s5
	s_wait_dscnt 0x1
	ds_bpermute_b32 v45, v39, v23
	s_wait_dscnt 0x1
	ds_bpermute_b32 v24, v39, v14
	s_mov_b32 s5, exec_lo
	v_cmpx_le_u32_e64 v40, v16
	;; [unrolled: 20-line block ×3, first 2 shown]
	s_cbranch_execz .LBB395_70
; %bb.69:                               ;   in Loop: Header=BB395_57 Depth=1
	s_wait_dscnt 0x1
	v_add_co_u32 v23, vcc_lo, v13, v45
	s_wait_alu 0xfffd
	v_add_co_ci_u32_e64 v14, null, 0, v14, vcc_lo
	s_delay_alu instid0(VALU_DEP_2) | instskip(SKIP_2) | instid1(VALU_DEP_2)
	v_add_co_u32 v13, vcc_lo, 0, v23
	s_wait_dscnt 0x0
	s_wait_alu 0xfffd
	v_add_co_ci_u32_e64 v14, null, v24, v14, vcc_lo
.LBB395_70:                             ;   in Loop: Header=BB395_57 Depth=1
	s_wait_alu 0xfffe
	s_or_b32 exec_lo, exec_lo, s5
	s_wait_dscnt 0x0
	ds_bpermute_b32 v24, v43, v23
	ds_bpermute_b32 v23, v43, v14
	s_mov_b32 s5, exec_lo
	v_cmpx_le_u32_e64 v44, v16
	s_cbranch_execz .LBB395_55
; %bb.71:                               ;   in Loop: Header=BB395_57 Depth=1
	s_wait_dscnt 0x1
	v_add_co_u32 v13, vcc_lo, v13, v24
	s_wait_alu 0xfffd
	v_add_co_ci_u32_e64 v14, null, 0, v14, vcc_lo
	s_delay_alu instid0(VALU_DEP_2) | instskip(SKIP_2) | instid1(VALU_DEP_2)
	v_add_co_u32 v13, vcc_lo, v13, 0
	s_wait_dscnt 0x0
	s_wait_alu 0xfffd
	v_add_co_ci_u32_e64 v14, null, v14, v23, vcc_lo
	s_branch .LBB395_55
.LBB395_72:
                                        ; implicit-def: $vgpr15_vgpr16
                                        ; implicit-def: $vgpr13_vgpr14
                                        ; implicit-def: $vgpr19_vgpr20
                                        ; implicit-def: $vgpr21_vgpr22
                                        ; implicit-def: $vgpr11_vgpr12
	s_load_b64 s[4:5], s[0:1], 0x30
	s_and_b32 vcc_lo, exec_lo, s3
	s_wait_alu 0xfffe
	s_cbranch_vccnz .LBB395_78
	s_branch .LBB395_103
.LBB395_73:
	s_and_saveexec_b32 s5, s3
	s_cbranch_execz .LBB395_75
; %bb.74:
	s_add_co_i32 s12, ttmp9, 32
	s_mov_b32 s13, 0
	v_add_co_u32 v13, vcc_lo, v11, v9
	s_wait_alu 0xfffe
	s_lshl_b64 s[12:13], s[12:13], 4
	v_dual_mov_b32 v15, 2 :: v_dual_mov_b32 v16, 0
	s_wait_alu 0xfffe
	s_add_nc_u64 s[12:13], s[6:7], s[12:13]
	s_wait_alu 0xfffd
	v_add_co_ci_u32_e64 v14, null, v12, v10, vcc_lo
	s_wait_alu 0xfffe
	v_dual_mov_b32 v22, s13 :: v_dual_mov_b32 v21, s12
	;;#ASMSTART
	global_store_b128 v[21:22], v[13:16] off scope:SCOPE_DEV	
s_wait_storecnt 0x0
	;;#ASMEND
	ds_store_b128 v16, v[9:12] offset:8448
.LBB395_75:
	s_wait_alu 0xfffe
	s_or_b32 exec_lo, exec_lo, s5
	v_cmp_eq_u32_e32 vcc_lo, 0, v0
	s_and_b32 exec_lo, exec_lo, vcc_lo
; %bb.76:
	v_mov_b32_e32 v9, 0
	ds_store_b64 v9, v[11:12] offset:56
.LBB395_77:
	s_wait_alu 0xfffe
	s_or_b32 exec_lo, exec_lo, s4
	s_wait_dscnt 0x1
	v_cndmask_b32_e64 v10, v33, v19, s3
	v_cmp_ne_u32_e32 vcc_lo, 0, v0
	v_mov_b32_e32 v9, 0
	s_wait_loadcnt_dscnt 0x0
	s_barrier_signal -1
	s_barrier_wait -1
	global_inv scope:SCOPE_SE
	s_wait_alu 0xfffd
	v_cndmask_b32_e32 v16, 0, v10, vcc_lo
	ds_load_b64 v[13:14], v9 offset:56
	v_cndmask_b32_e64 v11, v34, v20, s3
	s_wait_loadcnt_dscnt 0x0
	s_barrier_signal -1
	s_barrier_wait -1
	global_inv scope:SCOPE_SE
	v_cndmask_b32_e32 v15, 0, v11, vcc_lo
	ds_load_b128 v[9:12], v9 offset:8448
	v_add_co_u32 v21, vcc_lo, v13, v16
	s_wait_alu 0xfffd
	v_add_co_ci_u32_e64 v22, null, v14, v15, vcc_lo
	s_delay_alu instid0(VALU_DEP_2) | instskip(SKIP_1) | instid1(VALU_DEP_2)
	v_add_co_u32 v19, vcc_lo, v21, v30
	s_wait_alu 0xfffd
	v_add_co_ci_u32_e64 v20, null, 0, v22, vcc_lo
	s_delay_alu instid0(VALU_DEP_2) | instskip(SKIP_1) | instid1(VALU_DEP_2)
	;; [unrolled: 4-line block ×3, first 2 shown]
	v_add_co_u32 v15, vcc_lo, v13, v28
	s_wait_alu 0xfffd
	v_add_co_ci_u32_e64 v16, null, 0, v14, vcc_lo
	s_load_b64 s[4:5], s[0:1], 0x30
	s_branch .LBB395_103
.LBB395_78:
	s_wait_dscnt 0x0
	v_dual_mov_b32 v10, 0 :: v_dual_mov_b32 v11, v17
	v_mov_b32_dpp v12, v17 row_shr:1 row_mask:0xf bank_mask:0xf
	s_delay_alu instid0(VALU_DEP_2)
	v_mov_b32_dpp v9, v10 row_shr:1 row_mask:0xf bank_mask:0xf
	s_and_saveexec_b32 s0, s2
; %bb.79:
	s_delay_alu instid0(VALU_DEP_2) | instskip(SKIP_2) | instid1(VALU_DEP_2)
	v_add_co_u32 v11, vcc_lo, v17, v12
	s_wait_alu 0xfffd
	v_add_co_ci_u32_e64 v10, null, 0, v18, vcc_lo
	v_add_co_u32 v17, vcc_lo, 0, v11
	s_wait_alu 0xfffd
	s_delay_alu instid0(VALU_DEP_2) | instskip(NEXT) | instid1(VALU_DEP_1)
	v_add_co_ci_u32_e64 v18, null, v9, v10, vcc_lo
	v_mov_b32_e32 v10, v18
; %bb.80:
	s_or_b32 exec_lo, exec_lo, s0
	v_mov_b32_dpp v9, v11 row_shr:2 row_mask:0xf bank_mask:0xf
	s_delay_alu instid0(VALU_DEP_2)
	v_mov_b32_dpp v12, v10 row_shr:2 row_mask:0xf bank_mask:0xf
	s_mov_b32 s0, exec_lo
	v_cmpx_lt_u32_e32 1, v32
; %bb.81:
	s_delay_alu instid0(VALU_DEP_3) | instskip(SKIP_2) | instid1(VALU_DEP_2)
	v_add_co_u32 v11, vcc_lo, v17, v9
	s_wait_alu 0xfffd
	v_add_co_ci_u32_e64 v10, null, 0, v18, vcc_lo
	v_add_co_u32 v9, vcc_lo, 0, v11
	s_wait_alu 0xfffd
	s_delay_alu instid0(VALU_DEP_2) | instskip(NEXT) | instid1(VALU_DEP_1)
	v_add_co_ci_u32_e64 v10, null, v12, v10, vcc_lo
	v_dual_mov_b32 v18, v10 :: v_dual_mov_b32 v17, v9
; %bb.82:
	s_or_b32 exec_lo, exec_lo, s0
	v_mov_b32_dpp v9, v11 row_shr:4 row_mask:0xf bank_mask:0xf
	v_mov_b32_dpp v12, v10 row_shr:4 row_mask:0xf bank_mask:0xf
	s_mov_b32 s0, exec_lo
	v_cmpx_lt_u32_e32 3, v32
; %bb.83:
	s_delay_alu instid0(VALU_DEP_3) | instskip(SKIP_2) | instid1(VALU_DEP_2)
	v_add_co_u32 v11, vcc_lo, v17, v9
	s_wait_alu 0xfffd
	v_add_co_ci_u32_e64 v10, null, 0, v18, vcc_lo
	v_add_co_u32 v9, vcc_lo, 0, v11
	s_wait_alu 0xfffd
	s_delay_alu instid0(VALU_DEP_2) | instskip(NEXT) | instid1(VALU_DEP_1)
	v_add_co_ci_u32_e64 v10, null, v12, v10, vcc_lo
	v_dual_mov_b32 v18, v10 :: v_dual_mov_b32 v17, v9
; %bb.84:
	s_or_b32 exec_lo, exec_lo, s0
	v_mov_b32_dpp v12, v11 row_shr:8 row_mask:0xf bank_mask:0xf
	v_mov_b32_dpp v9, v10 row_shr:8 row_mask:0xf bank_mask:0xf
	s_mov_b32 s0, exec_lo
	v_cmpx_lt_u32_e32 7, v32
; %bb.85:
	s_delay_alu instid0(VALU_DEP_3) | instskip(SKIP_2) | instid1(VALU_DEP_2)
	v_add_co_u32 v11, vcc_lo, v17, v12
	s_wait_alu 0xfffd
	v_add_co_ci_u32_e64 v10, null, 0, v18, vcc_lo
	v_add_co_u32 v17, vcc_lo, 0, v11
	s_wait_alu 0xfffd
	s_delay_alu instid0(VALU_DEP_2) | instskip(NEXT) | instid1(VALU_DEP_1)
	v_add_co_ci_u32_e64 v18, null, v9, v10, vcc_lo
	v_mov_b32_e32 v10, v18
; %bb.86:
	s_or_b32 exec_lo, exec_lo, s0
	ds_swizzle_b32 v11, v11 offset:swizzle(BROADCAST,32,15)
	ds_swizzle_b32 v9, v10 offset:swizzle(BROADCAST,32,15)
	v_and_b32_e32 v10, 16, v31
	s_mov_b32 s0, exec_lo
	s_delay_alu instid0(VALU_DEP_1)
	v_cmpx_ne_u32_e32 0, v10
	s_cbranch_execz .LBB395_88
; %bb.87:
	s_wait_dscnt 0x1
	v_add_co_u32 v10, vcc_lo, v17, v11
	s_wait_alu 0xfffd
	v_add_co_ci_u32_e64 v11, null, 0, v18, vcc_lo
	s_delay_alu instid0(VALU_DEP_2) | instskip(SKIP_2) | instid1(VALU_DEP_2)
	v_add_co_u32 v17, vcc_lo, v10, 0
	s_wait_dscnt 0x0
	s_wait_alu 0xfffd
	v_add_co_ci_u32_e64 v18, null, v11, v9, vcc_lo
.LBB395_88:
	s_or_b32 exec_lo, exec_lo, s0
	s_wait_dscnt 0x0
	v_or_b32_e32 v9, 31, v0
	s_mov_b32 s0, exec_lo
	s_delay_alu instid0(VALU_DEP_1)
	v_cmpx_eq_u32_e64 v0, v9
; %bb.89:
	v_lshlrev_b32_e32 v9, 3, v26
	ds_store_b64 v9, v[17:18]
; %bb.90:
	s_or_b32 exec_lo, exec_lo, s0
	s_delay_alu instid0(SALU_CYCLE_1)
	s_mov_b32 s0, exec_lo
	s_wait_loadcnt_dscnt 0x0
	s_barrier_signal -1
	s_barrier_wait -1
	global_inv scope:SCOPE_SE
	v_cmpx_gt_u32_e32 8, v0
	s_cbranch_execz .LBB395_98
; %bb.91:
	v_lshlrev_b32_e32 v11, 3, v0
	s_mov_b32 s1, exec_lo
	ds_load_b64 v[9:10], v11
	s_wait_dscnt 0x0
	v_dual_mov_b32 v13, v9 :: v_dual_and_b32 v12, 7, v31
	v_mov_b32_dpp v15, v9 row_shr:1 row_mask:0xf bank_mask:0xf
	v_mov_b32_dpp v14, v10 row_shr:1 row_mask:0xf bank_mask:0xf
	s_delay_alu instid0(VALU_DEP_3)
	v_cmpx_ne_u32_e32 0, v12
; %bb.92:
	s_delay_alu instid0(VALU_DEP_3) | instskip(SKIP_2) | instid1(VALU_DEP_2)
	v_add_co_u32 v13, vcc_lo, v9, v15
	s_wait_alu 0xfffd
	v_add_co_ci_u32_e64 v10, null, 0, v10, vcc_lo
	v_add_co_u32 v9, vcc_lo, 0, v13
	s_wait_alu 0xfffd
	s_delay_alu instid0(VALU_DEP_2)
	v_add_co_ci_u32_e64 v10, null, v14, v10, vcc_lo
; %bb.93:
	s_or_b32 exec_lo, exec_lo, s1
	v_mov_b32_dpp v15, v13 row_shr:2 row_mask:0xf bank_mask:0xf
	s_delay_alu instid0(VALU_DEP_2)
	v_mov_b32_dpp v14, v10 row_shr:2 row_mask:0xf bank_mask:0xf
	s_mov_b32 s1, exec_lo
	v_cmpx_lt_u32_e32 1, v12
; %bb.94:
	s_delay_alu instid0(VALU_DEP_3) | instskip(SKIP_2) | instid1(VALU_DEP_2)
	v_add_co_u32 v13, vcc_lo, v9, v15
	s_wait_alu 0xfffd
	v_add_co_ci_u32_e64 v10, null, 0, v10, vcc_lo
	v_add_co_u32 v9, vcc_lo, 0, v13
	s_wait_alu 0xfffd
	s_delay_alu instid0(VALU_DEP_2)
	v_add_co_ci_u32_e64 v10, null, v14, v10, vcc_lo
; %bb.95:
	s_or_b32 exec_lo, exec_lo, s1
	v_mov_b32_dpp v14, v13 row_shr:4 row_mask:0xf bank_mask:0xf
	s_delay_alu instid0(VALU_DEP_2)
	v_mov_b32_dpp v13, v10 row_shr:4 row_mask:0xf bank_mask:0xf
	s_mov_b32 s1, exec_lo
	v_cmpx_lt_u32_e32 3, v12
; %bb.96:
	s_delay_alu instid0(VALU_DEP_3) | instskip(SKIP_2) | instid1(VALU_DEP_2)
	v_add_co_u32 v9, vcc_lo, v9, v14
	s_wait_alu 0xfffd
	v_add_co_ci_u32_e64 v10, null, 0, v10, vcc_lo
	v_add_co_u32 v9, vcc_lo, v9, 0
	s_wait_alu 0xfffd
	s_delay_alu instid0(VALU_DEP_2)
	v_add_co_ci_u32_e64 v10, null, v10, v13, vcc_lo
; %bb.97:
	s_or_b32 exec_lo, exec_lo, s1
	ds_store_b64 v11, v[9:10]
.LBB395_98:
	s_or_b32 exec_lo, exec_lo, s0
	v_mov_b32_e32 v13, 0
	v_mov_b32_e32 v14, 0
	s_mov_b32 s0, exec_lo
	s_wait_loadcnt_dscnt 0x0
	s_barrier_signal -1
	s_barrier_wait -1
	global_inv scope:SCOPE_SE
	v_cmpx_lt_u32_e32 31, v0
; %bb.99:
	v_lshl_add_u32 v9, v26, 3, -8
	ds_load_b64 v[13:14], v9
; %bb.100:
	s_or_b32 exec_lo, exec_lo, s0
	v_sub_co_u32 v9, vcc_lo, v31, 1
	v_mov_b32_e32 v12, 0
	s_delay_alu instid0(VALU_DEP_2) | instskip(NEXT) | instid1(VALU_DEP_1)
	v_cmp_gt_i32_e64 s0, 0, v9
	v_cndmask_b32_e64 v9, v9, v31, s0
	s_wait_dscnt 0x0
	v_add_co_u32 v10, s0, v13, v17
	s_wait_alu 0xf1ff
	v_add_co_ci_u32_e64 v11, null, v14, v18, s0
	v_lshlrev_b32_e32 v9, 2, v9
	v_cmp_eq_u32_e64 s0, 0, v0
	ds_bpermute_b32 v15, v9, v10
	ds_bpermute_b32 v16, v9, v11
	ds_load_b64 v[9:10], v12 offset:56
	s_and_saveexec_b32 s1, s0
	s_cbranch_execz .LBB395_102
; %bb.101:
	s_wait_kmcnt 0x0
	s_add_nc_u64 s[2:3], s[6:7], 0x200
	s_wait_alu 0xfffe
	v_dual_mov_b32 v11, 2 :: v_dual_mov_b32 v18, s3
	v_mov_b32_e32 v17, s2
	s_wait_dscnt 0x0
	;;#ASMSTART
	global_store_b128 v[17:18], v[9:12] off scope:SCOPE_DEV	
s_wait_storecnt 0x0
	;;#ASMEND
.LBB395_102:
	s_wait_alu 0xfffe
	s_or_b32 exec_lo, exec_lo, s1
	s_wait_dscnt 0x1
	s_wait_alu 0xfffd
	v_dual_cndmask_b32 v11, v15, v13 :: v_dual_cndmask_b32 v12, v16, v14
	s_wait_loadcnt_dscnt 0x0
	s_barrier_signal -1
	s_barrier_wait -1
	s_delay_alu instid0(VALU_DEP_1)
	v_cndmask_b32_e64 v21, v11, 0, s0
	v_cndmask_b32_e64 v22, v12, 0, s0
	v_mov_b32_e32 v11, 0
	v_mov_b32_e32 v12, 0
	global_inv scope:SCOPE_SE
	v_add_co_u32 v19, vcc_lo, v21, v30
	s_wait_alu 0xfffd
	v_add_co_ci_u32_e64 v20, null, 0, v22, vcc_lo
	s_delay_alu instid0(VALU_DEP_2) | instskip(SKIP_1) | instid1(VALU_DEP_2)
	v_add_co_u32 v13, vcc_lo, v19, v29
	s_wait_alu 0xfffd
	v_add_co_ci_u32_e64 v14, null, 0, v20, vcc_lo
	s_delay_alu instid0(VALU_DEP_2) | instskip(SKIP_1) | instid1(VALU_DEP_2)
	v_add_co_u32 v15, vcc_lo, v13, v28
	s_wait_alu 0xfffd
	v_add_co_ci_u32_e64 v16, null, 0, v14, vcc_lo
.LBB395_103:
	v_and_b32_e32 v26, 1, v27
	s_wait_dscnt 0x0
	v_cmp_gt_u64_e32 vcc_lo, 0x101, v[9:10]
	v_lshrrev_b32_e32 v23, 16, v27
	v_lshrrev_b32_e32 v24, 8, v27
	s_mov_b32 s1, -1
	v_cmp_eq_u32_e64 s0, 1, v26
	s_cbranch_vccnz .LBB395_107
; %bb.104:
	s_wait_alu 0xfffe
	s_and_b32 vcc_lo, exec_lo, s1
	s_wait_alu 0xfffe
	s_cbranch_vccnz .LBB395_116
.LBB395_105:
	v_cmp_eq_u32_e32 vcc_lo, 0, v0
	s_and_b32 s0, vcc_lo, s16
	s_wait_alu 0xfffe
	s_and_saveexec_b32 s1, s0
	s_cbranch_execnz .LBB395_128
.LBB395_106:
	s_endpgm
.LBB395_107:
	v_add_co_u32 v17, vcc_lo, v11, v9
	s_wait_alu 0xfffd
	v_add_co_ci_u32_e64 v18, null, v12, v10, vcc_lo
	s_delay_alu instid0(VALU_DEP_1)
	v_cmp_lt_u64_e32 vcc_lo, v[21:22], v[17:18]
	s_or_b32 s1, s17, vcc_lo
	s_wait_alu 0xfffe
	s_and_b32 s1, s1, s0
	s_wait_alu 0xfffe
	s_and_saveexec_b32 s0, s1
	s_cbranch_execz .LBB395_109
; %bb.108:
	v_lshlrev_b64_e32 v[27:28], 3, v[21:22]
	s_lshl_b64 s[2:3], s[10:11], 3
	s_wait_kmcnt 0x0
	s_wait_alu 0xfffe
	s_add_nc_u64 s[2:3], s[4:5], s[2:3]
	s_wait_alu 0xfffe
	v_add_co_u32 v27, vcc_lo, s2, v27
	s_wait_alu 0xfffd
	v_add_co_ci_u32_e64 v28, null, s3, v28, vcc_lo
	global_store_b64 v[27:28], v[5:6], off
.LBB395_109:
	s_wait_alu 0xfffe
	s_or_b32 exec_lo, exec_lo, s0
	v_and_b32_e32 v22, 1, v24
	v_cmp_lt_u64_e32 vcc_lo, v[19:20], v[17:18]
	s_delay_alu instid0(VALU_DEP_2)
	v_cmp_eq_u32_e64 s0, 1, v22
	s_or_b32 s1, s17, vcc_lo
	s_wait_alu 0xfffe
	s_and_b32 s1, s1, s0
	s_wait_alu 0xfffe
	s_and_saveexec_b32 s0, s1
	s_cbranch_execz .LBB395_111
; %bb.110:
	v_lshlrev_b64_e32 v[27:28], 3, v[19:20]
	s_lshl_b64 s[2:3], s[10:11], 3
	s_wait_kmcnt 0x0
	s_wait_alu 0xfffe
	s_add_nc_u64 s[2:3], s[4:5], s[2:3]
	s_wait_alu 0xfffe
	v_add_co_u32 v27, vcc_lo, s2, v27
	s_wait_alu 0xfffd
	v_add_co_ci_u32_e64 v28, null, s3, v28, vcc_lo
	global_store_b64 v[27:28], v[7:8], off
.LBB395_111:
	s_wait_alu 0xfffe
	s_or_b32 exec_lo, exec_lo, s0
	v_and_b32_e32 v20, 1, v23
	v_cmp_lt_u64_e32 vcc_lo, v[13:14], v[17:18]
	s_delay_alu instid0(VALU_DEP_2)
	v_cmp_eq_u32_e64 s0, 1, v20
	;; [unrolled: 24-line block ×3, first 2 shown]
	s_or_b32 s1, s17, vcc_lo
	s_wait_alu 0xfffe
	s_and_b32 s1, s1, s0
	s_wait_alu 0xfffe
	s_and_saveexec_b32 s0, s1
	s_cbranch_execz .LBB395_115
; %bb.114:
	v_lshlrev_b64_e32 v[16:17], 3, v[15:16]
	s_lshl_b64 s[2:3], s[10:11], 3
	s_wait_kmcnt 0x0
	s_wait_alu 0xfffe
	s_add_nc_u64 s[2:3], s[4:5], s[2:3]
	s_wait_alu 0xfffe
	v_add_co_u32 v16, vcc_lo, s2, v16
	s_wait_alu 0xfffd
	v_add_co_ci_u32_e64 v17, null, s3, v17, vcc_lo
	global_store_b64 v[16:17], v[3:4], off
.LBB395_115:
	s_wait_alu 0xfffe
	s_or_b32 exec_lo, exec_lo, s0
	s_branch .LBB395_105
.LBB395_116:
	s_mov_b32 s0, exec_lo
	v_cmpx_eq_u32_e32 1, v26
; %bb.117:
	v_sub_nc_u32_e32 v14, v21, v11
	s_delay_alu instid0(VALU_DEP_1)
	v_lshlrev_b32_e32 v14, 3, v14
	ds_store_b64 v14, v[5:6]
; %bb.118:
	s_wait_alu 0xfffe
	s_or_b32 exec_lo, exec_lo, s0
	v_and_b32_e32 v5, 1, v24
	s_mov_b32 s0, exec_lo
	s_delay_alu instid0(VALU_DEP_1)
	v_cmpx_eq_u32_e32 1, v5
; %bb.119:
	v_sub_nc_u32_e32 v5, v19, v11
	s_delay_alu instid0(VALU_DEP_1)
	v_lshlrev_b32_e32 v5, 3, v5
	ds_store_b64 v5, v[7:8]
; %bb.120:
	s_wait_alu 0xfffe
	s_or_b32 exec_lo, exec_lo, s0
	v_and_b32_e32 v5, 1, v23
	s_mov_b32 s0, exec_lo
	s_delay_alu instid0(VALU_DEP_1)
	;; [unrolled: 12-line block ×3, first 2 shown]
	v_cmpx_eq_u32_e32 1, v1
; %bb.123:
	v_sub_nc_u32_e32 v1, v15, v11
	s_delay_alu instid0(VALU_DEP_1)
	v_lshlrev_b32_e32 v1, 3, v1
	ds_store_b64 v1, v[3:4]
; %bb.124:
	s_wait_alu 0xfffe
	s_or_b32 exec_lo, exec_lo, s0
	v_mov_b32_e32 v3, 0
	s_mov_b32 s1, exec_lo
	s_wait_storecnt 0x0
	s_wait_loadcnt_dscnt 0x0
	s_barrier_signal -1
	s_barrier_wait -1
	v_mov_b32_e32 v1, v3
	global_inv scope:SCOPE_SE
	v_cmpx_gt_u64_e64 v[9:10], v[0:1]
	s_cbranch_execz .LBB395_127
; %bb.125:
	v_lshlrev_b64_e32 v[4:5], 3, v[11:12]
	s_lshl_b64 s[2:3], s[10:11], 3
	v_or_b32_e32 v2, 0x100, v0
	s_wait_kmcnt 0x0
	s_delay_alu instid0(VALU_DEP_2) | instskip(SKIP_3) | instid1(VALU_DEP_2)
	v_add_co_u32 v4, vcc_lo, s4, v4
	s_wait_alu 0xfffd
	v_add_co_ci_u32_e64 v5, null, s5, v5, vcc_lo
	s_wait_alu 0xfffe
	v_add_co_u32 v6, vcc_lo, v4, s2
	s_wait_alu 0xfffd
	s_delay_alu instid0(VALU_DEP_2)
	v_add_co_ci_u32_e64 v7, null, s3, v5, vcc_lo
	v_dual_mov_b32 v5, v1 :: v_dual_mov_b32 v4, v0
	s_mov_b32 s2, 0
.LBB395_126:                            ; =>This Inner Loop Header: Depth=1
	s_delay_alu instid0(VALU_DEP_1) | instskip(NEXT) | instid1(VALU_DEP_2)
	v_lshlrev_b32_e32 v1, 3, v4
	v_lshlrev_b64_e32 v[15:16], 3, v[4:5]
	v_dual_mov_b32 v5, v3 :: v_dual_mov_b32 v4, v2
	v_cmp_le_u64_e32 vcc_lo, v[9:10], v[2:3]
	ds_load_b64 v[13:14], v1
	v_add_nc_u32_e32 v2, 0x100, v2
	v_add_co_u32 v15, s0, v6, v15
	s_wait_alu 0xf1ff
	v_add_co_ci_u32_e64 v16, null, v7, v16, s0
	s_wait_alu 0xfffe
	s_or_b32 s2, vcc_lo, s2
	s_wait_dscnt 0x0
	global_store_b64 v[15:16], v[13:14], off
	s_wait_alu 0xfffe
	s_and_not1_b32 exec_lo, exec_lo, s2
	s_cbranch_execnz .LBB395_126
.LBB395_127:
	s_wait_alu 0xfffe
	s_or_b32 exec_lo, exec_lo, s1
	v_cmp_eq_u32_e32 vcc_lo, 0, v0
	s_and_b32 s0, vcc_lo, s16
	s_wait_alu 0xfffe
	s_and_saveexec_b32 s1, s0
	s_cbranch_execz .LBB395_106
.LBB395_128:
	v_add_co_u32 v0, vcc_lo, v11, v9
	s_wait_alu 0xfffd
	v_add_co_ci_u32_e64 v1, null, v12, v10, vcc_lo
	v_mov_b32_e32 v2, 0
	s_delay_alu instid0(VALU_DEP_3) | instskip(SKIP_1) | instid1(VALU_DEP_3)
	v_add_co_u32 v0, vcc_lo, v0, s10
	s_wait_alu 0xfffd
	v_add_co_ci_u32_e64 v1, null, s11, v1, vcc_lo
	global_store_b64 v2, v[0:1], s[8:9]
	s_endpgm
.LBB395_129:
	v_lshlrev_b32_e32 v14, 3, v0
	global_load_b64 v[14:15], v14, s[2:3] offset:2048
	s_wait_loadcnt 0x0
	v_cmp_neq_f64_e32 vcc_lo, 0, v[14:15]
	s_wait_alu 0xfffd
	v_cndmask_b32_e64 v14, 0, 1, vcc_lo
	s_delay_alu instid0(VALU_DEP_1) | instskip(NEXT) | instid1(VALU_DEP_1)
	v_lshlrev_b16 v14, 8, v14
	v_or_b32_e32 v12, v12, v14
	s_delay_alu instid0(VALU_DEP_1) | instskip(SKIP_2) | instid1(SALU_CYCLE_1)
	v_and_b32_e32 v12, 0xffff, v12
	s_wait_alu 0xfffe
	s_or_b32 exec_lo, exec_lo, s4
	s_mov_b32 s4, exec_lo
	v_cmpx_gt_u32_e64 s18, v9
	s_cbranch_execz .LBB395_12
.LBB395_130:
	v_lshlrev_b32_e32 v14, 3, v0
	global_load_b64 v[14:15], v14, s[2:3] offset:4096
	s_wait_loadcnt 0x0
	v_cmp_neq_f64_e32 vcc_lo, 0, v[14:15]
	s_wait_alu 0xfffd
	v_cndmask_b32_e64 v14, 0, 1, vcc_lo
	s_delay_alu instid0(VALU_DEP_1) | instskip(SKIP_2) | instid1(SALU_CYCLE_1)
	v_lshl_or_b32 v12, v14, 16, v12
	s_wait_alu 0xfffe
	s_or_b32 exec_lo, exec_lo, s4
	s_mov_b32 s4, exec_lo
	v_cmpx_gt_u32_e64 s18, v10
	s_cbranch_execnz .LBB395_13
	s_branch .LBB395_14
	.section	.rodata,"a",@progbits
	.p2align	6, 0x0
	.amdhsa_kernel _ZN7rocprim17ROCPRIM_400000_NS6detail17trampoline_kernelINS0_14default_configENS1_25partition_config_selectorILNS1_17partition_subalgoE5ElNS0_10empty_typeEbEEZZNS1_14partition_implILS5_5ELb0ES3_mN6hipcub16HIPCUB_304000_NS21CountingInputIteratorIllEEPS6_NSA_22TransformInputIteratorIbN2at6native12_GLOBAL__N_19NonZeroOpIdEEPKdlEENS0_5tupleIJPlS6_EEENSN_IJSD_SD_EEES6_PiJS6_EEE10hipError_tPvRmT3_T4_T5_T6_T7_T9_mT8_P12ihipStream_tbDpT10_ENKUlT_T0_E_clISt17integral_constantIbLb0EES1B_EEDaS16_S17_EUlS16_E_NS1_11comp_targetILNS1_3genE10ELNS1_11target_archE1200ELNS1_3gpuE4ELNS1_3repE0EEENS1_30default_config_static_selectorELNS0_4arch9wavefront6targetE0EEEvT1_
		.amdhsa_group_segment_fixed_size 8464
		.amdhsa_private_segment_fixed_size 0
		.amdhsa_kernarg_size 120
		.amdhsa_user_sgpr_count 2
		.amdhsa_user_sgpr_dispatch_ptr 0
		.amdhsa_user_sgpr_queue_ptr 0
		.amdhsa_user_sgpr_kernarg_segment_ptr 1
		.amdhsa_user_sgpr_dispatch_id 0
		.amdhsa_user_sgpr_private_segment_size 0
		.amdhsa_wavefront_size32 1
		.amdhsa_uses_dynamic_stack 0
		.amdhsa_enable_private_segment 0
		.amdhsa_system_sgpr_workgroup_id_x 1
		.amdhsa_system_sgpr_workgroup_id_y 0
		.amdhsa_system_sgpr_workgroup_id_z 0
		.amdhsa_system_sgpr_workgroup_info 0
		.amdhsa_system_vgpr_workitem_id 0
		.amdhsa_next_free_vgpr 46
		.amdhsa_next_free_sgpr 20
		.amdhsa_reserve_vcc 1
		.amdhsa_float_round_mode_32 0
		.amdhsa_float_round_mode_16_64 0
		.amdhsa_float_denorm_mode_32 3
		.amdhsa_float_denorm_mode_16_64 3
		.amdhsa_fp16_overflow 0
		.amdhsa_workgroup_processor_mode 1
		.amdhsa_memory_ordered 1
		.amdhsa_forward_progress 1
		.amdhsa_inst_pref_size 54
		.amdhsa_round_robin_scheduling 0
		.amdhsa_exception_fp_ieee_invalid_op 0
		.amdhsa_exception_fp_denorm_src 0
		.amdhsa_exception_fp_ieee_div_zero 0
		.amdhsa_exception_fp_ieee_overflow 0
		.amdhsa_exception_fp_ieee_underflow 0
		.amdhsa_exception_fp_ieee_inexact 0
		.amdhsa_exception_int_div_zero 0
	.end_amdhsa_kernel
	.section	.text._ZN7rocprim17ROCPRIM_400000_NS6detail17trampoline_kernelINS0_14default_configENS1_25partition_config_selectorILNS1_17partition_subalgoE5ElNS0_10empty_typeEbEEZZNS1_14partition_implILS5_5ELb0ES3_mN6hipcub16HIPCUB_304000_NS21CountingInputIteratorIllEEPS6_NSA_22TransformInputIteratorIbN2at6native12_GLOBAL__N_19NonZeroOpIdEEPKdlEENS0_5tupleIJPlS6_EEENSN_IJSD_SD_EEES6_PiJS6_EEE10hipError_tPvRmT3_T4_T5_T6_T7_T9_mT8_P12ihipStream_tbDpT10_ENKUlT_T0_E_clISt17integral_constantIbLb0EES1B_EEDaS16_S17_EUlS16_E_NS1_11comp_targetILNS1_3genE10ELNS1_11target_archE1200ELNS1_3gpuE4ELNS1_3repE0EEENS1_30default_config_static_selectorELNS0_4arch9wavefront6targetE0EEEvT1_,"axG",@progbits,_ZN7rocprim17ROCPRIM_400000_NS6detail17trampoline_kernelINS0_14default_configENS1_25partition_config_selectorILNS1_17partition_subalgoE5ElNS0_10empty_typeEbEEZZNS1_14partition_implILS5_5ELb0ES3_mN6hipcub16HIPCUB_304000_NS21CountingInputIteratorIllEEPS6_NSA_22TransformInputIteratorIbN2at6native12_GLOBAL__N_19NonZeroOpIdEEPKdlEENS0_5tupleIJPlS6_EEENSN_IJSD_SD_EEES6_PiJS6_EEE10hipError_tPvRmT3_T4_T5_T6_T7_T9_mT8_P12ihipStream_tbDpT10_ENKUlT_T0_E_clISt17integral_constantIbLb0EES1B_EEDaS16_S17_EUlS16_E_NS1_11comp_targetILNS1_3genE10ELNS1_11target_archE1200ELNS1_3gpuE4ELNS1_3repE0EEENS1_30default_config_static_selectorELNS0_4arch9wavefront6targetE0EEEvT1_,comdat
.Lfunc_end395:
	.size	_ZN7rocprim17ROCPRIM_400000_NS6detail17trampoline_kernelINS0_14default_configENS1_25partition_config_selectorILNS1_17partition_subalgoE5ElNS0_10empty_typeEbEEZZNS1_14partition_implILS5_5ELb0ES3_mN6hipcub16HIPCUB_304000_NS21CountingInputIteratorIllEEPS6_NSA_22TransformInputIteratorIbN2at6native12_GLOBAL__N_19NonZeroOpIdEEPKdlEENS0_5tupleIJPlS6_EEENSN_IJSD_SD_EEES6_PiJS6_EEE10hipError_tPvRmT3_T4_T5_T6_T7_T9_mT8_P12ihipStream_tbDpT10_ENKUlT_T0_E_clISt17integral_constantIbLb0EES1B_EEDaS16_S17_EUlS16_E_NS1_11comp_targetILNS1_3genE10ELNS1_11target_archE1200ELNS1_3gpuE4ELNS1_3repE0EEENS1_30default_config_static_selectorELNS0_4arch9wavefront6targetE0EEEvT1_, .Lfunc_end395-_ZN7rocprim17ROCPRIM_400000_NS6detail17trampoline_kernelINS0_14default_configENS1_25partition_config_selectorILNS1_17partition_subalgoE5ElNS0_10empty_typeEbEEZZNS1_14partition_implILS5_5ELb0ES3_mN6hipcub16HIPCUB_304000_NS21CountingInputIteratorIllEEPS6_NSA_22TransformInputIteratorIbN2at6native12_GLOBAL__N_19NonZeroOpIdEEPKdlEENS0_5tupleIJPlS6_EEENSN_IJSD_SD_EEES6_PiJS6_EEE10hipError_tPvRmT3_T4_T5_T6_T7_T9_mT8_P12ihipStream_tbDpT10_ENKUlT_T0_E_clISt17integral_constantIbLb0EES1B_EEDaS16_S17_EUlS16_E_NS1_11comp_targetILNS1_3genE10ELNS1_11target_archE1200ELNS1_3gpuE4ELNS1_3repE0EEENS1_30default_config_static_selectorELNS0_4arch9wavefront6targetE0EEEvT1_
                                        ; -- End function
	.set _ZN7rocprim17ROCPRIM_400000_NS6detail17trampoline_kernelINS0_14default_configENS1_25partition_config_selectorILNS1_17partition_subalgoE5ElNS0_10empty_typeEbEEZZNS1_14partition_implILS5_5ELb0ES3_mN6hipcub16HIPCUB_304000_NS21CountingInputIteratorIllEEPS6_NSA_22TransformInputIteratorIbN2at6native12_GLOBAL__N_19NonZeroOpIdEEPKdlEENS0_5tupleIJPlS6_EEENSN_IJSD_SD_EEES6_PiJS6_EEE10hipError_tPvRmT3_T4_T5_T6_T7_T9_mT8_P12ihipStream_tbDpT10_ENKUlT_T0_E_clISt17integral_constantIbLb0EES1B_EEDaS16_S17_EUlS16_E_NS1_11comp_targetILNS1_3genE10ELNS1_11target_archE1200ELNS1_3gpuE4ELNS1_3repE0EEENS1_30default_config_static_selectorELNS0_4arch9wavefront6targetE0EEEvT1_.num_vgpr, 46
	.set _ZN7rocprim17ROCPRIM_400000_NS6detail17trampoline_kernelINS0_14default_configENS1_25partition_config_selectorILNS1_17partition_subalgoE5ElNS0_10empty_typeEbEEZZNS1_14partition_implILS5_5ELb0ES3_mN6hipcub16HIPCUB_304000_NS21CountingInputIteratorIllEEPS6_NSA_22TransformInputIteratorIbN2at6native12_GLOBAL__N_19NonZeroOpIdEEPKdlEENS0_5tupleIJPlS6_EEENSN_IJSD_SD_EEES6_PiJS6_EEE10hipError_tPvRmT3_T4_T5_T6_T7_T9_mT8_P12ihipStream_tbDpT10_ENKUlT_T0_E_clISt17integral_constantIbLb0EES1B_EEDaS16_S17_EUlS16_E_NS1_11comp_targetILNS1_3genE10ELNS1_11target_archE1200ELNS1_3gpuE4ELNS1_3repE0EEENS1_30default_config_static_selectorELNS0_4arch9wavefront6targetE0EEEvT1_.num_agpr, 0
	.set _ZN7rocprim17ROCPRIM_400000_NS6detail17trampoline_kernelINS0_14default_configENS1_25partition_config_selectorILNS1_17partition_subalgoE5ElNS0_10empty_typeEbEEZZNS1_14partition_implILS5_5ELb0ES3_mN6hipcub16HIPCUB_304000_NS21CountingInputIteratorIllEEPS6_NSA_22TransformInputIteratorIbN2at6native12_GLOBAL__N_19NonZeroOpIdEEPKdlEENS0_5tupleIJPlS6_EEENSN_IJSD_SD_EEES6_PiJS6_EEE10hipError_tPvRmT3_T4_T5_T6_T7_T9_mT8_P12ihipStream_tbDpT10_ENKUlT_T0_E_clISt17integral_constantIbLb0EES1B_EEDaS16_S17_EUlS16_E_NS1_11comp_targetILNS1_3genE10ELNS1_11target_archE1200ELNS1_3gpuE4ELNS1_3repE0EEENS1_30default_config_static_selectorELNS0_4arch9wavefront6targetE0EEEvT1_.numbered_sgpr, 20
	.set _ZN7rocprim17ROCPRIM_400000_NS6detail17trampoline_kernelINS0_14default_configENS1_25partition_config_selectorILNS1_17partition_subalgoE5ElNS0_10empty_typeEbEEZZNS1_14partition_implILS5_5ELb0ES3_mN6hipcub16HIPCUB_304000_NS21CountingInputIteratorIllEEPS6_NSA_22TransformInputIteratorIbN2at6native12_GLOBAL__N_19NonZeroOpIdEEPKdlEENS0_5tupleIJPlS6_EEENSN_IJSD_SD_EEES6_PiJS6_EEE10hipError_tPvRmT3_T4_T5_T6_T7_T9_mT8_P12ihipStream_tbDpT10_ENKUlT_T0_E_clISt17integral_constantIbLb0EES1B_EEDaS16_S17_EUlS16_E_NS1_11comp_targetILNS1_3genE10ELNS1_11target_archE1200ELNS1_3gpuE4ELNS1_3repE0EEENS1_30default_config_static_selectorELNS0_4arch9wavefront6targetE0EEEvT1_.num_named_barrier, 0
	.set _ZN7rocprim17ROCPRIM_400000_NS6detail17trampoline_kernelINS0_14default_configENS1_25partition_config_selectorILNS1_17partition_subalgoE5ElNS0_10empty_typeEbEEZZNS1_14partition_implILS5_5ELb0ES3_mN6hipcub16HIPCUB_304000_NS21CountingInputIteratorIllEEPS6_NSA_22TransformInputIteratorIbN2at6native12_GLOBAL__N_19NonZeroOpIdEEPKdlEENS0_5tupleIJPlS6_EEENSN_IJSD_SD_EEES6_PiJS6_EEE10hipError_tPvRmT3_T4_T5_T6_T7_T9_mT8_P12ihipStream_tbDpT10_ENKUlT_T0_E_clISt17integral_constantIbLb0EES1B_EEDaS16_S17_EUlS16_E_NS1_11comp_targetILNS1_3genE10ELNS1_11target_archE1200ELNS1_3gpuE4ELNS1_3repE0EEENS1_30default_config_static_selectorELNS0_4arch9wavefront6targetE0EEEvT1_.private_seg_size, 0
	.set _ZN7rocprim17ROCPRIM_400000_NS6detail17trampoline_kernelINS0_14default_configENS1_25partition_config_selectorILNS1_17partition_subalgoE5ElNS0_10empty_typeEbEEZZNS1_14partition_implILS5_5ELb0ES3_mN6hipcub16HIPCUB_304000_NS21CountingInputIteratorIllEEPS6_NSA_22TransformInputIteratorIbN2at6native12_GLOBAL__N_19NonZeroOpIdEEPKdlEENS0_5tupleIJPlS6_EEENSN_IJSD_SD_EEES6_PiJS6_EEE10hipError_tPvRmT3_T4_T5_T6_T7_T9_mT8_P12ihipStream_tbDpT10_ENKUlT_T0_E_clISt17integral_constantIbLb0EES1B_EEDaS16_S17_EUlS16_E_NS1_11comp_targetILNS1_3genE10ELNS1_11target_archE1200ELNS1_3gpuE4ELNS1_3repE0EEENS1_30default_config_static_selectorELNS0_4arch9wavefront6targetE0EEEvT1_.uses_vcc, 1
	.set _ZN7rocprim17ROCPRIM_400000_NS6detail17trampoline_kernelINS0_14default_configENS1_25partition_config_selectorILNS1_17partition_subalgoE5ElNS0_10empty_typeEbEEZZNS1_14partition_implILS5_5ELb0ES3_mN6hipcub16HIPCUB_304000_NS21CountingInputIteratorIllEEPS6_NSA_22TransformInputIteratorIbN2at6native12_GLOBAL__N_19NonZeroOpIdEEPKdlEENS0_5tupleIJPlS6_EEENSN_IJSD_SD_EEES6_PiJS6_EEE10hipError_tPvRmT3_T4_T5_T6_T7_T9_mT8_P12ihipStream_tbDpT10_ENKUlT_T0_E_clISt17integral_constantIbLb0EES1B_EEDaS16_S17_EUlS16_E_NS1_11comp_targetILNS1_3genE10ELNS1_11target_archE1200ELNS1_3gpuE4ELNS1_3repE0EEENS1_30default_config_static_selectorELNS0_4arch9wavefront6targetE0EEEvT1_.uses_flat_scratch, 0
	.set _ZN7rocprim17ROCPRIM_400000_NS6detail17trampoline_kernelINS0_14default_configENS1_25partition_config_selectorILNS1_17partition_subalgoE5ElNS0_10empty_typeEbEEZZNS1_14partition_implILS5_5ELb0ES3_mN6hipcub16HIPCUB_304000_NS21CountingInputIteratorIllEEPS6_NSA_22TransformInputIteratorIbN2at6native12_GLOBAL__N_19NonZeroOpIdEEPKdlEENS0_5tupleIJPlS6_EEENSN_IJSD_SD_EEES6_PiJS6_EEE10hipError_tPvRmT3_T4_T5_T6_T7_T9_mT8_P12ihipStream_tbDpT10_ENKUlT_T0_E_clISt17integral_constantIbLb0EES1B_EEDaS16_S17_EUlS16_E_NS1_11comp_targetILNS1_3genE10ELNS1_11target_archE1200ELNS1_3gpuE4ELNS1_3repE0EEENS1_30default_config_static_selectorELNS0_4arch9wavefront6targetE0EEEvT1_.has_dyn_sized_stack, 0
	.set _ZN7rocprim17ROCPRIM_400000_NS6detail17trampoline_kernelINS0_14default_configENS1_25partition_config_selectorILNS1_17partition_subalgoE5ElNS0_10empty_typeEbEEZZNS1_14partition_implILS5_5ELb0ES3_mN6hipcub16HIPCUB_304000_NS21CountingInputIteratorIllEEPS6_NSA_22TransformInputIteratorIbN2at6native12_GLOBAL__N_19NonZeroOpIdEEPKdlEENS0_5tupleIJPlS6_EEENSN_IJSD_SD_EEES6_PiJS6_EEE10hipError_tPvRmT3_T4_T5_T6_T7_T9_mT8_P12ihipStream_tbDpT10_ENKUlT_T0_E_clISt17integral_constantIbLb0EES1B_EEDaS16_S17_EUlS16_E_NS1_11comp_targetILNS1_3genE10ELNS1_11target_archE1200ELNS1_3gpuE4ELNS1_3repE0EEENS1_30default_config_static_selectorELNS0_4arch9wavefront6targetE0EEEvT1_.has_recursion, 0
	.set _ZN7rocprim17ROCPRIM_400000_NS6detail17trampoline_kernelINS0_14default_configENS1_25partition_config_selectorILNS1_17partition_subalgoE5ElNS0_10empty_typeEbEEZZNS1_14partition_implILS5_5ELb0ES3_mN6hipcub16HIPCUB_304000_NS21CountingInputIteratorIllEEPS6_NSA_22TransformInputIteratorIbN2at6native12_GLOBAL__N_19NonZeroOpIdEEPKdlEENS0_5tupleIJPlS6_EEENSN_IJSD_SD_EEES6_PiJS6_EEE10hipError_tPvRmT3_T4_T5_T6_T7_T9_mT8_P12ihipStream_tbDpT10_ENKUlT_T0_E_clISt17integral_constantIbLb0EES1B_EEDaS16_S17_EUlS16_E_NS1_11comp_targetILNS1_3genE10ELNS1_11target_archE1200ELNS1_3gpuE4ELNS1_3repE0EEENS1_30default_config_static_selectorELNS0_4arch9wavefront6targetE0EEEvT1_.has_indirect_call, 0
	.section	.AMDGPU.csdata,"",@progbits
; Kernel info:
; codeLenInByte = 6824
; TotalNumSgprs: 22
; NumVgprs: 46
; ScratchSize: 0
; MemoryBound: 0
; FloatMode: 240
; IeeeMode: 1
; LDSByteSize: 8464 bytes/workgroup (compile time only)
; SGPRBlocks: 0
; VGPRBlocks: 5
; NumSGPRsForWavesPerEU: 22
; NumVGPRsForWavesPerEU: 46
; Occupancy: 16
; WaveLimiterHint : 1
; COMPUTE_PGM_RSRC2:SCRATCH_EN: 0
; COMPUTE_PGM_RSRC2:USER_SGPR: 2
; COMPUTE_PGM_RSRC2:TRAP_HANDLER: 0
; COMPUTE_PGM_RSRC2:TGID_X_EN: 1
; COMPUTE_PGM_RSRC2:TGID_Y_EN: 0
; COMPUTE_PGM_RSRC2:TGID_Z_EN: 0
; COMPUTE_PGM_RSRC2:TIDIG_COMP_CNT: 0
	.section	.text._ZN7rocprim17ROCPRIM_400000_NS6detail17trampoline_kernelINS0_14default_configENS1_25partition_config_selectorILNS1_17partition_subalgoE5ElNS0_10empty_typeEbEEZZNS1_14partition_implILS5_5ELb0ES3_mN6hipcub16HIPCUB_304000_NS21CountingInputIteratorIllEEPS6_NSA_22TransformInputIteratorIbN2at6native12_GLOBAL__N_19NonZeroOpIdEEPKdlEENS0_5tupleIJPlS6_EEENSN_IJSD_SD_EEES6_PiJS6_EEE10hipError_tPvRmT3_T4_T5_T6_T7_T9_mT8_P12ihipStream_tbDpT10_ENKUlT_T0_E_clISt17integral_constantIbLb0EES1B_EEDaS16_S17_EUlS16_E_NS1_11comp_targetILNS1_3genE9ELNS1_11target_archE1100ELNS1_3gpuE3ELNS1_3repE0EEENS1_30default_config_static_selectorELNS0_4arch9wavefront6targetE0EEEvT1_,"axG",@progbits,_ZN7rocprim17ROCPRIM_400000_NS6detail17trampoline_kernelINS0_14default_configENS1_25partition_config_selectorILNS1_17partition_subalgoE5ElNS0_10empty_typeEbEEZZNS1_14partition_implILS5_5ELb0ES3_mN6hipcub16HIPCUB_304000_NS21CountingInputIteratorIllEEPS6_NSA_22TransformInputIteratorIbN2at6native12_GLOBAL__N_19NonZeroOpIdEEPKdlEENS0_5tupleIJPlS6_EEENSN_IJSD_SD_EEES6_PiJS6_EEE10hipError_tPvRmT3_T4_T5_T6_T7_T9_mT8_P12ihipStream_tbDpT10_ENKUlT_T0_E_clISt17integral_constantIbLb0EES1B_EEDaS16_S17_EUlS16_E_NS1_11comp_targetILNS1_3genE9ELNS1_11target_archE1100ELNS1_3gpuE3ELNS1_3repE0EEENS1_30default_config_static_selectorELNS0_4arch9wavefront6targetE0EEEvT1_,comdat
	.globl	_ZN7rocprim17ROCPRIM_400000_NS6detail17trampoline_kernelINS0_14default_configENS1_25partition_config_selectorILNS1_17partition_subalgoE5ElNS0_10empty_typeEbEEZZNS1_14partition_implILS5_5ELb0ES3_mN6hipcub16HIPCUB_304000_NS21CountingInputIteratorIllEEPS6_NSA_22TransformInputIteratorIbN2at6native12_GLOBAL__N_19NonZeroOpIdEEPKdlEENS0_5tupleIJPlS6_EEENSN_IJSD_SD_EEES6_PiJS6_EEE10hipError_tPvRmT3_T4_T5_T6_T7_T9_mT8_P12ihipStream_tbDpT10_ENKUlT_T0_E_clISt17integral_constantIbLb0EES1B_EEDaS16_S17_EUlS16_E_NS1_11comp_targetILNS1_3genE9ELNS1_11target_archE1100ELNS1_3gpuE3ELNS1_3repE0EEENS1_30default_config_static_selectorELNS0_4arch9wavefront6targetE0EEEvT1_ ; -- Begin function _ZN7rocprim17ROCPRIM_400000_NS6detail17trampoline_kernelINS0_14default_configENS1_25partition_config_selectorILNS1_17partition_subalgoE5ElNS0_10empty_typeEbEEZZNS1_14partition_implILS5_5ELb0ES3_mN6hipcub16HIPCUB_304000_NS21CountingInputIteratorIllEEPS6_NSA_22TransformInputIteratorIbN2at6native12_GLOBAL__N_19NonZeroOpIdEEPKdlEENS0_5tupleIJPlS6_EEENSN_IJSD_SD_EEES6_PiJS6_EEE10hipError_tPvRmT3_T4_T5_T6_T7_T9_mT8_P12ihipStream_tbDpT10_ENKUlT_T0_E_clISt17integral_constantIbLb0EES1B_EEDaS16_S17_EUlS16_E_NS1_11comp_targetILNS1_3genE9ELNS1_11target_archE1100ELNS1_3gpuE3ELNS1_3repE0EEENS1_30default_config_static_selectorELNS0_4arch9wavefront6targetE0EEEvT1_
	.p2align	8
	.type	_ZN7rocprim17ROCPRIM_400000_NS6detail17trampoline_kernelINS0_14default_configENS1_25partition_config_selectorILNS1_17partition_subalgoE5ElNS0_10empty_typeEbEEZZNS1_14partition_implILS5_5ELb0ES3_mN6hipcub16HIPCUB_304000_NS21CountingInputIteratorIllEEPS6_NSA_22TransformInputIteratorIbN2at6native12_GLOBAL__N_19NonZeroOpIdEEPKdlEENS0_5tupleIJPlS6_EEENSN_IJSD_SD_EEES6_PiJS6_EEE10hipError_tPvRmT3_T4_T5_T6_T7_T9_mT8_P12ihipStream_tbDpT10_ENKUlT_T0_E_clISt17integral_constantIbLb0EES1B_EEDaS16_S17_EUlS16_E_NS1_11comp_targetILNS1_3genE9ELNS1_11target_archE1100ELNS1_3gpuE3ELNS1_3repE0EEENS1_30default_config_static_selectorELNS0_4arch9wavefront6targetE0EEEvT1_,@function
_ZN7rocprim17ROCPRIM_400000_NS6detail17trampoline_kernelINS0_14default_configENS1_25partition_config_selectorILNS1_17partition_subalgoE5ElNS0_10empty_typeEbEEZZNS1_14partition_implILS5_5ELb0ES3_mN6hipcub16HIPCUB_304000_NS21CountingInputIteratorIllEEPS6_NSA_22TransformInputIteratorIbN2at6native12_GLOBAL__N_19NonZeroOpIdEEPKdlEENS0_5tupleIJPlS6_EEENSN_IJSD_SD_EEES6_PiJS6_EEE10hipError_tPvRmT3_T4_T5_T6_T7_T9_mT8_P12ihipStream_tbDpT10_ENKUlT_T0_E_clISt17integral_constantIbLb0EES1B_EEDaS16_S17_EUlS16_E_NS1_11comp_targetILNS1_3genE9ELNS1_11target_archE1100ELNS1_3gpuE3ELNS1_3repE0EEENS1_30default_config_static_selectorELNS0_4arch9wavefront6targetE0EEEvT1_: ; @_ZN7rocprim17ROCPRIM_400000_NS6detail17trampoline_kernelINS0_14default_configENS1_25partition_config_selectorILNS1_17partition_subalgoE5ElNS0_10empty_typeEbEEZZNS1_14partition_implILS5_5ELb0ES3_mN6hipcub16HIPCUB_304000_NS21CountingInputIteratorIllEEPS6_NSA_22TransformInputIteratorIbN2at6native12_GLOBAL__N_19NonZeroOpIdEEPKdlEENS0_5tupleIJPlS6_EEENSN_IJSD_SD_EEES6_PiJS6_EEE10hipError_tPvRmT3_T4_T5_T6_T7_T9_mT8_P12ihipStream_tbDpT10_ENKUlT_T0_E_clISt17integral_constantIbLb0EES1B_EEDaS16_S17_EUlS16_E_NS1_11comp_targetILNS1_3genE9ELNS1_11target_archE1100ELNS1_3gpuE3ELNS1_3repE0EEENS1_30default_config_static_selectorELNS0_4arch9wavefront6targetE0EEEvT1_
; %bb.0:
	.section	.rodata,"a",@progbits
	.p2align	6, 0x0
	.amdhsa_kernel _ZN7rocprim17ROCPRIM_400000_NS6detail17trampoline_kernelINS0_14default_configENS1_25partition_config_selectorILNS1_17partition_subalgoE5ElNS0_10empty_typeEbEEZZNS1_14partition_implILS5_5ELb0ES3_mN6hipcub16HIPCUB_304000_NS21CountingInputIteratorIllEEPS6_NSA_22TransformInputIteratorIbN2at6native12_GLOBAL__N_19NonZeroOpIdEEPKdlEENS0_5tupleIJPlS6_EEENSN_IJSD_SD_EEES6_PiJS6_EEE10hipError_tPvRmT3_T4_T5_T6_T7_T9_mT8_P12ihipStream_tbDpT10_ENKUlT_T0_E_clISt17integral_constantIbLb0EES1B_EEDaS16_S17_EUlS16_E_NS1_11comp_targetILNS1_3genE9ELNS1_11target_archE1100ELNS1_3gpuE3ELNS1_3repE0EEENS1_30default_config_static_selectorELNS0_4arch9wavefront6targetE0EEEvT1_
		.amdhsa_group_segment_fixed_size 0
		.amdhsa_private_segment_fixed_size 0
		.amdhsa_kernarg_size 120
		.amdhsa_user_sgpr_count 2
		.amdhsa_user_sgpr_dispatch_ptr 0
		.amdhsa_user_sgpr_queue_ptr 0
		.amdhsa_user_sgpr_kernarg_segment_ptr 1
		.amdhsa_user_sgpr_dispatch_id 0
		.amdhsa_user_sgpr_private_segment_size 0
		.amdhsa_wavefront_size32 1
		.amdhsa_uses_dynamic_stack 0
		.amdhsa_enable_private_segment 0
		.amdhsa_system_sgpr_workgroup_id_x 1
		.amdhsa_system_sgpr_workgroup_id_y 0
		.amdhsa_system_sgpr_workgroup_id_z 0
		.amdhsa_system_sgpr_workgroup_info 0
		.amdhsa_system_vgpr_workitem_id 0
		.amdhsa_next_free_vgpr 1
		.amdhsa_next_free_sgpr 1
		.amdhsa_reserve_vcc 0
		.amdhsa_float_round_mode_32 0
		.amdhsa_float_round_mode_16_64 0
		.amdhsa_float_denorm_mode_32 3
		.amdhsa_float_denorm_mode_16_64 3
		.amdhsa_fp16_overflow 0
		.amdhsa_workgroup_processor_mode 1
		.amdhsa_memory_ordered 1
		.amdhsa_forward_progress 1
		.amdhsa_inst_pref_size 0
		.amdhsa_round_robin_scheduling 0
		.amdhsa_exception_fp_ieee_invalid_op 0
		.amdhsa_exception_fp_denorm_src 0
		.amdhsa_exception_fp_ieee_div_zero 0
		.amdhsa_exception_fp_ieee_overflow 0
		.amdhsa_exception_fp_ieee_underflow 0
		.amdhsa_exception_fp_ieee_inexact 0
		.amdhsa_exception_int_div_zero 0
	.end_amdhsa_kernel
	.section	.text._ZN7rocprim17ROCPRIM_400000_NS6detail17trampoline_kernelINS0_14default_configENS1_25partition_config_selectorILNS1_17partition_subalgoE5ElNS0_10empty_typeEbEEZZNS1_14partition_implILS5_5ELb0ES3_mN6hipcub16HIPCUB_304000_NS21CountingInputIteratorIllEEPS6_NSA_22TransformInputIteratorIbN2at6native12_GLOBAL__N_19NonZeroOpIdEEPKdlEENS0_5tupleIJPlS6_EEENSN_IJSD_SD_EEES6_PiJS6_EEE10hipError_tPvRmT3_T4_T5_T6_T7_T9_mT8_P12ihipStream_tbDpT10_ENKUlT_T0_E_clISt17integral_constantIbLb0EES1B_EEDaS16_S17_EUlS16_E_NS1_11comp_targetILNS1_3genE9ELNS1_11target_archE1100ELNS1_3gpuE3ELNS1_3repE0EEENS1_30default_config_static_selectorELNS0_4arch9wavefront6targetE0EEEvT1_,"axG",@progbits,_ZN7rocprim17ROCPRIM_400000_NS6detail17trampoline_kernelINS0_14default_configENS1_25partition_config_selectorILNS1_17partition_subalgoE5ElNS0_10empty_typeEbEEZZNS1_14partition_implILS5_5ELb0ES3_mN6hipcub16HIPCUB_304000_NS21CountingInputIteratorIllEEPS6_NSA_22TransformInputIteratorIbN2at6native12_GLOBAL__N_19NonZeroOpIdEEPKdlEENS0_5tupleIJPlS6_EEENSN_IJSD_SD_EEES6_PiJS6_EEE10hipError_tPvRmT3_T4_T5_T6_T7_T9_mT8_P12ihipStream_tbDpT10_ENKUlT_T0_E_clISt17integral_constantIbLb0EES1B_EEDaS16_S17_EUlS16_E_NS1_11comp_targetILNS1_3genE9ELNS1_11target_archE1100ELNS1_3gpuE3ELNS1_3repE0EEENS1_30default_config_static_selectorELNS0_4arch9wavefront6targetE0EEEvT1_,comdat
.Lfunc_end396:
	.size	_ZN7rocprim17ROCPRIM_400000_NS6detail17trampoline_kernelINS0_14default_configENS1_25partition_config_selectorILNS1_17partition_subalgoE5ElNS0_10empty_typeEbEEZZNS1_14partition_implILS5_5ELb0ES3_mN6hipcub16HIPCUB_304000_NS21CountingInputIteratorIllEEPS6_NSA_22TransformInputIteratorIbN2at6native12_GLOBAL__N_19NonZeroOpIdEEPKdlEENS0_5tupleIJPlS6_EEENSN_IJSD_SD_EEES6_PiJS6_EEE10hipError_tPvRmT3_T4_T5_T6_T7_T9_mT8_P12ihipStream_tbDpT10_ENKUlT_T0_E_clISt17integral_constantIbLb0EES1B_EEDaS16_S17_EUlS16_E_NS1_11comp_targetILNS1_3genE9ELNS1_11target_archE1100ELNS1_3gpuE3ELNS1_3repE0EEENS1_30default_config_static_selectorELNS0_4arch9wavefront6targetE0EEEvT1_, .Lfunc_end396-_ZN7rocprim17ROCPRIM_400000_NS6detail17trampoline_kernelINS0_14default_configENS1_25partition_config_selectorILNS1_17partition_subalgoE5ElNS0_10empty_typeEbEEZZNS1_14partition_implILS5_5ELb0ES3_mN6hipcub16HIPCUB_304000_NS21CountingInputIteratorIllEEPS6_NSA_22TransformInputIteratorIbN2at6native12_GLOBAL__N_19NonZeroOpIdEEPKdlEENS0_5tupleIJPlS6_EEENSN_IJSD_SD_EEES6_PiJS6_EEE10hipError_tPvRmT3_T4_T5_T6_T7_T9_mT8_P12ihipStream_tbDpT10_ENKUlT_T0_E_clISt17integral_constantIbLb0EES1B_EEDaS16_S17_EUlS16_E_NS1_11comp_targetILNS1_3genE9ELNS1_11target_archE1100ELNS1_3gpuE3ELNS1_3repE0EEENS1_30default_config_static_selectorELNS0_4arch9wavefront6targetE0EEEvT1_
                                        ; -- End function
	.set _ZN7rocprim17ROCPRIM_400000_NS6detail17trampoline_kernelINS0_14default_configENS1_25partition_config_selectorILNS1_17partition_subalgoE5ElNS0_10empty_typeEbEEZZNS1_14partition_implILS5_5ELb0ES3_mN6hipcub16HIPCUB_304000_NS21CountingInputIteratorIllEEPS6_NSA_22TransformInputIteratorIbN2at6native12_GLOBAL__N_19NonZeroOpIdEEPKdlEENS0_5tupleIJPlS6_EEENSN_IJSD_SD_EEES6_PiJS6_EEE10hipError_tPvRmT3_T4_T5_T6_T7_T9_mT8_P12ihipStream_tbDpT10_ENKUlT_T0_E_clISt17integral_constantIbLb0EES1B_EEDaS16_S17_EUlS16_E_NS1_11comp_targetILNS1_3genE9ELNS1_11target_archE1100ELNS1_3gpuE3ELNS1_3repE0EEENS1_30default_config_static_selectorELNS0_4arch9wavefront6targetE0EEEvT1_.num_vgpr, 0
	.set _ZN7rocprim17ROCPRIM_400000_NS6detail17trampoline_kernelINS0_14default_configENS1_25partition_config_selectorILNS1_17partition_subalgoE5ElNS0_10empty_typeEbEEZZNS1_14partition_implILS5_5ELb0ES3_mN6hipcub16HIPCUB_304000_NS21CountingInputIteratorIllEEPS6_NSA_22TransformInputIteratorIbN2at6native12_GLOBAL__N_19NonZeroOpIdEEPKdlEENS0_5tupleIJPlS6_EEENSN_IJSD_SD_EEES6_PiJS6_EEE10hipError_tPvRmT3_T4_T5_T6_T7_T9_mT8_P12ihipStream_tbDpT10_ENKUlT_T0_E_clISt17integral_constantIbLb0EES1B_EEDaS16_S17_EUlS16_E_NS1_11comp_targetILNS1_3genE9ELNS1_11target_archE1100ELNS1_3gpuE3ELNS1_3repE0EEENS1_30default_config_static_selectorELNS0_4arch9wavefront6targetE0EEEvT1_.num_agpr, 0
	.set _ZN7rocprim17ROCPRIM_400000_NS6detail17trampoline_kernelINS0_14default_configENS1_25partition_config_selectorILNS1_17partition_subalgoE5ElNS0_10empty_typeEbEEZZNS1_14partition_implILS5_5ELb0ES3_mN6hipcub16HIPCUB_304000_NS21CountingInputIteratorIllEEPS6_NSA_22TransformInputIteratorIbN2at6native12_GLOBAL__N_19NonZeroOpIdEEPKdlEENS0_5tupleIJPlS6_EEENSN_IJSD_SD_EEES6_PiJS6_EEE10hipError_tPvRmT3_T4_T5_T6_T7_T9_mT8_P12ihipStream_tbDpT10_ENKUlT_T0_E_clISt17integral_constantIbLb0EES1B_EEDaS16_S17_EUlS16_E_NS1_11comp_targetILNS1_3genE9ELNS1_11target_archE1100ELNS1_3gpuE3ELNS1_3repE0EEENS1_30default_config_static_selectorELNS0_4arch9wavefront6targetE0EEEvT1_.numbered_sgpr, 0
	.set _ZN7rocprim17ROCPRIM_400000_NS6detail17trampoline_kernelINS0_14default_configENS1_25partition_config_selectorILNS1_17partition_subalgoE5ElNS0_10empty_typeEbEEZZNS1_14partition_implILS5_5ELb0ES3_mN6hipcub16HIPCUB_304000_NS21CountingInputIteratorIllEEPS6_NSA_22TransformInputIteratorIbN2at6native12_GLOBAL__N_19NonZeroOpIdEEPKdlEENS0_5tupleIJPlS6_EEENSN_IJSD_SD_EEES6_PiJS6_EEE10hipError_tPvRmT3_T4_T5_T6_T7_T9_mT8_P12ihipStream_tbDpT10_ENKUlT_T0_E_clISt17integral_constantIbLb0EES1B_EEDaS16_S17_EUlS16_E_NS1_11comp_targetILNS1_3genE9ELNS1_11target_archE1100ELNS1_3gpuE3ELNS1_3repE0EEENS1_30default_config_static_selectorELNS0_4arch9wavefront6targetE0EEEvT1_.num_named_barrier, 0
	.set _ZN7rocprim17ROCPRIM_400000_NS6detail17trampoline_kernelINS0_14default_configENS1_25partition_config_selectorILNS1_17partition_subalgoE5ElNS0_10empty_typeEbEEZZNS1_14partition_implILS5_5ELb0ES3_mN6hipcub16HIPCUB_304000_NS21CountingInputIteratorIllEEPS6_NSA_22TransformInputIteratorIbN2at6native12_GLOBAL__N_19NonZeroOpIdEEPKdlEENS0_5tupleIJPlS6_EEENSN_IJSD_SD_EEES6_PiJS6_EEE10hipError_tPvRmT3_T4_T5_T6_T7_T9_mT8_P12ihipStream_tbDpT10_ENKUlT_T0_E_clISt17integral_constantIbLb0EES1B_EEDaS16_S17_EUlS16_E_NS1_11comp_targetILNS1_3genE9ELNS1_11target_archE1100ELNS1_3gpuE3ELNS1_3repE0EEENS1_30default_config_static_selectorELNS0_4arch9wavefront6targetE0EEEvT1_.private_seg_size, 0
	.set _ZN7rocprim17ROCPRIM_400000_NS6detail17trampoline_kernelINS0_14default_configENS1_25partition_config_selectorILNS1_17partition_subalgoE5ElNS0_10empty_typeEbEEZZNS1_14partition_implILS5_5ELb0ES3_mN6hipcub16HIPCUB_304000_NS21CountingInputIteratorIllEEPS6_NSA_22TransformInputIteratorIbN2at6native12_GLOBAL__N_19NonZeroOpIdEEPKdlEENS0_5tupleIJPlS6_EEENSN_IJSD_SD_EEES6_PiJS6_EEE10hipError_tPvRmT3_T4_T5_T6_T7_T9_mT8_P12ihipStream_tbDpT10_ENKUlT_T0_E_clISt17integral_constantIbLb0EES1B_EEDaS16_S17_EUlS16_E_NS1_11comp_targetILNS1_3genE9ELNS1_11target_archE1100ELNS1_3gpuE3ELNS1_3repE0EEENS1_30default_config_static_selectorELNS0_4arch9wavefront6targetE0EEEvT1_.uses_vcc, 0
	.set _ZN7rocprim17ROCPRIM_400000_NS6detail17trampoline_kernelINS0_14default_configENS1_25partition_config_selectorILNS1_17partition_subalgoE5ElNS0_10empty_typeEbEEZZNS1_14partition_implILS5_5ELb0ES3_mN6hipcub16HIPCUB_304000_NS21CountingInputIteratorIllEEPS6_NSA_22TransformInputIteratorIbN2at6native12_GLOBAL__N_19NonZeroOpIdEEPKdlEENS0_5tupleIJPlS6_EEENSN_IJSD_SD_EEES6_PiJS6_EEE10hipError_tPvRmT3_T4_T5_T6_T7_T9_mT8_P12ihipStream_tbDpT10_ENKUlT_T0_E_clISt17integral_constantIbLb0EES1B_EEDaS16_S17_EUlS16_E_NS1_11comp_targetILNS1_3genE9ELNS1_11target_archE1100ELNS1_3gpuE3ELNS1_3repE0EEENS1_30default_config_static_selectorELNS0_4arch9wavefront6targetE0EEEvT1_.uses_flat_scratch, 0
	.set _ZN7rocprim17ROCPRIM_400000_NS6detail17trampoline_kernelINS0_14default_configENS1_25partition_config_selectorILNS1_17partition_subalgoE5ElNS0_10empty_typeEbEEZZNS1_14partition_implILS5_5ELb0ES3_mN6hipcub16HIPCUB_304000_NS21CountingInputIteratorIllEEPS6_NSA_22TransformInputIteratorIbN2at6native12_GLOBAL__N_19NonZeroOpIdEEPKdlEENS0_5tupleIJPlS6_EEENSN_IJSD_SD_EEES6_PiJS6_EEE10hipError_tPvRmT3_T4_T5_T6_T7_T9_mT8_P12ihipStream_tbDpT10_ENKUlT_T0_E_clISt17integral_constantIbLb0EES1B_EEDaS16_S17_EUlS16_E_NS1_11comp_targetILNS1_3genE9ELNS1_11target_archE1100ELNS1_3gpuE3ELNS1_3repE0EEENS1_30default_config_static_selectorELNS0_4arch9wavefront6targetE0EEEvT1_.has_dyn_sized_stack, 0
	.set _ZN7rocprim17ROCPRIM_400000_NS6detail17trampoline_kernelINS0_14default_configENS1_25partition_config_selectorILNS1_17partition_subalgoE5ElNS0_10empty_typeEbEEZZNS1_14partition_implILS5_5ELb0ES3_mN6hipcub16HIPCUB_304000_NS21CountingInputIteratorIllEEPS6_NSA_22TransformInputIteratorIbN2at6native12_GLOBAL__N_19NonZeroOpIdEEPKdlEENS0_5tupleIJPlS6_EEENSN_IJSD_SD_EEES6_PiJS6_EEE10hipError_tPvRmT3_T4_T5_T6_T7_T9_mT8_P12ihipStream_tbDpT10_ENKUlT_T0_E_clISt17integral_constantIbLb0EES1B_EEDaS16_S17_EUlS16_E_NS1_11comp_targetILNS1_3genE9ELNS1_11target_archE1100ELNS1_3gpuE3ELNS1_3repE0EEENS1_30default_config_static_selectorELNS0_4arch9wavefront6targetE0EEEvT1_.has_recursion, 0
	.set _ZN7rocprim17ROCPRIM_400000_NS6detail17trampoline_kernelINS0_14default_configENS1_25partition_config_selectorILNS1_17partition_subalgoE5ElNS0_10empty_typeEbEEZZNS1_14partition_implILS5_5ELb0ES3_mN6hipcub16HIPCUB_304000_NS21CountingInputIteratorIllEEPS6_NSA_22TransformInputIteratorIbN2at6native12_GLOBAL__N_19NonZeroOpIdEEPKdlEENS0_5tupleIJPlS6_EEENSN_IJSD_SD_EEES6_PiJS6_EEE10hipError_tPvRmT3_T4_T5_T6_T7_T9_mT8_P12ihipStream_tbDpT10_ENKUlT_T0_E_clISt17integral_constantIbLb0EES1B_EEDaS16_S17_EUlS16_E_NS1_11comp_targetILNS1_3genE9ELNS1_11target_archE1100ELNS1_3gpuE3ELNS1_3repE0EEENS1_30default_config_static_selectorELNS0_4arch9wavefront6targetE0EEEvT1_.has_indirect_call, 0
	.section	.AMDGPU.csdata,"",@progbits
; Kernel info:
; codeLenInByte = 0
; TotalNumSgprs: 0
; NumVgprs: 0
; ScratchSize: 0
; MemoryBound: 0
; FloatMode: 240
; IeeeMode: 1
; LDSByteSize: 0 bytes/workgroup (compile time only)
; SGPRBlocks: 0
; VGPRBlocks: 0
; NumSGPRsForWavesPerEU: 1
; NumVGPRsForWavesPerEU: 1
; Occupancy: 16
; WaveLimiterHint : 0
; COMPUTE_PGM_RSRC2:SCRATCH_EN: 0
; COMPUTE_PGM_RSRC2:USER_SGPR: 2
; COMPUTE_PGM_RSRC2:TRAP_HANDLER: 0
; COMPUTE_PGM_RSRC2:TGID_X_EN: 1
; COMPUTE_PGM_RSRC2:TGID_Y_EN: 0
; COMPUTE_PGM_RSRC2:TGID_Z_EN: 0
; COMPUTE_PGM_RSRC2:TIDIG_COMP_CNT: 0
	.section	.text._ZN7rocprim17ROCPRIM_400000_NS6detail17trampoline_kernelINS0_14default_configENS1_25partition_config_selectorILNS1_17partition_subalgoE5ElNS0_10empty_typeEbEEZZNS1_14partition_implILS5_5ELb0ES3_mN6hipcub16HIPCUB_304000_NS21CountingInputIteratorIllEEPS6_NSA_22TransformInputIteratorIbN2at6native12_GLOBAL__N_19NonZeroOpIdEEPKdlEENS0_5tupleIJPlS6_EEENSN_IJSD_SD_EEES6_PiJS6_EEE10hipError_tPvRmT3_T4_T5_T6_T7_T9_mT8_P12ihipStream_tbDpT10_ENKUlT_T0_E_clISt17integral_constantIbLb0EES1B_EEDaS16_S17_EUlS16_E_NS1_11comp_targetILNS1_3genE8ELNS1_11target_archE1030ELNS1_3gpuE2ELNS1_3repE0EEENS1_30default_config_static_selectorELNS0_4arch9wavefront6targetE0EEEvT1_,"axG",@progbits,_ZN7rocprim17ROCPRIM_400000_NS6detail17trampoline_kernelINS0_14default_configENS1_25partition_config_selectorILNS1_17partition_subalgoE5ElNS0_10empty_typeEbEEZZNS1_14partition_implILS5_5ELb0ES3_mN6hipcub16HIPCUB_304000_NS21CountingInputIteratorIllEEPS6_NSA_22TransformInputIteratorIbN2at6native12_GLOBAL__N_19NonZeroOpIdEEPKdlEENS0_5tupleIJPlS6_EEENSN_IJSD_SD_EEES6_PiJS6_EEE10hipError_tPvRmT3_T4_T5_T6_T7_T9_mT8_P12ihipStream_tbDpT10_ENKUlT_T0_E_clISt17integral_constantIbLb0EES1B_EEDaS16_S17_EUlS16_E_NS1_11comp_targetILNS1_3genE8ELNS1_11target_archE1030ELNS1_3gpuE2ELNS1_3repE0EEENS1_30default_config_static_selectorELNS0_4arch9wavefront6targetE0EEEvT1_,comdat
	.globl	_ZN7rocprim17ROCPRIM_400000_NS6detail17trampoline_kernelINS0_14default_configENS1_25partition_config_selectorILNS1_17partition_subalgoE5ElNS0_10empty_typeEbEEZZNS1_14partition_implILS5_5ELb0ES3_mN6hipcub16HIPCUB_304000_NS21CountingInputIteratorIllEEPS6_NSA_22TransformInputIteratorIbN2at6native12_GLOBAL__N_19NonZeroOpIdEEPKdlEENS0_5tupleIJPlS6_EEENSN_IJSD_SD_EEES6_PiJS6_EEE10hipError_tPvRmT3_T4_T5_T6_T7_T9_mT8_P12ihipStream_tbDpT10_ENKUlT_T0_E_clISt17integral_constantIbLb0EES1B_EEDaS16_S17_EUlS16_E_NS1_11comp_targetILNS1_3genE8ELNS1_11target_archE1030ELNS1_3gpuE2ELNS1_3repE0EEENS1_30default_config_static_selectorELNS0_4arch9wavefront6targetE0EEEvT1_ ; -- Begin function _ZN7rocprim17ROCPRIM_400000_NS6detail17trampoline_kernelINS0_14default_configENS1_25partition_config_selectorILNS1_17partition_subalgoE5ElNS0_10empty_typeEbEEZZNS1_14partition_implILS5_5ELb0ES3_mN6hipcub16HIPCUB_304000_NS21CountingInputIteratorIllEEPS6_NSA_22TransformInputIteratorIbN2at6native12_GLOBAL__N_19NonZeroOpIdEEPKdlEENS0_5tupleIJPlS6_EEENSN_IJSD_SD_EEES6_PiJS6_EEE10hipError_tPvRmT3_T4_T5_T6_T7_T9_mT8_P12ihipStream_tbDpT10_ENKUlT_T0_E_clISt17integral_constantIbLb0EES1B_EEDaS16_S17_EUlS16_E_NS1_11comp_targetILNS1_3genE8ELNS1_11target_archE1030ELNS1_3gpuE2ELNS1_3repE0EEENS1_30default_config_static_selectorELNS0_4arch9wavefront6targetE0EEEvT1_
	.p2align	8
	.type	_ZN7rocprim17ROCPRIM_400000_NS6detail17trampoline_kernelINS0_14default_configENS1_25partition_config_selectorILNS1_17partition_subalgoE5ElNS0_10empty_typeEbEEZZNS1_14partition_implILS5_5ELb0ES3_mN6hipcub16HIPCUB_304000_NS21CountingInputIteratorIllEEPS6_NSA_22TransformInputIteratorIbN2at6native12_GLOBAL__N_19NonZeroOpIdEEPKdlEENS0_5tupleIJPlS6_EEENSN_IJSD_SD_EEES6_PiJS6_EEE10hipError_tPvRmT3_T4_T5_T6_T7_T9_mT8_P12ihipStream_tbDpT10_ENKUlT_T0_E_clISt17integral_constantIbLb0EES1B_EEDaS16_S17_EUlS16_E_NS1_11comp_targetILNS1_3genE8ELNS1_11target_archE1030ELNS1_3gpuE2ELNS1_3repE0EEENS1_30default_config_static_selectorELNS0_4arch9wavefront6targetE0EEEvT1_,@function
_ZN7rocprim17ROCPRIM_400000_NS6detail17trampoline_kernelINS0_14default_configENS1_25partition_config_selectorILNS1_17partition_subalgoE5ElNS0_10empty_typeEbEEZZNS1_14partition_implILS5_5ELb0ES3_mN6hipcub16HIPCUB_304000_NS21CountingInputIteratorIllEEPS6_NSA_22TransformInputIteratorIbN2at6native12_GLOBAL__N_19NonZeroOpIdEEPKdlEENS0_5tupleIJPlS6_EEENSN_IJSD_SD_EEES6_PiJS6_EEE10hipError_tPvRmT3_T4_T5_T6_T7_T9_mT8_P12ihipStream_tbDpT10_ENKUlT_T0_E_clISt17integral_constantIbLb0EES1B_EEDaS16_S17_EUlS16_E_NS1_11comp_targetILNS1_3genE8ELNS1_11target_archE1030ELNS1_3gpuE2ELNS1_3repE0EEENS1_30default_config_static_selectorELNS0_4arch9wavefront6targetE0EEEvT1_: ; @_ZN7rocprim17ROCPRIM_400000_NS6detail17trampoline_kernelINS0_14default_configENS1_25partition_config_selectorILNS1_17partition_subalgoE5ElNS0_10empty_typeEbEEZZNS1_14partition_implILS5_5ELb0ES3_mN6hipcub16HIPCUB_304000_NS21CountingInputIteratorIllEEPS6_NSA_22TransformInputIteratorIbN2at6native12_GLOBAL__N_19NonZeroOpIdEEPKdlEENS0_5tupleIJPlS6_EEENSN_IJSD_SD_EEES6_PiJS6_EEE10hipError_tPvRmT3_T4_T5_T6_T7_T9_mT8_P12ihipStream_tbDpT10_ENKUlT_T0_E_clISt17integral_constantIbLb0EES1B_EEDaS16_S17_EUlS16_E_NS1_11comp_targetILNS1_3genE8ELNS1_11target_archE1030ELNS1_3gpuE2ELNS1_3repE0EEENS1_30default_config_static_selectorELNS0_4arch9wavefront6targetE0EEEvT1_
; %bb.0:
	.section	.rodata,"a",@progbits
	.p2align	6, 0x0
	.amdhsa_kernel _ZN7rocprim17ROCPRIM_400000_NS6detail17trampoline_kernelINS0_14default_configENS1_25partition_config_selectorILNS1_17partition_subalgoE5ElNS0_10empty_typeEbEEZZNS1_14partition_implILS5_5ELb0ES3_mN6hipcub16HIPCUB_304000_NS21CountingInputIteratorIllEEPS6_NSA_22TransformInputIteratorIbN2at6native12_GLOBAL__N_19NonZeroOpIdEEPKdlEENS0_5tupleIJPlS6_EEENSN_IJSD_SD_EEES6_PiJS6_EEE10hipError_tPvRmT3_T4_T5_T6_T7_T9_mT8_P12ihipStream_tbDpT10_ENKUlT_T0_E_clISt17integral_constantIbLb0EES1B_EEDaS16_S17_EUlS16_E_NS1_11comp_targetILNS1_3genE8ELNS1_11target_archE1030ELNS1_3gpuE2ELNS1_3repE0EEENS1_30default_config_static_selectorELNS0_4arch9wavefront6targetE0EEEvT1_
		.amdhsa_group_segment_fixed_size 0
		.amdhsa_private_segment_fixed_size 0
		.amdhsa_kernarg_size 120
		.amdhsa_user_sgpr_count 2
		.amdhsa_user_sgpr_dispatch_ptr 0
		.amdhsa_user_sgpr_queue_ptr 0
		.amdhsa_user_sgpr_kernarg_segment_ptr 1
		.amdhsa_user_sgpr_dispatch_id 0
		.amdhsa_user_sgpr_private_segment_size 0
		.amdhsa_wavefront_size32 1
		.amdhsa_uses_dynamic_stack 0
		.amdhsa_enable_private_segment 0
		.amdhsa_system_sgpr_workgroup_id_x 1
		.amdhsa_system_sgpr_workgroup_id_y 0
		.amdhsa_system_sgpr_workgroup_id_z 0
		.amdhsa_system_sgpr_workgroup_info 0
		.amdhsa_system_vgpr_workitem_id 0
		.amdhsa_next_free_vgpr 1
		.amdhsa_next_free_sgpr 1
		.amdhsa_reserve_vcc 0
		.amdhsa_float_round_mode_32 0
		.amdhsa_float_round_mode_16_64 0
		.amdhsa_float_denorm_mode_32 3
		.amdhsa_float_denorm_mode_16_64 3
		.amdhsa_fp16_overflow 0
		.amdhsa_workgroup_processor_mode 1
		.amdhsa_memory_ordered 1
		.amdhsa_forward_progress 1
		.amdhsa_inst_pref_size 0
		.amdhsa_round_robin_scheduling 0
		.amdhsa_exception_fp_ieee_invalid_op 0
		.amdhsa_exception_fp_denorm_src 0
		.amdhsa_exception_fp_ieee_div_zero 0
		.amdhsa_exception_fp_ieee_overflow 0
		.amdhsa_exception_fp_ieee_underflow 0
		.amdhsa_exception_fp_ieee_inexact 0
		.amdhsa_exception_int_div_zero 0
	.end_amdhsa_kernel
	.section	.text._ZN7rocprim17ROCPRIM_400000_NS6detail17trampoline_kernelINS0_14default_configENS1_25partition_config_selectorILNS1_17partition_subalgoE5ElNS0_10empty_typeEbEEZZNS1_14partition_implILS5_5ELb0ES3_mN6hipcub16HIPCUB_304000_NS21CountingInputIteratorIllEEPS6_NSA_22TransformInputIteratorIbN2at6native12_GLOBAL__N_19NonZeroOpIdEEPKdlEENS0_5tupleIJPlS6_EEENSN_IJSD_SD_EEES6_PiJS6_EEE10hipError_tPvRmT3_T4_T5_T6_T7_T9_mT8_P12ihipStream_tbDpT10_ENKUlT_T0_E_clISt17integral_constantIbLb0EES1B_EEDaS16_S17_EUlS16_E_NS1_11comp_targetILNS1_3genE8ELNS1_11target_archE1030ELNS1_3gpuE2ELNS1_3repE0EEENS1_30default_config_static_selectorELNS0_4arch9wavefront6targetE0EEEvT1_,"axG",@progbits,_ZN7rocprim17ROCPRIM_400000_NS6detail17trampoline_kernelINS0_14default_configENS1_25partition_config_selectorILNS1_17partition_subalgoE5ElNS0_10empty_typeEbEEZZNS1_14partition_implILS5_5ELb0ES3_mN6hipcub16HIPCUB_304000_NS21CountingInputIteratorIllEEPS6_NSA_22TransformInputIteratorIbN2at6native12_GLOBAL__N_19NonZeroOpIdEEPKdlEENS0_5tupleIJPlS6_EEENSN_IJSD_SD_EEES6_PiJS6_EEE10hipError_tPvRmT3_T4_T5_T6_T7_T9_mT8_P12ihipStream_tbDpT10_ENKUlT_T0_E_clISt17integral_constantIbLb0EES1B_EEDaS16_S17_EUlS16_E_NS1_11comp_targetILNS1_3genE8ELNS1_11target_archE1030ELNS1_3gpuE2ELNS1_3repE0EEENS1_30default_config_static_selectorELNS0_4arch9wavefront6targetE0EEEvT1_,comdat
.Lfunc_end397:
	.size	_ZN7rocprim17ROCPRIM_400000_NS6detail17trampoline_kernelINS0_14default_configENS1_25partition_config_selectorILNS1_17partition_subalgoE5ElNS0_10empty_typeEbEEZZNS1_14partition_implILS5_5ELb0ES3_mN6hipcub16HIPCUB_304000_NS21CountingInputIteratorIllEEPS6_NSA_22TransformInputIteratorIbN2at6native12_GLOBAL__N_19NonZeroOpIdEEPKdlEENS0_5tupleIJPlS6_EEENSN_IJSD_SD_EEES6_PiJS6_EEE10hipError_tPvRmT3_T4_T5_T6_T7_T9_mT8_P12ihipStream_tbDpT10_ENKUlT_T0_E_clISt17integral_constantIbLb0EES1B_EEDaS16_S17_EUlS16_E_NS1_11comp_targetILNS1_3genE8ELNS1_11target_archE1030ELNS1_3gpuE2ELNS1_3repE0EEENS1_30default_config_static_selectorELNS0_4arch9wavefront6targetE0EEEvT1_, .Lfunc_end397-_ZN7rocprim17ROCPRIM_400000_NS6detail17trampoline_kernelINS0_14default_configENS1_25partition_config_selectorILNS1_17partition_subalgoE5ElNS0_10empty_typeEbEEZZNS1_14partition_implILS5_5ELb0ES3_mN6hipcub16HIPCUB_304000_NS21CountingInputIteratorIllEEPS6_NSA_22TransformInputIteratorIbN2at6native12_GLOBAL__N_19NonZeroOpIdEEPKdlEENS0_5tupleIJPlS6_EEENSN_IJSD_SD_EEES6_PiJS6_EEE10hipError_tPvRmT3_T4_T5_T6_T7_T9_mT8_P12ihipStream_tbDpT10_ENKUlT_T0_E_clISt17integral_constantIbLb0EES1B_EEDaS16_S17_EUlS16_E_NS1_11comp_targetILNS1_3genE8ELNS1_11target_archE1030ELNS1_3gpuE2ELNS1_3repE0EEENS1_30default_config_static_selectorELNS0_4arch9wavefront6targetE0EEEvT1_
                                        ; -- End function
	.set _ZN7rocprim17ROCPRIM_400000_NS6detail17trampoline_kernelINS0_14default_configENS1_25partition_config_selectorILNS1_17partition_subalgoE5ElNS0_10empty_typeEbEEZZNS1_14partition_implILS5_5ELb0ES3_mN6hipcub16HIPCUB_304000_NS21CountingInputIteratorIllEEPS6_NSA_22TransformInputIteratorIbN2at6native12_GLOBAL__N_19NonZeroOpIdEEPKdlEENS0_5tupleIJPlS6_EEENSN_IJSD_SD_EEES6_PiJS6_EEE10hipError_tPvRmT3_T4_T5_T6_T7_T9_mT8_P12ihipStream_tbDpT10_ENKUlT_T0_E_clISt17integral_constantIbLb0EES1B_EEDaS16_S17_EUlS16_E_NS1_11comp_targetILNS1_3genE8ELNS1_11target_archE1030ELNS1_3gpuE2ELNS1_3repE0EEENS1_30default_config_static_selectorELNS0_4arch9wavefront6targetE0EEEvT1_.num_vgpr, 0
	.set _ZN7rocprim17ROCPRIM_400000_NS6detail17trampoline_kernelINS0_14default_configENS1_25partition_config_selectorILNS1_17partition_subalgoE5ElNS0_10empty_typeEbEEZZNS1_14partition_implILS5_5ELb0ES3_mN6hipcub16HIPCUB_304000_NS21CountingInputIteratorIllEEPS6_NSA_22TransformInputIteratorIbN2at6native12_GLOBAL__N_19NonZeroOpIdEEPKdlEENS0_5tupleIJPlS6_EEENSN_IJSD_SD_EEES6_PiJS6_EEE10hipError_tPvRmT3_T4_T5_T6_T7_T9_mT8_P12ihipStream_tbDpT10_ENKUlT_T0_E_clISt17integral_constantIbLb0EES1B_EEDaS16_S17_EUlS16_E_NS1_11comp_targetILNS1_3genE8ELNS1_11target_archE1030ELNS1_3gpuE2ELNS1_3repE0EEENS1_30default_config_static_selectorELNS0_4arch9wavefront6targetE0EEEvT1_.num_agpr, 0
	.set _ZN7rocprim17ROCPRIM_400000_NS6detail17trampoline_kernelINS0_14default_configENS1_25partition_config_selectorILNS1_17partition_subalgoE5ElNS0_10empty_typeEbEEZZNS1_14partition_implILS5_5ELb0ES3_mN6hipcub16HIPCUB_304000_NS21CountingInputIteratorIllEEPS6_NSA_22TransformInputIteratorIbN2at6native12_GLOBAL__N_19NonZeroOpIdEEPKdlEENS0_5tupleIJPlS6_EEENSN_IJSD_SD_EEES6_PiJS6_EEE10hipError_tPvRmT3_T4_T5_T6_T7_T9_mT8_P12ihipStream_tbDpT10_ENKUlT_T0_E_clISt17integral_constantIbLb0EES1B_EEDaS16_S17_EUlS16_E_NS1_11comp_targetILNS1_3genE8ELNS1_11target_archE1030ELNS1_3gpuE2ELNS1_3repE0EEENS1_30default_config_static_selectorELNS0_4arch9wavefront6targetE0EEEvT1_.numbered_sgpr, 0
	.set _ZN7rocprim17ROCPRIM_400000_NS6detail17trampoline_kernelINS0_14default_configENS1_25partition_config_selectorILNS1_17partition_subalgoE5ElNS0_10empty_typeEbEEZZNS1_14partition_implILS5_5ELb0ES3_mN6hipcub16HIPCUB_304000_NS21CountingInputIteratorIllEEPS6_NSA_22TransformInputIteratorIbN2at6native12_GLOBAL__N_19NonZeroOpIdEEPKdlEENS0_5tupleIJPlS6_EEENSN_IJSD_SD_EEES6_PiJS6_EEE10hipError_tPvRmT3_T4_T5_T6_T7_T9_mT8_P12ihipStream_tbDpT10_ENKUlT_T0_E_clISt17integral_constantIbLb0EES1B_EEDaS16_S17_EUlS16_E_NS1_11comp_targetILNS1_3genE8ELNS1_11target_archE1030ELNS1_3gpuE2ELNS1_3repE0EEENS1_30default_config_static_selectorELNS0_4arch9wavefront6targetE0EEEvT1_.num_named_barrier, 0
	.set _ZN7rocprim17ROCPRIM_400000_NS6detail17trampoline_kernelINS0_14default_configENS1_25partition_config_selectorILNS1_17partition_subalgoE5ElNS0_10empty_typeEbEEZZNS1_14partition_implILS5_5ELb0ES3_mN6hipcub16HIPCUB_304000_NS21CountingInputIteratorIllEEPS6_NSA_22TransformInputIteratorIbN2at6native12_GLOBAL__N_19NonZeroOpIdEEPKdlEENS0_5tupleIJPlS6_EEENSN_IJSD_SD_EEES6_PiJS6_EEE10hipError_tPvRmT3_T4_T5_T6_T7_T9_mT8_P12ihipStream_tbDpT10_ENKUlT_T0_E_clISt17integral_constantIbLb0EES1B_EEDaS16_S17_EUlS16_E_NS1_11comp_targetILNS1_3genE8ELNS1_11target_archE1030ELNS1_3gpuE2ELNS1_3repE0EEENS1_30default_config_static_selectorELNS0_4arch9wavefront6targetE0EEEvT1_.private_seg_size, 0
	.set _ZN7rocprim17ROCPRIM_400000_NS6detail17trampoline_kernelINS0_14default_configENS1_25partition_config_selectorILNS1_17partition_subalgoE5ElNS0_10empty_typeEbEEZZNS1_14partition_implILS5_5ELb0ES3_mN6hipcub16HIPCUB_304000_NS21CountingInputIteratorIllEEPS6_NSA_22TransformInputIteratorIbN2at6native12_GLOBAL__N_19NonZeroOpIdEEPKdlEENS0_5tupleIJPlS6_EEENSN_IJSD_SD_EEES6_PiJS6_EEE10hipError_tPvRmT3_T4_T5_T6_T7_T9_mT8_P12ihipStream_tbDpT10_ENKUlT_T0_E_clISt17integral_constantIbLb0EES1B_EEDaS16_S17_EUlS16_E_NS1_11comp_targetILNS1_3genE8ELNS1_11target_archE1030ELNS1_3gpuE2ELNS1_3repE0EEENS1_30default_config_static_selectorELNS0_4arch9wavefront6targetE0EEEvT1_.uses_vcc, 0
	.set _ZN7rocprim17ROCPRIM_400000_NS6detail17trampoline_kernelINS0_14default_configENS1_25partition_config_selectorILNS1_17partition_subalgoE5ElNS0_10empty_typeEbEEZZNS1_14partition_implILS5_5ELb0ES3_mN6hipcub16HIPCUB_304000_NS21CountingInputIteratorIllEEPS6_NSA_22TransformInputIteratorIbN2at6native12_GLOBAL__N_19NonZeroOpIdEEPKdlEENS0_5tupleIJPlS6_EEENSN_IJSD_SD_EEES6_PiJS6_EEE10hipError_tPvRmT3_T4_T5_T6_T7_T9_mT8_P12ihipStream_tbDpT10_ENKUlT_T0_E_clISt17integral_constantIbLb0EES1B_EEDaS16_S17_EUlS16_E_NS1_11comp_targetILNS1_3genE8ELNS1_11target_archE1030ELNS1_3gpuE2ELNS1_3repE0EEENS1_30default_config_static_selectorELNS0_4arch9wavefront6targetE0EEEvT1_.uses_flat_scratch, 0
	.set _ZN7rocprim17ROCPRIM_400000_NS6detail17trampoline_kernelINS0_14default_configENS1_25partition_config_selectorILNS1_17partition_subalgoE5ElNS0_10empty_typeEbEEZZNS1_14partition_implILS5_5ELb0ES3_mN6hipcub16HIPCUB_304000_NS21CountingInputIteratorIllEEPS6_NSA_22TransformInputIteratorIbN2at6native12_GLOBAL__N_19NonZeroOpIdEEPKdlEENS0_5tupleIJPlS6_EEENSN_IJSD_SD_EEES6_PiJS6_EEE10hipError_tPvRmT3_T4_T5_T6_T7_T9_mT8_P12ihipStream_tbDpT10_ENKUlT_T0_E_clISt17integral_constantIbLb0EES1B_EEDaS16_S17_EUlS16_E_NS1_11comp_targetILNS1_3genE8ELNS1_11target_archE1030ELNS1_3gpuE2ELNS1_3repE0EEENS1_30default_config_static_selectorELNS0_4arch9wavefront6targetE0EEEvT1_.has_dyn_sized_stack, 0
	.set _ZN7rocprim17ROCPRIM_400000_NS6detail17trampoline_kernelINS0_14default_configENS1_25partition_config_selectorILNS1_17partition_subalgoE5ElNS0_10empty_typeEbEEZZNS1_14partition_implILS5_5ELb0ES3_mN6hipcub16HIPCUB_304000_NS21CountingInputIteratorIllEEPS6_NSA_22TransformInputIteratorIbN2at6native12_GLOBAL__N_19NonZeroOpIdEEPKdlEENS0_5tupleIJPlS6_EEENSN_IJSD_SD_EEES6_PiJS6_EEE10hipError_tPvRmT3_T4_T5_T6_T7_T9_mT8_P12ihipStream_tbDpT10_ENKUlT_T0_E_clISt17integral_constantIbLb0EES1B_EEDaS16_S17_EUlS16_E_NS1_11comp_targetILNS1_3genE8ELNS1_11target_archE1030ELNS1_3gpuE2ELNS1_3repE0EEENS1_30default_config_static_selectorELNS0_4arch9wavefront6targetE0EEEvT1_.has_recursion, 0
	.set _ZN7rocprim17ROCPRIM_400000_NS6detail17trampoline_kernelINS0_14default_configENS1_25partition_config_selectorILNS1_17partition_subalgoE5ElNS0_10empty_typeEbEEZZNS1_14partition_implILS5_5ELb0ES3_mN6hipcub16HIPCUB_304000_NS21CountingInputIteratorIllEEPS6_NSA_22TransformInputIteratorIbN2at6native12_GLOBAL__N_19NonZeroOpIdEEPKdlEENS0_5tupleIJPlS6_EEENSN_IJSD_SD_EEES6_PiJS6_EEE10hipError_tPvRmT3_T4_T5_T6_T7_T9_mT8_P12ihipStream_tbDpT10_ENKUlT_T0_E_clISt17integral_constantIbLb0EES1B_EEDaS16_S17_EUlS16_E_NS1_11comp_targetILNS1_3genE8ELNS1_11target_archE1030ELNS1_3gpuE2ELNS1_3repE0EEENS1_30default_config_static_selectorELNS0_4arch9wavefront6targetE0EEEvT1_.has_indirect_call, 0
	.section	.AMDGPU.csdata,"",@progbits
; Kernel info:
; codeLenInByte = 0
; TotalNumSgprs: 0
; NumVgprs: 0
; ScratchSize: 0
; MemoryBound: 0
; FloatMode: 240
; IeeeMode: 1
; LDSByteSize: 0 bytes/workgroup (compile time only)
; SGPRBlocks: 0
; VGPRBlocks: 0
; NumSGPRsForWavesPerEU: 1
; NumVGPRsForWavesPerEU: 1
; Occupancy: 16
; WaveLimiterHint : 0
; COMPUTE_PGM_RSRC2:SCRATCH_EN: 0
; COMPUTE_PGM_RSRC2:USER_SGPR: 2
; COMPUTE_PGM_RSRC2:TRAP_HANDLER: 0
; COMPUTE_PGM_RSRC2:TGID_X_EN: 1
; COMPUTE_PGM_RSRC2:TGID_Y_EN: 0
; COMPUTE_PGM_RSRC2:TGID_Z_EN: 0
; COMPUTE_PGM_RSRC2:TIDIG_COMP_CNT: 0
	.section	.text._ZN7rocprim17ROCPRIM_400000_NS6detail17trampoline_kernelINS0_14default_configENS1_25partition_config_selectorILNS1_17partition_subalgoE5ElNS0_10empty_typeEbEEZZNS1_14partition_implILS5_5ELb0ES3_mN6hipcub16HIPCUB_304000_NS21CountingInputIteratorIllEEPS6_NSA_22TransformInputIteratorIbN2at6native12_GLOBAL__N_19NonZeroOpIdEEPKdlEENS0_5tupleIJPlS6_EEENSN_IJSD_SD_EEES6_PiJS6_EEE10hipError_tPvRmT3_T4_T5_T6_T7_T9_mT8_P12ihipStream_tbDpT10_ENKUlT_T0_E_clISt17integral_constantIbLb1EES1B_EEDaS16_S17_EUlS16_E_NS1_11comp_targetILNS1_3genE0ELNS1_11target_archE4294967295ELNS1_3gpuE0ELNS1_3repE0EEENS1_30default_config_static_selectorELNS0_4arch9wavefront6targetE0EEEvT1_,"axG",@progbits,_ZN7rocprim17ROCPRIM_400000_NS6detail17trampoline_kernelINS0_14default_configENS1_25partition_config_selectorILNS1_17partition_subalgoE5ElNS0_10empty_typeEbEEZZNS1_14partition_implILS5_5ELb0ES3_mN6hipcub16HIPCUB_304000_NS21CountingInputIteratorIllEEPS6_NSA_22TransformInputIteratorIbN2at6native12_GLOBAL__N_19NonZeroOpIdEEPKdlEENS0_5tupleIJPlS6_EEENSN_IJSD_SD_EEES6_PiJS6_EEE10hipError_tPvRmT3_T4_T5_T6_T7_T9_mT8_P12ihipStream_tbDpT10_ENKUlT_T0_E_clISt17integral_constantIbLb1EES1B_EEDaS16_S17_EUlS16_E_NS1_11comp_targetILNS1_3genE0ELNS1_11target_archE4294967295ELNS1_3gpuE0ELNS1_3repE0EEENS1_30default_config_static_selectorELNS0_4arch9wavefront6targetE0EEEvT1_,comdat
	.globl	_ZN7rocprim17ROCPRIM_400000_NS6detail17trampoline_kernelINS0_14default_configENS1_25partition_config_selectorILNS1_17partition_subalgoE5ElNS0_10empty_typeEbEEZZNS1_14partition_implILS5_5ELb0ES3_mN6hipcub16HIPCUB_304000_NS21CountingInputIteratorIllEEPS6_NSA_22TransformInputIteratorIbN2at6native12_GLOBAL__N_19NonZeroOpIdEEPKdlEENS0_5tupleIJPlS6_EEENSN_IJSD_SD_EEES6_PiJS6_EEE10hipError_tPvRmT3_T4_T5_T6_T7_T9_mT8_P12ihipStream_tbDpT10_ENKUlT_T0_E_clISt17integral_constantIbLb1EES1B_EEDaS16_S17_EUlS16_E_NS1_11comp_targetILNS1_3genE0ELNS1_11target_archE4294967295ELNS1_3gpuE0ELNS1_3repE0EEENS1_30default_config_static_selectorELNS0_4arch9wavefront6targetE0EEEvT1_ ; -- Begin function _ZN7rocprim17ROCPRIM_400000_NS6detail17trampoline_kernelINS0_14default_configENS1_25partition_config_selectorILNS1_17partition_subalgoE5ElNS0_10empty_typeEbEEZZNS1_14partition_implILS5_5ELb0ES3_mN6hipcub16HIPCUB_304000_NS21CountingInputIteratorIllEEPS6_NSA_22TransformInputIteratorIbN2at6native12_GLOBAL__N_19NonZeroOpIdEEPKdlEENS0_5tupleIJPlS6_EEENSN_IJSD_SD_EEES6_PiJS6_EEE10hipError_tPvRmT3_T4_T5_T6_T7_T9_mT8_P12ihipStream_tbDpT10_ENKUlT_T0_E_clISt17integral_constantIbLb1EES1B_EEDaS16_S17_EUlS16_E_NS1_11comp_targetILNS1_3genE0ELNS1_11target_archE4294967295ELNS1_3gpuE0ELNS1_3repE0EEENS1_30default_config_static_selectorELNS0_4arch9wavefront6targetE0EEEvT1_
	.p2align	8
	.type	_ZN7rocprim17ROCPRIM_400000_NS6detail17trampoline_kernelINS0_14default_configENS1_25partition_config_selectorILNS1_17partition_subalgoE5ElNS0_10empty_typeEbEEZZNS1_14partition_implILS5_5ELb0ES3_mN6hipcub16HIPCUB_304000_NS21CountingInputIteratorIllEEPS6_NSA_22TransformInputIteratorIbN2at6native12_GLOBAL__N_19NonZeroOpIdEEPKdlEENS0_5tupleIJPlS6_EEENSN_IJSD_SD_EEES6_PiJS6_EEE10hipError_tPvRmT3_T4_T5_T6_T7_T9_mT8_P12ihipStream_tbDpT10_ENKUlT_T0_E_clISt17integral_constantIbLb1EES1B_EEDaS16_S17_EUlS16_E_NS1_11comp_targetILNS1_3genE0ELNS1_11target_archE4294967295ELNS1_3gpuE0ELNS1_3repE0EEENS1_30default_config_static_selectorELNS0_4arch9wavefront6targetE0EEEvT1_,@function
_ZN7rocprim17ROCPRIM_400000_NS6detail17trampoline_kernelINS0_14default_configENS1_25partition_config_selectorILNS1_17partition_subalgoE5ElNS0_10empty_typeEbEEZZNS1_14partition_implILS5_5ELb0ES3_mN6hipcub16HIPCUB_304000_NS21CountingInputIteratorIllEEPS6_NSA_22TransformInputIteratorIbN2at6native12_GLOBAL__N_19NonZeroOpIdEEPKdlEENS0_5tupleIJPlS6_EEENSN_IJSD_SD_EEES6_PiJS6_EEE10hipError_tPvRmT3_T4_T5_T6_T7_T9_mT8_P12ihipStream_tbDpT10_ENKUlT_T0_E_clISt17integral_constantIbLb1EES1B_EEDaS16_S17_EUlS16_E_NS1_11comp_targetILNS1_3genE0ELNS1_11target_archE4294967295ELNS1_3gpuE0ELNS1_3repE0EEENS1_30default_config_static_selectorELNS0_4arch9wavefront6targetE0EEEvT1_: ; @_ZN7rocprim17ROCPRIM_400000_NS6detail17trampoline_kernelINS0_14default_configENS1_25partition_config_selectorILNS1_17partition_subalgoE5ElNS0_10empty_typeEbEEZZNS1_14partition_implILS5_5ELb0ES3_mN6hipcub16HIPCUB_304000_NS21CountingInputIteratorIllEEPS6_NSA_22TransformInputIteratorIbN2at6native12_GLOBAL__N_19NonZeroOpIdEEPKdlEENS0_5tupleIJPlS6_EEENSN_IJSD_SD_EEES6_PiJS6_EEE10hipError_tPvRmT3_T4_T5_T6_T7_T9_mT8_P12ihipStream_tbDpT10_ENKUlT_T0_E_clISt17integral_constantIbLb1EES1B_EEDaS16_S17_EUlS16_E_NS1_11comp_targetILNS1_3genE0ELNS1_11target_archE4294967295ELNS1_3gpuE0ELNS1_3repE0EEENS1_30default_config_static_selectorELNS0_4arch9wavefront6targetE0EEEvT1_
; %bb.0:
	.section	.rodata,"a",@progbits
	.p2align	6, 0x0
	.amdhsa_kernel _ZN7rocprim17ROCPRIM_400000_NS6detail17trampoline_kernelINS0_14default_configENS1_25partition_config_selectorILNS1_17partition_subalgoE5ElNS0_10empty_typeEbEEZZNS1_14partition_implILS5_5ELb0ES3_mN6hipcub16HIPCUB_304000_NS21CountingInputIteratorIllEEPS6_NSA_22TransformInputIteratorIbN2at6native12_GLOBAL__N_19NonZeroOpIdEEPKdlEENS0_5tupleIJPlS6_EEENSN_IJSD_SD_EEES6_PiJS6_EEE10hipError_tPvRmT3_T4_T5_T6_T7_T9_mT8_P12ihipStream_tbDpT10_ENKUlT_T0_E_clISt17integral_constantIbLb1EES1B_EEDaS16_S17_EUlS16_E_NS1_11comp_targetILNS1_3genE0ELNS1_11target_archE4294967295ELNS1_3gpuE0ELNS1_3repE0EEENS1_30default_config_static_selectorELNS0_4arch9wavefront6targetE0EEEvT1_
		.amdhsa_group_segment_fixed_size 0
		.amdhsa_private_segment_fixed_size 0
		.amdhsa_kernarg_size 136
		.amdhsa_user_sgpr_count 2
		.amdhsa_user_sgpr_dispatch_ptr 0
		.amdhsa_user_sgpr_queue_ptr 0
		.amdhsa_user_sgpr_kernarg_segment_ptr 1
		.amdhsa_user_sgpr_dispatch_id 0
		.amdhsa_user_sgpr_private_segment_size 0
		.amdhsa_wavefront_size32 1
		.amdhsa_uses_dynamic_stack 0
		.amdhsa_enable_private_segment 0
		.amdhsa_system_sgpr_workgroup_id_x 1
		.amdhsa_system_sgpr_workgroup_id_y 0
		.amdhsa_system_sgpr_workgroup_id_z 0
		.amdhsa_system_sgpr_workgroup_info 0
		.amdhsa_system_vgpr_workitem_id 0
		.amdhsa_next_free_vgpr 1
		.amdhsa_next_free_sgpr 1
		.amdhsa_reserve_vcc 0
		.amdhsa_float_round_mode_32 0
		.amdhsa_float_round_mode_16_64 0
		.amdhsa_float_denorm_mode_32 3
		.amdhsa_float_denorm_mode_16_64 3
		.amdhsa_fp16_overflow 0
		.amdhsa_workgroup_processor_mode 1
		.amdhsa_memory_ordered 1
		.amdhsa_forward_progress 1
		.amdhsa_inst_pref_size 0
		.amdhsa_round_robin_scheduling 0
		.amdhsa_exception_fp_ieee_invalid_op 0
		.amdhsa_exception_fp_denorm_src 0
		.amdhsa_exception_fp_ieee_div_zero 0
		.amdhsa_exception_fp_ieee_overflow 0
		.amdhsa_exception_fp_ieee_underflow 0
		.amdhsa_exception_fp_ieee_inexact 0
		.amdhsa_exception_int_div_zero 0
	.end_amdhsa_kernel
	.section	.text._ZN7rocprim17ROCPRIM_400000_NS6detail17trampoline_kernelINS0_14default_configENS1_25partition_config_selectorILNS1_17partition_subalgoE5ElNS0_10empty_typeEbEEZZNS1_14partition_implILS5_5ELb0ES3_mN6hipcub16HIPCUB_304000_NS21CountingInputIteratorIllEEPS6_NSA_22TransformInputIteratorIbN2at6native12_GLOBAL__N_19NonZeroOpIdEEPKdlEENS0_5tupleIJPlS6_EEENSN_IJSD_SD_EEES6_PiJS6_EEE10hipError_tPvRmT3_T4_T5_T6_T7_T9_mT8_P12ihipStream_tbDpT10_ENKUlT_T0_E_clISt17integral_constantIbLb1EES1B_EEDaS16_S17_EUlS16_E_NS1_11comp_targetILNS1_3genE0ELNS1_11target_archE4294967295ELNS1_3gpuE0ELNS1_3repE0EEENS1_30default_config_static_selectorELNS0_4arch9wavefront6targetE0EEEvT1_,"axG",@progbits,_ZN7rocprim17ROCPRIM_400000_NS6detail17trampoline_kernelINS0_14default_configENS1_25partition_config_selectorILNS1_17partition_subalgoE5ElNS0_10empty_typeEbEEZZNS1_14partition_implILS5_5ELb0ES3_mN6hipcub16HIPCUB_304000_NS21CountingInputIteratorIllEEPS6_NSA_22TransformInputIteratorIbN2at6native12_GLOBAL__N_19NonZeroOpIdEEPKdlEENS0_5tupleIJPlS6_EEENSN_IJSD_SD_EEES6_PiJS6_EEE10hipError_tPvRmT3_T4_T5_T6_T7_T9_mT8_P12ihipStream_tbDpT10_ENKUlT_T0_E_clISt17integral_constantIbLb1EES1B_EEDaS16_S17_EUlS16_E_NS1_11comp_targetILNS1_3genE0ELNS1_11target_archE4294967295ELNS1_3gpuE0ELNS1_3repE0EEENS1_30default_config_static_selectorELNS0_4arch9wavefront6targetE0EEEvT1_,comdat
.Lfunc_end398:
	.size	_ZN7rocprim17ROCPRIM_400000_NS6detail17trampoline_kernelINS0_14default_configENS1_25partition_config_selectorILNS1_17partition_subalgoE5ElNS0_10empty_typeEbEEZZNS1_14partition_implILS5_5ELb0ES3_mN6hipcub16HIPCUB_304000_NS21CountingInputIteratorIllEEPS6_NSA_22TransformInputIteratorIbN2at6native12_GLOBAL__N_19NonZeroOpIdEEPKdlEENS0_5tupleIJPlS6_EEENSN_IJSD_SD_EEES6_PiJS6_EEE10hipError_tPvRmT3_T4_T5_T6_T7_T9_mT8_P12ihipStream_tbDpT10_ENKUlT_T0_E_clISt17integral_constantIbLb1EES1B_EEDaS16_S17_EUlS16_E_NS1_11comp_targetILNS1_3genE0ELNS1_11target_archE4294967295ELNS1_3gpuE0ELNS1_3repE0EEENS1_30default_config_static_selectorELNS0_4arch9wavefront6targetE0EEEvT1_, .Lfunc_end398-_ZN7rocprim17ROCPRIM_400000_NS6detail17trampoline_kernelINS0_14default_configENS1_25partition_config_selectorILNS1_17partition_subalgoE5ElNS0_10empty_typeEbEEZZNS1_14partition_implILS5_5ELb0ES3_mN6hipcub16HIPCUB_304000_NS21CountingInputIteratorIllEEPS6_NSA_22TransformInputIteratorIbN2at6native12_GLOBAL__N_19NonZeroOpIdEEPKdlEENS0_5tupleIJPlS6_EEENSN_IJSD_SD_EEES6_PiJS6_EEE10hipError_tPvRmT3_T4_T5_T6_T7_T9_mT8_P12ihipStream_tbDpT10_ENKUlT_T0_E_clISt17integral_constantIbLb1EES1B_EEDaS16_S17_EUlS16_E_NS1_11comp_targetILNS1_3genE0ELNS1_11target_archE4294967295ELNS1_3gpuE0ELNS1_3repE0EEENS1_30default_config_static_selectorELNS0_4arch9wavefront6targetE0EEEvT1_
                                        ; -- End function
	.set _ZN7rocprim17ROCPRIM_400000_NS6detail17trampoline_kernelINS0_14default_configENS1_25partition_config_selectorILNS1_17partition_subalgoE5ElNS0_10empty_typeEbEEZZNS1_14partition_implILS5_5ELb0ES3_mN6hipcub16HIPCUB_304000_NS21CountingInputIteratorIllEEPS6_NSA_22TransformInputIteratorIbN2at6native12_GLOBAL__N_19NonZeroOpIdEEPKdlEENS0_5tupleIJPlS6_EEENSN_IJSD_SD_EEES6_PiJS6_EEE10hipError_tPvRmT3_T4_T5_T6_T7_T9_mT8_P12ihipStream_tbDpT10_ENKUlT_T0_E_clISt17integral_constantIbLb1EES1B_EEDaS16_S17_EUlS16_E_NS1_11comp_targetILNS1_3genE0ELNS1_11target_archE4294967295ELNS1_3gpuE0ELNS1_3repE0EEENS1_30default_config_static_selectorELNS0_4arch9wavefront6targetE0EEEvT1_.num_vgpr, 0
	.set _ZN7rocprim17ROCPRIM_400000_NS6detail17trampoline_kernelINS0_14default_configENS1_25partition_config_selectorILNS1_17partition_subalgoE5ElNS0_10empty_typeEbEEZZNS1_14partition_implILS5_5ELb0ES3_mN6hipcub16HIPCUB_304000_NS21CountingInputIteratorIllEEPS6_NSA_22TransformInputIteratorIbN2at6native12_GLOBAL__N_19NonZeroOpIdEEPKdlEENS0_5tupleIJPlS6_EEENSN_IJSD_SD_EEES6_PiJS6_EEE10hipError_tPvRmT3_T4_T5_T6_T7_T9_mT8_P12ihipStream_tbDpT10_ENKUlT_T0_E_clISt17integral_constantIbLb1EES1B_EEDaS16_S17_EUlS16_E_NS1_11comp_targetILNS1_3genE0ELNS1_11target_archE4294967295ELNS1_3gpuE0ELNS1_3repE0EEENS1_30default_config_static_selectorELNS0_4arch9wavefront6targetE0EEEvT1_.num_agpr, 0
	.set _ZN7rocprim17ROCPRIM_400000_NS6detail17trampoline_kernelINS0_14default_configENS1_25partition_config_selectorILNS1_17partition_subalgoE5ElNS0_10empty_typeEbEEZZNS1_14partition_implILS5_5ELb0ES3_mN6hipcub16HIPCUB_304000_NS21CountingInputIteratorIllEEPS6_NSA_22TransformInputIteratorIbN2at6native12_GLOBAL__N_19NonZeroOpIdEEPKdlEENS0_5tupleIJPlS6_EEENSN_IJSD_SD_EEES6_PiJS6_EEE10hipError_tPvRmT3_T4_T5_T6_T7_T9_mT8_P12ihipStream_tbDpT10_ENKUlT_T0_E_clISt17integral_constantIbLb1EES1B_EEDaS16_S17_EUlS16_E_NS1_11comp_targetILNS1_3genE0ELNS1_11target_archE4294967295ELNS1_3gpuE0ELNS1_3repE0EEENS1_30default_config_static_selectorELNS0_4arch9wavefront6targetE0EEEvT1_.numbered_sgpr, 0
	.set _ZN7rocprim17ROCPRIM_400000_NS6detail17trampoline_kernelINS0_14default_configENS1_25partition_config_selectorILNS1_17partition_subalgoE5ElNS0_10empty_typeEbEEZZNS1_14partition_implILS5_5ELb0ES3_mN6hipcub16HIPCUB_304000_NS21CountingInputIteratorIllEEPS6_NSA_22TransformInputIteratorIbN2at6native12_GLOBAL__N_19NonZeroOpIdEEPKdlEENS0_5tupleIJPlS6_EEENSN_IJSD_SD_EEES6_PiJS6_EEE10hipError_tPvRmT3_T4_T5_T6_T7_T9_mT8_P12ihipStream_tbDpT10_ENKUlT_T0_E_clISt17integral_constantIbLb1EES1B_EEDaS16_S17_EUlS16_E_NS1_11comp_targetILNS1_3genE0ELNS1_11target_archE4294967295ELNS1_3gpuE0ELNS1_3repE0EEENS1_30default_config_static_selectorELNS0_4arch9wavefront6targetE0EEEvT1_.num_named_barrier, 0
	.set _ZN7rocprim17ROCPRIM_400000_NS6detail17trampoline_kernelINS0_14default_configENS1_25partition_config_selectorILNS1_17partition_subalgoE5ElNS0_10empty_typeEbEEZZNS1_14partition_implILS5_5ELb0ES3_mN6hipcub16HIPCUB_304000_NS21CountingInputIteratorIllEEPS6_NSA_22TransformInputIteratorIbN2at6native12_GLOBAL__N_19NonZeroOpIdEEPKdlEENS0_5tupleIJPlS6_EEENSN_IJSD_SD_EEES6_PiJS6_EEE10hipError_tPvRmT3_T4_T5_T6_T7_T9_mT8_P12ihipStream_tbDpT10_ENKUlT_T0_E_clISt17integral_constantIbLb1EES1B_EEDaS16_S17_EUlS16_E_NS1_11comp_targetILNS1_3genE0ELNS1_11target_archE4294967295ELNS1_3gpuE0ELNS1_3repE0EEENS1_30default_config_static_selectorELNS0_4arch9wavefront6targetE0EEEvT1_.private_seg_size, 0
	.set _ZN7rocprim17ROCPRIM_400000_NS6detail17trampoline_kernelINS0_14default_configENS1_25partition_config_selectorILNS1_17partition_subalgoE5ElNS0_10empty_typeEbEEZZNS1_14partition_implILS5_5ELb0ES3_mN6hipcub16HIPCUB_304000_NS21CountingInputIteratorIllEEPS6_NSA_22TransformInputIteratorIbN2at6native12_GLOBAL__N_19NonZeroOpIdEEPKdlEENS0_5tupleIJPlS6_EEENSN_IJSD_SD_EEES6_PiJS6_EEE10hipError_tPvRmT3_T4_T5_T6_T7_T9_mT8_P12ihipStream_tbDpT10_ENKUlT_T0_E_clISt17integral_constantIbLb1EES1B_EEDaS16_S17_EUlS16_E_NS1_11comp_targetILNS1_3genE0ELNS1_11target_archE4294967295ELNS1_3gpuE0ELNS1_3repE0EEENS1_30default_config_static_selectorELNS0_4arch9wavefront6targetE0EEEvT1_.uses_vcc, 0
	.set _ZN7rocprim17ROCPRIM_400000_NS6detail17trampoline_kernelINS0_14default_configENS1_25partition_config_selectorILNS1_17partition_subalgoE5ElNS0_10empty_typeEbEEZZNS1_14partition_implILS5_5ELb0ES3_mN6hipcub16HIPCUB_304000_NS21CountingInputIteratorIllEEPS6_NSA_22TransformInputIteratorIbN2at6native12_GLOBAL__N_19NonZeroOpIdEEPKdlEENS0_5tupleIJPlS6_EEENSN_IJSD_SD_EEES6_PiJS6_EEE10hipError_tPvRmT3_T4_T5_T6_T7_T9_mT8_P12ihipStream_tbDpT10_ENKUlT_T0_E_clISt17integral_constantIbLb1EES1B_EEDaS16_S17_EUlS16_E_NS1_11comp_targetILNS1_3genE0ELNS1_11target_archE4294967295ELNS1_3gpuE0ELNS1_3repE0EEENS1_30default_config_static_selectorELNS0_4arch9wavefront6targetE0EEEvT1_.uses_flat_scratch, 0
	.set _ZN7rocprim17ROCPRIM_400000_NS6detail17trampoline_kernelINS0_14default_configENS1_25partition_config_selectorILNS1_17partition_subalgoE5ElNS0_10empty_typeEbEEZZNS1_14partition_implILS5_5ELb0ES3_mN6hipcub16HIPCUB_304000_NS21CountingInputIteratorIllEEPS6_NSA_22TransformInputIteratorIbN2at6native12_GLOBAL__N_19NonZeroOpIdEEPKdlEENS0_5tupleIJPlS6_EEENSN_IJSD_SD_EEES6_PiJS6_EEE10hipError_tPvRmT3_T4_T5_T6_T7_T9_mT8_P12ihipStream_tbDpT10_ENKUlT_T0_E_clISt17integral_constantIbLb1EES1B_EEDaS16_S17_EUlS16_E_NS1_11comp_targetILNS1_3genE0ELNS1_11target_archE4294967295ELNS1_3gpuE0ELNS1_3repE0EEENS1_30default_config_static_selectorELNS0_4arch9wavefront6targetE0EEEvT1_.has_dyn_sized_stack, 0
	.set _ZN7rocprim17ROCPRIM_400000_NS6detail17trampoline_kernelINS0_14default_configENS1_25partition_config_selectorILNS1_17partition_subalgoE5ElNS0_10empty_typeEbEEZZNS1_14partition_implILS5_5ELb0ES3_mN6hipcub16HIPCUB_304000_NS21CountingInputIteratorIllEEPS6_NSA_22TransformInputIteratorIbN2at6native12_GLOBAL__N_19NonZeroOpIdEEPKdlEENS0_5tupleIJPlS6_EEENSN_IJSD_SD_EEES6_PiJS6_EEE10hipError_tPvRmT3_T4_T5_T6_T7_T9_mT8_P12ihipStream_tbDpT10_ENKUlT_T0_E_clISt17integral_constantIbLb1EES1B_EEDaS16_S17_EUlS16_E_NS1_11comp_targetILNS1_3genE0ELNS1_11target_archE4294967295ELNS1_3gpuE0ELNS1_3repE0EEENS1_30default_config_static_selectorELNS0_4arch9wavefront6targetE0EEEvT1_.has_recursion, 0
	.set _ZN7rocprim17ROCPRIM_400000_NS6detail17trampoline_kernelINS0_14default_configENS1_25partition_config_selectorILNS1_17partition_subalgoE5ElNS0_10empty_typeEbEEZZNS1_14partition_implILS5_5ELb0ES3_mN6hipcub16HIPCUB_304000_NS21CountingInputIteratorIllEEPS6_NSA_22TransformInputIteratorIbN2at6native12_GLOBAL__N_19NonZeroOpIdEEPKdlEENS0_5tupleIJPlS6_EEENSN_IJSD_SD_EEES6_PiJS6_EEE10hipError_tPvRmT3_T4_T5_T6_T7_T9_mT8_P12ihipStream_tbDpT10_ENKUlT_T0_E_clISt17integral_constantIbLb1EES1B_EEDaS16_S17_EUlS16_E_NS1_11comp_targetILNS1_3genE0ELNS1_11target_archE4294967295ELNS1_3gpuE0ELNS1_3repE0EEENS1_30default_config_static_selectorELNS0_4arch9wavefront6targetE0EEEvT1_.has_indirect_call, 0
	.section	.AMDGPU.csdata,"",@progbits
; Kernel info:
; codeLenInByte = 0
; TotalNumSgprs: 0
; NumVgprs: 0
; ScratchSize: 0
; MemoryBound: 0
; FloatMode: 240
; IeeeMode: 1
; LDSByteSize: 0 bytes/workgroup (compile time only)
; SGPRBlocks: 0
; VGPRBlocks: 0
; NumSGPRsForWavesPerEU: 1
; NumVGPRsForWavesPerEU: 1
; Occupancy: 16
; WaveLimiterHint : 0
; COMPUTE_PGM_RSRC2:SCRATCH_EN: 0
; COMPUTE_PGM_RSRC2:USER_SGPR: 2
; COMPUTE_PGM_RSRC2:TRAP_HANDLER: 0
; COMPUTE_PGM_RSRC2:TGID_X_EN: 1
; COMPUTE_PGM_RSRC2:TGID_Y_EN: 0
; COMPUTE_PGM_RSRC2:TGID_Z_EN: 0
; COMPUTE_PGM_RSRC2:TIDIG_COMP_CNT: 0
	.section	.text._ZN7rocprim17ROCPRIM_400000_NS6detail17trampoline_kernelINS0_14default_configENS1_25partition_config_selectorILNS1_17partition_subalgoE5ElNS0_10empty_typeEbEEZZNS1_14partition_implILS5_5ELb0ES3_mN6hipcub16HIPCUB_304000_NS21CountingInputIteratorIllEEPS6_NSA_22TransformInputIteratorIbN2at6native12_GLOBAL__N_19NonZeroOpIdEEPKdlEENS0_5tupleIJPlS6_EEENSN_IJSD_SD_EEES6_PiJS6_EEE10hipError_tPvRmT3_T4_T5_T6_T7_T9_mT8_P12ihipStream_tbDpT10_ENKUlT_T0_E_clISt17integral_constantIbLb1EES1B_EEDaS16_S17_EUlS16_E_NS1_11comp_targetILNS1_3genE5ELNS1_11target_archE942ELNS1_3gpuE9ELNS1_3repE0EEENS1_30default_config_static_selectorELNS0_4arch9wavefront6targetE0EEEvT1_,"axG",@progbits,_ZN7rocprim17ROCPRIM_400000_NS6detail17trampoline_kernelINS0_14default_configENS1_25partition_config_selectorILNS1_17partition_subalgoE5ElNS0_10empty_typeEbEEZZNS1_14partition_implILS5_5ELb0ES3_mN6hipcub16HIPCUB_304000_NS21CountingInputIteratorIllEEPS6_NSA_22TransformInputIteratorIbN2at6native12_GLOBAL__N_19NonZeroOpIdEEPKdlEENS0_5tupleIJPlS6_EEENSN_IJSD_SD_EEES6_PiJS6_EEE10hipError_tPvRmT3_T4_T5_T6_T7_T9_mT8_P12ihipStream_tbDpT10_ENKUlT_T0_E_clISt17integral_constantIbLb1EES1B_EEDaS16_S17_EUlS16_E_NS1_11comp_targetILNS1_3genE5ELNS1_11target_archE942ELNS1_3gpuE9ELNS1_3repE0EEENS1_30default_config_static_selectorELNS0_4arch9wavefront6targetE0EEEvT1_,comdat
	.globl	_ZN7rocprim17ROCPRIM_400000_NS6detail17trampoline_kernelINS0_14default_configENS1_25partition_config_selectorILNS1_17partition_subalgoE5ElNS0_10empty_typeEbEEZZNS1_14partition_implILS5_5ELb0ES3_mN6hipcub16HIPCUB_304000_NS21CountingInputIteratorIllEEPS6_NSA_22TransformInputIteratorIbN2at6native12_GLOBAL__N_19NonZeroOpIdEEPKdlEENS0_5tupleIJPlS6_EEENSN_IJSD_SD_EEES6_PiJS6_EEE10hipError_tPvRmT3_T4_T5_T6_T7_T9_mT8_P12ihipStream_tbDpT10_ENKUlT_T0_E_clISt17integral_constantIbLb1EES1B_EEDaS16_S17_EUlS16_E_NS1_11comp_targetILNS1_3genE5ELNS1_11target_archE942ELNS1_3gpuE9ELNS1_3repE0EEENS1_30default_config_static_selectorELNS0_4arch9wavefront6targetE0EEEvT1_ ; -- Begin function _ZN7rocprim17ROCPRIM_400000_NS6detail17trampoline_kernelINS0_14default_configENS1_25partition_config_selectorILNS1_17partition_subalgoE5ElNS0_10empty_typeEbEEZZNS1_14partition_implILS5_5ELb0ES3_mN6hipcub16HIPCUB_304000_NS21CountingInputIteratorIllEEPS6_NSA_22TransformInputIteratorIbN2at6native12_GLOBAL__N_19NonZeroOpIdEEPKdlEENS0_5tupleIJPlS6_EEENSN_IJSD_SD_EEES6_PiJS6_EEE10hipError_tPvRmT3_T4_T5_T6_T7_T9_mT8_P12ihipStream_tbDpT10_ENKUlT_T0_E_clISt17integral_constantIbLb1EES1B_EEDaS16_S17_EUlS16_E_NS1_11comp_targetILNS1_3genE5ELNS1_11target_archE942ELNS1_3gpuE9ELNS1_3repE0EEENS1_30default_config_static_selectorELNS0_4arch9wavefront6targetE0EEEvT1_
	.p2align	8
	.type	_ZN7rocprim17ROCPRIM_400000_NS6detail17trampoline_kernelINS0_14default_configENS1_25partition_config_selectorILNS1_17partition_subalgoE5ElNS0_10empty_typeEbEEZZNS1_14partition_implILS5_5ELb0ES3_mN6hipcub16HIPCUB_304000_NS21CountingInputIteratorIllEEPS6_NSA_22TransformInputIteratorIbN2at6native12_GLOBAL__N_19NonZeroOpIdEEPKdlEENS0_5tupleIJPlS6_EEENSN_IJSD_SD_EEES6_PiJS6_EEE10hipError_tPvRmT3_T4_T5_T6_T7_T9_mT8_P12ihipStream_tbDpT10_ENKUlT_T0_E_clISt17integral_constantIbLb1EES1B_EEDaS16_S17_EUlS16_E_NS1_11comp_targetILNS1_3genE5ELNS1_11target_archE942ELNS1_3gpuE9ELNS1_3repE0EEENS1_30default_config_static_selectorELNS0_4arch9wavefront6targetE0EEEvT1_,@function
_ZN7rocprim17ROCPRIM_400000_NS6detail17trampoline_kernelINS0_14default_configENS1_25partition_config_selectorILNS1_17partition_subalgoE5ElNS0_10empty_typeEbEEZZNS1_14partition_implILS5_5ELb0ES3_mN6hipcub16HIPCUB_304000_NS21CountingInputIteratorIllEEPS6_NSA_22TransformInputIteratorIbN2at6native12_GLOBAL__N_19NonZeroOpIdEEPKdlEENS0_5tupleIJPlS6_EEENSN_IJSD_SD_EEES6_PiJS6_EEE10hipError_tPvRmT3_T4_T5_T6_T7_T9_mT8_P12ihipStream_tbDpT10_ENKUlT_T0_E_clISt17integral_constantIbLb1EES1B_EEDaS16_S17_EUlS16_E_NS1_11comp_targetILNS1_3genE5ELNS1_11target_archE942ELNS1_3gpuE9ELNS1_3repE0EEENS1_30default_config_static_selectorELNS0_4arch9wavefront6targetE0EEEvT1_: ; @_ZN7rocprim17ROCPRIM_400000_NS6detail17trampoline_kernelINS0_14default_configENS1_25partition_config_selectorILNS1_17partition_subalgoE5ElNS0_10empty_typeEbEEZZNS1_14partition_implILS5_5ELb0ES3_mN6hipcub16HIPCUB_304000_NS21CountingInputIteratorIllEEPS6_NSA_22TransformInputIteratorIbN2at6native12_GLOBAL__N_19NonZeroOpIdEEPKdlEENS0_5tupleIJPlS6_EEENSN_IJSD_SD_EEES6_PiJS6_EEE10hipError_tPvRmT3_T4_T5_T6_T7_T9_mT8_P12ihipStream_tbDpT10_ENKUlT_T0_E_clISt17integral_constantIbLb1EES1B_EEDaS16_S17_EUlS16_E_NS1_11comp_targetILNS1_3genE5ELNS1_11target_archE942ELNS1_3gpuE9ELNS1_3repE0EEENS1_30default_config_static_selectorELNS0_4arch9wavefront6targetE0EEEvT1_
; %bb.0:
	.section	.rodata,"a",@progbits
	.p2align	6, 0x0
	.amdhsa_kernel _ZN7rocprim17ROCPRIM_400000_NS6detail17trampoline_kernelINS0_14default_configENS1_25partition_config_selectorILNS1_17partition_subalgoE5ElNS0_10empty_typeEbEEZZNS1_14partition_implILS5_5ELb0ES3_mN6hipcub16HIPCUB_304000_NS21CountingInputIteratorIllEEPS6_NSA_22TransformInputIteratorIbN2at6native12_GLOBAL__N_19NonZeroOpIdEEPKdlEENS0_5tupleIJPlS6_EEENSN_IJSD_SD_EEES6_PiJS6_EEE10hipError_tPvRmT3_T4_T5_T6_T7_T9_mT8_P12ihipStream_tbDpT10_ENKUlT_T0_E_clISt17integral_constantIbLb1EES1B_EEDaS16_S17_EUlS16_E_NS1_11comp_targetILNS1_3genE5ELNS1_11target_archE942ELNS1_3gpuE9ELNS1_3repE0EEENS1_30default_config_static_selectorELNS0_4arch9wavefront6targetE0EEEvT1_
		.amdhsa_group_segment_fixed_size 0
		.amdhsa_private_segment_fixed_size 0
		.amdhsa_kernarg_size 136
		.amdhsa_user_sgpr_count 2
		.amdhsa_user_sgpr_dispatch_ptr 0
		.amdhsa_user_sgpr_queue_ptr 0
		.amdhsa_user_sgpr_kernarg_segment_ptr 1
		.amdhsa_user_sgpr_dispatch_id 0
		.amdhsa_user_sgpr_private_segment_size 0
		.amdhsa_wavefront_size32 1
		.amdhsa_uses_dynamic_stack 0
		.amdhsa_enable_private_segment 0
		.amdhsa_system_sgpr_workgroup_id_x 1
		.amdhsa_system_sgpr_workgroup_id_y 0
		.amdhsa_system_sgpr_workgroup_id_z 0
		.amdhsa_system_sgpr_workgroup_info 0
		.amdhsa_system_vgpr_workitem_id 0
		.amdhsa_next_free_vgpr 1
		.amdhsa_next_free_sgpr 1
		.amdhsa_reserve_vcc 0
		.amdhsa_float_round_mode_32 0
		.amdhsa_float_round_mode_16_64 0
		.amdhsa_float_denorm_mode_32 3
		.amdhsa_float_denorm_mode_16_64 3
		.amdhsa_fp16_overflow 0
		.amdhsa_workgroup_processor_mode 1
		.amdhsa_memory_ordered 1
		.amdhsa_forward_progress 1
		.amdhsa_inst_pref_size 0
		.amdhsa_round_robin_scheduling 0
		.amdhsa_exception_fp_ieee_invalid_op 0
		.amdhsa_exception_fp_denorm_src 0
		.amdhsa_exception_fp_ieee_div_zero 0
		.amdhsa_exception_fp_ieee_overflow 0
		.amdhsa_exception_fp_ieee_underflow 0
		.amdhsa_exception_fp_ieee_inexact 0
		.amdhsa_exception_int_div_zero 0
	.end_amdhsa_kernel
	.section	.text._ZN7rocprim17ROCPRIM_400000_NS6detail17trampoline_kernelINS0_14default_configENS1_25partition_config_selectorILNS1_17partition_subalgoE5ElNS0_10empty_typeEbEEZZNS1_14partition_implILS5_5ELb0ES3_mN6hipcub16HIPCUB_304000_NS21CountingInputIteratorIllEEPS6_NSA_22TransformInputIteratorIbN2at6native12_GLOBAL__N_19NonZeroOpIdEEPKdlEENS0_5tupleIJPlS6_EEENSN_IJSD_SD_EEES6_PiJS6_EEE10hipError_tPvRmT3_T4_T5_T6_T7_T9_mT8_P12ihipStream_tbDpT10_ENKUlT_T0_E_clISt17integral_constantIbLb1EES1B_EEDaS16_S17_EUlS16_E_NS1_11comp_targetILNS1_3genE5ELNS1_11target_archE942ELNS1_3gpuE9ELNS1_3repE0EEENS1_30default_config_static_selectorELNS0_4arch9wavefront6targetE0EEEvT1_,"axG",@progbits,_ZN7rocprim17ROCPRIM_400000_NS6detail17trampoline_kernelINS0_14default_configENS1_25partition_config_selectorILNS1_17partition_subalgoE5ElNS0_10empty_typeEbEEZZNS1_14partition_implILS5_5ELb0ES3_mN6hipcub16HIPCUB_304000_NS21CountingInputIteratorIllEEPS6_NSA_22TransformInputIteratorIbN2at6native12_GLOBAL__N_19NonZeroOpIdEEPKdlEENS0_5tupleIJPlS6_EEENSN_IJSD_SD_EEES6_PiJS6_EEE10hipError_tPvRmT3_T4_T5_T6_T7_T9_mT8_P12ihipStream_tbDpT10_ENKUlT_T0_E_clISt17integral_constantIbLb1EES1B_EEDaS16_S17_EUlS16_E_NS1_11comp_targetILNS1_3genE5ELNS1_11target_archE942ELNS1_3gpuE9ELNS1_3repE0EEENS1_30default_config_static_selectorELNS0_4arch9wavefront6targetE0EEEvT1_,comdat
.Lfunc_end399:
	.size	_ZN7rocprim17ROCPRIM_400000_NS6detail17trampoline_kernelINS0_14default_configENS1_25partition_config_selectorILNS1_17partition_subalgoE5ElNS0_10empty_typeEbEEZZNS1_14partition_implILS5_5ELb0ES3_mN6hipcub16HIPCUB_304000_NS21CountingInputIteratorIllEEPS6_NSA_22TransformInputIteratorIbN2at6native12_GLOBAL__N_19NonZeroOpIdEEPKdlEENS0_5tupleIJPlS6_EEENSN_IJSD_SD_EEES6_PiJS6_EEE10hipError_tPvRmT3_T4_T5_T6_T7_T9_mT8_P12ihipStream_tbDpT10_ENKUlT_T0_E_clISt17integral_constantIbLb1EES1B_EEDaS16_S17_EUlS16_E_NS1_11comp_targetILNS1_3genE5ELNS1_11target_archE942ELNS1_3gpuE9ELNS1_3repE0EEENS1_30default_config_static_selectorELNS0_4arch9wavefront6targetE0EEEvT1_, .Lfunc_end399-_ZN7rocprim17ROCPRIM_400000_NS6detail17trampoline_kernelINS0_14default_configENS1_25partition_config_selectorILNS1_17partition_subalgoE5ElNS0_10empty_typeEbEEZZNS1_14partition_implILS5_5ELb0ES3_mN6hipcub16HIPCUB_304000_NS21CountingInputIteratorIllEEPS6_NSA_22TransformInputIteratorIbN2at6native12_GLOBAL__N_19NonZeroOpIdEEPKdlEENS0_5tupleIJPlS6_EEENSN_IJSD_SD_EEES6_PiJS6_EEE10hipError_tPvRmT3_T4_T5_T6_T7_T9_mT8_P12ihipStream_tbDpT10_ENKUlT_T0_E_clISt17integral_constantIbLb1EES1B_EEDaS16_S17_EUlS16_E_NS1_11comp_targetILNS1_3genE5ELNS1_11target_archE942ELNS1_3gpuE9ELNS1_3repE0EEENS1_30default_config_static_selectorELNS0_4arch9wavefront6targetE0EEEvT1_
                                        ; -- End function
	.set _ZN7rocprim17ROCPRIM_400000_NS6detail17trampoline_kernelINS0_14default_configENS1_25partition_config_selectorILNS1_17partition_subalgoE5ElNS0_10empty_typeEbEEZZNS1_14partition_implILS5_5ELb0ES3_mN6hipcub16HIPCUB_304000_NS21CountingInputIteratorIllEEPS6_NSA_22TransformInputIteratorIbN2at6native12_GLOBAL__N_19NonZeroOpIdEEPKdlEENS0_5tupleIJPlS6_EEENSN_IJSD_SD_EEES6_PiJS6_EEE10hipError_tPvRmT3_T4_T5_T6_T7_T9_mT8_P12ihipStream_tbDpT10_ENKUlT_T0_E_clISt17integral_constantIbLb1EES1B_EEDaS16_S17_EUlS16_E_NS1_11comp_targetILNS1_3genE5ELNS1_11target_archE942ELNS1_3gpuE9ELNS1_3repE0EEENS1_30default_config_static_selectorELNS0_4arch9wavefront6targetE0EEEvT1_.num_vgpr, 0
	.set _ZN7rocprim17ROCPRIM_400000_NS6detail17trampoline_kernelINS0_14default_configENS1_25partition_config_selectorILNS1_17partition_subalgoE5ElNS0_10empty_typeEbEEZZNS1_14partition_implILS5_5ELb0ES3_mN6hipcub16HIPCUB_304000_NS21CountingInputIteratorIllEEPS6_NSA_22TransformInputIteratorIbN2at6native12_GLOBAL__N_19NonZeroOpIdEEPKdlEENS0_5tupleIJPlS6_EEENSN_IJSD_SD_EEES6_PiJS6_EEE10hipError_tPvRmT3_T4_T5_T6_T7_T9_mT8_P12ihipStream_tbDpT10_ENKUlT_T0_E_clISt17integral_constantIbLb1EES1B_EEDaS16_S17_EUlS16_E_NS1_11comp_targetILNS1_3genE5ELNS1_11target_archE942ELNS1_3gpuE9ELNS1_3repE0EEENS1_30default_config_static_selectorELNS0_4arch9wavefront6targetE0EEEvT1_.num_agpr, 0
	.set _ZN7rocprim17ROCPRIM_400000_NS6detail17trampoline_kernelINS0_14default_configENS1_25partition_config_selectorILNS1_17partition_subalgoE5ElNS0_10empty_typeEbEEZZNS1_14partition_implILS5_5ELb0ES3_mN6hipcub16HIPCUB_304000_NS21CountingInputIteratorIllEEPS6_NSA_22TransformInputIteratorIbN2at6native12_GLOBAL__N_19NonZeroOpIdEEPKdlEENS0_5tupleIJPlS6_EEENSN_IJSD_SD_EEES6_PiJS6_EEE10hipError_tPvRmT3_T4_T5_T6_T7_T9_mT8_P12ihipStream_tbDpT10_ENKUlT_T0_E_clISt17integral_constantIbLb1EES1B_EEDaS16_S17_EUlS16_E_NS1_11comp_targetILNS1_3genE5ELNS1_11target_archE942ELNS1_3gpuE9ELNS1_3repE0EEENS1_30default_config_static_selectorELNS0_4arch9wavefront6targetE0EEEvT1_.numbered_sgpr, 0
	.set _ZN7rocprim17ROCPRIM_400000_NS6detail17trampoline_kernelINS0_14default_configENS1_25partition_config_selectorILNS1_17partition_subalgoE5ElNS0_10empty_typeEbEEZZNS1_14partition_implILS5_5ELb0ES3_mN6hipcub16HIPCUB_304000_NS21CountingInputIteratorIllEEPS6_NSA_22TransformInputIteratorIbN2at6native12_GLOBAL__N_19NonZeroOpIdEEPKdlEENS0_5tupleIJPlS6_EEENSN_IJSD_SD_EEES6_PiJS6_EEE10hipError_tPvRmT3_T4_T5_T6_T7_T9_mT8_P12ihipStream_tbDpT10_ENKUlT_T0_E_clISt17integral_constantIbLb1EES1B_EEDaS16_S17_EUlS16_E_NS1_11comp_targetILNS1_3genE5ELNS1_11target_archE942ELNS1_3gpuE9ELNS1_3repE0EEENS1_30default_config_static_selectorELNS0_4arch9wavefront6targetE0EEEvT1_.num_named_barrier, 0
	.set _ZN7rocprim17ROCPRIM_400000_NS6detail17trampoline_kernelINS0_14default_configENS1_25partition_config_selectorILNS1_17partition_subalgoE5ElNS0_10empty_typeEbEEZZNS1_14partition_implILS5_5ELb0ES3_mN6hipcub16HIPCUB_304000_NS21CountingInputIteratorIllEEPS6_NSA_22TransformInputIteratorIbN2at6native12_GLOBAL__N_19NonZeroOpIdEEPKdlEENS0_5tupleIJPlS6_EEENSN_IJSD_SD_EEES6_PiJS6_EEE10hipError_tPvRmT3_T4_T5_T6_T7_T9_mT8_P12ihipStream_tbDpT10_ENKUlT_T0_E_clISt17integral_constantIbLb1EES1B_EEDaS16_S17_EUlS16_E_NS1_11comp_targetILNS1_3genE5ELNS1_11target_archE942ELNS1_3gpuE9ELNS1_3repE0EEENS1_30default_config_static_selectorELNS0_4arch9wavefront6targetE0EEEvT1_.private_seg_size, 0
	.set _ZN7rocprim17ROCPRIM_400000_NS6detail17trampoline_kernelINS0_14default_configENS1_25partition_config_selectorILNS1_17partition_subalgoE5ElNS0_10empty_typeEbEEZZNS1_14partition_implILS5_5ELb0ES3_mN6hipcub16HIPCUB_304000_NS21CountingInputIteratorIllEEPS6_NSA_22TransformInputIteratorIbN2at6native12_GLOBAL__N_19NonZeroOpIdEEPKdlEENS0_5tupleIJPlS6_EEENSN_IJSD_SD_EEES6_PiJS6_EEE10hipError_tPvRmT3_T4_T5_T6_T7_T9_mT8_P12ihipStream_tbDpT10_ENKUlT_T0_E_clISt17integral_constantIbLb1EES1B_EEDaS16_S17_EUlS16_E_NS1_11comp_targetILNS1_3genE5ELNS1_11target_archE942ELNS1_3gpuE9ELNS1_3repE0EEENS1_30default_config_static_selectorELNS0_4arch9wavefront6targetE0EEEvT1_.uses_vcc, 0
	.set _ZN7rocprim17ROCPRIM_400000_NS6detail17trampoline_kernelINS0_14default_configENS1_25partition_config_selectorILNS1_17partition_subalgoE5ElNS0_10empty_typeEbEEZZNS1_14partition_implILS5_5ELb0ES3_mN6hipcub16HIPCUB_304000_NS21CountingInputIteratorIllEEPS6_NSA_22TransformInputIteratorIbN2at6native12_GLOBAL__N_19NonZeroOpIdEEPKdlEENS0_5tupleIJPlS6_EEENSN_IJSD_SD_EEES6_PiJS6_EEE10hipError_tPvRmT3_T4_T5_T6_T7_T9_mT8_P12ihipStream_tbDpT10_ENKUlT_T0_E_clISt17integral_constantIbLb1EES1B_EEDaS16_S17_EUlS16_E_NS1_11comp_targetILNS1_3genE5ELNS1_11target_archE942ELNS1_3gpuE9ELNS1_3repE0EEENS1_30default_config_static_selectorELNS0_4arch9wavefront6targetE0EEEvT1_.uses_flat_scratch, 0
	.set _ZN7rocprim17ROCPRIM_400000_NS6detail17trampoline_kernelINS0_14default_configENS1_25partition_config_selectorILNS1_17partition_subalgoE5ElNS0_10empty_typeEbEEZZNS1_14partition_implILS5_5ELb0ES3_mN6hipcub16HIPCUB_304000_NS21CountingInputIteratorIllEEPS6_NSA_22TransformInputIteratorIbN2at6native12_GLOBAL__N_19NonZeroOpIdEEPKdlEENS0_5tupleIJPlS6_EEENSN_IJSD_SD_EEES6_PiJS6_EEE10hipError_tPvRmT3_T4_T5_T6_T7_T9_mT8_P12ihipStream_tbDpT10_ENKUlT_T0_E_clISt17integral_constantIbLb1EES1B_EEDaS16_S17_EUlS16_E_NS1_11comp_targetILNS1_3genE5ELNS1_11target_archE942ELNS1_3gpuE9ELNS1_3repE0EEENS1_30default_config_static_selectorELNS0_4arch9wavefront6targetE0EEEvT1_.has_dyn_sized_stack, 0
	.set _ZN7rocprim17ROCPRIM_400000_NS6detail17trampoline_kernelINS0_14default_configENS1_25partition_config_selectorILNS1_17partition_subalgoE5ElNS0_10empty_typeEbEEZZNS1_14partition_implILS5_5ELb0ES3_mN6hipcub16HIPCUB_304000_NS21CountingInputIteratorIllEEPS6_NSA_22TransformInputIteratorIbN2at6native12_GLOBAL__N_19NonZeroOpIdEEPKdlEENS0_5tupleIJPlS6_EEENSN_IJSD_SD_EEES6_PiJS6_EEE10hipError_tPvRmT3_T4_T5_T6_T7_T9_mT8_P12ihipStream_tbDpT10_ENKUlT_T0_E_clISt17integral_constantIbLb1EES1B_EEDaS16_S17_EUlS16_E_NS1_11comp_targetILNS1_3genE5ELNS1_11target_archE942ELNS1_3gpuE9ELNS1_3repE0EEENS1_30default_config_static_selectorELNS0_4arch9wavefront6targetE0EEEvT1_.has_recursion, 0
	.set _ZN7rocprim17ROCPRIM_400000_NS6detail17trampoline_kernelINS0_14default_configENS1_25partition_config_selectorILNS1_17partition_subalgoE5ElNS0_10empty_typeEbEEZZNS1_14partition_implILS5_5ELb0ES3_mN6hipcub16HIPCUB_304000_NS21CountingInputIteratorIllEEPS6_NSA_22TransformInputIteratorIbN2at6native12_GLOBAL__N_19NonZeroOpIdEEPKdlEENS0_5tupleIJPlS6_EEENSN_IJSD_SD_EEES6_PiJS6_EEE10hipError_tPvRmT3_T4_T5_T6_T7_T9_mT8_P12ihipStream_tbDpT10_ENKUlT_T0_E_clISt17integral_constantIbLb1EES1B_EEDaS16_S17_EUlS16_E_NS1_11comp_targetILNS1_3genE5ELNS1_11target_archE942ELNS1_3gpuE9ELNS1_3repE0EEENS1_30default_config_static_selectorELNS0_4arch9wavefront6targetE0EEEvT1_.has_indirect_call, 0
	.section	.AMDGPU.csdata,"",@progbits
; Kernel info:
; codeLenInByte = 0
; TotalNumSgprs: 0
; NumVgprs: 0
; ScratchSize: 0
; MemoryBound: 0
; FloatMode: 240
; IeeeMode: 1
; LDSByteSize: 0 bytes/workgroup (compile time only)
; SGPRBlocks: 0
; VGPRBlocks: 0
; NumSGPRsForWavesPerEU: 1
; NumVGPRsForWavesPerEU: 1
; Occupancy: 16
; WaveLimiterHint : 0
; COMPUTE_PGM_RSRC2:SCRATCH_EN: 0
; COMPUTE_PGM_RSRC2:USER_SGPR: 2
; COMPUTE_PGM_RSRC2:TRAP_HANDLER: 0
; COMPUTE_PGM_RSRC2:TGID_X_EN: 1
; COMPUTE_PGM_RSRC2:TGID_Y_EN: 0
; COMPUTE_PGM_RSRC2:TGID_Z_EN: 0
; COMPUTE_PGM_RSRC2:TIDIG_COMP_CNT: 0
	.section	.text._ZN7rocprim17ROCPRIM_400000_NS6detail17trampoline_kernelINS0_14default_configENS1_25partition_config_selectorILNS1_17partition_subalgoE5ElNS0_10empty_typeEbEEZZNS1_14partition_implILS5_5ELb0ES3_mN6hipcub16HIPCUB_304000_NS21CountingInputIteratorIllEEPS6_NSA_22TransformInputIteratorIbN2at6native12_GLOBAL__N_19NonZeroOpIdEEPKdlEENS0_5tupleIJPlS6_EEENSN_IJSD_SD_EEES6_PiJS6_EEE10hipError_tPvRmT3_T4_T5_T6_T7_T9_mT8_P12ihipStream_tbDpT10_ENKUlT_T0_E_clISt17integral_constantIbLb1EES1B_EEDaS16_S17_EUlS16_E_NS1_11comp_targetILNS1_3genE4ELNS1_11target_archE910ELNS1_3gpuE8ELNS1_3repE0EEENS1_30default_config_static_selectorELNS0_4arch9wavefront6targetE0EEEvT1_,"axG",@progbits,_ZN7rocprim17ROCPRIM_400000_NS6detail17trampoline_kernelINS0_14default_configENS1_25partition_config_selectorILNS1_17partition_subalgoE5ElNS0_10empty_typeEbEEZZNS1_14partition_implILS5_5ELb0ES3_mN6hipcub16HIPCUB_304000_NS21CountingInputIteratorIllEEPS6_NSA_22TransformInputIteratorIbN2at6native12_GLOBAL__N_19NonZeroOpIdEEPKdlEENS0_5tupleIJPlS6_EEENSN_IJSD_SD_EEES6_PiJS6_EEE10hipError_tPvRmT3_T4_T5_T6_T7_T9_mT8_P12ihipStream_tbDpT10_ENKUlT_T0_E_clISt17integral_constantIbLb1EES1B_EEDaS16_S17_EUlS16_E_NS1_11comp_targetILNS1_3genE4ELNS1_11target_archE910ELNS1_3gpuE8ELNS1_3repE0EEENS1_30default_config_static_selectorELNS0_4arch9wavefront6targetE0EEEvT1_,comdat
	.globl	_ZN7rocprim17ROCPRIM_400000_NS6detail17trampoline_kernelINS0_14default_configENS1_25partition_config_selectorILNS1_17partition_subalgoE5ElNS0_10empty_typeEbEEZZNS1_14partition_implILS5_5ELb0ES3_mN6hipcub16HIPCUB_304000_NS21CountingInputIteratorIllEEPS6_NSA_22TransformInputIteratorIbN2at6native12_GLOBAL__N_19NonZeroOpIdEEPKdlEENS0_5tupleIJPlS6_EEENSN_IJSD_SD_EEES6_PiJS6_EEE10hipError_tPvRmT3_T4_T5_T6_T7_T9_mT8_P12ihipStream_tbDpT10_ENKUlT_T0_E_clISt17integral_constantIbLb1EES1B_EEDaS16_S17_EUlS16_E_NS1_11comp_targetILNS1_3genE4ELNS1_11target_archE910ELNS1_3gpuE8ELNS1_3repE0EEENS1_30default_config_static_selectorELNS0_4arch9wavefront6targetE0EEEvT1_ ; -- Begin function _ZN7rocprim17ROCPRIM_400000_NS6detail17trampoline_kernelINS0_14default_configENS1_25partition_config_selectorILNS1_17partition_subalgoE5ElNS0_10empty_typeEbEEZZNS1_14partition_implILS5_5ELb0ES3_mN6hipcub16HIPCUB_304000_NS21CountingInputIteratorIllEEPS6_NSA_22TransformInputIteratorIbN2at6native12_GLOBAL__N_19NonZeroOpIdEEPKdlEENS0_5tupleIJPlS6_EEENSN_IJSD_SD_EEES6_PiJS6_EEE10hipError_tPvRmT3_T4_T5_T6_T7_T9_mT8_P12ihipStream_tbDpT10_ENKUlT_T0_E_clISt17integral_constantIbLb1EES1B_EEDaS16_S17_EUlS16_E_NS1_11comp_targetILNS1_3genE4ELNS1_11target_archE910ELNS1_3gpuE8ELNS1_3repE0EEENS1_30default_config_static_selectorELNS0_4arch9wavefront6targetE0EEEvT1_
	.p2align	8
	.type	_ZN7rocprim17ROCPRIM_400000_NS6detail17trampoline_kernelINS0_14default_configENS1_25partition_config_selectorILNS1_17partition_subalgoE5ElNS0_10empty_typeEbEEZZNS1_14partition_implILS5_5ELb0ES3_mN6hipcub16HIPCUB_304000_NS21CountingInputIteratorIllEEPS6_NSA_22TransformInputIteratorIbN2at6native12_GLOBAL__N_19NonZeroOpIdEEPKdlEENS0_5tupleIJPlS6_EEENSN_IJSD_SD_EEES6_PiJS6_EEE10hipError_tPvRmT3_T4_T5_T6_T7_T9_mT8_P12ihipStream_tbDpT10_ENKUlT_T0_E_clISt17integral_constantIbLb1EES1B_EEDaS16_S17_EUlS16_E_NS1_11comp_targetILNS1_3genE4ELNS1_11target_archE910ELNS1_3gpuE8ELNS1_3repE0EEENS1_30default_config_static_selectorELNS0_4arch9wavefront6targetE0EEEvT1_,@function
_ZN7rocprim17ROCPRIM_400000_NS6detail17trampoline_kernelINS0_14default_configENS1_25partition_config_selectorILNS1_17partition_subalgoE5ElNS0_10empty_typeEbEEZZNS1_14partition_implILS5_5ELb0ES3_mN6hipcub16HIPCUB_304000_NS21CountingInputIteratorIllEEPS6_NSA_22TransformInputIteratorIbN2at6native12_GLOBAL__N_19NonZeroOpIdEEPKdlEENS0_5tupleIJPlS6_EEENSN_IJSD_SD_EEES6_PiJS6_EEE10hipError_tPvRmT3_T4_T5_T6_T7_T9_mT8_P12ihipStream_tbDpT10_ENKUlT_T0_E_clISt17integral_constantIbLb1EES1B_EEDaS16_S17_EUlS16_E_NS1_11comp_targetILNS1_3genE4ELNS1_11target_archE910ELNS1_3gpuE8ELNS1_3repE0EEENS1_30default_config_static_selectorELNS0_4arch9wavefront6targetE0EEEvT1_: ; @_ZN7rocprim17ROCPRIM_400000_NS6detail17trampoline_kernelINS0_14default_configENS1_25partition_config_selectorILNS1_17partition_subalgoE5ElNS0_10empty_typeEbEEZZNS1_14partition_implILS5_5ELb0ES3_mN6hipcub16HIPCUB_304000_NS21CountingInputIteratorIllEEPS6_NSA_22TransformInputIteratorIbN2at6native12_GLOBAL__N_19NonZeroOpIdEEPKdlEENS0_5tupleIJPlS6_EEENSN_IJSD_SD_EEES6_PiJS6_EEE10hipError_tPvRmT3_T4_T5_T6_T7_T9_mT8_P12ihipStream_tbDpT10_ENKUlT_T0_E_clISt17integral_constantIbLb1EES1B_EEDaS16_S17_EUlS16_E_NS1_11comp_targetILNS1_3genE4ELNS1_11target_archE910ELNS1_3gpuE8ELNS1_3repE0EEENS1_30default_config_static_selectorELNS0_4arch9wavefront6targetE0EEEvT1_
; %bb.0:
	.section	.rodata,"a",@progbits
	.p2align	6, 0x0
	.amdhsa_kernel _ZN7rocprim17ROCPRIM_400000_NS6detail17trampoline_kernelINS0_14default_configENS1_25partition_config_selectorILNS1_17partition_subalgoE5ElNS0_10empty_typeEbEEZZNS1_14partition_implILS5_5ELb0ES3_mN6hipcub16HIPCUB_304000_NS21CountingInputIteratorIllEEPS6_NSA_22TransformInputIteratorIbN2at6native12_GLOBAL__N_19NonZeroOpIdEEPKdlEENS0_5tupleIJPlS6_EEENSN_IJSD_SD_EEES6_PiJS6_EEE10hipError_tPvRmT3_T4_T5_T6_T7_T9_mT8_P12ihipStream_tbDpT10_ENKUlT_T0_E_clISt17integral_constantIbLb1EES1B_EEDaS16_S17_EUlS16_E_NS1_11comp_targetILNS1_3genE4ELNS1_11target_archE910ELNS1_3gpuE8ELNS1_3repE0EEENS1_30default_config_static_selectorELNS0_4arch9wavefront6targetE0EEEvT1_
		.amdhsa_group_segment_fixed_size 0
		.amdhsa_private_segment_fixed_size 0
		.amdhsa_kernarg_size 136
		.amdhsa_user_sgpr_count 2
		.amdhsa_user_sgpr_dispatch_ptr 0
		.amdhsa_user_sgpr_queue_ptr 0
		.amdhsa_user_sgpr_kernarg_segment_ptr 1
		.amdhsa_user_sgpr_dispatch_id 0
		.amdhsa_user_sgpr_private_segment_size 0
		.amdhsa_wavefront_size32 1
		.amdhsa_uses_dynamic_stack 0
		.amdhsa_enable_private_segment 0
		.amdhsa_system_sgpr_workgroup_id_x 1
		.amdhsa_system_sgpr_workgroup_id_y 0
		.amdhsa_system_sgpr_workgroup_id_z 0
		.amdhsa_system_sgpr_workgroup_info 0
		.amdhsa_system_vgpr_workitem_id 0
		.amdhsa_next_free_vgpr 1
		.amdhsa_next_free_sgpr 1
		.amdhsa_reserve_vcc 0
		.amdhsa_float_round_mode_32 0
		.amdhsa_float_round_mode_16_64 0
		.amdhsa_float_denorm_mode_32 3
		.amdhsa_float_denorm_mode_16_64 3
		.amdhsa_fp16_overflow 0
		.amdhsa_workgroup_processor_mode 1
		.amdhsa_memory_ordered 1
		.amdhsa_forward_progress 1
		.amdhsa_inst_pref_size 0
		.amdhsa_round_robin_scheduling 0
		.amdhsa_exception_fp_ieee_invalid_op 0
		.amdhsa_exception_fp_denorm_src 0
		.amdhsa_exception_fp_ieee_div_zero 0
		.amdhsa_exception_fp_ieee_overflow 0
		.amdhsa_exception_fp_ieee_underflow 0
		.amdhsa_exception_fp_ieee_inexact 0
		.amdhsa_exception_int_div_zero 0
	.end_amdhsa_kernel
	.section	.text._ZN7rocprim17ROCPRIM_400000_NS6detail17trampoline_kernelINS0_14default_configENS1_25partition_config_selectorILNS1_17partition_subalgoE5ElNS0_10empty_typeEbEEZZNS1_14partition_implILS5_5ELb0ES3_mN6hipcub16HIPCUB_304000_NS21CountingInputIteratorIllEEPS6_NSA_22TransformInputIteratorIbN2at6native12_GLOBAL__N_19NonZeroOpIdEEPKdlEENS0_5tupleIJPlS6_EEENSN_IJSD_SD_EEES6_PiJS6_EEE10hipError_tPvRmT3_T4_T5_T6_T7_T9_mT8_P12ihipStream_tbDpT10_ENKUlT_T0_E_clISt17integral_constantIbLb1EES1B_EEDaS16_S17_EUlS16_E_NS1_11comp_targetILNS1_3genE4ELNS1_11target_archE910ELNS1_3gpuE8ELNS1_3repE0EEENS1_30default_config_static_selectorELNS0_4arch9wavefront6targetE0EEEvT1_,"axG",@progbits,_ZN7rocprim17ROCPRIM_400000_NS6detail17trampoline_kernelINS0_14default_configENS1_25partition_config_selectorILNS1_17partition_subalgoE5ElNS0_10empty_typeEbEEZZNS1_14partition_implILS5_5ELb0ES3_mN6hipcub16HIPCUB_304000_NS21CountingInputIteratorIllEEPS6_NSA_22TransformInputIteratorIbN2at6native12_GLOBAL__N_19NonZeroOpIdEEPKdlEENS0_5tupleIJPlS6_EEENSN_IJSD_SD_EEES6_PiJS6_EEE10hipError_tPvRmT3_T4_T5_T6_T7_T9_mT8_P12ihipStream_tbDpT10_ENKUlT_T0_E_clISt17integral_constantIbLb1EES1B_EEDaS16_S17_EUlS16_E_NS1_11comp_targetILNS1_3genE4ELNS1_11target_archE910ELNS1_3gpuE8ELNS1_3repE0EEENS1_30default_config_static_selectorELNS0_4arch9wavefront6targetE0EEEvT1_,comdat
.Lfunc_end400:
	.size	_ZN7rocprim17ROCPRIM_400000_NS6detail17trampoline_kernelINS0_14default_configENS1_25partition_config_selectorILNS1_17partition_subalgoE5ElNS0_10empty_typeEbEEZZNS1_14partition_implILS5_5ELb0ES3_mN6hipcub16HIPCUB_304000_NS21CountingInputIteratorIllEEPS6_NSA_22TransformInputIteratorIbN2at6native12_GLOBAL__N_19NonZeroOpIdEEPKdlEENS0_5tupleIJPlS6_EEENSN_IJSD_SD_EEES6_PiJS6_EEE10hipError_tPvRmT3_T4_T5_T6_T7_T9_mT8_P12ihipStream_tbDpT10_ENKUlT_T0_E_clISt17integral_constantIbLb1EES1B_EEDaS16_S17_EUlS16_E_NS1_11comp_targetILNS1_3genE4ELNS1_11target_archE910ELNS1_3gpuE8ELNS1_3repE0EEENS1_30default_config_static_selectorELNS0_4arch9wavefront6targetE0EEEvT1_, .Lfunc_end400-_ZN7rocprim17ROCPRIM_400000_NS6detail17trampoline_kernelINS0_14default_configENS1_25partition_config_selectorILNS1_17partition_subalgoE5ElNS0_10empty_typeEbEEZZNS1_14partition_implILS5_5ELb0ES3_mN6hipcub16HIPCUB_304000_NS21CountingInputIteratorIllEEPS6_NSA_22TransformInputIteratorIbN2at6native12_GLOBAL__N_19NonZeroOpIdEEPKdlEENS0_5tupleIJPlS6_EEENSN_IJSD_SD_EEES6_PiJS6_EEE10hipError_tPvRmT3_T4_T5_T6_T7_T9_mT8_P12ihipStream_tbDpT10_ENKUlT_T0_E_clISt17integral_constantIbLb1EES1B_EEDaS16_S17_EUlS16_E_NS1_11comp_targetILNS1_3genE4ELNS1_11target_archE910ELNS1_3gpuE8ELNS1_3repE0EEENS1_30default_config_static_selectorELNS0_4arch9wavefront6targetE0EEEvT1_
                                        ; -- End function
	.set _ZN7rocprim17ROCPRIM_400000_NS6detail17trampoline_kernelINS0_14default_configENS1_25partition_config_selectorILNS1_17partition_subalgoE5ElNS0_10empty_typeEbEEZZNS1_14partition_implILS5_5ELb0ES3_mN6hipcub16HIPCUB_304000_NS21CountingInputIteratorIllEEPS6_NSA_22TransformInputIteratorIbN2at6native12_GLOBAL__N_19NonZeroOpIdEEPKdlEENS0_5tupleIJPlS6_EEENSN_IJSD_SD_EEES6_PiJS6_EEE10hipError_tPvRmT3_T4_T5_T6_T7_T9_mT8_P12ihipStream_tbDpT10_ENKUlT_T0_E_clISt17integral_constantIbLb1EES1B_EEDaS16_S17_EUlS16_E_NS1_11comp_targetILNS1_3genE4ELNS1_11target_archE910ELNS1_3gpuE8ELNS1_3repE0EEENS1_30default_config_static_selectorELNS0_4arch9wavefront6targetE0EEEvT1_.num_vgpr, 0
	.set _ZN7rocprim17ROCPRIM_400000_NS6detail17trampoline_kernelINS0_14default_configENS1_25partition_config_selectorILNS1_17partition_subalgoE5ElNS0_10empty_typeEbEEZZNS1_14partition_implILS5_5ELb0ES3_mN6hipcub16HIPCUB_304000_NS21CountingInputIteratorIllEEPS6_NSA_22TransformInputIteratorIbN2at6native12_GLOBAL__N_19NonZeroOpIdEEPKdlEENS0_5tupleIJPlS6_EEENSN_IJSD_SD_EEES6_PiJS6_EEE10hipError_tPvRmT3_T4_T5_T6_T7_T9_mT8_P12ihipStream_tbDpT10_ENKUlT_T0_E_clISt17integral_constantIbLb1EES1B_EEDaS16_S17_EUlS16_E_NS1_11comp_targetILNS1_3genE4ELNS1_11target_archE910ELNS1_3gpuE8ELNS1_3repE0EEENS1_30default_config_static_selectorELNS0_4arch9wavefront6targetE0EEEvT1_.num_agpr, 0
	.set _ZN7rocprim17ROCPRIM_400000_NS6detail17trampoline_kernelINS0_14default_configENS1_25partition_config_selectorILNS1_17partition_subalgoE5ElNS0_10empty_typeEbEEZZNS1_14partition_implILS5_5ELb0ES3_mN6hipcub16HIPCUB_304000_NS21CountingInputIteratorIllEEPS6_NSA_22TransformInputIteratorIbN2at6native12_GLOBAL__N_19NonZeroOpIdEEPKdlEENS0_5tupleIJPlS6_EEENSN_IJSD_SD_EEES6_PiJS6_EEE10hipError_tPvRmT3_T4_T5_T6_T7_T9_mT8_P12ihipStream_tbDpT10_ENKUlT_T0_E_clISt17integral_constantIbLb1EES1B_EEDaS16_S17_EUlS16_E_NS1_11comp_targetILNS1_3genE4ELNS1_11target_archE910ELNS1_3gpuE8ELNS1_3repE0EEENS1_30default_config_static_selectorELNS0_4arch9wavefront6targetE0EEEvT1_.numbered_sgpr, 0
	.set _ZN7rocprim17ROCPRIM_400000_NS6detail17trampoline_kernelINS0_14default_configENS1_25partition_config_selectorILNS1_17partition_subalgoE5ElNS0_10empty_typeEbEEZZNS1_14partition_implILS5_5ELb0ES3_mN6hipcub16HIPCUB_304000_NS21CountingInputIteratorIllEEPS6_NSA_22TransformInputIteratorIbN2at6native12_GLOBAL__N_19NonZeroOpIdEEPKdlEENS0_5tupleIJPlS6_EEENSN_IJSD_SD_EEES6_PiJS6_EEE10hipError_tPvRmT3_T4_T5_T6_T7_T9_mT8_P12ihipStream_tbDpT10_ENKUlT_T0_E_clISt17integral_constantIbLb1EES1B_EEDaS16_S17_EUlS16_E_NS1_11comp_targetILNS1_3genE4ELNS1_11target_archE910ELNS1_3gpuE8ELNS1_3repE0EEENS1_30default_config_static_selectorELNS0_4arch9wavefront6targetE0EEEvT1_.num_named_barrier, 0
	.set _ZN7rocprim17ROCPRIM_400000_NS6detail17trampoline_kernelINS0_14default_configENS1_25partition_config_selectorILNS1_17partition_subalgoE5ElNS0_10empty_typeEbEEZZNS1_14partition_implILS5_5ELb0ES3_mN6hipcub16HIPCUB_304000_NS21CountingInputIteratorIllEEPS6_NSA_22TransformInputIteratorIbN2at6native12_GLOBAL__N_19NonZeroOpIdEEPKdlEENS0_5tupleIJPlS6_EEENSN_IJSD_SD_EEES6_PiJS6_EEE10hipError_tPvRmT3_T4_T5_T6_T7_T9_mT8_P12ihipStream_tbDpT10_ENKUlT_T0_E_clISt17integral_constantIbLb1EES1B_EEDaS16_S17_EUlS16_E_NS1_11comp_targetILNS1_3genE4ELNS1_11target_archE910ELNS1_3gpuE8ELNS1_3repE0EEENS1_30default_config_static_selectorELNS0_4arch9wavefront6targetE0EEEvT1_.private_seg_size, 0
	.set _ZN7rocprim17ROCPRIM_400000_NS6detail17trampoline_kernelINS0_14default_configENS1_25partition_config_selectorILNS1_17partition_subalgoE5ElNS0_10empty_typeEbEEZZNS1_14partition_implILS5_5ELb0ES3_mN6hipcub16HIPCUB_304000_NS21CountingInputIteratorIllEEPS6_NSA_22TransformInputIteratorIbN2at6native12_GLOBAL__N_19NonZeroOpIdEEPKdlEENS0_5tupleIJPlS6_EEENSN_IJSD_SD_EEES6_PiJS6_EEE10hipError_tPvRmT3_T4_T5_T6_T7_T9_mT8_P12ihipStream_tbDpT10_ENKUlT_T0_E_clISt17integral_constantIbLb1EES1B_EEDaS16_S17_EUlS16_E_NS1_11comp_targetILNS1_3genE4ELNS1_11target_archE910ELNS1_3gpuE8ELNS1_3repE0EEENS1_30default_config_static_selectorELNS0_4arch9wavefront6targetE0EEEvT1_.uses_vcc, 0
	.set _ZN7rocprim17ROCPRIM_400000_NS6detail17trampoline_kernelINS0_14default_configENS1_25partition_config_selectorILNS1_17partition_subalgoE5ElNS0_10empty_typeEbEEZZNS1_14partition_implILS5_5ELb0ES3_mN6hipcub16HIPCUB_304000_NS21CountingInputIteratorIllEEPS6_NSA_22TransformInputIteratorIbN2at6native12_GLOBAL__N_19NonZeroOpIdEEPKdlEENS0_5tupleIJPlS6_EEENSN_IJSD_SD_EEES6_PiJS6_EEE10hipError_tPvRmT3_T4_T5_T6_T7_T9_mT8_P12ihipStream_tbDpT10_ENKUlT_T0_E_clISt17integral_constantIbLb1EES1B_EEDaS16_S17_EUlS16_E_NS1_11comp_targetILNS1_3genE4ELNS1_11target_archE910ELNS1_3gpuE8ELNS1_3repE0EEENS1_30default_config_static_selectorELNS0_4arch9wavefront6targetE0EEEvT1_.uses_flat_scratch, 0
	.set _ZN7rocprim17ROCPRIM_400000_NS6detail17trampoline_kernelINS0_14default_configENS1_25partition_config_selectorILNS1_17partition_subalgoE5ElNS0_10empty_typeEbEEZZNS1_14partition_implILS5_5ELb0ES3_mN6hipcub16HIPCUB_304000_NS21CountingInputIteratorIllEEPS6_NSA_22TransformInputIteratorIbN2at6native12_GLOBAL__N_19NonZeroOpIdEEPKdlEENS0_5tupleIJPlS6_EEENSN_IJSD_SD_EEES6_PiJS6_EEE10hipError_tPvRmT3_T4_T5_T6_T7_T9_mT8_P12ihipStream_tbDpT10_ENKUlT_T0_E_clISt17integral_constantIbLb1EES1B_EEDaS16_S17_EUlS16_E_NS1_11comp_targetILNS1_3genE4ELNS1_11target_archE910ELNS1_3gpuE8ELNS1_3repE0EEENS1_30default_config_static_selectorELNS0_4arch9wavefront6targetE0EEEvT1_.has_dyn_sized_stack, 0
	.set _ZN7rocprim17ROCPRIM_400000_NS6detail17trampoline_kernelINS0_14default_configENS1_25partition_config_selectorILNS1_17partition_subalgoE5ElNS0_10empty_typeEbEEZZNS1_14partition_implILS5_5ELb0ES3_mN6hipcub16HIPCUB_304000_NS21CountingInputIteratorIllEEPS6_NSA_22TransformInputIteratorIbN2at6native12_GLOBAL__N_19NonZeroOpIdEEPKdlEENS0_5tupleIJPlS6_EEENSN_IJSD_SD_EEES6_PiJS6_EEE10hipError_tPvRmT3_T4_T5_T6_T7_T9_mT8_P12ihipStream_tbDpT10_ENKUlT_T0_E_clISt17integral_constantIbLb1EES1B_EEDaS16_S17_EUlS16_E_NS1_11comp_targetILNS1_3genE4ELNS1_11target_archE910ELNS1_3gpuE8ELNS1_3repE0EEENS1_30default_config_static_selectorELNS0_4arch9wavefront6targetE0EEEvT1_.has_recursion, 0
	.set _ZN7rocprim17ROCPRIM_400000_NS6detail17trampoline_kernelINS0_14default_configENS1_25partition_config_selectorILNS1_17partition_subalgoE5ElNS0_10empty_typeEbEEZZNS1_14partition_implILS5_5ELb0ES3_mN6hipcub16HIPCUB_304000_NS21CountingInputIteratorIllEEPS6_NSA_22TransformInputIteratorIbN2at6native12_GLOBAL__N_19NonZeroOpIdEEPKdlEENS0_5tupleIJPlS6_EEENSN_IJSD_SD_EEES6_PiJS6_EEE10hipError_tPvRmT3_T4_T5_T6_T7_T9_mT8_P12ihipStream_tbDpT10_ENKUlT_T0_E_clISt17integral_constantIbLb1EES1B_EEDaS16_S17_EUlS16_E_NS1_11comp_targetILNS1_3genE4ELNS1_11target_archE910ELNS1_3gpuE8ELNS1_3repE0EEENS1_30default_config_static_selectorELNS0_4arch9wavefront6targetE0EEEvT1_.has_indirect_call, 0
	.section	.AMDGPU.csdata,"",@progbits
; Kernel info:
; codeLenInByte = 0
; TotalNumSgprs: 0
; NumVgprs: 0
; ScratchSize: 0
; MemoryBound: 0
; FloatMode: 240
; IeeeMode: 1
; LDSByteSize: 0 bytes/workgroup (compile time only)
; SGPRBlocks: 0
; VGPRBlocks: 0
; NumSGPRsForWavesPerEU: 1
; NumVGPRsForWavesPerEU: 1
; Occupancy: 16
; WaveLimiterHint : 0
; COMPUTE_PGM_RSRC2:SCRATCH_EN: 0
; COMPUTE_PGM_RSRC2:USER_SGPR: 2
; COMPUTE_PGM_RSRC2:TRAP_HANDLER: 0
; COMPUTE_PGM_RSRC2:TGID_X_EN: 1
; COMPUTE_PGM_RSRC2:TGID_Y_EN: 0
; COMPUTE_PGM_RSRC2:TGID_Z_EN: 0
; COMPUTE_PGM_RSRC2:TIDIG_COMP_CNT: 0
	.section	.text._ZN7rocprim17ROCPRIM_400000_NS6detail17trampoline_kernelINS0_14default_configENS1_25partition_config_selectorILNS1_17partition_subalgoE5ElNS0_10empty_typeEbEEZZNS1_14partition_implILS5_5ELb0ES3_mN6hipcub16HIPCUB_304000_NS21CountingInputIteratorIllEEPS6_NSA_22TransformInputIteratorIbN2at6native12_GLOBAL__N_19NonZeroOpIdEEPKdlEENS0_5tupleIJPlS6_EEENSN_IJSD_SD_EEES6_PiJS6_EEE10hipError_tPvRmT3_T4_T5_T6_T7_T9_mT8_P12ihipStream_tbDpT10_ENKUlT_T0_E_clISt17integral_constantIbLb1EES1B_EEDaS16_S17_EUlS16_E_NS1_11comp_targetILNS1_3genE3ELNS1_11target_archE908ELNS1_3gpuE7ELNS1_3repE0EEENS1_30default_config_static_selectorELNS0_4arch9wavefront6targetE0EEEvT1_,"axG",@progbits,_ZN7rocprim17ROCPRIM_400000_NS6detail17trampoline_kernelINS0_14default_configENS1_25partition_config_selectorILNS1_17partition_subalgoE5ElNS0_10empty_typeEbEEZZNS1_14partition_implILS5_5ELb0ES3_mN6hipcub16HIPCUB_304000_NS21CountingInputIteratorIllEEPS6_NSA_22TransformInputIteratorIbN2at6native12_GLOBAL__N_19NonZeroOpIdEEPKdlEENS0_5tupleIJPlS6_EEENSN_IJSD_SD_EEES6_PiJS6_EEE10hipError_tPvRmT3_T4_T5_T6_T7_T9_mT8_P12ihipStream_tbDpT10_ENKUlT_T0_E_clISt17integral_constantIbLb1EES1B_EEDaS16_S17_EUlS16_E_NS1_11comp_targetILNS1_3genE3ELNS1_11target_archE908ELNS1_3gpuE7ELNS1_3repE0EEENS1_30default_config_static_selectorELNS0_4arch9wavefront6targetE0EEEvT1_,comdat
	.globl	_ZN7rocprim17ROCPRIM_400000_NS6detail17trampoline_kernelINS0_14default_configENS1_25partition_config_selectorILNS1_17partition_subalgoE5ElNS0_10empty_typeEbEEZZNS1_14partition_implILS5_5ELb0ES3_mN6hipcub16HIPCUB_304000_NS21CountingInputIteratorIllEEPS6_NSA_22TransformInputIteratorIbN2at6native12_GLOBAL__N_19NonZeroOpIdEEPKdlEENS0_5tupleIJPlS6_EEENSN_IJSD_SD_EEES6_PiJS6_EEE10hipError_tPvRmT3_T4_T5_T6_T7_T9_mT8_P12ihipStream_tbDpT10_ENKUlT_T0_E_clISt17integral_constantIbLb1EES1B_EEDaS16_S17_EUlS16_E_NS1_11comp_targetILNS1_3genE3ELNS1_11target_archE908ELNS1_3gpuE7ELNS1_3repE0EEENS1_30default_config_static_selectorELNS0_4arch9wavefront6targetE0EEEvT1_ ; -- Begin function _ZN7rocprim17ROCPRIM_400000_NS6detail17trampoline_kernelINS0_14default_configENS1_25partition_config_selectorILNS1_17partition_subalgoE5ElNS0_10empty_typeEbEEZZNS1_14partition_implILS5_5ELb0ES3_mN6hipcub16HIPCUB_304000_NS21CountingInputIteratorIllEEPS6_NSA_22TransformInputIteratorIbN2at6native12_GLOBAL__N_19NonZeroOpIdEEPKdlEENS0_5tupleIJPlS6_EEENSN_IJSD_SD_EEES6_PiJS6_EEE10hipError_tPvRmT3_T4_T5_T6_T7_T9_mT8_P12ihipStream_tbDpT10_ENKUlT_T0_E_clISt17integral_constantIbLb1EES1B_EEDaS16_S17_EUlS16_E_NS1_11comp_targetILNS1_3genE3ELNS1_11target_archE908ELNS1_3gpuE7ELNS1_3repE0EEENS1_30default_config_static_selectorELNS0_4arch9wavefront6targetE0EEEvT1_
	.p2align	8
	.type	_ZN7rocprim17ROCPRIM_400000_NS6detail17trampoline_kernelINS0_14default_configENS1_25partition_config_selectorILNS1_17partition_subalgoE5ElNS0_10empty_typeEbEEZZNS1_14partition_implILS5_5ELb0ES3_mN6hipcub16HIPCUB_304000_NS21CountingInputIteratorIllEEPS6_NSA_22TransformInputIteratorIbN2at6native12_GLOBAL__N_19NonZeroOpIdEEPKdlEENS0_5tupleIJPlS6_EEENSN_IJSD_SD_EEES6_PiJS6_EEE10hipError_tPvRmT3_T4_T5_T6_T7_T9_mT8_P12ihipStream_tbDpT10_ENKUlT_T0_E_clISt17integral_constantIbLb1EES1B_EEDaS16_S17_EUlS16_E_NS1_11comp_targetILNS1_3genE3ELNS1_11target_archE908ELNS1_3gpuE7ELNS1_3repE0EEENS1_30default_config_static_selectorELNS0_4arch9wavefront6targetE0EEEvT1_,@function
_ZN7rocprim17ROCPRIM_400000_NS6detail17trampoline_kernelINS0_14default_configENS1_25partition_config_selectorILNS1_17partition_subalgoE5ElNS0_10empty_typeEbEEZZNS1_14partition_implILS5_5ELb0ES3_mN6hipcub16HIPCUB_304000_NS21CountingInputIteratorIllEEPS6_NSA_22TransformInputIteratorIbN2at6native12_GLOBAL__N_19NonZeroOpIdEEPKdlEENS0_5tupleIJPlS6_EEENSN_IJSD_SD_EEES6_PiJS6_EEE10hipError_tPvRmT3_T4_T5_T6_T7_T9_mT8_P12ihipStream_tbDpT10_ENKUlT_T0_E_clISt17integral_constantIbLb1EES1B_EEDaS16_S17_EUlS16_E_NS1_11comp_targetILNS1_3genE3ELNS1_11target_archE908ELNS1_3gpuE7ELNS1_3repE0EEENS1_30default_config_static_selectorELNS0_4arch9wavefront6targetE0EEEvT1_: ; @_ZN7rocprim17ROCPRIM_400000_NS6detail17trampoline_kernelINS0_14default_configENS1_25partition_config_selectorILNS1_17partition_subalgoE5ElNS0_10empty_typeEbEEZZNS1_14partition_implILS5_5ELb0ES3_mN6hipcub16HIPCUB_304000_NS21CountingInputIteratorIllEEPS6_NSA_22TransformInputIteratorIbN2at6native12_GLOBAL__N_19NonZeroOpIdEEPKdlEENS0_5tupleIJPlS6_EEENSN_IJSD_SD_EEES6_PiJS6_EEE10hipError_tPvRmT3_T4_T5_T6_T7_T9_mT8_P12ihipStream_tbDpT10_ENKUlT_T0_E_clISt17integral_constantIbLb1EES1B_EEDaS16_S17_EUlS16_E_NS1_11comp_targetILNS1_3genE3ELNS1_11target_archE908ELNS1_3gpuE7ELNS1_3repE0EEENS1_30default_config_static_selectorELNS0_4arch9wavefront6targetE0EEEvT1_
; %bb.0:
	.section	.rodata,"a",@progbits
	.p2align	6, 0x0
	.amdhsa_kernel _ZN7rocprim17ROCPRIM_400000_NS6detail17trampoline_kernelINS0_14default_configENS1_25partition_config_selectorILNS1_17partition_subalgoE5ElNS0_10empty_typeEbEEZZNS1_14partition_implILS5_5ELb0ES3_mN6hipcub16HIPCUB_304000_NS21CountingInputIteratorIllEEPS6_NSA_22TransformInputIteratorIbN2at6native12_GLOBAL__N_19NonZeroOpIdEEPKdlEENS0_5tupleIJPlS6_EEENSN_IJSD_SD_EEES6_PiJS6_EEE10hipError_tPvRmT3_T4_T5_T6_T7_T9_mT8_P12ihipStream_tbDpT10_ENKUlT_T0_E_clISt17integral_constantIbLb1EES1B_EEDaS16_S17_EUlS16_E_NS1_11comp_targetILNS1_3genE3ELNS1_11target_archE908ELNS1_3gpuE7ELNS1_3repE0EEENS1_30default_config_static_selectorELNS0_4arch9wavefront6targetE0EEEvT1_
		.amdhsa_group_segment_fixed_size 0
		.amdhsa_private_segment_fixed_size 0
		.amdhsa_kernarg_size 136
		.amdhsa_user_sgpr_count 2
		.amdhsa_user_sgpr_dispatch_ptr 0
		.amdhsa_user_sgpr_queue_ptr 0
		.amdhsa_user_sgpr_kernarg_segment_ptr 1
		.amdhsa_user_sgpr_dispatch_id 0
		.amdhsa_user_sgpr_private_segment_size 0
		.amdhsa_wavefront_size32 1
		.amdhsa_uses_dynamic_stack 0
		.amdhsa_enable_private_segment 0
		.amdhsa_system_sgpr_workgroup_id_x 1
		.amdhsa_system_sgpr_workgroup_id_y 0
		.amdhsa_system_sgpr_workgroup_id_z 0
		.amdhsa_system_sgpr_workgroup_info 0
		.amdhsa_system_vgpr_workitem_id 0
		.amdhsa_next_free_vgpr 1
		.amdhsa_next_free_sgpr 1
		.amdhsa_reserve_vcc 0
		.amdhsa_float_round_mode_32 0
		.amdhsa_float_round_mode_16_64 0
		.amdhsa_float_denorm_mode_32 3
		.amdhsa_float_denorm_mode_16_64 3
		.amdhsa_fp16_overflow 0
		.amdhsa_workgroup_processor_mode 1
		.amdhsa_memory_ordered 1
		.amdhsa_forward_progress 1
		.amdhsa_inst_pref_size 0
		.amdhsa_round_robin_scheduling 0
		.amdhsa_exception_fp_ieee_invalid_op 0
		.amdhsa_exception_fp_denorm_src 0
		.amdhsa_exception_fp_ieee_div_zero 0
		.amdhsa_exception_fp_ieee_overflow 0
		.amdhsa_exception_fp_ieee_underflow 0
		.amdhsa_exception_fp_ieee_inexact 0
		.amdhsa_exception_int_div_zero 0
	.end_amdhsa_kernel
	.section	.text._ZN7rocprim17ROCPRIM_400000_NS6detail17trampoline_kernelINS0_14default_configENS1_25partition_config_selectorILNS1_17partition_subalgoE5ElNS0_10empty_typeEbEEZZNS1_14partition_implILS5_5ELb0ES3_mN6hipcub16HIPCUB_304000_NS21CountingInputIteratorIllEEPS6_NSA_22TransformInputIteratorIbN2at6native12_GLOBAL__N_19NonZeroOpIdEEPKdlEENS0_5tupleIJPlS6_EEENSN_IJSD_SD_EEES6_PiJS6_EEE10hipError_tPvRmT3_T4_T5_T6_T7_T9_mT8_P12ihipStream_tbDpT10_ENKUlT_T0_E_clISt17integral_constantIbLb1EES1B_EEDaS16_S17_EUlS16_E_NS1_11comp_targetILNS1_3genE3ELNS1_11target_archE908ELNS1_3gpuE7ELNS1_3repE0EEENS1_30default_config_static_selectorELNS0_4arch9wavefront6targetE0EEEvT1_,"axG",@progbits,_ZN7rocprim17ROCPRIM_400000_NS6detail17trampoline_kernelINS0_14default_configENS1_25partition_config_selectorILNS1_17partition_subalgoE5ElNS0_10empty_typeEbEEZZNS1_14partition_implILS5_5ELb0ES3_mN6hipcub16HIPCUB_304000_NS21CountingInputIteratorIllEEPS6_NSA_22TransformInputIteratorIbN2at6native12_GLOBAL__N_19NonZeroOpIdEEPKdlEENS0_5tupleIJPlS6_EEENSN_IJSD_SD_EEES6_PiJS6_EEE10hipError_tPvRmT3_T4_T5_T6_T7_T9_mT8_P12ihipStream_tbDpT10_ENKUlT_T0_E_clISt17integral_constantIbLb1EES1B_EEDaS16_S17_EUlS16_E_NS1_11comp_targetILNS1_3genE3ELNS1_11target_archE908ELNS1_3gpuE7ELNS1_3repE0EEENS1_30default_config_static_selectorELNS0_4arch9wavefront6targetE0EEEvT1_,comdat
.Lfunc_end401:
	.size	_ZN7rocprim17ROCPRIM_400000_NS6detail17trampoline_kernelINS0_14default_configENS1_25partition_config_selectorILNS1_17partition_subalgoE5ElNS0_10empty_typeEbEEZZNS1_14partition_implILS5_5ELb0ES3_mN6hipcub16HIPCUB_304000_NS21CountingInputIteratorIllEEPS6_NSA_22TransformInputIteratorIbN2at6native12_GLOBAL__N_19NonZeroOpIdEEPKdlEENS0_5tupleIJPlS6_EEENSN_IJSD_SD_EEES6_PiJS6_EEE10hipError_tPvRmT3_T4_T5_T6_T7_T9_mT8_P12ihipStream_tbDpT10_ENKUlT_T0_E_clISt17integral_constantIbLb1EES1B_EEDaS16_S17_EUlS16_E_NS1_11comp_targetILNS1_3genE3ELNS1_11target_archE908ELNS1_3gpuE7ELNS1_3repE0EEENS1_30default_config_static_selectorELNS0_4arch9wavefront6targetE0EEEvT1_, .Lfunc_end401-_ZN7rocprim17ROCPRIM_400000_NS6detail17trampoline_kernelINS0_14default_configENS1_25partition_config_selectorILNS1_17partition_subalgoE5ElNS0_10empty_typeEbEEZZNS1_14partition_implILS5_5ELb0ES3_mN6hipcub16HIPCUB_304000_NS21CountingInputIteratorIllEEPS6_NSA_22TransformInputIteratorIbN2at6native12_GLOBAL__N_19NonZeroOpIdEEPKdlEENS0_5tupleIJPlS6_EEENSN_IJSD_SD_EEES6_PiJS6_EEE10hipError_tPvRmT3_T4_T5_T6_T7_T9_mT8_P12ihipStream_tbDpT10_ENKUlT_T0_E_clISt17integral_constantIbLb1EES1B_EEDaS16_S17_EUlS16_E_NS1_11comp_targetILNS1_3genE3ELNS1_11target_archE908ELNS1_3gpuE7ELNS1_3repE0EEENS1_30default_config_static_selectorELNS0_4arch9wavefront6targetE0EEEvT1_
                                        ; -- End function
	.set _ZN7rocprim17ROCPRIM_400000_NS6detail17trampoline_kernelINS0_14default_configENS1_25partition_config_selectorILNS1_17partition_subalgoE5ElNS0_10empty_typeEbEEZZNS1_14partition_implILS5_5ELb0ES3_mN6hipcub16HIPCUB_304000_NS21CountingInputIteratorIllEEPS6_NSA_22TransformInputIteratorIbN2at6native12_GLOBAL__N_19NonZeroOpIdEEPKdlEENS0_5tupleIJPlS6_EEENSN_IJSD_SD_EEES6_PiJS6_EEE10hipError_tPvRmT3_T4_T5_T6_T7_T9_mT8_P12ihipStream_tbDpT10_ENKUlT_T0_E_clISt17integral_constantIbLb1EES1B_EEDaS16_S17_EUlS16_E_NS1_11comp_targetILNS1_3genE3ELNS1_11target_archE908ELNS1_3gpuE7ELNS1_3repE0EEENS1_30default_config_static_selectorELNS0_4arch9wavefront6targetE0EEEvT1_.num_vgpr, 0
	.set _ZN7rocprim17ROCPRIM_400000_NS6detail17trampoline_kernelINS0_14default_configENS1_25partition_config_selectorILNS1_17partition_subalgoE5ElNS0_10empty_typeEbEEZZNS1_14partition_implILS5_5ELb0ES3_mN6hipcub16HIPCUB_304000_NS21CountingInputIteratorIllEEPS6_NSA_22TransformInputIteratorIbN2at6native12_GLOBAL__N_19NonZeroOpIdEEPKdlEENS0_5tupleIJPlS6_EEENSN_IJSD_SD_EEES6_PiJS6_EEE10hipError_tPvRmT3_T4_T5_T6_T7_T9_mT8_P12ihipStream_tbDpT10_ENKUlT_T0_E_clISt17integral_constantIbLb1EES1B_EEDaS16_S17_EUlS16_E_NS1_11comp_targetILNS1_3genE3ELNS1_11target_archE908ELNS1_3gpuE7ELNS1_3repE0EEENS1_30default_config_static_selectorELNS0_4arch9wavefront6targetE0EEEvT1_.num_agpr, 0
	.set _ZN7rocprim17ROCPRIM_400000_NS6detail17trampoline_kernelINS0_14default_configENS1_25partition_config_selectorILNS1_17partition_subalgoE5ElNS0_10empty_typeEbEEZZNS1_14partition_implILS5_5ELb0ES3_mN6hipcub16HIPCUB_304000_NS21CountingInputIteratorIllEEPS6_NSA_22TransformInputIteratorIbN2at6native12_GLOBAL__N_19NonZeroOpIdEEPKdlEENS0_5tupleIJPlS6_EEENSN_IJSD_SD_EEES6_PiJS6_EEE10hipError_tPvRmT3_T4_T5_T6_T7_T9_mT8_P12ihipStream_tbDpT10_ENKUlT_T0_E_clISt17integral_constantIbLb1EES1B_EEDaS16_S17_EUlS16_E_NS1_11comp_targetILNS1_3genE3ELNS1_11target_archE908ELNS1_3gpuE7ELNS1_3repE0EEENS1_30default_config_static_selectorELNS0_4arch9wavefront6targetE0EEEvT1_.numbered_sgpr, 0
	.set _ZN7rocprim17ROCPRIM_400000_NS6detail17trampoline_kernelINS0_14default_configENS1_25partition_config_selectorILNS1_17partition_subalgoE5ElNS0_10empty_typeEbEEZZNS1_14partition_implILS5_5ELb0ES3_mN6hipcub16HIPCUB_304000_NS21CountingInputIteratorIllEEPS6_NSA_22TransformInputIteratorIbN2at6native12_GLOBAL__N_19NonZeroOpIdEEPKdlEENS0_5tupleIJPlS6_EEENSN_IJSD_SD_EEES6_PiJS6_EEE10hipError_tPvRmT3_T4_T5_T6_T7_T9_mT8_P12ihipStream_tbDpT10_ENKUlT_T0_E_clISt17integral_constantIbLb1EES1B_EEDaS16_S17_EUlS16_E_NS1_11comp_targetILNS1_3genE3ELNS1_11target_archE908ELNS1_3gpuE7ELNS1_3repE0EEENS1_30default_config_static_selectorELNS0_4arch9wavefront6targetE0EEEvT1_.num_named_barrier, 0
	.set _ZN7rocprim17ROCPRIM_400000_NS6detail17trampoline_kernelINS0_14default_configENS1_25partition_config_selectorILNS1_17partition_subalgoE5ElNS0_10empty_typeEbEEZZNS1_14partition_implILS5_5ELb0ES3_mN6hipcub16HIPCUB_304000_NS21CountingInputIteratorIllEEPS6_NSA_22TransformInputIteratorIbN2at6native12_GLOBAL__N_19NonZeroOpIdEEPKdlEENS0_5tupleIJPlS6_EEENSN_IJSD_SD_EEES6_PiJS6_EEE10hipError_tPvRmT3_T4_T5_T6_T7_T9_mT8_P12ihipStream_tbDpT10_ENKUlT_T0_E_clISt17integral_constantIbLb1EES1B_EEDaS16_S17_EUlS16_E_NS1_11comp_targetILNS1_3genE3ELNS1_11target_archE908ELNS1_3gpuE7ELNS1_3repE0EEENS1_30default_config_static_selectorELNS0_4arch9wavefront6targetE0EEEvT1_.private_seg_size, 0
	.set _ZN7rocprim17ROCPRIM_400000_NS6detail17trampoline_kernelINS0_14default_configENS1_25partition_config_selectorILNS1_17partition_subalgoE5ElNS0_10empty_typeEbEEZZNS1_14partition_implILS5_5ELb0ES3_mN6hipcub16HIPCUB_304000_NS21CountingInputIteratorIllEEPS6_NSA_22TransformInputIteratorIbN2at6native12_GLOBAL__N_19NonZeroOpIdEEPKdlEENS0_5tupleIJPlS6_EEENSN_IJSD_SD_EEES6_PiJS6_EEE10hipError_tPvRmT3_T4_T5_T6_T7_T9_mT8_P12ihipStream_tbDpT10_ENKUlT_T0_E_clISt17integral_constantIbLb1EES1B_EEDaS16_S17_EUlS16_E_NS1_11comp_targetILNS1_3genE3ELNS1_11target_archE908ELNS1_3gpuE7ELNS1_3repE0EEENS1_30default_config_static_selectorELNS0_4arch9wavefront6targetE0EEEvT1_.uses_vcc, 0
	.set _ZN7rocprim17ROCPRIM_400000_NS6detail17trampoline_kernelINS0_14default_configENS1_25partition_config_selectorILNS1_17partition_subalgoE5ElNS0_10empty_typeEbEEZZNS1_14partition_implILS5_5ELb0ES3_mN6hipcub16HIPCUB_304000_NS21CountingInputIteratorIllEEPS6_NSA_22TransformInputIteratorIbN2at6native12_GLOBAL__N_19NonZeroOpIdEEPKdlEENS0_5tupleIJPlS6_EEENSN_IJSD_SD_EEES6_PiJS6_EEE10hipError_tPvRmT3_T4_T5_T6_T7_T9_mT8_P12ihipStream_tbDpT10_ENKUlT_T0_E_clISt17integral_constantIbLb1EES1B_EEDaS16_S17_EUlS16_E_NS1_11comp_targetILNS1_3genE3ELNS1_11target_archE908ELNS1_3gpuE7ELNS1_3repE0EEENS1_30default_config_static_selectorELNS0_4arch9wavefront6targetE0EEEvT1_.uses_flat_scratch, 0
	.set _ZN7rocprim17ROCPRIM_400000_NS6detail17trampoline_kernelINS0_14default_configENS1_25partition_config_selectorILNS1_17partition_subalgoE5ElNS0_10empty_typeEbEEZZNS1_14partition_implILS5_5ELb0ES3_mN6hipcub16HIPCUB_304000_NS21CountingInputIteratorIllEEPS6_NSA_22TransformInputIteratorIbN2at6native12_GLOBAL__N_19NonZeroOpIdEEPKdlEENS0_5tupleIJPlS6_EEENSN_IJSD_SD_EEES6_PiJS6_EEE10hipError_tPvRmT3_T4_T5_T6_T7_T9_mT8_P12ihipStream_tbDpT10_ENKUlT_T0_E_clISt17integral_constantIbLb1EES1B_EEDaS16_S17_EUlS16_E_NS1_11comp_targetILNS1_3genE3ELNS1_11target_archE908ELNS1_3gpuE7ELNS1_3repE0EEENS1_30default_config_static_selectorELNS0_4arch9wavefront6targetE0EEEvT1_.has_dyn_sized_stack, 0
	.set _ZN7rocprim17ROCPRIM_400000_NS6detail17trampoline_kernelINS0_14default_configENS1_25partition_config_selectorILNS1_17partition_subalgoE5ElNS0_10empty_typeEbEEZZNS1_14partition_implILS5_5ELb0ES3_mN6hipcub16HIPCUB_304000_NS21CountingInputIteratorIllEEPS6_NSA_22TransformInputIteratorIbN2at6native12_GLOBAL__N_19NonZeroOpIdEEPKdlEENS0_5tupleIJPlS6_EEENSN_IJSD_SD_EEES6_PiJS6_EEE10hipError_tPvRmT3_T4_T5_T6_T7_T9_mT8_P12ihipStream_tbDpT10_ENKUlT_T0_E_clISt17integral_constantIbLb1EES1B_EEDaS16_S17_EUlS16_E_NS1_11comp_targetILNS1_3genE3ELNS1_11target_archE908ELNS1_3gpuE7ELNS1_3repE0EEENS1_30default_config_static_selectorELNS0_4arch9wavefront6targetE0EEEvT1_.has_recursion, 0
	.set _ZN7rocprim17ROCPRIM_400000_NS6detail17trampoline_kernelINS0_14default_configENS1_25partition_config_selectorILNS1_17partition_subalgoE5ElNS0_10empty_typeEbEEZZNS1_14partition_implILS5_5ELb0ES3_mN6hipcub16HIPCUB_304000_NS21CountingInputIteratorIllEEPS6_NSA_22TransformInputIteratorIbN2at6native12_GLOBAL__N_19NonZeroOpIdEEPKdlEENS0_5tupleIJPlS6_EEENSN_IJSD_SD_EEES6_PiJS6_EEE10hipError_tPvRmT3_T4_T5_T6_T7_T9_mT8_P12ihipStream_tbDpT10_ENKUlT_T0_E_clISt17integral_constantIbLb1EES1B_EEDaS16_S17_EUlS16_E_NS1_11comp_targetILNS1_3genE3ELNS1_11target_archE908ELNS1_3gpuE7ELNS1_3repE0EEENS1_30default_config_static_selectorELNS0_4arch9wavefront6targetE0EEEvT1_.has_indirect_call, 0
	.section	.AMDGPU.csdata,"",@progbits
; Kernel info:
; codeLenInByte = 0
; TotalNumSgprs: 0
; NumVgprs: 0
; ScratchSize: 0
; MemoryBound: 0
; FloatMode: 240
; IeeeMode: 1
; LDSByteSize: 0 bytes/workgroup (compile time only)
; SGPRBlocks: 0
; VGPRBlocks: 0
; NumSGPRsForWavesPerEU: 1
; NumVGPRsForWavesPerEU: 1
; Occupancy: 16
; WaveLimiterHint : 0
; COMPUTE_PGM_RSRC2:SCRATCH_EN: 0
; COMPUTE_PGM_RSRC2:USER_SGPR: 2
; COMPUTE_PGM_RSRC2:TRAP_HANDLER: 0
; COMPUTE_PGM_RSRC2:TGID_X_EN: 1
; COMPUTE_PGM_RSRC2:TGID_Y_EN: 0
; COMPUTE_PGM_RSRC2:TGID_Z_EN: 0
; COMPUTE_PGM_RSRC2:TIDIG_COMP_CNT: 0
	.section	.text._ZN7rocprim17ROCPRIM_400000_NS6detail17trampoline_kernelINS0_14default_configENS1_25partition_config_selectorILNS1_17partition_subalgoE5ElNS0_10empty_typeEbEEZZNS1_14partition_implILS5_5ELb0ES3_mN6hipcub16HIPCUB_304000_NS21CountingInputIteratorIllEEPS6_NSA_22TransformInputIteratorIbN2at6native12_GLOBAL__N_19NonZeroOpIdEEPKdlEENS0_5tupleIJPlS6_EEENSN_IJSD_SD_EEES6_PiJS6_EEE10hipError_tPvRmT3_T4_T5_T6_T7_T9_mT8_P12ihipStream_tbDpT10_ENKUlT_T0_E_clISt17integral_constantIbLb1EES1B_EEDaS16_S17_EUlS16_E_NS1_11comp_targetILNS1_3genE2ELNS1_11target_archE906ELNS1_3gpuE6ELNS1_3repE0EEENS1_30default_config_static_selectorELNS0_4arch9wavefront6targetE0EEEvT1_,"axG",@progbits,_ZN7rocprim17ROCPRIM_400000_NS6detail17trampoline_kernelINS0_14default_configENS1_25partition_config_selectorILNS1_17partition_subalgoE5ElNS0_10empty_typeEbEEZZNS1_14partition_implILS5_5ELb0ES3_mN6hipcub16HIPCUB_304000_NS21CountingInputIteratorIllEEPS6_NSA_22TransformInputIteratorIbN2at6native12_GLOBAL__N_19NonZeroOpIdEEPKdlEENS0_5tupleIJPlS6_EEENSN_IJSD_SD_EEES6_PiJS6_EEE10hipError_tPvRmT3_T4_T5_T6_T7_T9_mT8_P12ihipStream_tbDpT10_ENKUlT_T0_E_clISt17integral_constantIbLb1EES1B_EEDaS16_S17_EUlS16_E_NS1_11comp_targetILNS1_3genE2ELNS1_11target_archE906ELNS1_3gpuE6ELNS1_3repE0EEENS1_30default_config_static_selectorELNS0_4arch9wavefront6targetE0EEEvT1_,comdat
	.globl	_ZN7rocprim17ROCPRIM_400000_NS6detail17trampoline_kernelINS0_14default_configENS1_25partition_config_selectorILNS1_17partition_subalgoE5ElNS0_10empty_typeEbEEZZNS1_14partition_implILS5_5ELb0ES3_mN6hipcub16HIPCUB_304000_NS21CountingInputIteratorIllEEPS6_NSA_22TransformInputIteratorIbN2at6native12_GLOBAL__N_19NonZeroOpIdEEPKdlEENS0_5tupleIJPlS6_EEENSN_IJSD_SD_EEES6_PiJS6_EEE10hipError_tPvRmT3_T4_T5_T6_T7_T9_mT8_P12ihipStream_tbDpT10_ENKUlT_T0_E_clISt17integral_constantIbLb1EES1B_EEDaS16_S17_EUlS16_E_NS1_11comp_targetILNS1_3genE2ELNS1_11target_archE906ELNS1_3gpuE6ELNS1_3repE0EEENS1_30default_config_static_selectorELNS0_4arch9wavefront6targetE0EEEvT1_ ; -- Begin function _ZN7rocprim17ROCPRIM_400000_NS6detail17trampoline_kernelINS0_14default_configENS1_25partition_config_selectorILNS1_17partition_subalgoE5ElNS0_10empty_typeEbEEZZNS1_14partition_implILS5_5ELb0ES3_mN6hipcub16HIPCUB_304000_NS21CountingInputIteratorIllEEPS6_NSA_22TransformInputIteratorIbN2at6native12_GLOBAL__N_19NonZeroOpIdEEPKdlEENS0_5tupleIJPlS6_EEENSN_IJSD_SD_EEES6_PiJS6_EEE10hipError_tPvRmT3_T4_T5_T6_T7_T9_mT8_P12ihipStream_tbDpT10_ENKUlT_T0_E_clISt17integral_constantIbLb1EES1B_EEDaS16_S17_EUlS16_E_NS1_11comp_targetILNS1_3genE2ELNS1_11target_archE906ELNS1_3gpuE6ELNS1_3repE0EEENS1_30default_config_static_selectorELNS0_4arch9wavefront6targetE0EEEvT1_
	.p2align	8
	.type	_ZN7rocprim17ROCPRIM_400000_NS6detail17trampoline_kernelINS0_14default_configENS1_25partition_config_selectorILNS1_17partition_subalgoE5ElNS0_10empty_typeEbEEZZNS1_14partition_implILS5_5ELb0ES3_mN6hipcub16HIPCUB_304000_NS21CountingInputIteratorIllEEPS6_NSA_22TransformInputIteratorIbN2at6native12_GLOBAL__N_19NonZeroOpIdEEPKdlEENS0_5tupleIJPlS6_EEENSN_IJSD_SD_EEES6_PiJS6_EEE10hipError_tPvRmT3_T4_T5_T6_T7_T9_mT8_P12ihipStream_tbDpT10_ENKUlT_T0_E_clISt17integral_constantIbLb1EES1B_EEDaS16_S17_EUlS16_E_NS1_11comp_targetILNS1_3genE2ELNS1_11target_archE906ELNS1_3gpuE6ELNS1_3repE0EEENS1_30default_config_static_selectorELNS0_4arch9wavefront6targetE0EEEvT1_,@function
_ZN7rocprim17ROCPRIM_400000_NS6detail17trampoline_kernelINS0_14default_configENS1_25partition_config_selectorILNS1_17partition_subalgoE5ElNS0_10empty_typeEbEEZZNS1_14partition_implILS5_5ELb0ES3_mN6hipcub16HIPCUB_304000_NS21CountingInputIteratorIllEEPS6_NSA_22TransformInputIteratorIbN2at6native12_GLOBAL__N_19NonZeroOpIdEEPKdlEENS0_5tupleIJPlS6_EEENSN_IJSD_SD_EEES6_PiJS6_EEE10hipError_tPvRmT3_T4_T5_T6_T7_T9_mT8_P12ihipStream_tbDpT10_ENKUlT_T0_E_clISt17integral_constantIbLb1EES1B_EEDaS16_S17_EUlS16_E_NS1_11comp_targetILNS1_3genE2ELNS1_11target_archE906ELNS1_3gpuE6ELNS1_3repE0EEENS1_30default_config_static_selectorELNS0_4arch9wavefront6targetE0EEEvT1_: ; @_ZN7rocprim17ROCPRIM_400000_NS6detail17trampoline_kernelINS0_14default_configENS1_25partition_config_selectorILNS1_17partition_subalgoE5ElNS0_10empty_typeEbEEZZNS1_14partition_implILS5_5ELb0ES3_mN6hipcub16HIPCUB_304000_NS21CountingInputIteratorIllEEPS6_NSA_22TransformInputIteratorIbN2at6native12_GLOBAL__N_19NonZeroOpIdEEPKdlEENS0_5tupleIJPlS6_EEENSN_IJSD_SD_EEES6_PiJS6_EEE10hipError_tPvRmT3_T4_T5_T6_T7_T9_mT8_P12ihipStream_tbDpT10_ENKUlT_T0_E_clISt17integral_constantIbLb1EES1B_EEDaS16_S17_EUlS16_E_NS1_11comp_targetILNS1_3genE2ELNS1_11target_archE906ELNS1_3gpuE6ELNS1_3repE0EEENS1_30default_config_static_selectorELNS0_4arch9wavefront6targetE0EEEvT1_
; %bb.0:
	.section	.rodata,"a",@progbits
	.p2align	6, 0x0
	.amdhsa_kernel _ZN7rocprim17ROCPRIM_400000_NS6detail17trampoline_kernelINS0_14default_configENS1_25partition_config_selectorILNS1_17partition_subalgoE5ElNS0_10empty_typeEbEEZZNS1_14partition_implILS5_5ELb0ES3_mN6hipcub16HIPCUB_304000_NS21CountingInputIteratorIllEEPS6_NSA_22TransformInputIteratorIbN2at6native12_GLOBAL__N_19NonZeroOpIdEEPKdlEENS0_5tupleIJPlS6_EEENSN_IJSD_SD_EEES6_PiJS6_EEE10hipError_tPvRmT3_T4_T5_T6_T7_T9_mT8_P12ihipStream_tbDpT10_ENKUlT_T0_E_clISt17integral_constantIbLb1EES1B_EEDaS16_S17_EUlS16_E_NS1_11comp_targetILNS1_3genE2ELNS1_11target_archE906ELNS1_3gpuE6ELNS1_3repE0EEENS1_30default_config_static_selectorELNS0_4arch9wavefront6targetE0EEEvT1_
		.amdhsa_group_segment_fixed_size 0
		.amdhsa_private_segment_fixed_size 0
		.amdhsa_kernarg_size 136
		.amdhsa_user_sgpr_count 2
		.amdhsa_user_sgpr_dispatch_ptr 0
		.amdhsa_user_sgpr_queue_ptr 0
		.amdhsa_user_sgpr_kernarg_segment_ptr 1
		.amdhsa_user_sgpr_dispatch_id 0
		.amdhsa_user_sgpr_private_segment_size 0
		.amdhsa_wavefront_size32 1
		.amdhsa_uses_dynamic_stack 0
		.amdhsa_enable_private_segment 0
		.amdhsa_system_sgpr_workgroup_id_x 1
		.amdhsa_system_sgpr_workgroup_id_y 0
		.amdhsa_system_sgpr_workgroup_id_z 0
		.amdhsa_system_sgpr_workgroup_info 0
		.amdhsa_system_vgpr_workitem_id 0
		.amdhsa_next_free_vgpr 1
		.amdhsa_next_free_sgpr 1
		.amdhsa_reserve_vcc 0
		.amdhsa_float_round_mode_32 0
		.amdhsa_float_round_mode_16_64 0
		.amdhsa_float_denorm_mode_32 3
		.amdhsa_float_denorm_mode_16_64 3
		.amdhsa_fp16_overflow 0
		.amdhsa_workgroup_processor_mode 1
		.amdhsa_memory_ordered 1
		.amdhsa_forward_progress 1
		.amdhsa_inst_pref_size 0
		.amdhsa_round_robin_scheduling 0
		.amdhsa_exception_fp_ieee_invalid_op 0
		.amdhsa_exception_fp_denorm_src 0
		.amdhsa_exception_fp_ieee_div_zero 0
		.amdhsa_exception_fp_ieee_overflow 0
		.amdhsa_exception_fp_ieee_underflow 0
		.amdhsa_exception_fp_ieee_inexact 0
		.amdhsa_exception_int_div_zero 0
	.end_amdhsa_kernel
	.section	.text._ZN7rocprim17ROCPRIM_400000_NS6detail17trampoline_kernelINS0_14default_configENS1_25partition_config_selectorILNS1_17partition_subalgoE5ElNS0_10empty_typeEbEEZZNS1_14partition_implILS5_5ELb0ES3_mN6hipcub16HIPCUB_304000_NS21CountingInputIteratorIllEEPS6_NSA_22TransformInputIteratorIbN2at6native12_GLOBAL__N_19NonZeroOpIdEEPKdlEENS0_5tupleIJPlS6_EEENSN_IJSD_SD_EEES6_PiJS6_EEE10hipError_tPvRmT3_T4_T5_T6_T7_T9_mT8_P12ihipStream_tbDpT10_ENKUlT_T0_E_clISt17integral_constantIbLb1EES1B_EEDaS16_S17_EUlS16_E_NS1_11comp_targetILNS1_3genE2ELNS1_11target_archE906ELNS1_3gpuE6ELNS1_3repE0EEENS1_30default_config_static_selectorELNS0_4arch9wavefront6targetE0EEEvT1_,"axG",@progbits,_ZN7rocprim17ROCPRIM_400000_NS6detail17trampoline_kernelINS0_14default_configENS1_25partition_config_selectorILNS1_17partition_subalgoE5ElNS0_10empty_typeEbEEZZNS1_14partition_implILS5_5ELb0ES3_mN6hipcub16HIPCUB_304000_NS21CountingInputIteratorIllEEPS6_NSA_22TransformInputIteratorIbN2at6native12_GLOBAL__N_19NonZeroOpIdEEPKdlEENS0_5tupleIJPlS6_EEENSN_IJSD_SD_EEES6_PiJS6_EEE10hipError_tPvRmT3_T4_T5_T6_T7_T9_mT8_P12ihipStream_tbDpT10_ENKUlT_T0_E_clISt17integral_constantIbLb1EES1B_EEDaS16_S17_EUlS16_E_NS1_11comp_targetILNS1_3genE2ELNS1_11target_archE906ELNS1_3gpuE6ELNS1_3repE0EEENS1_30default_config_static_selectorELNS0_4arch9wavefront6targetE0EEEvT1_,comdat
.Lfunc_end402:
	.size	_ZN7rocprim17ROCPRIM_400000_NS6detail17trampoline_kernelINS0_14default_configENS1_25partition_config_selectorILNS1_17partition_subalgoE5ElNS0_10empty_typeEbEEZZNS1_14partition_implILS5_5ELb0ES3_mN6hipcub16HIPCUB_304000_NS21CountingInputIteratorIllEEPS6_NSA_22TransformInputIteratorIbN2at6native12_GLOBAL__N_19NonZeroOpIdEEPKdlEENS0_5tupleIJPlS6_EEENSN_IJSD_SD_EEES6_PiJS6_EEE10hipError_tPvRmT3_T4_T5_T6_T7_T9_mT8_P12ihipStream_tbDpT10_ENKUlT_T0_E_clISt17integral_constantIbLb1EES1B_EEDaS16_S17_EUlS16_E_NS1_11comp_targetILNS1_3genE2ELNS1_11target_archE906ELNS1_3gpuE6ELNS1_3repE0EEENS1_30default_config_static_selectorELNS0_4arch9wavefront6targetE0EEEvT1_, .Lfunc_end402-_ZN7rocprim17ROCPRIM_400000_NS6detail17trampoline_kernelINS0_14default_configENS1_25partition_config_selectorILNS1_17partition_subalgoE5ElNS0_10empty_typeEbEEZZNS1_14partition_implILS5_5ELb0ES3_mN6hipcub16HIPCUB_304000_NS21CountingInputIteratorIllEEPS6_NSA_22TransformInputIteratorIbN2at6native12_GLOBAL__N_19NonZeroOpIdEEPKdlEENS0_5tupleIJPlS6_EEENSN_IJSD_SD_EEES6_PiJS6_EEE10hipError_tPvRmT3_T4_T5_T6_T7_T9_mT8_P12ihipStream_tbDpT10_ENKUlT_T0_E_clISt17integral_constantIbLb1EES1B_EEDaS16_S17_EUlS16_E_NS1_11comp_targetILNS1_3genE2ELNS1_11target_archE906ELNS1_3gpuE6ELNS1_3repE0EEENS1_30default_config_static_selectorELNS0_4arch9wavefront6targetE0EEEvT1_
                                        ; -- End function
	.set _ZN7rocprim17ROCPRIM_400000_NS6detail17trampoline_kernelINS0_14default_configENS1_25partition_config_selectorILNS1_17partition_subalgoE5ElNS0_10empty_typeEbEEZZNS1_14partition_implILS5_5ELb0ES3_mN6hipcub16HIPCUB_304000_NS21CountingInputIteratorIllEEPS6_NSA_22TransformInputIteratorIbN2at6native12_GLOBAL__N_19NonZeroOpIdEEPKdlEENS0_5tupleIJPlS6_EEENSN_IJSD_SD_EEES6_PiJS6_EEE10hipError_tPvRmT3_T4_T5_T6_T7_T9_mT8_P12ihipStream_tbDpT10_ENKUlT_T0_E_clISt17integral_constantIbLb1EES1B_EEDaS16_S17_EUlS16_E_NS1_11comp_targetILNS1_3genE2ELNS1_11target_archE906ELNS1_3gpuE6ELNS1_3repE0EEENS1_30default_config_static_selectorELNS0_4arch9wavefront6targetE0EEEvT1_.num_vgpr, 0
	.set _ZN7rocprim17ROCPRIM_400000_NS6detail17trampoline_kernelINS0_14default_configENS1_25partition_config_selectorILNS1_17partition_subalgoE5ElNS0_10empty_typeEbEEZZNS1_14partition_implILS5_5ELb0ES3_mN6hipcub16HIPCUB_304000_NS21CountingInputIteratorIllEEPS6_NSA_22TransformInputIteratorIbN2at6native12_GLOBAL__N_19NonZeroOpIdEEPKdlEENS0_5tupleIJPlS6_EEENSN_IJSD_SD_EEES6_PiJS6_EEE10hipError_tPvRmT3_T4_T5_T6_T7_T9_mT8_P12ihipStream_tbDpT10_ENKUlT_T0_E_clISt17integral_constantIbLb1EES1B_EEDaS16_S17_EUlS16_E_NS1_11comp_targetILNS1_3genE2ELNS1_11target_archE906ELNS1_3gpuE6ELNS1_3repE0EEENS1_30default_config_static_selectorELNS0_4arch9wavefront6targetE0EEEvT1_.num_agpr, 0
	.set _ZN7rocprim17ROCPRIM_400000_NS6detail17trampoline_kernelINS0_14default_configENS1_25partition_config_selectorILNS1_17partition_subalgoE5ElNS0_10empty_typeEbEEZZNS1_14partition_implILS5_5ELb0ES3_mN6hipcub16HIPCUB_304000_NS21CountingInputIteratorIllEEPS6_NSA_22TransformInputIteratorIbN2at6native12_GLOBAL__N_19NonZeroOpIdEEPKdlEENS0_5tupleIJPlS6_EEENSN_IJSD_SD_EEES6_PiJS6_EEE10hipError_tPvRmT3_T4_T5_T6_T7_T9_mT8_P12ihipStream_tbDpT10_ENKUlT_T0_E_clISt17integral_constantIbLb1EES1B_EEDaS16_S17_EUlS16_E_NS1_11comp_targetILNS1_3genE2ELNS1_11target_archE906ELNS1_3gpuE6ELNS1_3repE0EEENS1_30default_config_static_selectorELNS0_4arch9wavefront6targetE0EEEvT1_.numbered_sgpr, 0
	.set _ZN7rocprim17ROCPRIM_400000_NS6detail17trampoline_kernelINS0_14default_configENS1_25partition_config_selectorILNS1_17partition_subalgoE5ElNS0_10empty_typeEbEEZZNS1_14partition_implILS5_5ELb0ES3_mN6hipcub16HIPCUB_304000_NS21CountingInputIteratorIllEEPS6_NSA_22TransformInputIteratorIbN2at6native12_GLOBAL__N_19NonZeroOpIdEEPKdlEENS0_5tupleIJPlS6_EEENSN_IJSD_SD_EEES6_PiJS6_EEE10hipError_tPvRmT3_T4_T5_T6_T7_T9_mT8_P12ihipStream_tbDpT10_ENKUlT_T0_E_clISt17integral_constantIbLb1EES1B_EEDaS16_S17_EUlS16_E_NS1_11comp_targetILNS1_3genE2ELNS1_11target_archE906ELNS1_3gpuE6ELNS1_3repE0EEENS1_30default_config_static_selectorELNS0_4arch9wavefront6targetE0EEEvT1_.num_named_barrier, 0
	.set _ZN7rocprim17ROCPRIM_400000_NS6detail17trampoline_kernelINS0_14default_configENS1_25partition_config_selectorILNS1_17partition_subalgoE5ElNS0_10empty_typeEbEEZZNS1_14partition_implILS5_5ELb0ES3_mN6hipcub16HIPCUB_304000_NS21CountingInputIteratorIllEEPS6_NSA_22TransformInputIteratorIbN2at6native12_GLOBAL__N_19NonZeroOpIdEEPKdlEENS0_5tupleIJPlS6_EEENSN_IJSD_SD_EEES6_PiJS6_EEE10hipError_tPvRmT3_T4_T5_T6_T7_T9_mT8_P12ihipStream_tbDpT10_ENKUlT_T0_E_clISt17integral_constantIbLb1EES1B_EEDaS16_S17_EUlS16_E_NS1_11comp_targetILNS1_3genE2ELNS1_11target_archE906ELNS1_3gpuE6ELNS1_3repE0EEENS1_30default_config_static_selectorELNS0_4arch9wavefront6targetE0EEEvT1_.private_seg_size, 0
	.set _ZN7rocprim17ROCPRIM_400000_NS6detail17trampoline_kernelINS0_14default_configENS1_25partition_config_selectorILNS1_17partition_subalgoE5ElNS0_10empty_typeEbEEZZNS1_14partition_implILS5_5ELb0ES3_mN6hipcub16HIPCUB_304000_NS21CountingInputIteratorIllEEPS6_NSA_22TransformInputIteratorIbN2at6native12_GLOBAL__N_19NonZeroOpIdEEPKdlEENS0_5tupleIJPlS6_EEENSN_IJSD_SD_EEES6_PiJS6_EEE10hipError_tPvRmT3_T4_T5_T6_T7_T9_mT8_P12ihipStream_tbDpT10_ENKUlT_T0_E_clISt17integral_constantIbLb1EES1B_EEDaS16_S17_EUlS16_E_NS1_11comp_targetILNS1_3genE2ELNS1_11target_archE906ELNS1_3gpuE6ELNS1_3repE0EEENS1_30default_config_static_selectorELNS0_4arch9wavefront6targetE0EEEvT1_.uses_vcc, 0
	.set _ZN7rocprim17ROCPRIM_400000_NS6detail17trampoline_kernelINS0_14default_configENS1_25partition_config_selectorILNS1_17partition_subalgoE5ElNS0_10empty_typeEbEEZZNS1_14partition_implILS5_5ELb0ES3_mN6hipcub16HIPCUB_304000_NS21CountingInputIteratorIllEEPS6_NSA_22TransformInputIteratorIbN2at6native12_GLOBAL__N_19NonZeroOpIdEEPKdlEENS0_5tupleIJPlS6_EEENSN_IJSD_SD_EEES6_PiJS6_EEE10hipError_tPvRmT3_T4_T5_T6_T7_T9_mT8_P12ihipStream_tbDpT10_ENKUlT_T0_E_clISt17integral_constantIbLb1EES1B_EEDaS16_S17_EUlS16_E_NS1_11comp_targetILNS1_3genE2ELNS1_11target_archE906ELNS1_3gpuE6ELNS1_3repE0EEENS1_30default_config_static_selectorELNS0_4arch9wavefront6targetE0EEEvT1_.uses_flat_scratch, 0
	.set _ZN7rocprim17ROCPRIM_400000_NS6detail17trampoline_kernelINS0_14default_configENS1_25partition_config_selectorILNS1_17partition_subalgoE5ElNS0_10empty_typeEbEEZZNS1_14partition_implILS5_5ELb0ES3_mN6hipcub16HIPCUB_304000_NS21CountingInputIteratorIllEEPS6_NSA_22TransformInputIteratorIbN2at6native12_GLOBAL__N_19NonZeroOpIdEEPKdlEENS0_5tupleIJPlS6_EEENSN_IJSD_SD_EEES6_PiJS6_EEE10hipError_tPvRmT3_T4_T5_T6_T7_T9_mT8_P12ihipStream_tbDpT10_ENKUlT_T0_E_clISt17integral_constantIbLb1EES1B_EEDaS16_S17_EUlS16_E_NS1_11comp_targetILNS1_3genE2ELNS1_11target_archE906ELNS1_3gpuE6ELNS1_3repE0EEENS1_30default_config_static_selectorELNS0_4arch9wavefront6targetE0EEEvT1_.has_dyn_sized_stack, 0
	.set _ZN7rocprim17ROCPRIM_400000_NS6detail17trampoline_kernelINS0_14default_configENS1_25partition_config_selectorILNS1_17partition_subalgoE5ElNS0_10empty_typeEbEEZZNS1_14partition_implILS5_5ELb0ES3_mN6hipcub16HIPCUB_304000_NS21CountingInputIteratorIllEEPS6_NSA_22TransformInputIteratorIbN2at6native12_GLOBAL__N_19NonZeroOpIdEEPKdlEENS0_5tupleIJPlS6_EEENSN_IJSD_SD_EEES6_PiJS6_EEE10hipError_tPvRmT3_T4_T5_T6_T7_T9_mT8_P12ihipStream_tbDpT10_ENKUlT_T0_E_clISt17integral_constantIbLb1EES1B_EEDaS16_S17_EUlS16_E_NS1_11comp_targetILNS1_3genE2ELNS1_11target_archE906ELNS1_3gpuE6ELNS1_3repE0EEENS1_30default_config_static_selectorELNS0_4arch9wavefront6targetE0EEEvT1_.has_recursion, 0
	.set _ZN7rocprim17ROCPRIM_400000_NS6detail17trampoline_kernelINS0_14default_configENS1_25partition_config_selectorILNS1_17partition_subalgoE5ElNS0_10empty_typeEbEEZZNS1_14partition_implILS5_5ELb0ES3_mN6hipcub16HIPCUB_304000_NS21CountingInputIteratorIllEEPS6_NSA_22TransformInputIteratorIbN2at6native12_GLOBAL__N_19NonZeroOpIdEEPKdlEENS0_5tupleIJPlS6_EEENSN_IJSD_SD_EEES6_PiJS6_EEE10hipError_tPvRmT3_T4_T5_T6_T7_T9_mT8_P12ihipStream_tbDpT10_ENKUlT_T0_E_clISt17integral_constantIbLb1EES1B_EEDaS16_S17_EUlS16_E_NS1_11comp_targetILNS1_3genE2ELNS1_11target_archE906ELNS1_3gpuE6ELNS1_3repE0EEENS1_30default_config_static_selectorELNS0_4arch9wavefront6targetE0EEEvT1_.has_indirect_call, 0
	.section	.AMDGPU.csdata,"",@progbits
; Kernel info:
; codeLenInByte = 0
; TotalNumSgprs: 0
; NumVgprs: 0
; ScratchSize: 0
; MemoryBound: 0
; FloatMode: 240
; IeeeMode: 1
; LDSByteSize: 0 bytes/workgroup (compile time only)
; SGPRBlocks: 0
; VGPRBlocks: 0
; NumSGPRsForWavesPerEU: 1
; NumVGPRsForWavesPerEU: 1
; Occupancy: 16
; WaveLimiterHint : 0
; COMPUTE_PGM_RSRC2:SCRATCH_EN: 0
; COMPUTE_PGM_RSRC2:USER_SGPR: 2
; COMPUTE_PGM_RSRC2:TRAP_HANDLER: 0
; COMPUTE_PGM_RSRC2:TGID_X_EN: 1
; COMPUTE_PGM_RSRC2:TGID_Y_EN: 0
; COMPUTE_PGM_RSRC2:TGID_Z_EN: 0
; COMPUTE_PGM_RSRC2:TIDIG_COMP_CNT: 0
	.section	.text._ZN7rocprim17ROCPRIM_400000_NS6detail17trampoline_kernelINS0_14default_configENS1_25partition_config_selectorILNS1_17partition_subalgoE5ElNS0_10empty_typeEbEEZZNS1_14partition_implILS5_5ELb0ES3_mN6hipcub16HIPCUB_304000_NS21CountingInputIteratorIllEEPS6_NSA_22TransformInputIteratorIbN2at6native12_GLOBAL__N_19NonZeroOpIdEEPKdlEENS0_5tupleIJPlS6_EEENSN_IJSD_SD_EEES6_PiJS6_EEE10hipError_tPvRmT3_T4_T5_T6_T7_T9_mT8_P12ihipStream_tbDpT10_ENKUlT_T0_E_clISt17integral_constantIbLb1EES1B_EEDaS16_S17_EUlS16_E_NS1_11comp_targetILNS1_3genE10ELNS1_11target_archE1200ELNS1_3gpuE4ELNS1_3repE0EEENS1_30default_config_static_selectorELNS0_4arch9wavefront6targetE0EEEvT1_,"axG",@progbits,_ZN7rocprim17ROCPRIM_400000_NS6detail17trampoline_kernelINS0_14default_configENS1_25partition_config_selectorILNS1_17partition_subalgoE5ElNS0_10empty_typeEbEEZZNS1_14partition_implILS5_5ELb0ES3_mN6hipcub16HIPCUB_304000_NS21CountingInputIteratorIllEEPS6_NSA_22TransformInputIteratorIbN2at6native12_GLOBAL__N_19NonZeroOpIdEEPKdlEENS0_5tupleIJPlS6_EEENSN_IJSD_SD_EEES6_PiJS6_EEE10hipError_tPvRmT3_T4_T5_T6_T7_T9_mT8_P12ihipStream_tbDpT10_ENKUlT_T0_E_clISt17integral_constantIbLb1EES1B_EEDaS16_S17_EUlS16_E_NS1_11comp_targetILNS1_3genE10ELNS1_11target_archE1200ELNS1_3gpuE4ELNS1_3repE0EEENS1_30default_config_static_selectorELNS0_4arch9wavefront6targetE0EEEvT1_,comdat
	.globl	_ZN7rocprim17ROCPRIM_400000_NS6detail17trampoline_kernelINS0_14default_configENS1_25partition_config_selectorILNS1_17partition_subalgoE5ElNS0_10empty_typeEbEEZZNS1_14partition_implILS5_5ELb0ES3_mN6hipcub16HIPCUB_304000_NS21CountingInputIteratorIllEEPS6_NSA_22TransformInputIteratorIbN2at6native12_GLOBAL__N_19NonZeroOpIdEEPKdlEENS0_5tupleIJPlS6_EEENSN_IJSD_SD_EEES6_PiJS6_EEE10hipError_tPvRmT3_T4_T5_T6_T7_T9_mT8_P12ihipStream_tbDpT10_ENKUlT_T0_E_clISt17integral_constantIbLb1EES1B_EEDaS16_S17_EUlS16_E_NS1_11comp_targetILNS1_3genE10ELNS1_11target_archE1200ELNS1_3gpuE4ELNS1_3repE0EEENS1_30default_config_static_selectorELNS0_4arch9wavefront6targetE0EEEvT1_ ; -- Begin function _ZN7rocprim17ROCPRIM_400000_NS6detail17trampoline_kernelINS0_14default_configENS1_25partition_config_selectorILNS1_17partition_subalgoE5ElNS0_10empty_typeEbEEZZNS1_14partition_implILS5_5ELb0ES3_mN6hipcub16HIPCUB_304000_NS21CountingInputIteratorIllEEPS6_NSA_22TransformInputIteratorIbN2at6native12_GLOBAL__N_19NonZeroOpIdEEPKdlEENS0_5tupleIJPlS6_EEENSN_IJSD_SD_EEES6_PiJS6_EEE10hipError_tPvRmT3_T4_T5_T6_T7_T9_mT8_P12ihipStream_tbDpT10_ENKUlT_T0_E_clISt17integral_constantIbLb1EES1B_EEDaS16_S17_EUlS16_E_NS1_11comp_targetILNS1_3genE10ELNS1_11target_archE1200ELNS1_3gpuE4ELNS1_3repE0EEENS1_30default_config_static_selectorELNS0_4arch9wavefront6targetE0EEEvT1_
	.p2align	8
	.type	_ZN7rocprim17ROCPRIM_400000_NS6detail17trampoline_kernelINS0_14default_configENS1_25partition_config_selectorILNS1_17partition_subalgoE5ElNS0_10empty_typeEbEEZZNS1_14partition_implILS5_5ELb0ES3_mN6hipcub16HIPCUB_304000_NS21CountingInputIteratorIllEEPS6_NSA_22TransformInputIteratorIbN2at6native12_GLOBAL__N_19NonZeroOpIdEEPKdlEENS0_5tupleIJPlS6_EEENSN_IJSD_SD_EEES6_PiJS6_EEE10hipError_tPvRmT3_T4_T5_T6_T7_T9_mT8_P12ihipStream_tbDpT10_ENKUlT_T0_E_clISt17integral_constantIbLb1EES1B_EEDaS16_S17_EUlS16_E_NS1_11comp_targetILNS1_3genE10ELNS1_11target_archE1200ELNS1_3gpuE4ELNS1_3repE0EEENS1_30default_config_static_selectorELNS0_4arch9wavefront6targetE0EEEvT1_,@function
_ZN7rocprim17ROCPRIM_400000_NS6detail17trampoline_kernelINS0_14default_configENS1_25partition_config_selectorILNS1_17partition_subalgoE5ElNS0_10empty_typeEbEEZZNS1_14partition_implILS5_5ELb0ES3_mN6hipcub16HIPCUB_304000_NS21CountingInputIteratorIllEEPS6_NSA_22TransformInputIteratorIbN2at6native12_GLOBAL__N_19NonZeroOpIdEEPKdlEENS0_5tupleIJPlS6_EEENSN_IJSD_SD_EEES6_PiJS6_EEE10hipError_tPvRmT3_T4_T5_T6_T7_T9_mT8_P12ihipStream_tbDpT10_ENKUlT_T0_E_clISt17integral_constantIbLb1EES1B_EEDaS16_S17_EUlS16_E_NS1_11comp_targetILNS1_3genE10ELNS1_11target_archE1200ELNS1_3gpuE4ELNS1_3repE0EEENS1_30default_config_static_selectorELNS0_4arch9wavefront6targetE0EEEvT1_: ; @_ZN7rocprim17ROCPRIM_400000_NS6detail17trampoline_kernelINS0_14default_configENS1_25partition_config_selectorILNS1_17partition_subalgoE5ElNS0_10empty_typeEbEEZZNS1_14partition_implILS5_5ELb0ES3_mN6hipcub16HIPCUB_304000_NS21CountingInputIteratorIllEEPS6_NSA_22TransformInputIteratorIbN2at6native12_GLOBAL__N_19NonZeroOpIdEEPKdlEENS0_5tupleIJPlS6_EEENSN_IJSD_SD_EEES6_PiJS6_EEE10hipError_tPvRmT3_T4_T5_T6_T7_T9_mT8_P12ihipStream_tbDpT10_ENKUlT_T0_E_clISt17integral_constantIbLb1EES1B_EEDaS16_S17_EUlS16_E_NS1_11comp_targetILNS1_3genE10ELNS1_11target_archE1200ELNS1_3gpuE4ELNS1_3repE0EEENS1_30default_config_static_selectorELNS0_4arch9wavefront6targetE0EEEvT1_
; %bb.0:
	s_endpgm
	.section	.rodata,"a",@progbits
	.p2align	6, 0x0
	.amdhsa_kernel _ZN7rocprim17ROCPRIM_400000_NS6detail17trampoline_kernelINS0_14default_configENS1_25partition_config_selectorILNS1_17partition_subalgoE5ElNS0_10empty_typeEbEEZZNS1_14partition_implILS5_5ELb0ES3_mN6hipcub16HIPCUB_304000_NS21CountingInputIteratorIllEEPS6_NSA_22TransformInputIteratorIbN2at6native12_GLOBAL__N_19NonZeroOpIdEEPKdlEENS0_5tupleIJPlS6_EEENSN_IJSD_SD_EEES6_PiJS6_EEE10hipError_tPvRmT3_T4_T5_T6_T7_T9_mT8_P12ihipStream_tbDpT10_ENKUlT_T0_E_clISt17integral_constantIbLb1EES1B_EEDaS16_S17_EUlS16_E_NS1_11comp_targetILNS1_3genE10ELNS1_11target_archE1200ELNS1_3gpuE4ELNS1_3repE0EEENS1_30default_config_static_selectorELNS0_4arch9wavefront6targetE0EEEvT1_
		.amdhsa_group_segment_fixed_size 0
		.amdhsa_private_segment_fixed_size 0
		.amdhsa_kernarg_size 136
		.amdhsa_user_sgpr_count 2
		.amdhsa_user_sgpr_dispatch_ptr 0
		.amdhsa_user_sgpr_queue_ptr 0
		.amdhsa_user_sgpr_kernarg_segment_ptr 1
		.amdhsa_user_sgpr_dispatch_id 0
		.amdhsa_user_sgpr_private_segment_size 0
		.amdhsa_wavefront_size32 1
		.amdhsa_uses_dynamic_stack 0
		.amdhsa_enable_private_segment 0
		.amdhsa_system_sgpr_workgroup_id_x 1
		.amdhsa_system_sgpr_workgroup_id_y 0
		.amdhsa_system_sgpr_workgroup_id_z 0
		.amdhsa_system_sgpr_workgroup_info 0
		.amdhsa_system_vgpr_workitem_id 0
		.amdhsa_next_free_vgpr 1
		.amdhsa_next_free_sgpr 1
		.amdhsa_reserve_vcc 0
		.amdhsa_float_round_mode_32 0
		.amdhsa_float_round_mode_16_64 0
		.amdhsa_float_denorm_mode_32 3
		.amdhsa_float_denorm_mode_16_64 3
		.amdhsa_fp16_overflow 0
		.amdhsa_workgroup_processor_mode 1
		.amdhsa_memory_ordered 1
		.amdhsa_forward_progress 1
		.amdhsa_inst_pref_size 1
		.amdhsa_round_robin_scheduling 0
		.amdhsa_exception_fp_ieee_invalid_op 0
		.amdhsa_exception_fp_denorm_src 0
		.amdhsa_exception_fp_ieee_div_zero 0
		.amdhsa_exception_fp_ieee_overflow 0
		.amdhsa_exception_fp_ieee_underflow 0
		.amdhsa_exception_fp_ieee_inexact 0
		.amdhsa_exception_int_div_zero 0
	.end_amdhsa_kernel
	.section	.text._ZN7rocprim17ROCPRIM_400000_NS6detail17trampoline_kernelINS0_14default_configENS1_25partition_config_selectorILNS1_17partition_subalgoE5ElNS0_10empty_typeEbEEZZNS1_14partition_implILS5_5ELb0ES3_mN6hipcub16HIPCUB_304000_NS21CountingInputIteratorIllEEPS6_NSA_22TransformInputIteratorIbN2at6native12_GLOBAL__N_19NonZeroOpIdEEPKdlEENS0_5tupleIJPlS6_EEENSN_IJSD_SD_EEES6_PiJS6_EEE10hipError_tPvRmT3_T4_T5_T6_T7_T9_mT8_P12ihipStream_tbDpT10_ENKUlT_T0_E_clISt17integral_constantIbLb1EES1B_EEDaS16_S17_EUlS16_E_NS1_11comp_targetILNS1_3genE10ELNS1_11target_archE1200ELNS1_3gpuE4ELNS1_3repE0EEENS1_30default_config_static_selectorELNS0_4arch9wavefront6targetE0EEEvT1_,"axG",@progbits,_ZN7rocprim17ROCPRIM_400000_NS6detail17trampoline_kernelINS0_14default_configENS1_25partition_config_selectorILNS1_17partition_subalgoE5ElNS0_10empty_typeEbEEZZNS1_14partition_implILS5_5ELb0ES3_mN6hipcub16HIPCUB_304000_NS21CountingInputIteratorIllEEPS6_NSA_22TransformInputIteratorIbN2at6native12_GLOBAL__N_19NonZeroOpIdEEPKdlEENS0_5tupleIJPlS6_EEENSN_IJSD_SD_EEES6_PiJS6_EEE10hipError_tPvRmT3_T4_T5_T6_T7_T9_mT8_P12ihipStream_tbDpT10_ENKUlT_T0_E_clISt17integral_constantIbLb1EES1B_EEDaS16_S17_EUlS16_E_NS1_11comp_targetILNS1_3genE10ELNS1_11target_archE1200ELNS1_3gpuE4ELNS1_3repE0EEENS1_30default_config_static_selectorELNS0_4arch9wavefront6targetE0EEEvT1_,comdat
.Lfunc_end403:
	.size	_ZN7rocprim17ROCPRIM_400000_NS6detail17trampoline_kernelINS0_14default_configENS1_25partition_config_selectorILNS1_17partition_subalgoE5ElNS0_10empty_typeEbEEZZNS1_14partition_implILS5_5ELb0ES3_mN6hipcub16HIPCUB_304000_NS21CountingInputIteratorIllEEPS6_NSA_22TransformInputIteratorIbN2at6native12_GLOBAL__N_19NonZeroOpIdEEPKdlEENS0_5tupleIJPlS6_EEENSN_IJSD_SD_EEES6_PiJS6_EEE10hipError_tPvRmT3_T4_T5_T6_T7_T9_mT8_P12ihipStream_tbDpT10_ENKUlT_T0_E_clISt17integral_constantIbLb1EES1B_EEDaS16_S17_EUlS16_E_NS1_11comp_targetILNS1_3genE10ELNS1_11target_archE1200ELNS1_3gpuE4ELNS1_3repE0EEENS1_30default_config_static_selectorELNS0_4arch9wavefront6targetE0EEEvT1_, .Lfunc_end403-_ZN7rocprim17ROCPRIM_400000_NS6detail17trampoline_kernelINS0_14default_configENS1_25partition_config_selectorILNS1_17partition_subalgoE5ElNS0_10empty_typeEbEEZZNS1_14partition_implILS5_5ELb0ES3_mN6hipcub16HIPCUB_304000_NS21CountingInputIteratorIllEEPS6_NSA_22TransformInputIteratorIbN2at6native12_GLOBAL__N_19NonZeroOpIdEEPKdlEENS0_5tupleIJPlS6_EEENSN_IJSD_SD_EEES6_PiJS6_EEE10hipError_tPvRmT3_T4_T5_T6_T7_T9_mT8_P12ihipStream_tbDpT10_ENKUlT_T0_E_clISt17integral_constantIbLb1EES1B_EEDaS16_S17_EUlS16_E_NS1_11comp_targetILNS1_3genE10ELNS1_11target_archE1200ELNS1_3gpuE4ELNS1_3repE0EEENS1_30default_config_static_selectorELNS0_4arch9wavefront6targetE0EEEvT1_
                                        ; -- End function
	.set _ZN7rocprim17ROCPRIM_400000_NS6detail17trampoline_kernelINS0_14default_configENS1_25partition_config_selectorILNS1_17partition_subalgoE5ElNS0_10empty_typeEbEEZZNS1_14partition_implILS5_5ELb0ES3_mN6hipcub16HIPCUB_304000_NS21CountingInputIteratorIllEEPS6_NSA_22TransformInputIteratorIbN2at6native12_GLOBAL__N_19NonZeroOpIdEEPKdlEENS0_5tupleIJPlS6_EEENSN_IJSD_SD_EEES6_PiJS6_EEE10hipError_tPvRmT3_T4_T5_T6_T7_T9_mT8_P12ihipStream_tbDpT10_ENKUlT_T0_E_clISt17integral_constantIbLb1EES1B_EEDaS16_S17_EUlS16_E_NS1_11comp_targetILNS1_3genE10ELNS1_11target_archE1200ELNS1_3gpuE4ELNS1_3repE0EEENS1_30default_config_static_selectorELNS0_4arch9wavefront6targetE0EEEvT1_.num_vgpr, 0
	.set _ZN7rocprim17ROCPRIM_400000_NS6detail17trampoline_kernelINS0_14default_configENS1_25partition_config_selectorILNS1_17partition_subalgoE5ElNS0_10empty_typeEbEEZZNS1_14partition_implILS5_5ELb0ES3_mN6hipcub16HIPCUB_304000_NS21CountingInputIteratorIllEEPS6_NSA_22TransformInputIteratorIbN2at6native12_GLOBAL__N_19NonZeroOpIdEEPKdlEENS0_5tupleIJPlS6_EEENSN_IJSD_SD_EEES6_PiJS6_EEE10hipError_tPvRmT3_T4_T5_T6_T7_T9_mT8_P12ihipStream_tbDpT10_ENKUlT_T0_E_clISt17integral_constantIbLb1EES1B_EEDaS16_S17_EUlS16_E_NS1_11comp_targetILNS1_3genE10ELNS1_11target_archE1200ELNS1_3gpuE4ELNS1_3repE0EEENS1_30default_config_static_selectorELNS0_4arch9wavefront6targetE0EEEvT1_.num_agpr, 0
	.set _ZN7rocprim17ROCPRIM_400000_NS6detail17trampoline_kernelINS0_14default_configENS1_25partition_config_selectorILNS1_17partition_subalgoE5ElNS0_10empty_typeEbEEZZNS1_14partition_implILS5_5ELb0ES3_mN6hipcub16HIPCUB_304000_NS21CountingInputIteratorIllEEPS6_NSA_22TransformInputIteratorIbN2at6native12_GLOBAL__N_19NonZeroOpIdEEPKdlEENS0_5tupleIJPlS6_EEENSN_IJSD_SD_EEES6_PiJS6_EEE10hipError_tPvRmT3_T4_T5_T6_T7_T9_mT8_P12ihipStream_tbDpT10_ENKUlT_T0_E_clISt17integral_constantIbLb1EES1B_EEDaS16_S17_EUlS16_E_NS1_11comp_targetILNS1_3genE10ELNS1_11target_archE1200ELNS1_3gpuE4ELNS1_3repE0EEENS1_30default_config_static_selectorELNS0_4arch9wavefront6targetE0EEEvT1_.numbered_sgpr, 0
	.set _ZN7rocprim17ROCPRIM_400000_NS6detail17trampoline_kernelINS0_14default_configENS1_25partition_config_selectorILNS1_17partition_subalgoE5ElNS0_10empty_typeEbEEZZNS1_14partition_implILS5_5ELb0ES3_mN6hipcub16HIPCUB_304000_NS21CountingInputIteratorIllEEPS6_NSA_22TransformInputIteratorIbN2at6native12_GLOBAL__N_19NonZeroOpIdEEPKdlEENS0_5tupleIJPlS6_EEENSN_IJSD_SD_EEES6_PiJS6_EEE10hipError_tPvRmT3_T4_T5_T6_T7_T9_mT8_P12ihipStream_tbDpT10_ENKUlT_T0_E_clISt17integral_constantIbLb1EES1B_EEDaS16_S17_EUlS16_E_NS1_11comp_targetILNS1_3genE10ELNS1_11target_archE1200ELNS1_3gpuE4ELNS1_3repE0EEENS1_30default_config_static_selectorELNS0_4arch9wavefront6targetE0EEEvT1_.num_named_barrier, 0
	.set _ZN7rocprim17ROCPRIM_400000_NS6detail17trampoline_kernelINS0_14default_configENS1_25partition_config_selectorILNS1_17partition_subalgoE5ElNS0_10empty_typeEbEEZZNS1_14partition_implILS5_5ELb0ES3_mN6hipcub16HIPCUB_304000_NS21CountingInputIteratorIllEEPS6_NSA_22TransformInputIteratorIbN2at6native12_GLOBAL__N_19NonZeroOpIdEEPKdlEENS0_5tupleIJPlS6_EEENSN_IJSD_SD_EEES6_PiJS6_EEE10hipError_tPvRmT3_T4_T5_T6_T7_T9_mT8_P12ihipStream_tbDpT10_ENKUlT_T0_E_clISt17integral_constantIbLb1EES1B_EEDaS16_S17_EUlS16_E_NS1_11comp_targetILNS1_3genE10ELNS1_11target_archE1200ELNS1_3gpuE4ELNS1_3repE0EEENS1_30default_config_static_selectorELNS0_4arch9wavefront6targetE0EEEvT1_.private_seg_size, 0
	.set _ZN7rocprim17ROCPRIM_400000_NS6detail17trampoline_kernelINS0_14default_configENS1_25partition_config_selectorILNS1_17partition_subalgoE5ElNS0_10empty_typeEbEEZZNS1_14partition_implILS5_5ELb0ES3_mN6hipcub16HIPCUB_304000_NS21CountingInputIteratorIllEEPS6_NSA_22TransformInputIteratorIbN2at6native12_GLOBAL__N_19NonZeroOpIdEEPKdlEENS0_5tupleIJPlS6_EEENSN_IJSD_SD_EEES6_PiJS6_EEE10hipError_tPvRmT3_T4_T5_T6_T7_T9_mT8_P12ihipStream_tbDpT10_ENKUlT_T0_E_clISt17integral_constantIbLb1EES1B_EEDaS16_S17_EUlS16_E_NS1_11comp_targetILNS1_3genE10ELNS1_11target_archE1200ELNS1_3gpuE4ELNS1_3repE0EEENS1_30default_config_static_selectorELNS0_4arch9wavefront6targetE0EEEvT1_.uses_vcc, 0
	.set _ZN7rocprim17ROCPRIM_400000_NS6detail17trampoline_kernelINS0_14default_configENS1_25partition_config_selectorILNS1_17partition_subalgoE5ElNS0_10empty_typeEbEEZZNS1_14partition_implILS5_5ELb0ES3_mN6hipcub16HIPCUB_304000_NS21CountingInputIteratorIllEEPS6_NSA_22TransformInputIteratorIbN2at6native12_GLOBAL__N_19NonZeroOpIdEEPKdlEENS0_5tupleIJPlS6_EEENSN_IJSD_SD_EEES6_PiJS6_EEE10hipError_tPvRmT3_T4_T5_T6_T7_T9_mT8_P12ihipStream_tbDpT10_ENKUlT_T0_E_clISt17integral_constantIbLb1EES1B_EEDaS16_S17_EUlS16_E_NS1_11comp_targetILNS1_3genE10ELNS1_11target_archE1200ELNS1_3gpuE4ELNS1_3repE0EEENS1_30default_config_static_selectorELNS0_4arch9wavefront6targetE0EEEvT1_.uses_flat_scratch, 0
	.set _ZN7rocprim17ROCPRIM_400000_NS6detail17trampoline_kernelINS0_14default_configENS1_25partition_config_selectorILNS1_17partition_subalgoE5ElNS0_10empty_typeEbEEZZNS1_14partition_implILS5_5ELb0ES3_mN6hipcub16HIPCUB_304000_NS21CountingInputIteratorIllEEPS6_NSA_22TransformInputIteratorIbN2at6native12_GLOBAL__N_19NonZeroOpIdEEPKdlEENS0_5tupleIJPlS6_EEENSN_IJSD_SD_EEES6_PiJS6_EEE10hipError_tPvRmT3_T4_T5_T6_T7_T9_mT8_P12ihipStream_tbDpT10_ENKUlT_T0_E_clISt17integral_constantIbLb1EES1B_EEDaS16_S17_EUlS16_E_NS1_11comp_targetILNS1_3genE10ELNS1_11target_archE1200ELNS1_3gpuE4ELNS1_3repE0EEENS1_30default_config_static_selectorELNS0_4arch9wavefront6targetE0EEEvT1_.has_dyn_sized_stack, 0
	.set _ZN7rocprim17ROCPRIM_400000_NS6detail17trampoline_kernelINS0_14default_configENS1_25partition_config_selectorILNS1_17partition_subalgoE5ElNS0_10empty_typeEbEEZZNS1_14partition_implILS5_5ELb0ES3_mN6hipcub16HIPCUB_304000_NS21CountingInputIteratorIllEEPS6_NSA_22TransformInputIteratorIbN2at6native12_GLOBAL__N_19NonZeroOpIdEEPKdlEENS0_5tupleIJPlS6_EEENSN_IJSD_SD_EEES6_PiJS6_EEE10hipError_tPvRmT3_T4_T5_T6_T7_T9_mT8_P12ihipStream_tbDpT10_ENKUlT_T0_E_clISt17integral_constantIbLb1EES1B_EEDaS16_S17_EUlS16_E_NS1_11comp_targetILNS1_3genE10ELNS1_11target_archE1200ELNS1_3gpuE4ELNS1_3repE0EEENS1_30default_config_static_selectorELNS0_4arch9wavefront6targetE0EEEvT1_.has_recursion, 0
	.set _ZN7rocprim17ROCPRIM_400000_NS6detail17trampoline_kernelINS0_14default_configENS1_25partition_config_selectorILNS1_17partition_subalgoE5ElNS0_10empty_typeEbEEZZNS1_14partition_implILS5_5ELb0ES3_mN6hipcub16HIPCUB_304000_NS21CountingInputIteratorIllEEPS6_NSA_22TransformInputIteratorIbN2at6native12_GLOBAL__N_19NonZeroOpIdEEPKdlEENS0_5tupleIJPlS6_EEENSN_IJSD_SD_EEES6_PiJS6_EEE10hipError_tPvRmT3_T4_T5_T6_T7_T9_mT8_P12ihipStream_tbDpT10_ENKUlT_T0_E_clISt17integral_constantIbLb1EES1B_EEDaS16_S17_EUlS16_E_NS1_11comp_targetILNS1_3genE10ELNS1_11target_archE1200ELNS1_3gpuE4ELNS1_3repE0EEENS1_30default_config_static_selectorELNS0_4arch9wavefront6targetE0EEEvT1_.has_indirect_call, 0
	.section	.AMDGPU.csdata,"",@progbits
; Kernel info:
; codeLenInByte = 4
; TotalNumSgprs: 0
; NumVgprs: 0
; ScratchSize: 0
; MemoryBound: 0
; FloatMode: 240
; IeeeMode: 1
; LDSByteSize: 0 bytes/workgroup (compile time only)
; SGPRBlocks: 0
; VGPRBlocks: 0
; NumSGPRsForWavesPerEU: 1
; NumVGPRsForWavesPerEU: 1
; Occupancy: 16
; WaveLimiterHint : 0
; COMPUTE_PGM_RSRC2:SCRATCH_EN: 0
; COMPUTE_PGM_RSRC2:USER_SGPR: 2
; COMPUTE_PGM_RSRC2:TRAP_HANDLER: 0
; COMPUTE_PGM_RSRC2:TGID_X_EN: 1
; COMPUTE_PGM_RSRC2:TGID_Y_EN: 0
; COMPUTE_PGM_RSRC2:TGID_Z_EN: 0
; COMPUTE_PGM_RSRC2:TIDIG_COMP_CNT: 0
	.section	.text._ZN7rocprim17ROCPRIM_400000_NS6detail17trampoline_kernelINS0_14default_configENS1_25partition_config_selectorILNS1_17partition_subalgoE5ElNS0_10empty_typeEbEEZZNS1_14partition_implILS5_5ELb0ES3_mN6hipcub16HIPCUB_304000_NS21CountingInputIteratorIllEEPS6_NSA_22TransformInputIteratorIbN2at6native12_GLOBAL__N_19NonZeroOpIdEEPKdlEENS0_5tupleIJPlS6_EEENSN_IJSD_SD_EEES6_PiJS6_EEE10hipError_tPvRmT3_T4_T5_T6_T7_T9_mT8_P12ihipStream_tbDpT10_ENKUlT_T0_E_clISt17integral_constantIbLb1EES1B_EEDaS16_S17_EUlS16_E_NS1_11comp_targetILNS1_3genE9ELNS1_11target_archE1100ELNS1_3gpuE3ELNS1_3repE0EEENS1_30default_config_static_selectorELNS0_4arch9wavefront6targetE0EEEvT1_,"axG",@progbits,_ZN7rocprim17ROCPRIM_400000_NS6detail17trampoline_kernelINS0_14default_configENS1_25partition_config_selectorILNS1_17partition_subalgoE5ElNS0_10empty_typeEbEEZZNS1_14partition_implILS5_5ELb0ES3_mN6hipcub16HIPCUB_304000_NS21CountingInputIteratorIllEEPS6_NSA_22TransformInputIteratorIbN2at6native12_GLOBAL__N_19NonZeroOpIdEEPKdlEENS0_5tupleIJPlS6_EEENSN_IJSD_SD_EEES6_PiJS6_EEE10hipError_tPvRmT3_T4_T5_T6_T7_T9_mT8_P12ihipStream_tbDpT10_ENKUlT_T0_E_clISt17integral_constantIbLb1EES1B_EEDaS16_S17_EUlS16_E_NS1_11comp_targetILNS1_3genE9ELNS1_11target_archE1100ELNS1_3gpuE3ELNS1_3repE0EEENS1_30default_config_static_selectorELNS0_4arch9wavefront6targetE0EEEvT1_,comdat
	.globl	_ZN7rocprim17ROCPRIM_400000_NS6detail17trampoline_kernelINS0_14default_configENS1_25partition_config_selectorILNS1_17partition_subalgoE5ElNS0_10empty_typeEbEEZZNS1_14partition_implILS5_5ELb0ES3_mN6hipcub16HIPCUB_304000_NS21CountingInputIteratorIllEEPS6_NSA_22TransformInputIteratorIbN2at6native12_GLOBAL__N_19NonZeroOpIdEEPKdlEENS0_5tupleIJPlS6_EEENSN_IJSD_SD_EEES6_PiJS6_EEE10hipError_tPvRmT3_T4_T5_T6_T7_T9_mT8_P12ihipStream_tbDpT10_ENKUlT_T0_E_clISt17integral_constantIbLb1EES1B_EEDaS16_S17_EUlS16_E_NS1_11comp_targetILNS1_3genE9ELNS1_11target_archE1100ELNS1_3gpuE3ELNS1_3repE0EEENS1_30default_config_static_selectorELNS0_4arch9wavefront6targetE0EEEvT1_ ; -- Begin function _ZN7rocprim17ROCPRIM_400000_NS6detail17trampoline_kernelINS0_14default_configENS1_25partition_config_selectorILNS1_17partition_subalgoE5ElNS0_10empty_typeEbEEZZNS1_14partition_implILS5_5ELb0ES3_mN6hipcub16HIPCUB_304000_NS21CountingInputIteratorIllEEPS6_NSA_22TransformInputIteratorIbN2at6native12_GLOBAL__N_19NonZeroOpIdEEPKdlEENS0_5tupleIJPlS6_EEENSN_IJSD_SD_EEES6_PiJS6_EEE10hipError_tPvRmT3_T4_T5_T6_T7_T9_mT8_P12ihipStream_tbDpT10_ENKUlT_T0_E_clISt17integral_constantIbLb1EES1B_EEDaS16_S17_EUlS16_E_NS1_11comp_targetILNS1_3genE9ELNS1_11target_archE1100ELNS1_3gpuE3ELNS1_3repE0EEENS1_30default_config_static_selectorELNS0_4arch9wavefront6targetE0EEEvT1_
	.p2align	8
	.type	_ZN7rocprim17ROCPRIM_400000_NS6detail17trampoline_kernelINS0_14default_configENS1_25partition_config_selectorILNS1_17partition_subalgoE5ElNS0_10empty_typeEbEEZZNS1_14partition_implILS5_5ELb0ES3_mN6hipcub16HIPCUB_304000_NS21CountingInputIteratorIllEEPS6_NSA_22TransformInputIteratorIbN2at6native12_GLOBAL__N_19NonZeroOpIdEEPKdlEENS0_5tupleIJPlS6_EEENSN_IJSD_SD_EEES6_PiJS6_EEE10hipError_tPvRmT3_T4_T5_T6_T7_T9_mT8_P12ihipStream_tbDpT10_ENKUlT_T0_E_clISt17integral_constantIbLb1EES1B_EEDaS16_S17_EUlS16_E_NS1_11comp_targetILNS1_3genE9ELNS1_11target_archE1100ELNS1_3gpuE3ELNS1_3repE0EEENS1_30default_config_static_selectorELNS0_4arch9wavefront6targetE0EEEvT1_,@function
_ZN7rocprim17ROCPRIM_400000_NS6detail17trampoline_kernelINS0_14default_configENS1_25partition_config_selectorILNS1_17partition_subalgoE5ElNS0_10empty_typeEbEEZZNS1_14partition_implILS5_5ELb0ES3_mN6hipcub16HIPCUB_304000_NS21CountingInputIteratorIllEEPS6_NSA_22TransformInputIteratorIbN2at6native12_GLOBAL__N_19NonZeroOpIdEEPKdlEENS0_5tupleIJPlS6_EEENSN_IJSD_SD_EEES6_PiJS6_EEE10hipError_tPvRmT3_T4_T5_T6_T7_T9_mT8_P12ihipStream_tbDpT10_ENKUlT_T0_E_clISt17integral_constantIbLb1EES1B_EEDaS16_S17_EUlS16_E_NS1_11comp_targetILNS1_3genE9ELNS1_11target_archE1100ELNS1_3gpuE3ELNS1_3repE0EEENS1_30default_config_static_selectorELNS0_4arch9wavefront6targetE0EEEvT1_: ; @_ZN7rocprim17ROCPRIM_400000_NS6detail17trampoline_kernelINS0_14default_configENS1_25partition_config_selectorILNS1_17partition_subalgoE5ElNS0_10empty_typeEbEEZZNS1_14partition_implILS5_5ELb0ES3_mN6hipcub16HIPCUB_304000_NS21CountingInputIteratorIllEEPS6_NSA_22TransformInputIteratorIbN2at6native12_GLOBAL__N_19NonZeroOpIdEEPKdlEENS0_5tupleIJPlS6_EEENSN_IJSD_SD_EEES6_PiJS6_EEE10hipError_tPvRmT3_T4_T5_T6_T7_T9_mT8_P12ihipStream_tbDpT10_ENKUlT_T0_E_clISt17integral_constantIbLb1EES1B_EEDaS16_S17_EUlS16_E_NS1_11comp_targetILNS1_3genE9ELNS1_11target_archE1100ELNS1_3gpuE3ELNS1_3repE0EEENS1_30default_config_static_selectorELNS0_4arch9wavefront6targetE0EEEvT1_
; %bb.0:
	.section	.rodata,"a",@progbits
	.p2align	6, 0x0
	.amdhsa_kernel _ZN7rocprim17ROCPRIM_400000_NS6detail17trampoline_kernelINS0_14default_configENS1_25partition_config_selectorILNS1_17partition_subalgoE5ElNS0_10empty_typeEbEEZZNS1_14partition_implILS5_5ELb0ES3_mN6hipcub16HIPCUB_304000_NS21CountingInputIteratorIllEEPS6_NSA_22TransformInputIteratorIbN2at6native12_GLOBAL__N_19NonZeroOpIdEEPKdlEENS0_5tupleIJPlS6_EEENSN_IJSD_SD_EEES6_PiJS6_EEE10hipError_tPvRmT3_T4_T5_T6_T7_T9_mT8_P12ihipStream_tbDpT10_ENKUlT_T0_E_clISt17integral_constantIbLb1EES1B_EEDaS16_S17_EUlS16_E_NS1_11comp_targetILNS1_3genE9ELNS1_11target_archE1100ELNS1_3gpuE3ELNS1_3repE0EEENS1_30default_config_static_selectorELNS0_4arch9wavefront6targetE0EEEvT1_
		.amdhsa_group_segment_fixed_size 0
		.amdhsa_private_segment_fixed_size 0
		.amdhsa_kernarg_size 136
		.amdhsa_user_sgpr_count 2
		.amdhsa_user_sgpr_dispatch_ptr 0
		.amdhsa_user_sgpr_queue_ptr 0
		.amdhsa_user_sgpr_kernarg_segment_ptr 1
		.amdhsa_user_sgpr_dispatch_id 0
		.amdhsa_user_sgpr_private_segment_size 0
		.amdhsa_wavefront_size32 1
		.amdhsa_uses_dynamic_stack 0
		.amdhsa_enable_private_segment 0
		.amdhsa_system_sgpr_workgroup_id_x 1
		.amdhsa_system_sgpr_workgroup_id_y 0
		.amdhsa_system_sgpr_workgroup_id_z 0
		.amdhsa_system_sgpr_workgroup_info 0
		.amdhsa_system_vgpr_workitem_id 0
		.amdhsa_next_free_vgpr 1
		.amdhsa_next_free_sgpr 1
		.amdhsa_reserve_vcc 0
		.amdhsa_float_round_mode_32 0
		.amdhsa_float_round_mode_16_64 0
		.amdhsa_float_denorm_mode_32 3
		.amdhsa_float_denorm_mode_16_64 3
		.amdhsa_fp16_overflow 0
		.amdhsa_workgroup_processor_mode 1
		.amdhsa_memory_ordered 1
		.amdhsa_forward_progress 1
		.amdhsa_inst_pref_size 0
		.amdhsa_round_robin_scheduling 0
		.amdhsa_exception_fp_ieee_invalid_op 0
		.amdhsa_exception_fp_denorm_src 0
		.amdhsa_exception_fp_ieee_div_zero 0
		.amdhsa_exception_fp_ieee_overflow 0
		.amdhsa_exception_fp_ieee_underflow 0
		.amdhsa_exception_fp_ieee_inexact 0
		.amdhsa_exception_int_div_zero 0
	.end_amdhsa_kernel
	.section	.text._ZN7rocprim17ROCPRIM_400000_NS6detail17trampoline_kernelINS0_14default_configENS1_25partition_config_selectorILNS1_17partition_subalgoE5ElNS0_10empty_typeEbEEZZNS1_14partition_implILS5_5ELb0ES3_mN6hipcub16HIPCUB_304000_NS21CountingInputIteratorIllEEPS6_NSA_22TransformInputIteratorIbN2at6native12_GLOBAL__N_19NonZeroOpIdEEPKdlEENS0_5tupleIJPlS6_EEENSN_IJSD_SD_EEES6_PiJS6_EEE10hipError_tPvRmT3_T4_T5_T6_T7_T9_mT8_P12ihipStream_tbDpT10_ENKUlT_T0_E_clISt17integral_constantIbLb1EES1B_EEDaS16_S17_EUlS16_E_NS1_11comp_targetILNS1_3genE9ELNS1_11target_archE1100ELNS1_3gpuE3ELNS1_3repE0EEENS1_30default_config_static_selectorELNS0_4arch9wavefront6targetE0EEEvT1_,"axG",@progbits,_ZN7rocprim17ROCPRIM_400000_NS6detail17trampoline_kernelINS0_14default_configENS1_25partition_config_selectorILNS1_17partition_subalgoE5ElNS0_10empty_typeEbEEZZNS1_14partition_implILS5_5ELb0ES3_mN6hipcub16HIPCUB_304000_NS21CountingInputIteratorIllEEPS6_NSA_22TransformInputIteratorIbN2at6native12_GLOBAL__N_19NonZeroOpIdEEPKdlEENS0_5tupleIJPlS6_EEENSN_IJSD_SD_EEES6_PiJS6_EEE10hipError_tPvRmT3_T4_T5_T6_T7_T9_mT8_P12ihipStream_tbDpT10_ENKUlT_T0_E_clISt17integral_constantIbLb1EES1B_EEDaS16_S17_EUlS16_E_NS1_11comp_targetILNS1_3genE9ELNS1_11target_archE1100ELNS1_3gpuE3ELNS1_3repE0EEENS1_30default_config_static_selectorELNS0_4arch9wavefront6targetE0EEEvT1_,comdat
.Lfunc_end404:
	.size	_ZN7rocprim17ROCPRIM_400000_NS6detail17trampoline_kernelINS0_14default_configENS1_25partition_config_selectorILNS1_17partition_subalgoE5ElNS0_10empty_typeEbEEZZNS1_14partition_implILS5_5ELb0ES3_mN6hipcub16HIPCUB_304000_NS21CountingInputIteratorIllEEPS6_NSA_22TransformInputIteratorIbN2at6native12_GLOBAL__N_19NonZeroOpIdEEPKdlEENS0_5tupleIJPlS6_EEENSN_IJSD_SD_EEES6_PiJS6_EEE10hipError_tPvRmT3_T4_T5_T6_T7_T9_mT8_P12ihipStream_tbDpT10_ENKUlT_T0_E_clISt17integral_constantIbLb1EES1B_EEDaS16_S17_EUlS16_E_NS1_11comp_targetILNS1_3genE9ELNS1_11target_archE1100ELNS1_3gpuE3ELNS1_3repE0EEENS1_30default_config_static_selectorELNS0_4arch9wavefront6targetE0EEEvT1_, .Lfunc_end404-_ZN7rocprim17ROCPRIM_400000_NS6detail17trampoline_kernelINS0_14default_configENS1_25partition_config_selectorILNS1_17partition_subalgoE5ElNS0_10empty_typeEbEEZZNS1_14partition_implILS5_5ELb0ES3_mN6hipcub16HIPCUB_304000_NS21CountingInputIteratorIllEEPS6_NSA_22TransformInputIteratorIbN2at6native12_GLOBAL__N_19NonZeroOpIdEEPKdlEENS0_5tupleIJPlS6_EEENSN_IJSD_SD_EEES6_PiJS6_EEE10hipError_tPvRmT3_T4_T5_T6_T7_T9_mT8_P12ihipStream_tbDpT10_ENKUlT_T0_E_clISt17integral_constantIbLb1EES1B_EEDaS16_S17_EUlS16_E_NS1_11comp_targetILNS1_3genE9ELNS1_11target_archE1100ELNS1_3gpuE3ELNS1_3repE0EEENS1_30default_config_static_selectorELNS0_4arch9wavefront6targetE0EEEvT1_
                                        ; -- End function
	.set _ZN7rocprim17ROCPRIM_400000_NS6detail17trampoline_kernelINS0_14default_configENS1_25partition_config_selectorILNS1_17partition_subalgoE5ElNS0_10empty_typeEbEEZZNS1_14partition_implILS5_5ELb0ES3_mN6hipcub16HIPCUB_304000_NS21CountingInputIteratorIllEEPS6_NSA_22TransformInputIteratorIbN2at6native12_GLOBAL__N_19NonZeroOpIdEEPKdlEENS0_5tupleIJPlS6_EEENSN_IJSD_SD_EEES6_PiJS6_EEE10hipError_tPvRmT3_T4_T5_T6_T7_T9_mT8_P12ihipStream_tbDpT10_ENKUlT_T0_E_clISt17integral_constantIbLb1EES1B_EEDaS16_S17_EUlS16_E_NS1_11comp_targetILNS1_3genE9ELNS1_11target_archE1100ELNS1_3gpuE3ELNS1_3repE0EEENS1_30default_config_static_selectorELNS0_4arch9wavefront6targetE0EEEvT1_.num_vgpr, 0
	.set _ZN7rocprim17ROCPRIM_400000_NS6detail17trampoline_kernelINS0_14default_configENS1_25partition_config_selectorILNS1_17partition_subalgoE5ElNS0_10empty_typeEbEEZZNS1_14partition_implILS5_5ELb0ES3_mN6hipcub16HIPCUB_304000_NS21CountingInputIteratorIllEEPS6_NSA_22TransformInputIteratorIbN2at6native12_GLOBAL__N_19NonZeroOpIdEEPKdlEENS0_5tupleIJPlS6_EEENSN_IJSD_SD_EEES6_PiJS6_EEE10hipError_tPvRmT3_T4_T5_T6_T7_T9_mT8_P12ihipStream_tbDpT10_ENKUlT_T0_E_clISt17integral_constantIbLb1EES1B_EEDaS16_S17_EUlS16_E_NS1_11comp_targetILNS1_3genE9ELNS1_11target_archE1100ELNS1_3gpuE3ELNS1_3repE0EEENS1_30default_config_static_selectorELNS0_4arch9wavefront6targetE0EEEvT1_.num_agpr, 0
	.set _ZN7rocprim17ROCPRIM_400000_NS6detail17trampoline_kernelINS0_14default_configENS1_25partition_config_selectorILNS1_17partition_subalgoE5ElNS0_10empty_typeEbEEZZNS1_14partition_implILS5_5ELb0ES3_mN6hipcub16HIPCUB_304000_NS21CountingInputIteratorIllEEPS6_NSA_22TransformInputIteratorIbN2at6native12_GLOBAL__N_19NonZeroOpIdEEPKdlEENS0_5tupleIJPlS6_EEENSN_IJSD_SD_EEES6_PiJS6_EEE10hipError_tPvRmT3_T4_T5_T6_T7_T9_mT8_P12ihipStream_tbDpT10_ENKUlT_T0_E_clISt17integral_constantIbLb1EES1B_EEDaS16_S17_EUlS16_E_NS1_11comp_targetILNS1_3genE9ELNS1_11target_archE1100ELNS1_3gpuE3ELNS1_3repE0EEENS1_30default_config_static_selectorELNS0_4arch9wavefront6targetE0EEEvT1_.numbered_sgpr, 0
	.set _ZN7rocprim17ROCPRIM_400000_NS6detail17trampoline_kernelINS0_14default_configENS1_25partition_config_selectorILNS1_17partition_subalgoE5ElNS0_10empty_typeEbEEZZNS1_14partition_implILS5_5ELb0ES3_mN6hipcub16HIPCUB_304000_NS21CountingInputIteratorIllEEPS6_NSA_22TransformInputIteratorIbN2at6native12_GLOBAL__N_19NonZeroOpIdEEPKdlEENS0_5tupleIJPlS6_EEENSN_IJSD_SD_EEES6_PiJS6_EEE10hipError_tPvRmT3_T4_T5_T6_T7_T9_mT8_P12ihipStream_tbDpT10_ENKUlT_T0_E_clISt17integral_constantIbLb1EES1B_EEDaS16_S17_EUlS16_E_NS1_11comp_targetILNS1_3genE9ELNS1_11target_archE1100ELNS1_3gpuE3ELNS1_3repE0EEENS1_30default_config_static_selectorELNS0_4arch9wavefront6targetE0EEEvT1_.num_named_barrier, 0
	.set _ZN7rocprim17ROCPRIM_400000_NS6detail17trampoline_kernelINS0_14default_configENS1_25partition_config_selectorILNS1_17partition_subalgoE5ElNS0_10empty_typeEbEEZZNS1_14partition_implILS5_5ELb0ES3_mN6hipcub16HIPCUB_304000_NS21CountingInputIteratorIllEEPS6_NSA_22TransformInputIteratorIbN2at6native12_GLOBAL__N_19NonZeroOpIdEEPKdlEENS0_5tupleIJPlS6_EEENSN_IJSD_SD_EEES6_PiJS6_EEE10hipError_tPvRmT3_T4_T5_T6_T7_T9_mT8_P12ihipStream_tbDpT10_ENKUlT_T0_E_clISt17integral_constantIbLb1EES1B_EEDaS16_S17_EUlS16_E_NS1_11comp_targetILNS1_3genE9ELNS1_11target_archE1100ELNS1_3gpuE3ELNS1_3repE0EEENS1_30default_config_static_selectorELNS0_4arch9wavefront6targetE0EEEvT1_.private_seg_size, 0
	.set _ZN7rocprim17ROCPRIM_400000_NS6detail17trampoline_kernelINS0_14default_configENS1_25partition_config_selectorILNS1_17partition_subalgoE5ElNS0_10empty_typeEbEEZZNS1_14partition_implILS5_5ELb0ES3_mN6hipcub16HIPCUB_304000_NS21CountingInputIteratorIllEEPS6_NSA_22TransformInputIteratorIbN2at6native12_GLOBAL__N_19NonZeroOpIdEEPKdlEENS0_5tupleIJPlS6_EEENSN_IJSD_SD_EEES6_PiJS6_EEE10hipError_tPvRmT3_T4_T5_T6_T7_T9_mT8_P12ihipStream_tbDpT10_ENKUlT_T0_E_clISt17integral_constantIbLb1EES1B_EEDaS16_S17_EUlS16_E_NS1_11comp_targetILNS1_3genE9ELNS1_11target_archE1100ELNS1_3gpuE3ELNS1_3repE0EEENS1_30default_config_static_selectorELNS0_4arch9wavefront6targetE0EEEvT1_.uses_vcc, 0
	.set _ZN7rocprim17ROCPRIM_400000_NS6detail17trampoline_kernelINS0_14default_configENS1_25partition_config_selectorILNS1_17partition_subalgoE5ElNS0_10empty_typeEbEEZZNS1_14partition_implILS5_5ELb0ES3_mN6hipcub16HIPCUB_304000_NS21CountingInputIteratorIllEEPS6_NSA_22TransformInputIteratorIbN2at6native12_GLOBAL__N_19NonZeroOpIdEEPKdlEENS0_5tupleIJPlS6_EEENSN_IJSD_SD_EEES6_PiJS6_EEE10hipError_tPvRmT3_T4_T5_T6_T7_T9_mT8_P12ihipStream_tbDpT10_ENKUlT_T0_E_clISt17integral_constantIbLb1EES1B_EEDaS16_S17_EUlS16_E_NS1_11comp_targetILNS1_3genE9ELNS1_11target_archE1100ELNS1_3gpuE3ELNS1_3repE0EEENS1_30default_config_static_selectorELNS0_4arch9wavefront6targetE0EEEvT1_.uses_flat_scratch, 0
	.set _ZN7rocprim17ROCPRIM_400000_NS6detail17trampoline_kernelINS0_14default_configENS1_25partition_config_selectorILNS1_17partition_subalgoE5ElNS0_10empty_typeEbEEZZNS1_14partition_implILS5_5ELb0ES3_mN6hipcub16HIPCUB_304000_NS21CountingInputIteratorIllEEPS6_NSA_22TransformInputIteratorIbN2at6native12_GLOBAL__N_19NonZeroOpIdEEPKdlEENS0_5tupleIJPlS6_EEENSN_IJSD_SD_EEES6_PiJS6_EEE10hipError_tPvRmT3_T4_T5_T6_T7_T9_mT8_P12ihipStream_tbDpT10_ENKUlT_T0_E_clISt17integral_constantIbLb1EES1B_EEDaS16_S17_EUlS16_E_NS1_11comp_targetILNS1_3genE9ELNS1_11target_archE1100ELNS1_3gpuE3ELNS1_3repE0EEENS1_30default_config_static_selectorELNS0_4arch9wavefront6targetE0EEEvT1_.has_dyn_sized_stack, 0
	.set _ZN7rocprim17ROCPRIM_400000_NS6detail17trampoline_kernelINS0_14default_configENS1_25partition_config_selectorILNS1_17partition_subalgoE5ElNS0_10empty_typeEbEEZZNS1_14partition_implILS5_5ELb0ES3_mN6hipcub16HIPCUB_304000_NS21CountingInputIteratorIllEEPS6_NSA_22TransformInputIteratorIbN2at6native12_GLOBAL__N_19NonZeroOpIdEEPKdlEENS0_5tupleIJPlS6_EEENSN_IJSD_SD_EEES6_PiJS6_EEE10hipError_tPvRmT3_T4_T5_T6_T7_T9_mT8_P12ihipStream_tbDpT10_ENKUlT_T0_E_clISt17integral_constantIbLb1EES1B_EEDaS16_S17_EUlS16_E_NS1_11comp_targetILNS1_3genE9ELNS1_11target_archE1100ELNS1_3gpuE3ELNS1_3repE0EEENS1_30default_config_static_selectorELNS0_4arch9wavefront6targetE0EEEvT1_.has_recursion, 0
	.set _ZN7rocprim17ROCPRIM_400000_NS6detail17trampoline_kernelINS0_14default_configENS1_25partition_config_selectorILNS1_17partition_subalgoE5ElNS0_10empty_typeEbEEZZNS1_14partition_implILS5_5ELb0ES3_mN6hipcub16HIPCUB_304000_NS21CountingInputIteratorIllEEPS6_NSA_22TransformInputIteratorIbN2at6native12_GLOBAL__N_19NonZeroOpIdEEPKdlEENS0_5tupleIJPlS6_EEENSN_IJSD_SD_EEES6_PiJS6_EEE10hipError_tPvRmT3_T4_T5_T6_T7_T9_mT8_P12ihipStream_tbDpT10_ENKUlT_T0_E_clISt17integral_constantIbLb1EES1B_EEDaS16_S17_EUlS16_E_NS1_11comp_targetILNS1_3genE9ELNS1_11target_archE1100ELNS1_3gpuE3ELNS1_3repE0EEENS1_30default_config_static_selectorELNS0_4arch9wavefront6targetE0EEEvT1_.has_indirect_call, 0
	.section	.AMDGPU.csdata,"",@progbits
; Kernel info:
; codeLenInByte = 0
; TotalNumSgprs: 0
; NumVgprs: 0
; ScratchSize: 0
; MemoryBound: 0
; FloatMode: 240
; IeeeMode: 1
; LDSByteSize: 0 bytes/workgroup (compile time only)
; SGPRBlocks: 0
; VGPRBlocks: 0
; NumSGPRsForWavesPerEU: 1
; NumVGPRsForWavesPerEU: 1
; Occupancy: 16
; WaveLimiterHint : 0
; COMPUTE_PGM_RSRC2:SCRATCH_EN: 0
; COMPUTE_PGM_RSRC2:USER_SGPR: 2
; COMPUTE_PGM_RSRC2:TRAP_HANDLER: 0
; COMPUTE_PGM_RSRC2:TGID_X_EN: 1
; COMPUTE_PGM_RSRC2:TGID_Y_EN: 0
; COMPUTE_PGM_RSRC2:TGID_Z_EN: 0
; COMPUTE_PGM_RSRC2:TIDIG_COMP_CNT: 0
	.section	.text._ZN7rocprim17ROCPRIM_400000_NS6detail17trampoline_kernelINS0_14default_configENS1_25partition_config_selectorILNS1_17partition_subalgoE5ElNS0_10empty_typeEbEEZZNS1_14partition_implILS5_5ELb0ES3_mN6hipcub16HIPCUB_304000_NS21CountingInputIteratorIllEEPS6_NSA_22TransformInputIteratorIbN2at6native12_GLOBAL__N_19NonZeroOpIdEEPKdlEENS0_5tupleIJPlS6_EEENSN_IJSD_SD_EEES6_PiJS6_EEE10hipError_tPvRmT3_T4_T5_T6_T7_T9_mT8_P12ihipStream_tbDpT10_ENKUlT_T0_E_clISt17integral_constantIbLb1EES1B_EEDaS16_S17_EUlS16_E_NS1_11comp_targetILNS1_3genE8ELNS1_11target_archE1030ELNS1_3gpuE2ELNS1_3repE0EEENS1_30default_config_static_selectorELNS0_4arch9wavefront6targetE0EEEvT1_,"axG",@progbits,_ZN7rocprim17ROCPRIM_400000_NS6detail17trampoline_kernelINS0_14default_configENS1_25partition_config_selectorILNS1_17partition_subalgoE5ElNS0_10empty_typeEbEEZZNS1_14partition_implILS5_5ELb0ES3_mN6hipcub16HIPCUB_304000_NS21CountingInputIteratorIllEEPS6_NSA_22TransformInputIteratorIbN2at6native12_GLOBAL__N_19NonZeroOpIdEEPKdlEENS0_5tupleIJPlS6_EEENSN_IJSD_SD_EEES6_PiJS6_EEE10hipError_tPvRmT3_T4_T5_T6_T7_T9_mT8_P12ihipStream_tbDpT10_ENKUlT_T0_E_clISt17integral_constantIbLb1EES1B_EEDaS16_S17_EUlS16_E_NS1_11comp_targetILNS1_3genE8ELNS1_11target_archE1030ELNS1_3gpuE2ELNS1_3repE0EEENS1_30default_config_static_selectorELNS0_4arch9wavefront6targetE0EEEvT1_,comdat
	.globl	_ZN7rocprim17ROCPRIM_400000_NS6detail17trampoline_kernelINS0_14default_configENS1_25partition_config_selectorILNS1_17partition_subalgoE5ElNS0_10empty_typeEbEEZZNS1_14partition_implILS5_5ELb0ES3_mN6hipcub16HIPCUB_304000_NS21CountingInputIteratorIllEEPS6_NSA_22TransformInputIteratorIbN2at6native12_GLOBAL__N_19NonZeroOpIdEEPKdlEENS0_5tupleIJPlS6_EEENSN_IJSD_SD_EEES6_PiJS6_EEE10hipError_tPvRmT3_T4_T5_T6_T7_T9_mT8_P12ihipStream_tbDpT10_ENKUlT_T0_E_clISt17integral_constantIbLb1EES1B_EEDaS16_S17_EUlS16_E_NS1_11comp_targetILNS1_3genE8ELNS1_11target_archE1030ELNS1_3gpuE2ELNS1_3repE0EEENS1_30default_config_static_selectorELNS0_4arch9wavefront6targetE0EEEvT1_ ; -- Begin function _ZN7rocprim17ROCPRIM_400000_NS6detail17trampoline_kernelINS0_14default_configENS1_25partition_config_selectorILNS1_17partition_subalgoE5ElNS0_10empty_typeEbEEZZNS1_14partition_implILS5_5ELb0ES3_mN6hipcub16HIPCUB_304000_NS21CountingInputIteratorIllEEPS6_NSA_22TransformInputIteratorIbN2at6native12_GLOBAL__N_19NonZeroOpIdEEPKdlEENS0_5tupleIJPlS6_EEENSN_IJSD_SD_EEES6_PiJS6_EEE10hipError_tPvRmT3_T4_T5_T6_T7_T9_mT8_P12ihipStream_tbDpT10_ENKUlT_T0_E_clISt17integral_constantIbLb1EES1B_EEDaS16_S17_EUlS16_E_NS1_11comp_targetILNS1_3genE8ELNS1_11target_archE1030ELNS1_3gpuE2ELNS1_3repE0EEENS1_30default_config_static_selectorELNS0_4arch9wavefront6targetE0EEEvT1_
	.p2align	8
	.type	_ZN7rocprim17ROCPRIM_400000_NS6detail17trampoline_kernelINS0_14default_configENS1_25partition_config_selectorILNS1_17partition_subalgoE5ElNS0_10empty_typeEbEEZZNS1_14partition_implILS5_5ELb0ES3_mN6hipcub16HIPCUB_304000_NS21CountingInputIteratorIllEEPS6_NSA_22TransformInputIteratorIbN2at6native12_GLOBAL__N_19NonZeroOpIdEEPKdlEENS0_5tupleIJPlS6_EEENSN_IJSD_SD_EEES6_PiJS6_EEE10hipError_tPvRmT3_T4_T5_T6_T7_T9_mT8_P12ihipStream_tbDpT10_ENKUlT_T0_E_clISt17integral_constantIbLb1EES1B_EEDaS16_S17_EUlS16_E_NS1_11comp_targetILNS1_3genE8ELNS1_11target_archE1030ELNS1_3gpuE2ELNS1_3repE0EEENS1_30default_config_static_selectorELNS0_4arch9wavefront6targetE0EEEvT1_,@function
_ZN7rocprim17ROCPRIM_400000_NS6detail17trampoline_kernelINS0_14default_configENS1_25partition_config_selectorILNS1_17partition_subalgoE5ElNS0_10empty_typeEbEEZZNS1_14partition_implILS5_5ELb0ES3_mN6hipcub16HIPCUB_304000_NS21CountingInputIteratorIllEEPS6_NSA_22TransformInputIteratorIbN2at6native12_GLOBAL__N_19NonZeroOpIdEEPKdlEENS0_5tupleIJPlS6_EEENSN_IJSD_SD_EEES6_PiJS6_EEE10hipError_tPvRmT3_T4_T5_T6_T7_T9_mT8_P12ihipStream_tbDpT10_ENKUlT_T0_E_clISt17integral_constantIbLb1EES1B_EEDaS16_S17_EUlS16_E_NS1_11comp_targetILNS1_3genE8ELNS1_11target_archE1030ELNS1_3gpuE2ELNS1_3repE0EEENS1_30default_config_static_selectorELNS0_4arch9wavefront6targetE0EEEvT1_: ; @_ZN7rocprim17ROCPRIM_400000_NS6detail17trampoline_kernelINS0_14default_configENS1_25partition_config_selectorILNS1_17partition_subalgoE5ElNS0_10empty_typeEbEEZZNS1_14partition_implILS5_5ELb0ES3_mN6hipcub16HIPCUB_304000_NS21CountingInputIteratorIllEEPS6_NSA_22TransformInputIteratorIbN2at6native12_GLOBAL__N_19NonZeroOpIdEEPKdlEENS0_5tupleIJPlS6_EEENSN_IJSD_SD_EEES6_PiJS6_EEE10hipError_tPvRmT3_T4_T5_T6_T7_T9_mT8_P12ihipStream_tbDpT10_ENKUlT_T0_E_clISt17integral_constantIbLb1EES1B_EEDaS16_S17_EUlS16_E_NS1_11comp_targetILNS1_3genE8ELNS1_11target_archE1030ELNS1_3gpuE2ELNS1_3repE0EEENS1_30default_config_static_selectorELNS0_4arch9wavefront6targetE0EEEvT1_
; %bb.0:
	.section	.rodata,"a",@progbits
	.p2align	6, 0x0
	.amdhsa_kernel _ZN7rocprim17ROCPRIM_400000_NS6detail17trampoline_kernelINS0_14default_configENS1_25partition_config_selectorILNS1_17partition_subalgoE5ElNS0_10empty_typeEbEEZZNS1_14partition_implILS5_5ELb0ES3_mN6hipcub16HIPCUB_304000_NS21CountingInputIteratorIllEEPS6_NSA_22TransformInputIteratorIbN2at6native12_GLOBAL__N_19NonZeroOpIdEEPKdlEENS0_5tupleIJPlS6_EEENSN_IJSD_SD_EEES6_PiJS6_EEE10hipError_tPvRmT3_T4_T5_T6_T7_T9_mT8_P12ihipStream_tbDpT10_ENKUlT_T0_E_clISt17integral_constantIbLb1EES1B_EEDaS16_S17_EUlS16_E_NS1_11comp_targetILNS1_3genE8ELNS1_11target_archE1030ELNS1_3gpuE2ELNS1_3repE0EEENS1_30default_config_static_selectorELNS0_4arch9wavefront6targetE0EEEvT1_
		.amdhsa_group_segment_fixed_size 0
		.amdhsa_private_segment_fixed_size 0
		.amdhsa_kernarg_size 136
		.amdhsa_user_sgpr_count 2
		.amdhsa_user_sgpr_dispatch_ptr 0
		.amdhsa_user_sgpr_queue_ptr 0
		.amdhsa_user_sgpr_kernarg_segment_ptr 1
		.amdhsa_user_sgpr_dispatch_id 0
		.amdhsa_user_sgpr_private_segment_size 0
		.amdhsa_wavefront_size32 1
		.amdhsa_uses_dynamic_stack 0
		.amdhsa_enable_private_segment 0
		.amdhsa_system_sgpr_workgroup_id_x 1
		.amdhsa_system_sgpr_workgroup_id_y 0
		.amdhsa_system_sgpr_workgroup_id_z 0
		.amdhsa_system_sgpr_workgroup_info 0
		.amdhsa_system_vgpr_workitem_id 0
		.amdhsa_next_free_vgpr 1
		.amdhsa_next_free_sgpr 1
		.amdhsa_reserve_vcc 0
		.amdhsa_float_round_mode_32 0
		.amdhsa_float_round_mode_16_64 0
		.amdhsa_float_denorm_mode_32 3
		.amdhsa_float_denorm_mode_16_64 3
		.amdhsa_fp16_overflow 0
		.amdhsa_workgroup_processor_mode 1
		.amdhsa_memory_ordered 1
		.amdhsa_forward_progress 1
		.amdhsa_inst_pref_size 0
		.amdhsa_round_robin_scheduling 0
		.amdhsa_exception_fp_ieee_invalid_op 0
		.amdhsa_exception_fp_denorm_src 0
		.amdhsa_exception_fp_ieee_div_zero 0
		.amdhsa_exception_fp_ieee_overflow 0
		.amdhsa_exception_fp_ieee_underflow 0
		.amdhsa_exception_fp_ieee_inexact 0
		.amdhsa_exception_int_div_zero 0
	.end_amdhsa_kernel
	.section	.text._ZN7rocprim17ROCPRIM_400000_NS6detail17trampoline_kernelINS0_14default_configENS1_25partition_config_selectorILNS1_17partition_subalgoE5ElNS0_10empty_typeEbEEZZNS1_14partition_implILS5_5ELb0ES3_mN6hipcub16HIPCUB_304000_NS21CountingInputIteratorIllEEPS6_NSA_22TransformInputIteratorIbN2at6native12_GLOBAL__N_19NonZeroOpIdEEPKdlEENS0_5tupleIJPlS6_EEENSN_IJSD_SD_EEES6_PiJS6_EEE10hipError_tPvRmT3_T4_T5_T6_T7_T9_mT8_P12ihipStream_tbDpT10_ENKUlT_T0_E_clISt17integral_constantIbLb1EES1B_EEDaS16_S17_EUlS16_E_NS1_11comp_targetILNS1_3genE8ELNS1_11target_archE1030ELNS1_3gpuE2ELNS1_3repE0EEENS1_30default_config_static_selectorELNS0_4arch9wavefront6targetE0EEEvT1_,"axG",@progbits,_ZN7rocprim17ROCPRIM_400000_NS6detail17trampoline_kernelINS0_14default_configENS1_25partition_config_selectorILNS1_17partition_subalgoE5ElNS0_10empty_typeEbEEZZNS1_14partition_implILS5_5ELb0ES3_mN6hipcub16HIPCUB_304000_NS21CountingInputIteratorIllEEPS6_NSA_22TransformInputIteratorIbN2at6native12_GLOBAL__N_19NonZeroOpIdEEPKdlEENS0_5tupleIJPlS6_EEENSN_IJSD_SD_EEES6_PiJS6_EEE10hipError_tPvRmT3_T4_T5_T6_T7_T9_mT8_P12ihipStream_tbDpT10_ENKUlT_T0_E_clISt17integral_constantIbLb1EES1B_EEDaS16_S17_EUlS16_E_NS1_11comp_targetILNS1_3genE8ELNS1_11target_archE1030ELNS1_3gpuE2ELNS1_3repE0EEENS1_30default_config_static_selectorELNS0_4arch9wavefront6targetE0EEEvT1_,comdat
.Lfunc_end405:
	.size	_ZN7rocprim17ROCPRIM_400000_NS6detail17trampoline_kernelINS0_14default_configENS1_25partition_config_selectorILNS1_17partition_subalgoE5ElNS0_10empty_typeEbEEZZNS1_14partition_implILS5_5ELb0ES3_mN6hipcub16HIPCUB_304000_NS21CountingInputIteratorIllEEPS6_NSA_22TransformInputIteratorIbN2at6native12_GLOBAL__N_19NonZeroOpIdEEPKdlEENS0_5tupleIJPlS6_EEENSN_IJSD_SD_EEES6_PiJS6_EEE10hipError_tPvRmT3_T4_T5_T6_T7_T9_mT8_P12ihipStream_tbDpT10_ENKUlT_T0_E_clISt17integral_constantIbLb1EES1B_EEDaS16_S17_EUlS16_E_NS1_11comp_targetILNS1_3genE8ELNS1_11target_archE1030ELNS1_3gpuE2ELNS1_3repE0EEENS1_30default_config_static_selectorELNS0_4arch9wavefront6targetE0EEEvT1_, .Lfunc_end405-_ZN7rocprim17ROCPRIM_400000_NS6detail17trampoline_kernelINS0_14default_configENS1_25partition_config_selectorILNS1_17partition_subalgoE5ElNS0_10empty_typeEbEEZZNS1_14partition_implILS5_5ELb0ES3_mN6hipcub16HIPCUB_304000_NS21CountingInputIteratorIllEEPS6_NSA_22TransformInputIteratorIbN2at6native12_GLOBAL__N_19NonZeroOpIdEEPKdlEENS0_5tupleIJPlS6_EEENSN_IJSD_SD_EEES6_PiJS6_EEE10hipError_tPvRmT3_T4_T5_T6_T7_T9_mT8_P12ihipStream_tbDpT10_ENKUlT_T0_E_clISt17integral_constantIbLb1EES1B_EEDaS16_S17_EUlS16_E_NS1_11comp_targetILNS1_3genE8ELNS1_11target_archE1030ELNS1_3gpuE2ELNS1_3repE0EEENS1_30default_config_static_selectorELNS0_4arch9wavefront6targetE0EEEvT1_
                                        ; -- End function
	.set _ZN7rocprim17ROCPRIM_400000_NS6detail17trampoline_kernelINS0_14default_configENS1_25partition_config_selectorILNS1_17partition_subalgoE5ElNS0_10empty_typeEbEEZZNS1_14partition_implILS5_5ELb0ES3_mN6hipcub16HIPCUB_304000_NS21CountingInputIteratorIllEEPS6_NSA_22TransformInputIteratorIbN2at6native12_GLOBAL__N_19NonZeroOpIdEEPKdlEENS0_5tupleIJPlS6_EEENSN_IJSD_SD_EEES6_PiJS6_EEE10hipError_tPvRmT3_T4_T5_T6_T7_T9_mT8_P12ihipStream_tbDpT10_ENKUlT_T0_E_clISt17integral_constantIbLb1EES1B_EEDaS16_S17_EUlS16_E_NS1_11comp_targetILNS1_3genE8ELNS1_11target_archE1030ELNS1_3gpuE2ELNS1_3repE0EEENS1_30default_config_static_selectorELNS0_4arch9wavefront6targetE0EEEvT1_.num_vgpr, 0
	.set _ZN7rocprim17ROCPRIM_400000_NS6detail17trampoline_kernelINS0_14default_configENS1_25partition_config_selectorILNS1_17partition_subalgoE5ElNS0_10empty_typeEbEEZZNS1_14partition_implILS5_5ELb0ES3_mN6hipcub16HIPCUB_304000_NS21CountingInputIteratorIllEEPS6_NSA_22TransformInputIteratorIbN2at6native12_GLOBAL__N_19NonZeroOpIdEEPKdlEENS0_5tupleIJPlS6_EEENSN_IJSD_SD_EEES6_PiJS6_EEE10hipError_tPvRmT3_T4_T5_T6_T7_T9_mT8_P12ihipStream_tbDpT10_ENKUlT_T0_E_clISt17integral_constantIbLb1EES1B_EEDaS16_S17_EUlS16_E_NS1_11comp_targetILNS1_3genE8ELNS1_11target_archE1030ELNS1_3gpuE2ELNS1_3repE0EEENS1_30default_config_static_selectorELNS0_4arch9wavefront6targetE0EEEvT1_.num_agpr, 0
	.set _ZN7rocprim17ROCPRIM_400000_NS6detail17trampoline_kernelINS0_14default_configENS1_25partition_config_selectorILNS1_17partition_subalgoE5ElNS0_10empty_typeEbEEZZNS1_14partition_implILS5_5ELb0ES3_mN6hipcub16HIPCUB_304000_NS21CountingInputIteratorIllEEPS6_NSA_22TransformInputIteratorIbN2at6native12_GLOBAL__N_19NonZeroOpIdEEPKdlEENS0_5tupleIJPlS6_EEENSN_IJSD_SD_EEES6_PiJS6_EEE10hipError_tPvRmT3_T4_T5_T6_T7_T9_mT8_P12ihipStream_tbDpT10_ENKUlT_T0_E_clISt17integral_constantIbLb1EES1B_EEDaS16_S17_EUlS16_E_NS1_11comp_targetILNS1_3genE8ELNS1_11target_archE1030ELNS1_3gpuE2ELNS1_3repE0EEENS1_30default_config_static_selectorELNS0_4arch9wavefront6targetE0EEEvT1_.numbered_sgpr, 0
	.set _ZN7rocprim17ROCPRIM_400000_NS6detail17trampoline_kernelINS0_14default_configENS1_25partition_config_selectorILNS1_17partition_subalgoE5ElNS0_10empty_typeEbEEZZNS1_14partition_implILS5_5ELb0ES3_mN6hipcub16HIPCUB_304000_NS21CountingInputIteratorIllEEPS6_NSA_22TransformInputIteratorIbN2at6native12_GLOBAL__N_19NonZeroOpIdEEPKdlEENS0_5tupleIJPlS6_EEENSN_IJSD_SD_EEES6_PiJS6_EEE10hipError_tPvRmT3_T4_T5_T6_T7_T9_mT8_P12ihipStream_tbDpT10_ENKUlT_T0_E_clISt17integral_constantIbLb1EES1B_EEDaS16_S17_EUlS16_E_NS1_11comp_targetILNS1_3genE8ELNS1_11target_archE1030ELNS1_3gpuE2ELNS1_3repE0EEENS1_30default_config_static_selectorELNS0_4arch9wavefront6targetE0EEEvT1_.num_named_barrier, 0
	.set _ZN7rocprim17ROCPRIM_400000_NS6detail17trampoline_kernelINS0_14default_configENS1_25partition_config_selectorILNS1_17partition_subalgoE5ElNS0_10empty_typeEbEEZZNS1_14partition_implILS5_5ELb0ES3_mN6hipcub16HIPCUB_304000_NS21CountingInputIteratorIllEEPS6_NSA_22TransformInputIteratorIbN2at6native12_GLOBAL__N_19NonZeroOpIdEEPKdlEENS0_5tupleIJPlS6_EEENSN_IJSD_SD_EEES6_PiJS6_EEE10hipError_tPvRmT3_T4_T5_T6_T7_T9_mT8_P12ihipStream_tbDpT10_ENKUlT_T0_E_clISt17integral_constantIbLb1EES1B_EEDaS16_S17_EUlS16_E_NS1_11comp_targetILNS1_3genE8ELNS1_11target_archE1030ELNS1_3gpuE2ELNS1_3repE0EEENS1_30default_config_static_selectorELNS0_4arch9wavefront6targetE0EEEvT1_.private_seg_size, 0
	.set _ZN7rocprim17ROCPRIM_400000_NS6detail17trampoline_kernelINS0_14default_configENS1_25partition_config_selectorILNS1_17partition_subalgoE5ElNS0_10empty_typeEbEEZZNS1_14partition_implILS5_5ELb0ES3_mN6hipcub16HIPCUB_304000_NS21CountingInputIteratorIllEEPS6_NSA_22TransformInputIteratorIbN2at6native12_GLOBAL__N_19NonZeroOpIdEEPKdlEENS0_5tupleIJPlS6_EEENSN_IJSD_SD_EEES6_PiJS6_EEE10hipError_tPvRmT3_T4_T5_T6_T7_T9_mT8_P12ihipStream_tbDpT10_ENKUlT_T0_E_clISt17integral_constantIbLb1EES1B_EEDaS16_S17_EUlS16_E_NS1_11comp_targetILNS1_3genE8ELNS1_11target_archE1030ELNS1_3gpuE2ELNS1_3repE0EEENS1_30default_config_static_selectorELNS0_4arch9wavefront6targetE0EEEvT1_.uses_vcc, 0
	.set _ZN7rocprim17ROCPRIM_400000_NS6detail17trampoline_kernelINS0_14default_configENS1_25partition_config_selectorILNS1_17partition_subalgoE5ElNS0_10empty_typeEbEEZZNS1_14partition_implILS5_5ELb0ES3_mN6hipcub16HIPCUB_304000_NS21CountingInputIteratorIllEEPS6_NSA_22TransformInputIteratorIbN2at6native12_GLOBAL__N_19NonZeroOpIdEEPKdlEENS0_5tupleIJPlS6_EEENSN_IJSD_SD_EEES6_PiJS6_EEE10hipError_tPvRmT3_T4_T5_T6_T7_T9_mT8_P12ihipStream_tbDpT10_ENKUlT_T0_E_clISt17integral_constantIbLb1EES1B_EEDaS16_S17_EUlS16_E_NS1_11comp_targetILNS1_3genE8ELNS1_11target_archE1030ELNS1_3gpuE2ELNS1_3repE0EEENS1_30default_config_static_selectorELNS0_4arch9wavefront6targetE0EEEvT1_.uses_flat_scratch, 0
	.set _ZN7rocprim17ROCPRIM_400000_NS6detail17trampoline_kernelINS0_14default_configENS1_25partition_config_selectorILNS1_17partition_subalgoE5ElNS0_10empty_typeEbEEZZNS1_14partition_implILS5_5ELb0ES3_mN6hipcub16HIPCUB_304000_NS21CountingInputIteratorIllEEPS6_NSA_22TransformInputIteratorIbN2at6native12_GLOBAL__N_19NonZeroOpIdEEPKdlEENS0_5tupleIJPlS6_EEENSN_IJSD_SD_EEES6_PiJS6_EEE10hipError_tPvRmT3_T4_T5_T6_T7_T9_mT8_P12ihipStream_tbDpT10_ENKUlT_T0_E_clISt17integral_constantIbLb1EES1B_EEDaS16_S17_EUlS16_E_NS1_11comp_targetILNS1_3genE8ELNS1_11target_archE1030ELNS1_3gpuE2ELNS1_3repE0EEENS1_30default_config_static_selectorELNS0_4arch9wavefront6targetE0EEEvT1_.has_dyn_sized_stack, 0
	.set _ZN7rocprim17ROCPRIM_400000_NS6detail17trampoline_kernelINS0_14default_configENS1_25partition_config_selectorILNS1_17partition_subalgoE5ElNS0_10empty_typeEbEEZZNS1_14partition_implILS5_5ELb0ES3_mN6hipcub16HIPCUB_304000_NS21CountingInputIteratorIllEEPS6_NSA_22TransformInputIteratorIbN2at6native12_GLOBAL__N_19NonZeroOpIdEEPKdlEENS0_5tupleIJPlS6_EEENSN_IJSD_SD_EEES6_PiJS6_EEE10hipError_tPvRmT3_T4_T5_T6_T7_T9_mT8_P12ihipStream_tbDpT10_ENKUlT_T0_E_clISt17integral_constantIbLb1EES1B_EEDaS16_S17_EUlS16_E_NS1_11comp_targetILNS1_3genE8ELNS1_11target_archE1030ELNS1_3gpuE2ELNS1_3repE0EEENS1_30default_config_static_selectorELNS0_4arch9wavefront6targetE0EEEvT1_.has_recursion, 0
	.set _ZN7rocprim17ROCPRIM_400000_NS6detail17trampoline_kernelINS0_14default_configENS1_25partition_config_selectorILNS1_17partition_subalgoE5ElNS0_10empty_typeEbEEZZNS1_14partition_implILS5_5ELb0ES3_mN6hipcub16HIPCUB_304000_NS21CountingInputIteratorIllEEPS6_NSA_22TransformInputIteratorIbN2at6native12_GLOBAL__N_19NonZeroOpIdEEPKdlEENS0_5tupleIJPlS6_EEENSN_IJSD_SD_EEES6_PiJS6_EEE10hipError_tPvRmT3_T4_T5_T6_T7_T9_mT8_P12ihipStream_tbDpT10_ENKUlT_T0_E_clISt17integral_constantIbLb1EES1B_EEDaS16_S17_EUlS16_E_NS1_11comp_targetILNS1_3genE8ELNS1_11target_archE1030ELNS1_3gpuE2ELNS1_3repE0EEENS1_30default_config_static_selectorELNS0_4arch9wavefront6targetE0EEEvT1_.has_indirect_call, 0
	.section	.AMDGPU.csdata,"",@progbits
; Kernel info:
; codeLenInByte = 0
; TotalNumSgprs: 0
; NumVgprs: 0
; ScratchSize: 0
; MemoryBound: 0
; FloatMode: 240
; IeeeMode: 1
; LDSByteSize: 0 bytes/workgroup (compile time only)
; SGPRBlocks: 0
; VGPRBlocks: 0
; NumSGPRsForWavesPerEU: 1
; NumVGPRsForWavesPerEU: 1
; Occupancy: 16
; WaveLimiterHint : 0
; COMPUTE_PGM_RSRC2:SCRATCH_EN: 0
; COMPUTE_PGM_RSRC2:USER_SGPR: 2
; COMPUTE_PGM_RSRC2:TRAP_HANDLER: 0
; COMPUTE_PGM_RSRC2:TGID_X_EN: 1
; COMPUTE_PGM_RSRC2:TGID_Y_EN: 0
; COMPUTE_PGM_RSRC2:TGID_Z_EN: 0
; COMPUTE_PGM_RSRC2:TIDIG_COMP_CNT: 0
	.section	.text._ZN7rocprim17ROCPRIM_400000_NS6detail17trampoline_kernelINS0_14default_configENS1_25partition_config_selectorILNS1_17partition_subalgoE5ElNS0_10empty_typeEbEEZZNS1_14partition_implILS5_5ELb0ES3_mN6hipcub16HIPCUB_304000_NS21CountingInputIteratorIllEEPS6_NSA_22TransformInputIteratorIbN2at6native12_GLOBAL__N_19NonZeroOpIdEEPKdlEENS0_5tupleIJPlS6_EEENSN_IJSD_SD_EEES6_PiJS6_EEE10hipError_tPvRmT3_T4_T5_T6_T7_T9_mT8_P12ihipStream_tbDpT10_ENKUlT_T0_E_clISt17integral_constantIbLb1EES1A_IbLb0EEEEDaS16_S17_EUlS16_E_NS1_11comp_targetILNS1_3genE0ELNS1_11target_archE4294967295ELNS1_3gpuE0ELNS1_3repE0EEENS1_30default_config_static_selectorELNS0_4arch9wavefront6targetE0EEEvT1_,"axG",@progbits,_ZN7rocprim17ROCPRIM_400000_NS6detail17trampoline_kernelINS0_14default_configENS1_25partition_config_selectorILNS1_17partition_subalgoE5ElNS0_10empty_typeEbEEZZNS1_14partition_implILS5_5ELb0ES3_mN6hipcub16HIPCUB_304000_NS21CountingInputIteratorIllEEPS6_NSA_22TransformInputIteratorIbN2at6native12_GLOBAL__N_19NonZeroOpIdEEPKdlEENS0_5tupleIJPlS6_EEENSN_IJSD_SD_EEES6_PiJS6_EEE10hipError_tPvRmT3_T4_T5_T6_T7_T9_mT8_P12ihipStream_tbDpT10_ENKUlT_T0_E_clISt17integral_constantIbLb1EES1A_IbLb0EEEEDaS16_S17_EUlS16_E_NS1_11comp_targetILNS1_3genE0ELNS1_11target_archE4294967295ELNS1_3gpuE0ELNS1_3repE0EEENS1_30default_config_static_selectorELNS0_4arch9wavefront6targetE0EEEvT1_,comdat
	.globl	_ZN7rocprim17ROCPRIM_400000_NS6detail17trampoline_kernelINS0_14default_configENS1_25partition_config_selectorILNS1_17partition_subalgoE5ElNS0_10empty_typeEbEEZZNS1_14partition_implILS5_5ELb0ES3_mN6hipcub16HIPCUB_304000_NS21CountingInputIteratorIllEEPS6_NSA_22TransformInputIteratorIbN2at6native12_GLOBAL__N_19NonZeroOpIdEEPKdlEENS0_5tupleIJPlS6_EEENSN_IJSD_SD_EEES6_PiJS6_EEE10hipError_tPvRmT3_T4_T5_T6_T7_T9_mT8_P12ihipStream_tbDpT10_ENKUlT_T0_E_clISt17integral_constantIbLb1EES1A_IbLb0EEEEDaS16_S17_EUlS16_E_NS1_11comp_targetILNS1_3genE0ELNS1_11target_archE4294967295ELNS1_3gpuE0ELNS1_3repE0EEENS1_30default_config_static_selectorELNS0_4arch9wavefront6targetE0EEEvT1_ ; -- Begin function _ZN7rocprim17ROCPRIM_400000_NS6detail17trampoline_kernelINS0_14default_configENS1_25partition_config_selectorILNS1_17partition_subalgoE5ElNS0_10empty_typeEbEEZZNS1_14partition_implILS5_5ELb0ES3_mN6hipcub16HIPCUB_304000_NS21CountingInputIteratorIllEEPS6_NSA_22TransformInputIteratorIbN2at6native12_GLOBAL__N_19NonZeroOpIdEEPKdlEENS0_5tupleIJPlS6_EEENSN_IJSD_SD_EEES6_PiJS6_EEE10hipError_tPvRmT3_T4_T5_T6_T7_T9_mT8_P12ihipStream_tbDpT10_ENKUlT_T0_E_clISt17integral_constantIbLb1EES1A_IbLb0EEEEDaS16_S17_EUlS16_E_NS1_11comp_targetILNS1_3genE0ELNS1_11target_archE4294967295ELNS1_3gpuE0ELNS1_3repE0EEENS1_30default_config_static_selectorELNS0_4arch9wavefront6targetE0EEEvT1_
	.p2align	8
	.type	_ZN7rocprim17ROCPRIM_400000_NS6detail17trampoline_kernelINS0_14default_configENS1_25partition_config_selectorILNS1_17partition_subalgoE5ElNS0_10empty_typeEbEEZZNS1_14partition_implILS5_5ELb0ES3_mN6hipcub16HIPCUB_304000_NS21CountingInputIteratorIllEEPS6_NSA_22TransformInputIteratorIbN2at6native12_GLOBAL__N_19NonZeroOpIdEEPKdlEENS0_5tupleIJPlS6_EEENSN_IJSD_SD_EEES6_PiJS6_EEE10hipError_tPvRmT3_T4_T5_T6_T7_T9_mT8_P12ihipStream_tbDpT10_ENKUlT_T0_E_clISt17integral_constantIbLb1EES1A_IbLb0EEEEDaS16_S17_EUlS16_E_NS1_11comp_targetILNS1_3genE0ELNS1_11target_archE4294967295ELNS1_3gpuE0ELNS1_3repE0EEENS1_30default_config_static_selectorELNS0_4arch9wavefront6targetE0EEEvT1_,@function
_ZN7rocprim17ROCPRIM_400000_NS6detail17trampoline_kernelINS0_14default_configENS1_25partition_config_selectorILNS1_17partition_subalgoE5ElNS0_10empty_typeEbEEZZNS1_14partition_implILS5_5ELb0ES3_mN6hipcub16HIPCUB_304000_NS21CountingInputIteratorIllEEPS6_NSA_22TransformInputIteratorIbN2at6native12_GLOBAL__N_19NonZeroOpIdEEPKdlEENS0_5tupleIJPlS6_EEENSN_IJSD_SD_EEES6_PiJS6_EEE10hipError_tPvRmT3_T4_T5_T6_T7_T9_mT8_P12ihipStream_tbDpT10_ENKUlT_T0_E_clISt17integral_constantIbLb1EES1A_IbLb0EEEEDaS16_S17_EUlS16_E_NS1_11comp_targetILNS1_3genE0ELNS1_11target_archE4294967295ELNS1_3gpuE0ELNS1_3repE0EEENS1_30default_config_static_selectorELNS0_4arch9wavefront6targetE0EEEvT1_: ; @_ZN7rocprim17ROCPRIM_400000_NS6detail17trampoline_kernelINS0_14default_configENS1_25partition_config_selectorILNS1_17partition_subalgoE5ElNS0_10empty_typeEbEEZZNS1_14partition_implILS5_5ELb0ES3_mN6hipcub16HIPCUB_304000_NS21CountingInputIteratorIllEEPS6_NSA_22TransformInputIteratorIbN2at6native12_GLOBAL__N_19NonZeroOpIdEEPKdlEENS0_5tupleIJPlS6_EEENSN_IJSD_SD_EEES6_PiJS6_EEE10hipError_tPvRmT3_T4_T5_T6_T7_T9_mT8_P12ihipStream_tbDpT10_ENKUlT_T0_E_clISt17integral_constantIbLb1EES1A_IbLb0EEEEDaS16_S17_EUlS16_E_NS1_11comp_targetILNS1_3genE0ELNS1_11target_archE4294967295ELNS1_3gpuE0ELNS1_3repE0EEENS1_30default_config_static_selectorELNS0_4arch9wavefront6targetE0EEEvT1_
; %bb.0:
	.section	.rodata,"a",@progbits
	.p2align	6, 0x0
	.amdhsa_kernel _ZN7rocprim17ROCPRIM_400000_NS6detail17trampoline_kernelINS0_14default_configENS1_25partition_config_selectorILNS1_17partition_subalgoE5ElNS0_10empty_typeEbEEZZNS1_14partition_implILS5_5ELb0ES3_mN6hipcub16HIPCUB_304000_NS21CountingInputIteratorIllEEPS6_NSA_22TransformInputIteratorIbN2at6native12_GLOBAL__N_19NonZeroOpIdEEPKdlEENS0_5tupleIJPlS6_EEENSN_IJSD_SD_EEES6_PiJS6_EEE10hipError_tPvRmT3_T4_T5_T6_T7_T9_mT8_P12ihipStream_tbDpT10_ENKUlT_T0_E_clISt17integral_constantIbLb1EES1A_IbLb0EEEEDaS16_S17_EUlS16_E_NS1_11comp_targetILNS1_3genE0ELNS1_11target_archE4294967295ELNS1_3gpuE0ELNS1_3repE0EEENS1_30default_config_static_selectorELNS0_4arch9wavefront6targetE0EEEvT1_
		.amdhsa_group_segment_fixed_size 0
		.amdhsa_private_segment_fixed_size 0
		.amdhsa_kernarg_size 120
		.amdhsa_user_sgpr_count 2
		.amdhsa_user_sgpr_dispatch_ptr 0
		.amdhsa_user_sgpr_queue_ptr 0
		.amdhsa_user_sgpr_kernarg_segment_ptr 1
		.amdhsa_user_sgpr_dispatch_id 0
		.amdhsa_user_sgpr_private_segment_size 0
		.amdhsa_wavefront_size32 1
		.amdhsa_uses_dynamic_stack 0
		.amdhsa_enable_private_segment 0
		.amdhsa_system_sgpr_workgroup_id_x 1
		.amdhsa_system_sgpr_workgroup_id_y 0
		.amdhsa_system_sgpr_workgroup_id_z 0
		.amdhsa_system_sgpr_workgroup_info 0
		.amdhsa_system_vgpr_workitem_id 0
		.amdhsa_next_free_vgpr 1
		.amdhsa_next_free_sgpr 1
		.amdhsa_reserve_vcc 0
		.amdhsa_float_round_mode_32 0
		.amdhsa_float_round_mode_16_64 0
		.amdhsa_float_denorm_mode_32 3
		.amdhsa_float_denorm_mode_16_64 3
		.amdhsa_fp16_overflow 0
		.amdhsa_workgroup_processor_mode 1
		.amdhsa_memory_ordered 1
		.amdhsa_forward_progress 1
		.amdhsa_inst_pref_size 0
		.amdhsa_round_robin_scheduling 0
		.amdhsa_exception_fp_ieee_invalid_op 0
		.amdhsa_exception_fp_denorm_src 0
		.amdhsa_exception_fp_ieee_div_zero 0
		.amdhsa_exception_fp_ieee_overflow 0
		.amdhsa_exception_fp_ieee_underflow 0
		.amdhsa_exception_fp_ieee_inexact 0
		.amdhsa_exception_int_div_zero 0
	.end_amdhsa_kernel
	.section	.text._ZN7rocprim17ROCPRIM_400000_NS6detail17trampoline_kernelINS0_14default_configENS1_25partition_config_selectorILNS1_17partition_subalgoE5ElNS0_10empty_typeEbEEZZNS1_14partition_implILS5_5ELb0ES3_mN6hipcub16HIPCUB_304000_NS21CountingInputIteratorIllEEPS6_NSA_22TransformInputIteratorIbN2at6native12_GLOBAL__N_19NonZeroOpIdEEPKdlEENS0_5tupleIJPlS6_EEENSN_IJSD_SD_EEES6_PiJS6_EEE10hipError_tPvRmT3_T4_T5_T6_T7_T9_mT8_P12ihipStream_tbDpT10_ENKUlT_T0_E_clISt17integral_constantIbLb1EES1A_IbLb0EEEEDaS16_S17_EUlS16_E_NS1_11comp_targetILNS1_3genE0ELNS1_11target_archE4294967295ELNS1_3gpuE0ELNS1_3repE0EEENS1_30default_config_static_selectorELNS0_4arch9wavefront6targetE0EEEvT1_,"axG",@progbits,_ZN7rocprim17ROCPRIM_400000_NS6detail17trampoline_kernelINS0_14default_configENS1_25partition_config_selectorILNS1_17partition_subalgoE5ElNS0_10empty_typeEbEEZZNS1_14partition_implILS5_5ELb0ES3_mN6hipcub16HIPCUB_304000_NS21CountingInputIteratorIllEEPS6_NSA_22TransformInputIteratorIbN2at6native12_GLOBAL__N_19NonZeroOpIdEEPKdlEENS0_5tupleIJPlS6_EEENSN_IJSD_SD_EEES6_PiJS6_EEE10hipError_tPvRmT3_T4_T5_T6_T7_T9_mT8_P12ihipStream_tbDpT10_ENKUlT_T0_E_clISt17integral_constantIbLb1EES1A_IbLb0EEEEDaS16_S17_EUlS16_E_NS1_11comp_targetILNS1_3genE0ELNS1_11target_archE4294967295ELNS1_3gpuE0ELNS1_3repE0EEENS1_30default_config_static_selectorELNS0_4arch9wavefront6targetE0EEEvT1_,comdat
.Lfunc_end406:
	.size	_ZN7rocprim17ROCPRIM_400000_NS6detail17trampoline_kernelINS0_14default_configENS1_25partition_config_selectorILNS1_17partition_subalgoE5ElNS0_10empty_typeEbEEZZNS1_14partition_implILS5_5ELb0ES3_mN6hipcub16HIPCUB_304000_NS21CountingInputIteratorIllEEPS6_NSA_22TransformInputIteratorIbN2at6native12_GLOBAL__N_19NonZeroOpIdEEPKdlEENS0_5tupleIJPlS6_EEENSN_IJSD_SD_EEES6_PiJS6_EEE10hipError_tPvRmT3_T4_T5_T6_T7_T9_mT8_P12ihipStream_tbDpT10_ENKUlT_T0_E_clISt17integral_constantIbLb1EES1A_IbLb0EEEEDaS16_S17_EUlS16_E_NS1_11comp_targetILNS1_3genE0ELNS1_11target_archE4294967295ELNS1_3gpuE0ELNS1_3repE0EEENS1_30default_config_static_selectorELNS0_4arch9wavefront6targetE0EEEvT1_, .Lfunc_end406-_ZN7rocprim17ROCPRIM_400000_NS6detail17trampoline_kernelINS0_14default_configENS1_25partition_config_selectorILNS1_17partition_subalgoE5ElNS0_10empty_typeEbEEZZNS1_14partition_implILS5_5ELb0ES3_mN6hipcub16HIPCUB_304000_NS21CountingInputIteratorIllEEPS6_NSA_22TransformInputIteratorIbN2at6native12_GLOBAL__N_19NonZeroOpIdEEPKdlEENS0_5tupleIJPlS6_EEENSN_IJSD_SD_EEES6_PiJS6_EEE10hipError_tPvRmT3_T4_T5_T6_T7_T9_mT8_P12ihipStream_tbDpT10_ENKUlT_T0_E_clISt17integral_constantIbLb1EES1A_IbLb0EEEEDaS16_S17_EUlS16_E_NS1_11comp_targetILNS1_3genE0ELNS1_11target_archE4294967295ELNS1_3gpuE0ELNS1_3repE0EEENS1_30default_config_static_selectorELNS0_4arch9wavefront6targetE0EEEvT1_
                                        ; -- End function
	.set _ZN7rocprim17ROCPRIM_400000_NS6detail17trampoline_kernelINS0_14default_configENS1_25partition_config_selectorILNS1_17partition_subalgoE5ElNS0_10empty_typeEbEEZZNS1_14partition_implILS5_5ELb0ES3_mN6hipcub16HIPCUB_304000_NS21CountingInputIteratorIllEEPS6_NSA_22TransformInputIteratorIbN2at6native12_GLOBAL__N_19NonZeroOpIdEEPKdlEENS0_5tupleIJPlS6_EEENSN_IJSD_SD_EEES6_PiJS6_EEE10hipError_tPvRmT3_T4_T5_T6_T7_T9_mT8_P12ihipStream_tbDpT10_ENKUlT_T0_E_clISt17integral_constantIbLb1EES1A_IbLb0EEEEDaS16_S17_EUlS16_E_NS1_11comp_targetILNS1_3genE0ELNS1_11target_archE4294967295ELNS1_3gpuE0ELNS1_3repE0EEENS1_30default_config_static_selectorELNS0_4arch9wavefront6targetE0EEEvT1_.num_vgpr, 0
	.set _ZN7rocprim17ROCPRIM_400000_NS6detail17trampoline_kernelINS0_14default_configENS1_25partition_config_selectorILNS1_17partition_subalgoE5ElNS0_10empty_typeEbEEZZNS1_14partition_implILS5_5ELb0ES3_mN6hipcub16HIPCUB_304000_NS21CountingInputIteratorIllEEPS6_NSA_22TransformInputIteratorIbN2at6native12_GLOBAL__N_19NonZeroOpIdEEPKdlEENS0_5tupleIJPlS6_EEENSN_IJSD_SD_EEES6_PiJS6_EEE10hipError_tPvRmT3_T4_T5_T6_T7_T9_mT8_P12ihipStream_tbDpT10_ENKUlT_T0_E_clISt17integral_constantIbLb1EES1A_IbLb0EEEEDaS16_S17_EUlS16_E_NS1_11comp_targetILNS1_3genE0ELNS1_11target_archE4294967295ELNS1_3gpuE0ELNS1_3repE0EEENS1_30default_config_static_selectorELNS0_4arch9wavefront6targetE0EEEvT1_.num_agpr, 0
	.set _ZN7rocprim17ROCPRIM_400000_NS6detail17trampoline_kernelINS0_14default_configENS1_25partition_config_selectorILNS1_17partition_subalgoE5ElNS0_10empty_typeEbEEZZNS1_14partition_implILS5_5ELb0ES3_mN6hipcub16HIPCUB_304000_NS21CountingInputIteratorIllEEPS6_NSA_22TransformInputIteratorIbN2at6native12_GLOBAL__N_19NonZeroOpIdEEPKdlEENS0_5tupleIJPlS6_EEENSN_IJSD_SD_EEES6_PiJS6_EEE10hipError_tPvRmT3_T4_T5_T6_T7_T9_mT8_P12ihipStream_tbDpT10_ENKUlT_T0_E_clISt17integral_constantIbLb1EES1A_IbLb0EEEEDaS16_S17_EUlS16_E_NS1_11comp_targetILNS1_3genE0ELNS1_11target_archE4294967295ELNS1_3gpuE0ELNS1_3repE0EEENS1_30default_config_static_selectorELNS0_4arch9wavefront6targetE0EEEvT1_.numbered_sgpr, 0
	.set _ZN7rocprim17ROCPRIM_400000_NS6detail17trampoline_kernelINS0_14default_configENS1_25partition_config_selectorILNS1_17partition_subalgoE5ElNS0_10empty_typeEbEEZZNS1_14partition_implILS5_5ELb0ES3_mN6hipcub16HIPCUB_304000_NS21CountingInputIteratorIllEEPS6_NSA_22TransformInputIteratorIbN2at6native12_GLOBAL__N_19NonZeroOpIdEEPKdlEENS0_5tupleIJPlS6_EEENSN_IJSD_SD_EEES6_PiJS6_EEE10hipError_tPvRmT3_T4_T5_T6_T7_T9_mT8_P12ihipStream_tbDpT10_ENKUlT_T0_E_clISt17integral_constantIbLb1EES1A_IbLb0EEEEDaS16_S17_EUlS16_E_NS1_11comp_targetILNS1_3genE0ELNS1_11target_archE4294967295ELNS1_3gpuE0ELNS1_3repE0EEENS1_30default_config_static_selectorELNS0_4arch9wavefront6targetE0EEEvT1_.num_named_barrier, 0
	.set _ZN7rocprim17ROCPRIM_400000_NS6detail17trampoline_kernelINS0_14default_configENS1_25partition_config_selectorILNS1_17partition_subalgoE5ElNS0_10empty_typeEbEEZZNS1_14partition_implILS5_5ELb0ES3_mN6hipcub16HIPCUB_304000_NS21CountingInputIteratorIllEEPS6_NSA_22TransformInputIteratorIbN2at6native12_GLOBAL__N_19NonZeroOpIdEEPKdlEENS0_5tupleIJPlS6_EEENSN_IJSD_SD_EEES6_PiJS6_EEE10hipError_tPvRmT3_T4_T5_T6_T7_T9_mT8_P12ihipStream_tbDpT10_ENKUlT_T0_E_clISt17integral_constantIbLb1EES1A_IbLb0EEEEDaS16_S17_EUlS16_E_NS1_11comp_targetILNS1_3genE0ELNS1_11target_archE4294967295ELNS1_3gpuE0ELNS1_3repE0EEENS1_30default_config_static_selectorELNS0_4arch9wavefront6targetE0EEEvT1_.private_seg_size, 0
	.set _ZN7rocprim17ROCPRIM_400000_NS6detail17trampoline_kernelINS0_14default_configENS1_25partition_config_selectorILNS1_17partition_subalgoE5ElNS0_10empty_typeEbEEZZNS1_14partition_implILS5_5ELb0ES3_mN6hipcub16HIPCUB_304000_NS21CountingInputIteratorIllEEPS6_NSA_22TransformInputIteratorIbN2at6native12_GLOBAL__N_19NonZeroOpIdEEPKdlEENS0_5tupleIJPlS6_EEENSN_IJSD_SD_EEES6_PiJS6_EEE10hipError_tPvRmT3_T4_T5_T6_T7_T9_mT8_P12ihipStream_tbDpT10_ENKUlT_T0_E_clISt17integral_constantIbLb1EES1A_IbLb0EEEEDaS16_S17_EUlS16_E_NS1_11comp_targetILNS1_3genE0ELNS1_11target_archE4294967295ELNS1_3gpuE0ELNS1_3repE0EEENS1_30default_config_static_selectorELNS0_4arch9wavefront6targetE0EEEvT1_.uses_vcc, 0
	.set _ZN7rocprim17ROCPRIM_400000_NS6detail17trampoline_kernelINS0_14default_configENS1_25partition_config_selectorILNS1_17partition_subalgoE5ElNS0_10empty_typeEbEEZZNS1_14partition_implILS5_5ELb0ES3_mN6hipcub16HIPCUB_304000_NS21CountingInputIteratorIllEEPS6_NSA_22TransformInputIteratorIbN2at6native12_GLOBAL__N_19NonZeroOpIdEEPKdlEENS0_5tupleIJPlS6_EEENSN_IJSD_SD_EEES6_PiJS6_EEE10hipError_tPvRmT3_T4_T5_T6_T7_T9_mT8_P12ihipStream_tbDpT10_ENKUlT_T0_E_clISt17integral_constantIbLb1EES1A_IbLb0EEEEDaS16_S17_EUlS16_E_NS1_11comp_targetILNS1_3genE0ELNS1_11target_archE4294967295ELNS1_3gpuE0ELNS1_3repE0EEENS1_30default_config_static_selectorELNS0_4arch9wavefront6targetE0EEEvT1_.uses_flat_scratch, 0
	.set _ZN7rocprim17ROCPRIM_400000_NS6detail17trampoline_kernelINS0_14default_configENS1_25partition_config_selectorILNS1_17partition_subalgoE5ElNS0_10empty_typeEbEEZZNS1_14partition_implILS5_5ELb0ES3_mN6hipcub16HIPCUB_304000_NS21CountingInputIteratorIllEEPS6_NSA_22TransformInputIteratorIbN2at6native12_GLOBAL__N_19NonZeroOpIdEEPKdlEENS0_5tupleIJPlS6_EEENSN_IJSD_SD_EEES6_PiJS6_EEE10hipError_tPvRmT3_T4_T5_T6_T7_T9_mT8_P12ihipStream_tbDpT10_ENKUlT_T0_E_clISt17integral_constantIbLb1EES1A_IbLb0EEEEDaS16_S17_EUlS16_E_NS1_11comp_targetILNS1_3genE0ELNS1_11target_archE4294967295ELNS1_3gpuE0ELNS1_3repE0EEENS1_30default_config_static_selectorELNS0_4arch9wavefront6targetE0EEEvT1_.has_dyn_sized_stack, 0
	.set _ZN7rocprim17ROCPRIM_400000_NS6detail17trampoline_kernelINS0_14default_configENS1_25partition_config_selectorILNS1_17partition_subalgoE5ElNS0_10empty_typeEbEEZZNS1_14partition_implILS5_5ELb0ES3_mN6hipcub16HIPCUB_304000_NS21CountingInputIteratorIllEEPS6_NSA_22TransformInputIteratorIbN2at6native12_GLOBAL__N_19NonZeroOpIdEEPKdlEENS0_5tupleIJPlS6_EEENSN_IJSD_SD_EEES6_PiJS6_EEE10hipError_tPvRmT3_T4_T5_T6_T7_T9_mT8_P12ihipStream_tbDpT10_ENKUlT_T0_E_clISt17integral_constantIbLb1EES1A_IbLb0EEEEDaS16_S17_EUlS16_E_NS1_11comp_targetILNS1_3genE0ELNS1_11target_archE4294967295ELNS1_3gpuE0ELNS1_3repE0EEENS1_30default_config_static_selectorELNS0_4arch9wavefront6targetE0EEEvT1_.has_recursion, 0
	.set _ZN7rocprim17ROCPRIM_400000_NS6detail17trampoline_kernelINS0_14default_configENS1_25partition_config_selectorILNS1_17partition_subalgoE5ElNS0_10empty_typeEbEEZZNS1_14partition_implILS5_5ELb0ES3_mN6hipcub16HIPCUB_304000_NS21CountingInputIteratorIllEEPS6_NSA_22TransformInputIteratorIbN2at6native12_GLOBAL__N_19NonZeroOpIdEEPKdlEENS0_5tupleIJPlS6_EEENSN_IJSD_SD_EEES6_PiJS6_EEE10hipError_tPvRmT3_T4_T5_T6_T7_T9_mT8_P12ihipStream_tbDpT10_ENKUlT_T0_E_clISt17integral_constantIbLb1EES1A_IbLb0EEEEDaS16_S17_EUlS16_E_NS1_11comp_targetILNS1_3genE0ELNS1_11target_archE4294967295ELNS1_3gpuE0ELNS1_3repE0EEENS1_30default_config_static_selectorELNS0_4arch9wavefront6targetE0EEEvT1_.has_indirect_call, 0
	.section	.AMDGPU.csdata,"",@progbits
; Kernel info:
; codeLenInByte = 0
; TotalNumSgprs: 0
; NumVgprs: 0
; ScratchSize: 0
; MemoryBound: 0
; FloatMode: 240
; IeeeMode: 1
; LDSByteSize: 0 bytes/workgroup (compile time only)
; SGPRBlocks: 0
; VGPRBlocks: 0
; NumSGPRsForWavesPerEU: 1
; NumVGPRsForWavesPerEU: 1
; Occupancy: 16
; WaveLimiterHint : 0
; COMPUTE_PGM_RSRC2:SCRATCH_EN: 0
; COMPUTE_PGM_RSRC2:USER_SGPR: 2
; COMPUTE_PGM_RSRC2:TRAP_HANDLER: 0
; COMPUTE_PGM_RSRC2:TGID_X_EN: 1
; COMPUTE_PGM_RSRC2:TGID_Y_EN: 0
; COMPUTE_PGM_RSRC2:TGID_Z_EN: 0
; COMPUTE_PGM_RSRC2:TIDIG_COMP_CNT: 0
	.section	.text._ZN7rocprim17ROCPRIM_400000_NS6detail17trampoline_kernelINS0_14default_configENS1_25partition_config_selectorILNS1_17partition_subalgoE5ElNS0_10empty_typeEbEEZZNS1_14partition_implILS5_5ELb0ES3_mN6hipcub16HIPCUB_304000_NS21CountingInputIteratorIllEEPS6_NSA_22TransformInputIteratorIbN2at6native12_GLOBAL__N_19NonZeroOpIdEEPKdlEENS0_5tupleIJPlS6_EEENSN_IJSD_SD_EEES6_PiJS6_EEE10hipError_tPvRmT3_T4_T5_T6_T7_T9_mT8_P12ihipStream_tbDpT10_ENKUlT_T0_E_clISt17integral_constantIbLb1EES1A_IbLb0EEEEDaS16_S17_EUlS16_E_NS1_11comp_targetILNS1_3genE5ELNS1_11target_archE942ELNS1_3gpuE9ELNS1_3repE0EEENS1_30default_config_static_selectorELNS0_4arch9wavefront6targetE0EEEvT1_,"axG",@progbits,_ZN7rocprim17ROCPRIM_400000_NS6detail17trampoline_kernelINS0_14default_configENS1_25partition_config_selectorILNS1_17partition_subalgoE5ElNS0_10empty_typeEbEEZZNS1_14partition_implILS5_5ELb0ES3_mN6hipcub16HIPCUB_304000_NS21CountingInputIteratorIllEEPS6_NSA_22TransformInputIteratorIbN2at6native12_GLOBAL__N_19NonZeroOpIdEEPKdlEENS0_5tupleIJPlS6_EEENSN_IJSD_SD_EEES6_PiJS6_EEE10hipError_tPvRmT3_T4_T5_T6_T7_T9_mT8_P12ihipStream_tbDpT10_ENKUlT_T0_E_clISt17integral_constantIbLb1EES1A_IbLb0EEEEDaS16_S17_EUlS16_E_NS1_11comp_targetILNS1_3genE5ELNS1_11target_archE942ELNS1_3gpuE9ELNS1_3repE0EEENS1_30default_config_static_selectorELNS0_4arch9wavefront6targetE0EEEvT1_,comdat
	.globl	_ZN7rocprim17ROCPRIM_400000_NS6detail17trampoline_kernelINS0_14default_configENS1_25partition_config_selectorILNS1_17partition_subalgoE5ElNS0_10empty_typeEbEEZZNS1_14partition_implILS5_5ELb0ES3_mN6hipcub16HIPCUB_304000_NS21CountingInputIteratorIllEEPS6_NSA_22TransformInputIteratorIbN2at6native12_GLOBAL__N_19NonZeroOpIdEEPKdlEENS0_5tupleIJPlS6_EEENSN_IJSD_SD_EEES6_PiJS6_EEE10hipError_tPvRmT3_T4_T5_T6_T7_T9_mT8_P12ihipStream_tbDpT10_ENKUlT_T0_E_clISt17integral_constantIbLb1EES1A_IbLb0EEEEDaS16_S17_EUlS16_E_NS1_11comp_targetILNS1_3genE5ELNS1_11target_archE942ELNS1_3gpuE9ELNS1_3repE0EEENS1_30default_config_static_selectorELNS0_4arch9wavefront6targetE0EEEvT1_ ; -- Begin function _ZN7rocprim17ROCPRIM_400000_NS6detail17trampoline_kernelINS0_14default_configENS1_25partition_config_selectorILNS1_17partition_subalgoE5ElNS0_10empty_typeEbEEZZNS1_14partition_implILS5_5ELb0ES3_mN6hipcub16HIPCUB_304000_NS21CountingInputIteratorIllEEPS6_NSA_22TransformInputIteratorIbN2at6native12_GLOBAL__N_19NonZeroOpIdEEPKdlEENS0_5tupleIJPlS6_EEENSN_IJSD_SD_EEES6_PiJS6_EEE10hipError_tPvRmT3_T4_T5_T6_T7_T9_mT8_P12ihipStream_tbDpT10_ENKUlT_T0_E_clISt17integral_constantIbLb1EES1A_IbLb0EEEEDaS16_S17_EUlS16_E_NS1_11comp_targetILNS1_3genE5ELNS1_11target_archE942ELNS1_3gpuE9ELNS1_3repE0EEENS1_30default_config_static_selectorELNS0_4arch9wavefront6targetE0EEEvT1_
	.p2align	8
	.type	_ZN7rocprim17ROCPRIM_400000_NS6detail17trampoline_kernelINS0_14default_configENS1_25partition_config_selectorILNS1_17partition_subalgoE5ElNS0_10empty_typeEbEEZZNS1_14partition_implILS5_5ELb0ES3_mN6hipcub16HIPCUB_304000_NS21CountingInputIteratorIllEEPS6_NSA_22TransformInputIteratorIbN2at6native12_GLOBAL__N_19NonZeroOpIdEEPKdlEENS0_5tupleIJPlS6_EEENSN_IJSD_SD_EEES6_PiJS6_EEE10hipError_tPvRmT3_T4_T5_T6_T7_T9_mT8_P12ihipStream_tbDpT10_ENKUlT_T0_E_clISt17integral_constantIbLb1EES1A_IbLb0EEEEDaS16_S17_EUlS16_E_NS1_11comp_targetILNS1_3genE5ELNS1_11target_archE942ELNS1_3gpuE9ELNS1_3repE0EEENS1_30default_config_static_selectorELNS0_4arch9wavefront6targetE0EEEvT1_,@function
_ZN7rocprim17ROCPRIM_400000_NS6detail17trampoline_kernelINS0_14default_configENS1_25partition_config_selectorILNS1_17partition_subalgoE5ElNS0_10empty_typeEbEEZZNS1_14partition_implILS5_5ELb0ES3_mN6hipcub16HIPCUB_304000_NS21CountingInputIteratorIllEEPS6_NSA_22TransformInputIteratorIbN2at6native12_GLOBAL__N_19NonZeroOpIdEEPKdlEENS0_5tupleIJPlS6_EEENSN_IJSD_SD_EEES6_PiJS6_EEE10hipError_tPvRmT3_T4_T5_T6_T7_T9_mT8_P12ihipStream_tbDpT10_ENKUlT_T0_E_clISt17integral_constantIbLb1EES1A_IbLb0EEEEDaS16_S17_EUlS16_E_NS1_11comp_targetILNS1_3genE5ELNS1_11target_archE942ELNS1_3gpuE9ELNS1_3repE0EEENS1_30default_config_static_selectorELNS0_4arch9wavefront6targetE0EEEvT1_: ; @_ZN7rocprim17ROCPRIM_400000_NS6detail17trampoline_kernelINS0_14default_configENS1_25partition_config_selectorILNS1_17partition_subalgoE5ElNS0_10empty_typeEbEEZZNS1_14partition_implILS5_5ELb0ES3_mN6hipcub16HIPCUB_304000_NS21CountingInputIteratorIllEEPS6_NSA_22TransformInputIteratorIbN2at6native12_GLOBAL__N_19NonZeroOpIdEEPKdlEENS0_5tupleIJPlS6_EEENSN_IJSD_SD_EEES6_PiJS6_EEE10hipError_tPvRmT3_T4_T5_T6_T7_T9_mT8_P12ihipStream_tbDpT10_ENKUlT_T0_E_clISt17integral_constantIbLb1EES1A_IbLb0EEEEDaS16_S17_EUlS16_E_NS1_11comp_targetILNS1_3genE5ELNS1_11target_archE942ELNS1_3gpuE9ELNS1_3repE0EEENS1_30default_config_static_selectorELNS0_4arch9wavefront6targetE0EEEvT1_
; %bb.0:
	.section	.rodata,"a",@progbits
	.p2align	6, 0x0
	.amdhsa_kernel _ZN7rocprim17ROCPRIM_400000_NS6detail17trampoline_kernelINS0_14default_configENS1_25partition_config_selectorILNS1_17partition_subalgoE5ElNS0_10empty_typeEbEEZZNS1_14partition_implILS5_5ELb0ES3_mN6hipcub16HIPCUB_304000_NS21CountingInputIteratorIllEEPS6_NSA_22TransformInputIteratorIbN2at6native12_GLOBAL__N_19NonZeroOpIdEEPKdlEENS0_5tupleIJPlS6_EEENSN_IJSD_SD_EEES6_PiJS6_EEE10hipError_tPvRmT3_T4_T5_T6_T7_T9_mT8_P12ihipStream_tbDpT10_ENKUlT_T0_E_clISt17integral_constantIbLb1EES1A_IbLb0EEEEDaS16_S17_EUlS16_E_NS1_11comp_targetILNS1_3genE5ELNS1_11target_archE942ELNS1_3gpuE9ELNS1_3repE0EEENS1_30default_config_static_selectorELNS0_4arch9wavefront6targetE0EEEvT1_
		.amdhsa_group_segment_fixed_size 0
		.amdhsa_private_segment_fixed_size 0
		.amdhsa_kernarg_size 120
		.amdhsa_user_sgpr_count 2
		.amdhsa_user_sgpr_dispatch_ptr 0
		.amdhsa_user_sgpr_queue_ptr 0
		.amdhsa_user_sgpr_kernarg_segment_ptr 1
		.amdhsa_user_sgpr_dispatch_id 0
		.amdhsa_user_sgpr_private_segment_size 0
		.amdhsa_wavefront_size32 1
		.amdhsa_uses_dynamic_stack 0
		.amdhsa_enable_private_segment 0
		.amdhsa_system_sgpr_workgroup_id_x 1
		.amdhsa_system_sgpr_workgroup_id_y 0
		.amdhsa_system_sgpr_workgroup_id_z 0
		.amdhsa_system_sgpr_workgroup_info 0
		.amdhsa_system_vgpr_workitem_id 0
		.amdhsa_next_free_vgpr 1
		.amdhsa_next_free_sgpr 1
		.amdhsa_reserve_vcc 0
		.amdhsa_float_round_mode_32 0
		.amdhsa_float_round_mode_16_64 0
		.amdhsa_float_denorm_mode_32 3
		.amdhsa_float_denorm_mode_16_64 3
		.amdhsa_fp16_overflow 0
		.amdhsa_workgroup_processor_mode 1
		.amdhsa_memory_ordered 1
		.amdhsa_forward_progress 1
		.amdhsa_inst_pref_size 0
		.amdhsa_round_robin_scheduling 0
		.amdhsa_exception_fp_ieee_invalid_op 0
		.amdhsa_exception_fp_denorm_src 0
		.amdhsa_exception_fp_ieee_div_zero 0
		.amdhsa_exception_fp_ieee_overflow 0
		.amdhsa_exception_fp_ieee_underflow 0
		.amdhsa_exception_fp_ieee_inexact 0
		.amdhsa_exception_int_div_zero 0
	.end_amdhsa_kernel
	.section	.text._ZN7rocprim17ROCPRIM_400000_NS6detail17trampoline_kernelINS0_14default_configENS1_25partition_config_selectorILNS1_17partition_subalgoE5ElNS0_10empty_typeEbEEZZNS1_14partition_implILS5_5ELb0ES3_mN6hipcub16HIPCUB_304000_NS21CountingInputIteratorIllEEPS6_NSA_22TransformInputIteratorIbN2at6native12_GLOBAL__N_19NonZeroOpIdEEPKdlEENS0_5tupleIJPlS6_EEENSN_IJSD_SD_EEES6_PiJS6_EEE10hipError_tPvRmT3_T4_T5_T6_T7_T9_mT8_P12ihipStream_tbDpT10_ENKUlT_T0_E_clISt17integral_constantIbLb1EES1A_IbLb0EEEEDaS16_S17_EUlS16_E_NS1_11comp_targetILNS1_3genE5ELNS1_11target_archE942ELNS1_3gpuE9ELNS1_3repE0EEENS1_30default_config_static_selectorELNS0_4arch9wavefront6targetE0EEEvT1_,"axG",@progbits,_ZN7rocprim17ROCPRIM_400000_NS6detail17trampoline_kernelINS0_14default_configENS1_25partition_config_selectorILNS1_17partition_subalgoE5ElNS0_10empty_typeEbEEZZNS1_14partition_implILS5_5ELb0ES3_mN6hipcub16HIPCUB_304000_NS21CountingInputIteratorIllEEPS6_NSA_22TransformInputIteratorIbN2at6native12_GLOBAL__N_19NonZeroOpIdEEPKdlEENS0_5tupleIJPlS6_EEENSN_IJSD_SD_EEES6_PiJS6_EEE10hipError_tPvRmT3_T4_T5_T6_T7_T9_mT8_P12ihipStream_tbDpT10_ENKUlT_T0_E_clISt17integral_constantIbLb1EES1A_IbLb0EEEEDaS16_S17_EUlS16_E_NS1_11comp_targetILNS1_3genE5ELNS1_11target_archE942ELNS1_3gpuE9ELNS1_3repE0EEENS1_30default_config_static_selectorELNS0_4arch9wavefront6targetE0EEEvT1_,comdat
.Lfunc_end407:
	.size	_ZN7rocprim17ROCPRIM_400000_NS6detail17trampoline_kernelINS0_14default_configENS1_25partition_config_selectorILNS1_17partition_subalgoE5ElNS0_10empty_typeEbEEZZNS1_14partition_implILS5_5ELb0ES3_mN6hipcub16HIPCUB_304000_NS21CountingInputIteratorIllEEPS6_NSA_22TransformInputIteratorIbN2at6native12_GLOBAL__N_19NonZeroOpIdEEPKdlEENS0_5tupleIJPlS6_EEENSN_IJSD_SD_EEES6_PiJS6_EEE10hipError_tPvRmT3_T4_T5_T6_T7_T9_mT8_P12ihipStream_tbDpT10_ENKUlT_T0_E_clISt17integral_constantIbLb1EES1A_IbLb0EEEEDaS16_S17_EUlS16_E_NS1_11comp_targetILNS1_3genE5ELNS1_11target_archE942ELNS1_3gpuE9ELNS1_3repE0EEENS1_30default_config_static_selectorELNS0_4arch9wavefront6targetE0EEEvT1_, .Lfunc_end407-_ZN7rocprim17ROCPRIM_400000_NS6detail17trampoline_kernelINS0_14default_configENS1_25partition_config_selectorILNS1_17partition_subalgoE5ElNS0_10empty_typeEbEEZZNS1_14partition_implILS5_5ELb0ES3_mN6hipcub16HIPCUB_304000_NS21CountingInputIteratorIllEEPS6_NSA_22TransformInputIteratorIbN2at6native12_GLOBAL__N_19NonZeroOpIdEEPKdlEENS0_5tupleIJPlS6_EEENSN_IJSD_SD_EEES6_PiJS6_EEE10hipError_tPvRmT3_T4_T5_T6_T7_T9_mT8_P12ihipStream_tbDpT10_ENKUlT_T0_E_clISt17integral_constantIbLb1EES1A_IbLb0EEEEDaS16_S17_EUlS16_E_NS1_11comp_targetILNS1_3genE5ELNS1_11target_archE942ELNS1_3gpuE9ELNS1_3repE0EEENS1_30default_config_static_selectorELNS0_4arch9wavefront6targetE0EEEvT1_
                                        ; -- End function
	.set _ZN7rocprim17ROCPRIM_400000_NS6detail17trampoline_kernelINS0_14default_configENS1_25partition_config_selectorILNS1_17partition_subalgoE5ElNS0_10empty_typeEbEEZZNS1_14partition_implILS5_5ELb0ES3_mN6hipcub16HIPCUB_304000_NS21CountingInputIteratorIllEEPS6_NSA_22TransformInputIteratorIbN2at6native12_GLOBAL__N_19NonZeroOpIdEEPKdlEENS0_5tupleIJPlS6_EEENSN_IJSD_SD_EEES6_PiJS6_EEE10hipError_tPvRmT3_T4_T5_T6_T7_T9_mT8_P12ihipStream_tbDpT10_ENKUlT_T0_E_clISt17integral_constantIbLb1EES1A_IbLb0EEEEDaS16_S17_EUlS16_E_NS1_11comp_targetILNS1_3genE5ELNS1_11target_archE942ELNS1_3gpuE9ELNS1_3repE0EEENS1_30default_config_static_selectorELNS0_4arch9wavefront6targetE0EEEvT1_.num_vgpr, 0
	.set _ZN7rocprim17ROCPRIM_400000_NS6detail17trampoline_kernelINS0_14default_configENS1_25partition_config_selectorILNS1_17partition_subalgoE5ElNS0_10empty_typeEbEEZZNS1_14partition_implILS5_5ELb0ES3_mN6hipcub16HIPCUB_304000_NS21CountingInputIteratorIllEEPS6_NSA_22TransformInputIteratorIbN2at6native12_GLOBAL__N_19NonZeroOpIdEEPKdlEENS0_5tupleIJPlS6_EEENSN_IJSD_SD_EEES6_PiJS6_EEE10hipError_tPvRmT3_T4_T5_T6_T7_T9_mT8_P12ihipStream_tbDpT10_ENKUlT_T0_E_clISt17integral_constantIbLb1EES1A_IbLb0EEEEDaS16_S17_EUlS16_E_NS1_11comp_targetILNS1_3genE5ELNS1_11target_archE942ELNS1_3gpuE9ELNS1_3repE0EEENS1_30default_config_static_selectorELNS0_4arch9wavefront6targetE0EEEvT1_.num_agpr, 0
	.set _ZN7rocprim17ROCPRIM_400000_NS6detail17trampoline_kernelINS0_14default_configENS1_25partition_config_selectorILNS1_17partition_subalgoE5ElNS0_10empty_typeEbEEZZNS1_14partition_implILS5_5ELb0ES3_mN6hipcub16HIPCUB_304000_NS21CountingInputIteratorIllEEPS6_NSA_22TransformInputIteratorIbN2at6native12_GLOBAL__N_19NonZeroOpIdEEPKdlEENS0_5tupleIJPlS6_EEENSN_IJSD_SD_EEES6_PiJS6_EEE10hipError_tPvRmT3_T4_T5_T6_T7_T9_mT8_P12ihipStream_tbDpT10_ENKUlT_T0_E_clISt17integral_constantIbLb1EES1A_IbLb0EEEEDaS16_S17_EUlS16_E_NS1_11comp_targetILNS1_3genE5ELNS1_11target_archE942ELNS1_3gpuE9ELNS1_3repE0EEENS1_30default_config_static_selectorELNS0_4arch9wavefront6targetE0EEEvT1_.numbered_sgpr, 0
	.set _ZN7rocprim17ROCPRIM_400000_NS6detail17trampoline_kernelINS0_14default_configENS1_25partition_config_selectorILNS1_17partition_subalgoE5ElNS0_10empty_typeEbEEZZNS1_14partition_implILS5_5ELb0ES3_mN6hipcub16HIPCUB_304000_NS21CountingInputIteratorIllEEPS6_NSA_22TransformInputIteratorIbN2at6native12_GLOBAL__N_19NonZeroOpIdEEPKdlEENS0_5tupleIJPlS6_EEENSN_IJSD_SD_EEES6_PiJS6_EEE10hipError_tPvRmT3_T4_T5_T6_T7_T9_mT8_P12ihipStream_tbDpT10_ENKUlT_T0_E_clISt17integral_constantIbLb1EES1A_IbLb0EEEEDaS16_S17_EUlS16_E_NS1_11comp_targetILNS1_3genE5ELNS1_11target_archE942ELNS1_3gpuE9ELNS1_3repE0EEENS1_30default_config_static_selectorELNS0_4arch9wavefront6targetE0EEEvT1_.num_named_barrier, 0
	.set _ZN7rocprim17ROCPRIM_400000_NS6detail17trampoline_kernelINS0_14default_configENS1_25partition_config_selectorILNS1_17partition_subalgoE5ElNS0_10empty_typeEbEEZZNS1_14partition_implILS5_5ELb0ES3_mN6hipcub16HIPCUB_304000_NS21CountingInputIteratorIllEEPS6_NSA_22TransformInputIteratorIbN2at6native12_GLOBAL__N_19NonZeroOpIdEEPKdlEENS0_5tupleIJPlS6_EEENSN_IJSD_SD_EEES6_PiJS6_EEE10hipError_tPvRmT3_T4_T5_T6_T7_T9_mT8_P12ihipStream_tbDpT10_ENKUlT_T0_E_clISt17integral_constantIbLb1EES1A_IbLb0EEEEDaS16_S17_EUlS16_E_NS1_11comp_targetILNS1_3genE5ELNS1_11target_archE942ELNS1_3gpuE9ELNS1_3repE0EEENS1_30default_config_static_selectorELNS0_4arch9wavefront6targetE0EEEvT1_.private_seg_size, 0
	.set _ZN7rocprim17ROCPRIM_400000_NS6detail17trampoline_kernelINS0_14default_configENS1_25partition_config_selectorILNS1_17partition_subalgoE5ElNS0_10empty_typeEbEEZZNS1_14partition_implILS5_5ELb0ES3_mN6hipcub16HIPCUB_304000_NS21CountingInputIteratorIllEEPS6_NSA_22TransformInputIteratorIbN2at6native12_GLOBAL__N_19NonZeroOpIdEEPKdlEENS0_5tupleIJPlS6_EEENSN_IJSD_SD_EEES6_PiJS6_EEE10hipError_tPvRmT3_T4_T5_T6_T7_T9_mT8_P12ihipStream_tbDpT10_ENKUlT_T0_E_clISt17integral_constantIbLb1EES1A_IbLb0EEEEDaS16_S17_EUlS16_E_NS1_11comp_targetILNS1_3genE5ELNS1_11target_archE942ELNS1_3gpuE9ELNS1_3repE0EEENS1_30default_config_static_selectorELNS0_4arch9wavefront6targetE0EEEvT1_.uses_vcc, 0
	.set _ZN7rocprim17ROCPRIM_400000_NS6detail17trampoline_kernelINS0_14default_configENS1_25partition_config_selectorILNS1_17partition_subalgoE5ElNS0_10empty_typeEbEEZZNS1_14partition_implILS5_5ELb0ES3_mN6hipcub16HIPCUB_304000_NS21CountingInputIteratorIllEEPS6_NSA_22TransformInputIteratorIbN2at6native12_GLOBAL__N_19NonZeroOpIdEEPKdlEENS0_5tupleIJPlS6_EEENSN_IJSD_SD_EEES6_PiJS6_EEE10hipError_tPvRmT3_T4_T5_T6_T7_T9_mT8_P12ihipStream_tbDpT10_ENKUlT_T0_E_clISt17integral_constantIbLb1EES1A_IbLb0EEEEDaS16_S17_EUlS16_E_NS1_11comp_targetILNS1_3genE5ELNS1_11target_archE942ELNS1_3gpuE9ELNS1_3repE0EEENS1_30default_config_static_selectorELNS0_4arch9wavefront6targetE0EEEvT1_.uses_flat_scratch, 0
	.set _ZN7rocprim17ROCPRIM_400000_NS6detail17trampoline_kernelINS0_14default_configENS1_25partition_config_selectorILNS1_17partition_subalgoE5ElNS0_10empty_typeEbEEZZNS1_14partition_implILS5_5ELb0ES3_mN6hipcub16HIPCUB_304000_NS21CountingInputIteratorIllEEPS6_NSA_22TransformInputIteratorIbN2at6native12_GLOBAL__N_19NonZeroOpIdEEPKdlEENS0_5tupleIJPlS6_EEENSN_IJSD_SD_EEES6_PiJS6_EEE10hipError_tPvRmT3_T4_T5_T6_T7_T9_mT8_P12ihipStream_tbDpT10_ENKUlT_T0_E_clISt17integral_constantIbLb1EES1A_IbLb0EEEEDaS16_S17_EUlS16_E_NS1_11comp_targetILNS1_3genE5ELNS1_11target_archE942ELNS1_3gpuE9ELNS1_3repE0EEENS1_30default_config_static_selectorELNS0_4arch9wavefront6targetE0EEEvT1_.has_dyn_sized_stack, 0
	.set _ZN7rocprim17ROCPRIM_400000_NS6detail17trampoline_kernelINS0_14default_configENS1_25partition_config_selectorILNS1_17partition_subalgoE5ElNS0_10empty_typeEbEEZZNS1_14partition_implILS5_5ELb0ES3_mN6hipcub16HIPCUB_304000_NS21CountingInputIteratorIllEEPS6_NSA_22TransformInputIteratorIbN2at6native12_GLOBAL__N_19NonZeroOpIdEEPKdlEENS0_5tupleIJPlS6_EEENSN_IJSD_SD_EEES6_PiJS6_EEE10hipError_tPvRmT3_T4_T5_T6_T7_T9_mT8_P12ihipStream_tbDpT10_ENKUlT_T0_E_clISt17integral_constantIbLb1EES1A_IbLb0EEEEDaS16_S17_EUlS16_E_NS1_11comp_targetILNS1_3genE5ELNS1_11target_archE942ELNS1_3gpuE9ELNS1_3repE0EEENS1_30default_config_static_selectorELNS0_4arch9wavefront6targetE0EEEvT1_.has_recursion, 0
	.set _ZN7rocprim17ROCPRIM_400000_NS6detail17trampoline_kernelINS0_14default_configENS1_25partition_config_selectorILNS1_17partition_subalgoE5ElNS0_10empty_typeEbEEZZNS1_14partition_implILS5_5ELb0ES3_mN6hipcub16HIPCUB_304000_NS21CountingInputIteratorIllEEPS6_NSA_22TransformInputIteratorIbN2at6native12_GLOBAL__N_19NonZeroOpIdEEPKdlEENS0_5tupleIJPlS6_EEENSN_IJSD_SD_EEES6_PiJS6_EEE10hipError_tPvRmT3_T4_T5_T6_T7_T9_mT8_P12ihipStream_tbDpT10_ENKUlT_T0_E_clISt17integral_constantIbLb1EES1A_IbLb0EEEEDaS16_S17_EUlS16_E_NS1_11comp_targetILNS1_3genE5ELNS1_11target_archE942ELNS1_3gpuE9ELNS1_3repE0EEENS1_30default_config_static_selectorELNS0_4arch9wavefront6targetE0EEEvT1_.has_indirect_call, 0
	.section	.AMDGPU.csdata,"",@progbits
; Kernel info:
; codeLenInByte = 0
; TotalNumSgprs: 0
; NumVgprs: 0
; ScratchSize: 0
; MemoryBound: 0
; FloatMode: 240
; IeeeMode: 1
; LDSByteSize: 0 bytes/workgroup (compile time only)
; SGPRBlocks: 0
; VGPRBlocks: 0
; NumSGPRsForWavesPerEU: 1
; NumVGPRsForWavesPerEU: 1
; Occupancy: 16
; WaveLimiterHint : 0
; COMPUTE_PGM_RSRC2:SCRATCH_EN: 0
; COMPUTE_PGM_RSRC2:USER_SGPR: 2
; COMPUTE_PGM_RSRC2:TRAP_HANDLER: 0
; COMPUTE_PGM_RSRC2:TGID_X_EN: 1
; COMPUTE_PGM_RSRC2:TGID_Y_EN: 0
; COMPUTE_PGM_RSRC2:TGID_Z_EN: 0
; COMPUTE_PGM_RSRC2:TIDIG_COMP_CNT: 0
	.section	.text._ZN7rocprim17ROCPRIM_400000_NS6detail17trampoline_kernelINS0_14default_configENS1_25partition_config_selectorILNS1_17partition_subalgoE5ElNS0_10empty_typeEbEEZZNS1_14partition_implILS5_5ELb0ES3_mN6hipcub16HIPCUB_304000_NS21CountingInputIteratorIllEEPS6_NSA_22TransformInputIteratorIbN2at6native12_GLOBAL__N_19NonZeroOpIdEEPKdlEENS0_5tupleIJPlS6_EEENSN_IJSD_SD_EEES6_PiJS6_EEE10hipError_tPvRmT3_T4_T5_T6_T7_T9_mT8_P12ihipStream_tbDpT10_ENKUlT_T0_E_clISt17integral_constantIbLb1EES1A_IbLb0EEEEDaS16_S17_EUlS16_E_NS1_11comp_targetILNS1_3genE4ELNS1_11target_archE910ELNS1_3gpuE8ELNS1_3repE0EEENS1_30default_config_static_selectorELNS0_4arch9wavefront6targetE0EEEvT1_,"axG",@progbits,_ZN7rocprim17ROCPRIM_400000_NS6detail17trampoline_kernelINS0_14default_configENS1_25partition_config_selectorILNS1_17partition_subalgoE5ElNS0_10empty_typeEbEEZZNS1_14partition_implILS5_5ELb0ES3_mN6hipcub16HIPCUB_304000_NS21CountingInputIteratorIllEEPS6_NSA_22TransformInputIteratorIbN2at6native12_GLOBAL__N_19NonZeroOpIdEEPKdlEENS0_5tupleIJPlS6_EEENSN_IJSD_SD_EEES6_PiJS6_EEE10hipError_tPvRmT3_T4_T5_T6_T7_T9_mT8_P12ihipStream_tbDpT10_ENKUlT_T0_E_clISt17integral_constantIbLb1EES1A_IbLb0EEEEDaS16_S17_EUlS16_E_NS1_11comp_targetILNS1_3genE4ELNS1_11target_archE910ELNS1_3gpuE8ELNS1_3repE0EEENS1_30default_config_static_selectorELNS0_4arch9wavefront6targetE0EEEvT1_,comdat
	.globl	_ZN7rocprim17ROCPRIM_400000_NS6detail17trampoline_kernelINS0_14default_configENS1_25partition_config_selectorILNS1_17partition_subalgoE5ElNS0_10empty_typeEbEEZZNS1_14partition_implILS5_5ELb0ES3_mN6hipcub16HIPCUB_304000_NS21CountingInputIteratorIllEEPS6_NSA_22TransformInputIteratorIbN2at6native12_GLOBAL__N_19NonZeroOpIdEEPKdlEENS0_5tupleIJPlS6_EEENSN_IJSD_SD_EEES6_PiJS6_EEE10hipError_tPvRmT3_T4_T5_T6_T7_T9_mT8_P12ihipStream_tbDpT10_ENKUlT_T0_E_clISt17integral_constantIbLb1EES1A_IbLb0EEEEDaS16_S17_EUlS16_E_NS1_11comp_targetILNS1_3genE4ELNS1_11target_archE910ELNS1_3gpuE8ELNS1_3repE0EEENS1_30default_config_static_selectorELNS0_4arch9wavefront6targetE0EEEvT1_ ; -- Begin function _ZN7rocprim17ROCPRIM_400000_NS6detail17trampoline_kernelINS0_14default_configENS1_25partition_config_selectorILNS1_17partition_subalgoE5ElNS0_10empty_typeEbEEZZNS1_14partition_implILS5_5ELb0ES3_mN6hipcub16HIPCUB_304000_NS21CountingInputIteratorIllEEPS6_NSA_22TransformInputIteratorIbN2at6native12_GLOBAL__N_19NonZeroOpIdEEPKdlEENS0_5tupleIJPlS6_EEENSN_IJSD_SD_EEES6_PiJS6_EEE10hipError_tPvRmT3_T4_T5_T6_T7_T9_mT8_P12ihipStream_tbDpT10_ENKUlT_T0_E_clISt17integral_constantIbLb1EES1A_IbLb0EEEEDaS16_S17_EUlS16_E_NS1_11comp_targetILNS1_3genE4ELNS1_11target_archE910ELNS1_3gpuE8ELNS1_3repE0EEENS1_30default_config_static_selectorELNS0_4arch9wavefront6targetE0EEEvT1_
	.p2align	8
	.type	_ZN7rocprim17ROCPRIM_400000_NS6detail17trampoline_kernelINS0_14default_configENS1_25partition_config_selectorILNS1_17partition_subalgoE5ElNS0_10empty_typeEbEEZZNS1_14partition_implILS5_5ELb0ES3_mN6hipcub16HIPCUB_304000_NS21CountingInputIteratorIllEEPS6_NSA_22TransformInputIteratorIbN2at6native12_GLOBAL__N_19NonZeroOpIdEEPKdlEENS0_5tupleIJPlS6_EEENSN_IJSD_SD_EEES6_PiJS6_EEE10hipError_tPvRmT3_T4_T5_T6_T7_T9_mT8_P12ihipStream_tbDpT10_ENKUlT_T0_E_clISt17integral_constantIbLb1EES1A_IbLb0EEEEDaS16_S17_EUlS16_E_NS1_11comp_targetILNS1_3genE4ELNS1_11target_archE910ELNS1_3gpuE8ELNS1_3repE0EEENS1_30default_config_static_selectorELNS0_4arch9wavefront6targetE0EEEvT1_,@function
_ZN7rocprim17ROCPRIM_400000_NS6detail17trampoline_kernelINS0_14default_configENS1_25partition_config_selectorILNS1_17partition_subalgoE5ElNS0_10empty_typeEbEEZZNS1_14partition_implILS5_5ELb0ES3_mN6hipcub16HIPCUB_304000_NS21CountingInputIteratorIllEEPS6_NSA_22TransformInputIteratorIbN2at6native12_GLOBAL__N_19NonZeroOpIdEEPKdlEENS0_5tupleIJPlS6_EEENSN_IJSD_SD_EEES6_PiJS6_EEE10hipError_tPvRmT3_T4_T5_T6_T7_T9_mT8_P12ihipStream_tbDpT10_ENKUlT_T0_E_clISt17integral_constantIbLb1EES1A_IbLb0EEEEDaS16_S17_EUlS16_E_NS1_11comp_targetILNS1_3genE4ELNS1_11target_archE910ELNS1_3gpuE8ELNS1_3repE0EEENS1_30default_config_static_selectorELNS0_4arch9wavefront6targetE0EEEvT1_: ; @_ZN7rocprim17ROCPRIM_400000_NS6detail17trampoline_kernelINS0_14default_configENS1_25partition_config_selectorILNS1_17partition_subalgoE5ElNS0_10empty_typeEbEEZZNS1_14partition_implILS5_5ELb0ES3_mN6hipcub16HIPCUB_304000_NS21CountingInputIteratorIllEEPS6_NSA_22TransformInputIteratorIbN2at6native12_GLOBAL__N_19NonZeroOpIdEEPKdlEENS0_5tupleIJPlS6_EEENSN_IJSD_SD_EEES6_PiJS6_EEE10hipError_tPvRmT3_T4_T5_T6_T7_T9_mT8_P12ihipStream_tbDpT10_ENKUlT_T0_E_clISt17integral_constantIbLb1EES1A_IbLb0EEEEDaS16_S17_EUlS16_E_NS1_11comp_targetILNS1_3genE4ELNS1_11target_archE910ELNS1_3gpuE8ELNS1_3repE0EEENS1_30default_config_static_selectorELNS0_4arch9wavefront6targetE0EEEvT1_
; %bb.0:
	.section	.rodata,"a",@progbits
	.p2align	6, 0x0
	.amdhsa_kernel _ZN7rocprim17ROCPRIM_400000_NS6detail17trampoline_kernelINS0_14default_configENS1_25partition_config_selectorILNS1_17partition_subalgoE5ElNS0_10empty_typeEbEEZZNS1_14partition_implILS5_5ELb0ES3_mN6hipcub16HIPCUB_304000_NS21CountingInputIteratorIllEEPS6_NSA_22TransformInputIteratorIbN2at6native12_GLOBAL__N_19NonZeroOpIdEEPKdlEENS0_5tupleIJPlS6_EEENSN_IJSD_SD_EEES6_PiJS6_EEE10hipError_tPvRmT3_T4_T5_T6_T7_T9_mT8_P12ihipStream_tbDpT10_ENKUlT_T0_E_clISt17integral_constantIbLb1EES1A_IbLb0EEEEDaS16_S17_EUlS16_E_NS1_11comp_targetILNS1_3genE4ELNS1_11target_archE910ELNS1_3gpuE8ELNS1_3repE0EEENS1_30default_config_static_selectorELNS0_4arch9wavefront6targetE0EEEvT1_
		.amdhsa_group_segment_fixed_size 0
		.amdhsa_private_segment_fixed_size 0
		.amdhsa_kernarg_size 120
		.amdhsa_user_sgpr_count 2
		.amdhsa_user_sgpr_dispatch_ptr 0
		.amdhsa_user_sgpr_queue_ptr 0
		.amdhsa_user_sgpr_kernarg_segment_ptr 1
		.amdhsa_user_sgpr_dispatch_id 0
		.amdhsa_user_sgpr_private_segment_size 0
		.amdhsa_wavefront_size32 1
		.amdhsa_uses_dynamic_stack 0
		.amdhsa_enable_private_segment 0
		.amdhsa_system_sgpr_workgroup_id_x 1
		.amdhsa_system_sgpr_workgroup_id_y 0
		.amdhsa_system_sgpr_workgroup_id_z 0
		.amdhsa_system_sgpr_workgroup_info 0
		.amdhsa_system_vgpr_workitem_id 0
		.amdhsa_next_free_vgpr 1
		.amdhsa_next_free_sgpr 1
		.amdhsa_reserve_vcc 0
		.amdhsa_float_round_mode_32 0
		.amdhsa_float_round_mode_16_64 0
		.amdhsa_float_denorm_mode_32 3
		.amdhsa_float_denorm_mode_16_64 3
		.amdhsa_fp16_overflow 0
		.amdhsa_workgroup_processor_mode 1
		.amdhsa_memory_ordered 1
		.amdhsa_forward_progress 1
		.amdhsa_inst_pref_size 0
		.amdhsa_round_robin_scheduling 0
		.amdhsa_exception_fp_ieee_invalid_op 0
		.amdhsa_exception_fp_denorm_src 0
		.amdhsa_exception_fp_ieee_div_zero 0
		.amdhsa_exception_fp_ieee_overflow 0
		.amdhsa_exception_fp_ieee_underflow 0
		.amdhsa_exception_fp_ieee_inexact 0
		.amdhsa_exception_int_div_zero 0
	.end_amdhsa_kernel
	.section	.text._ZN7rocprim17ROCPRIM_400000_NS6detail17trampoline_kernelINS0_14default_configENS1_25partition_config_selectorILNS1_17partition_subalgoE5ElNS0_10empty_typeEbEEZZNS1_14partition_implILS5_5ELb0ES3_mN6hipcub16HIPCUB_304000_NS21CountingInputIteratorIllEEPS6_NSA_22TransformInputIteratorIbN2at6native12_GLOBAL__N_19NonZeroOpIdEEPKdlEENS0_5tupleIJPlS6_EEENSN_IJSD_SD_EEES6_PiJS6_EEE10hipError_tPvRmT3_T4_T5_T6_T7_T9_mT8_P12ihipStream_tbDpT10_ENKUlT_T0_E_clISt17integral_constantIbLb1EES1A_IbLb0EEEEDaS16_S17_EUlS16_E_NS1_11comp_targetILNS1_3genE4ELNS1_11target_archE910ELNS1_3gpuE8ELNS1_3repE0EEENS1_30default_config_static_selectorELNS0_4arch9wavefront6targetE0EEEvT1_,"axG",@progbits,_ZN7rocprim17ROCPRIM_400000_NS6detail17trampoline_kernelINS0_14default_configENS1_25partition_config_selectorILNS1_17partition_subalgoE5ElNS0_10empty_typeEbEEZZNS1_14partition_implILS5_5ELb0ES3_mN6hipcub16HIPCUB_304000_NS21CountingInputIteratorIllEEPS6_NSA_22TransformInputIteratorIbN2at6native12_GLOBAL__N_19NonZeroOpIdEEPKdlEENS0_5tupleIJPlS6_EEENSN_IJSD_SD_EEES6_PiJS6_EEE10hipError_tPvRmT3_T4_T5_T6_T7_T9_mT8_P12ihipStream_tbDpT10_ENKUlT_T0_E_clISt17integral_constantIbLb1EES1A_IbLb0EEEEDaS16_S17_EUlS16_E_NS1_11comp_targetILNS1_3genE4ELNS1_11target_archE910ELNS1_3gpuE8ELNS1_3repE0EEENS1_30default_config_static_selectorELNS0_4arch9wavefront6targetE0EEEvT1_,comdat
.Lfunc_end408:
	.size	_ZN7rocprim17ROCPRIM_400000_NS6detail17trampoline_kernelINS0_14default_configENS1_25partition_config_selectorILNS1_17partition_subalgoE5ElNS0_10empty_typeEbEEZZNS1_14partition_implILS5_5ELb0ES3_mN6hipcub16HIPCUB_304000_NS21CountingInputIteratorIllEEPS6_NSA_22TransformInputIteratorIbN2at6native12_GLOBAL__N_19NonZeroOpIdEEPKdlEENS0_5tupleIJPlS6_EEENSN_IJSD_SD_EEES6_PiJS6_EEE10hipError_tPvRmT3_T4_T5_T6_T7_T9_mT8_P12ihipStream_tbDpT10_ENKUlT_T0_E_clISt17integral_constantIbLb1EES1A_IbLb0EEEEDaS16_S17_EUlS16_E_NS1_11comp_targetILNS1_3genE4ELNS1_11target_archE910ELNS1_3gpuE8ELNS1_3repE0EEENS1_30default_config_static_selectorELNS0_4arch9wavefront6targetE0EEEvT1_, .Lfunc_end408-_ZN7rocprim17ROCPRIM_400000_NS6detail17trampoline_kernelINS0_14default_configENS1_25partition_config_selectorILNS1_17partition_subalgoE5ElNS0_10empty_typeEbEEZZNS1_14partition_implILS5_5ELb0ES3_mN6hipcub16HIPCUB_304000_NS21CountingInputIteratorIllEEPS6_NSA_22TransformInputIteratorIbN2at6native12_GLOBAL__N_19NonZeroOpIdEEPKdlEENS0_5tupleIJPlS6_EEENSN_IJSD_SD_EEES6_PiJS6_EEE10hipError_tPvRmT3_T4_T5_T6_T7_T9_mT8_P12ihipStream_tbDpT10_ENKUlT_T0_E_clISt17integral_constantIbLb1EES1A_IbLb0EEEEDaS16_S17_EUlS16_E_NS1_11comp_targetILNS1_3genE4ELNS1_11target_archE910ELNS1_3gpuE8ELNS1_3repE0EEENS1_30default_config_static_selectorELNS0_4arch9wavefront6targetE0EEEvT1_
                                        ; -- End function
	.set _ZN7rocprim17ROCPRIM_400000_NS6detail17trampoline_kernelINS0_14default_configENS1_25partition_config_selectorILNS1_17partition_subalgoE5ElNS0_10empty_typeEbEEZZNS1_14partition_implILS5_5ELb0ES3_mN6hipcub16HIPCUB_304000_NS21CountingInputIteratorIllEEPS6_NSA_22TransformInputIteratorIbN2at6native12_GLOBAL__N_19NonZeroOpIdEEPKdlEENS0_5tupleIJPlS6_EEENSN_IJSD_SD_EEES6_PiJS6_EEE10hipError_tPvRmT3_T4_T5_T6_T7_T9_mT8_P12ihipStream_tbDpT10_ENKUlT_T0_E_clISt17integral_constantIbLb1EES1A_IbLb0EEEEDaS16_S17_EUlS16_E_NS1_11comp_targetILNS1_3genE4ELNS1_11target_archE910ELNS1_3gpuE8ELNS1_3repE0EEENS1_30default_config_static_selectorELNS0_4arch9wavefront6targetE0EEEvT1_.num_vgpr, 0
	.set _ZN7rocprim17ROCPRIM_400000_NS6detail17trampoline_kernelINS0_14default_configENS1_25partition_config_selectorILNS1_17partition_subalgoE5ElNS0_10empty_typeEbEEZZNS1_14partition_implILS5_5ELb0ES3_mN6hipcub16HIPCUB_304000_NS21CountingInputIteratorIllEEPS6_NSA_22TransformInputIteratorIbN2at6native12_GLOBAL__N_19NonZeroOpIdEEPKdlEENS0_5tupleIJPlS6_EEENSN_IJSD_SD_EEES6_PiJS6_EEE10hipError_tPvRmT3_T4_T5_T6_T7_T9_mT8_P12ihipStream_tbDpT10_ENKUlT_T0_E_clISt17integral_constantIbLb1EES1A_IbLb0EEEEDaS16_S17_EUlS16_E_NS1_11comp_targetILNS1_3genE4ELNS1_11target_archE910ELNS1_3gpuE8ELNS1_3repE0EEENS1_30default_config_static_selectorELNS0_4arch9wavefront6targetE0EEEvT1_.num_agpr, 0
	.set _ZN7rocprim17ROCPRIM_400000_NS6detail17trampoline_kernelINS0_14default_configENS1_25partition_config_selectorILNS1_17partition_subalgoE5ElNS0_10empty_typeEbEEZZNS1_14partition_implILS5_5ELb0ES3_mN6hipcub16HIPCUB_304000_NS21CountingInputIteratorIllEEPS6_NSA_22TransformInputIteratorIbN2at6native12_GLOBAL__N_19NonZeroOpIdEEPKdlEENS0_5tupleIJPlS6_EEENSN_IJSD_SD_EEES6_PiJS6_EEE10hipError_tPvRmT3_T4_T5_T6_T7_T9_mT8_P12ihipStream_tbDpT10_ENKUlT_T0_E_clISt17integral_constantIbLb1EES1A_IbLb0EEEEDaS16_S17_EUlS16_E_NS1_11comp_targetILNS1_3genE4ELNS1_11target_archE910ELNS1_3gpuE8ELNS1_3repE0EEENS1_30default_config_static_selectorELNS0_4arch9wavefront6targetE0EEEvT1_.numbered_sgpr, 0
	.set _ZN7rocprim17ROCPRIM_400000_NS6detail17trampoline_kernelINS0_14default_configENS1_25partition_config_selectorILNS1_17partition_subalgoE5ElNS0_10empty_typeEbEEZZNS1_14partition_implILS5_5ELb0ES3_mN6hipcub16HIPCUB_304000_NS21CountingInputIteratorIllEEPS6_NSA_22TransformInputIteratorIbN2at6native12_GLOBAL__N_19NonZeroOpIdEEPKdlEENS0_5tupleIJPlS6_EEENSN_IJSD_SD_EEES6_PiJS6_EEE10hipError_tPvRmT3_T4_T5_T6_T7_T9_mT8_P12ihipStream_tbDpT10_ENKUlT_T0_E_clISt17integral_constantIbLb1EES1A_IbLb0EEEEDaS16_S17_EUlS16_E_NS1_11comp_targetILNS1_3genE4ELNS1_11target_archE910ELNS1_3gpuE8ELNS1_3repE0EEENS1_30default_config_static_selectorELNS0_4arch9wavefront6targetE0EEEvT1_.num_named_barrier, 0
	.set _ZN7rocprim17ROCPRIM_400000_NS6detail17trampoline_kernelINS0_14default_configENS1_25partition_config_selectorILNS1_17partition_subalgoE5ElNS0_10empty_typeEbEEZZNS1_14partition_implILS5_5ELb0ES3_mN6hipcub16HIPCUB_304000_NS21CountingInputIteratorIllEEPS6_NSA_22TransformInputIteratorIbN2at6native12_GLOBAL__N_19NonZeroOpIdEEPKdlEENS0_5tupleIJPlS6_EEENSN_IJSD_SD_EEES6_PiJS6_EEE10hipError_tPvRmT3_T4_T5_T6_T7_T9_mT8_P12ihipStream_tbDpT10_ENKUlT_T0_E_clISt17integral_constantIbLb1EES1A_IbLb0EEEEDaS16_S17_EUlS16_E_NS1_11comp_targetILNS1_3genE4ELNS1_11target_archE910ELNS1_3gpuE8ELNS1_3repE0EEENS1_30default_config_static_selectorELNS0_4arch9wavefront6targetE0EEEvT1_.private_seg_size, 0
	.set _ZN7rocprim17ROCPRIM_400000_NS6detail17trampoline_kernelINS0_14default_configENS1_25partition_config_selectorILNS1_17partition_subalgoE5ElNS0_10empty_typeEbEEZZNS1_14partition_implILS5_5ELb0ES3_mN6hipcub16HIPCUB_304000_NS21CountingInputIteratorIllEEPS6_NSA_22TransformInputIteratorIbN2at6native12_GLOBAL__N_19NonZeroOpIdEEPKdlEENS0_5tupleIJPlS6_EEENSN_IJSD_SD_EEES6_PiJS6_EEE10hipError_tPvRmT3_T4_T5_T6_T7_T9_mT8_P12ihipStream_tbDpT10_ENKUlT_T0_E_clISt17integral_constantIbLb1EES1A_IbLb0EEEEDaS16_S17_EUlS16_E_NS1_11comp_targetILNS1_3genE4ELNS1_11target_archE910ELNS1_3gpuE8ELNS1_3repE0EEENS1_30default_config_static_selectorELNS0_4arch9wavefront6targetE0EEEvT1_.uses_vcc, 0
	.set _ZN7rocprim17ROCPRIM_400000_NS6detail17trampoline_kernelINS0_14default_configENS1_25partition_config_selectorILNS1_17partition_subalgoE5ElNS0_10empty_typeEbEEZZNS1_14partition_implILS5_5ELb0ES3_mN6hipcub16HIPCUB_304000_NS21CountingInputIteratorIllEEPS6_NSA_22TransformInputIteratorIbN2at6native12_GLOBAL__N_19NonZeroOpIdEEPKdlEENS0_5tupleIJPlS6_EEENSN_IJSD_SD_EEES6_PiJS6_EEE10hipError_tPvRmT3_T4_T5_T6_T7_T9_mT8_P12ihipStream_tbDpT10_ENKUlT_T0_E_clISt17integral_constantIbLb1EES1A_IbLb0EEEEDaS16_S17_EUlS16_E_NS1_11comp_targetILNS1_3genE4ELNS1_11target_archE910ELNS1_3gpuE8ELNS1_3repE0EEENS1_30default_config_static_selectorELNS0_4arch9wavefront6targetE0EEEvT1_.uses_flat_scratch, 0
	.set _ZN7rocprim17ROCPRIM_400000_NS6detail17trampoline_kernelINS0_14default_configENS1_25partition_config_selectorILNS1_17partition_subalgoE5ElNS0_10empty_typeEbEEZZNS1_14partition_implILS5_5ELb0ES3_mN6hipcub16HIPCUB_304000_NS21CountingInputIteratorIllEEPS6_NSA_22TransformInputIteratorIbN2at6native12_GLOBAL__N_19NonZeroOpIdEEPKdlEENS0_5tupleIJPlS6_EEENSN_IJSD_SD_EEES6_PiJS6_EEE10hipError_tPvRmT3_T4_T5_T6_T7_T9_mT8_P12ihipStream_tbDpT10_ENKUlT_T0_E_clISt17integral_constantIbLb1EES1A_IbLb0EEEEDaS16_S17_EUlS16_E_NS1_11comp_targetILNS1_3genE4ELNS1_11target_archE910ELNS1_3gpuE8ELNS1_3repE0EEENS1_30default_config_static_selectorELNS0_4arch9wavefront6targetE0EEEvT1_.has_dyn_sized_stack, 0
	.set _ZN7rocprim17ROCPRIM_400000_NS6detail17trampoline_kernelINS0_14default_configENS1_25partition_config_selectorILNS1_17partition_subalgoE5ElNS0_10empty_typeEbEEZZNS1_14partition_implILS5_5ELb0ES3_mN6hipcub16HIPCUB_304000_NS21CountingInputIteratorIllEEPS6_NSA_22TransformInputIteratorIbN2at6native12_GLOBAL__N_19NonZeroOpIdEEPKdlEENS0_5tupleIJPlS6_EEENSN_IJSD_SD_EEES6_PiJS6_EEE10hipError_tPvRmT3_T4_T5_T6_T7_T9_mT8_P12ihipStream_tbDpT10_ENKUlT_T0_E_clISt17integral_constantIbLb1EES1A_IbLb0EEEEDaS16_S17_EUlS16_E_NS1_11comp_targetILNS1_3genE4ELNS1_11target_archE910ELNS1_3gpuE8ELNS1_3repE0EEENS1_30default_config_static_selectorELNS0_4arch9wavefront6targetE0EEEvT1_.has_recursion, 0
	.set _ZN7rocprim17ROCPRIM_400000_NS6detail17trampoline_kernelINS0_14default_configENS1_25partition_config_selectorILNS1_17partition_subalgoE5ElNS0_10empty_typeEbEEZZNS1_14partition_implILS5_5ELb0ES3_mN6hipcub16HIPCUB_304000_NS21CountingInputIteratorIllEEPS6_NSA_22TransformInputIteratorIbN2at6native12_GLOBAL__N_19NonZeroOpIdEEPKdlEENS0_5tupleIJPlS6_EEENSN_IJSD_SD_EEES6_PiJS6_EEE10hipError_tPvRmT3_T4_T5_T6_T7_T9_mT8_P12ihipStream_tbDpT10_ENKUlT_T0_E_clISt17integral_constantIbLb1EES1A_IbLb0EEEEDaS16_S17_EUlS16_E_NS1_11comp_targetILNS1_3genE4ELNS1_11target_archE910ELNS1_3gpuE8ELNS1_3repE0EEENS1_30default_config_static_selectorELNS0_4arch9wavefront6targetE0EEEvT1_.has_indirect_call, 0
	.section	.AMDGPU.csdata,"",@progbits
; Kernel info:
; codeLenInByte = 0
; TotalNumSgprs: 0
; NumVgprs: 0
; ScratchSize: 0
; MemoryBound: 0
; FloatMode: 240
; IeeeMode: 1
; LDSByteSize: 0 bytes/workgroup (compile time only)
; SGPRBlocks: 0
; VGPRBlocks: 0
; NumSGPRsForWavesPerEU: 1
; NumVGPRsForWavesPerEU: 1
; Occupancy: 16
; WaveLimiterHint : 0
; COMPUTE_PGM_RSRC2:SCRATCH_EN: 0
; COMPUTE_PGM_RSRC2:USER_SGPR: 2
; COMPUTE_PGM_RSRC2:TRAP_HANDLER: 0
; COMPUTE_PGM_RSRC2:TGID_X_EN: 1
; COMPUTE_PGM_RSRC2:TGID_Y_EN: 0
; COMPUTE_PGM_RSRC2:TGID_Z_EN: 0
; COMPUTE_PGM_RSRC2:TIDIG_COMP_CNT: 0
	.section	.text._ZN7rocprim17ROCPRIM_400000_NS6detail17trampoline_kernelINS0_14default_configENS1_25partition_config_selectorILNS1_17partition_subalgoE5ElNS0_10empty_typeEbEEZZNS1_14partition_implILS5_5ELb0ES3_mN6hipcub16HIPCUB_304000_NS21CountingInputIteratorIllEEPS6_NSA_22TransformInputIteratorIbN2at6native12_GLOBAL__N_19NonZeroOpIdEEPKdlEENS0_5tupleIJPlS6_EEENSN_IJSD_SD_EEES6_PiJS6_EEE10hipError_tPvRmT3_T4_T5_T6_T7_T9_mT8_P12ihipStream_tbDpT10_ENKUlT_T0_E_clISt17integral_constantIbLb1EES1A_IbLb0EEEEDaS16_S17_EUlS16_E_NS1_11comp_targetILNS1_3genE3ELNS1_11target_archE908ELNS1_3gpuE7ELNS1_3repE0EEENS1_30default_config_static_selectorELNS0_4arch9wavefront6targetE0EEEvT1_,"axG",@progbits,_ZN7rocprim17ROCPRIM_400000_NS6detail17trampoline_kernelINS0_14default_configENS1_25partition_config_selectorILNS1_17partition_subalgoE5ElNS0_10empty_typeEbEEZZNS1_14partition_implILS5_5ELb0ES3_mN6hipcub16HIPCUB_304000_NS21CountingInputIteratorIllEEPS6_NSA_22TransformInputIteratorIbN2at6native12_GLOBAL__N_19NonZeroOpIdEEPKdlEENS0_5tupleIJPlS6_EEENSN_IJSD_SD_EEES6_PiJS6_EEE10hipError_tPvRmT3_T4_T5_T6_T7_T9_mT8_P12ihipStream_tbDpT10_ENKUlT_T0_E_clISt17integral_constantIbLb1EES1A_IbLb0EEEEDaS16_S17_EUlS16_E_NS1_11comp_targetILNS1_3genE3ELNS1_11target_archE908ELNS1_3gpuE7ELNS1_3repE0EEENS1_30default_config_static_selectorELNS0_4arch9wavefront6targetE0EEEvT1_,comdat
	.globl	_ZN7rocprim17ROCPRIM_400000_NS6detail17trampoline_kernelINS0_14default_configENS1_25partition_config_selectorILNS1_17partition_subalgoE5ElNS0_10empty_typeEbEEZZNS1_14partition_implILS5_5ELb0ES3_mN6hipcub16HIPCUB_304000_NS21CountingInputIteratorIllEEPS6_NSA_22TransformInputIteratorIbN2at6native12_GLOBAL__N_19NonZeroOpIdEEPKdlEENS0_5tupleIJPlS6_EEENSN_IJSD_SD_EEES6_PiJS6_EEE10hipError_tPvRmT3_T4_T5_T6_T7_T9_mT8_P12ihipStream_tbDpT10_ENKUlT_T0_E_clISt17integral_constantIbLb1EES1A_IbLb0EEEEDaS16_S17_EUlS16_E_NS1_11comp_targetILNS1_3genE3ELNS1_11target_archE908ELNS1_3gpuE7ELNS1_3repE0EEENS1_30default_config_static_selectorELNS0_4arch9wavefront6targetE0EEEvT1_ ; -- Begin function _ZN7rocprim17ROCPRIM_400000_NS6detail17trampoline_kernelINS0_14default_configENS1_25partition_config_selectorILNS1_17partition_subalgoE5ElNS0_10empty_typeEbEEZZNS1_14partition_implILS5_5ELb0ES3_mN6hipcub16HIPCUB_304000_NS21CountingInputIteratorIllEEPS6_NSA_22TransformInputIteratorIbN2at6native12_GLOBAL__N_19NonZeroOpIdEEPKdlEENS0_5tupleIJPlS6_EEENSN_IJSD_SD_EEES6_PiJS6_EEE10hipError_tPvRmT3_T4_T5_T6_T7_T9_mT8_P12ihipStream_tbDpT10_ENKUlT_T0_E_clISt17integral_constantIbLb1EES1A_IbLb0EEEEDaS16_S17_EUlS16_E_NS1_11comp_targetILNS1_3genE3ELNS1_11target_archE908ELNS1_3gpuE7ELNS1_3repE0EEENS1_30default_config_static_selectorELNS0_4arch9wavefront6targetE0EEEvT1_
	.p2align	8
	.type	_ZN7rocprim17ROCPRIM_400000_NS6detail17trampoline_kernelINS0_14default_configENS1_25partition_config_selectorILNS1_17partition_subalgoE5ElNS0_10empty_typeEbEEZZNS1_14partition_implILS5_5ELb0ES3_mN6hipcub16HIPCUB_304000_NS21CountingInputIteratorIllEEPS6_NSA_22TransformInputIteratorIbN2at6native12_GLOBAL__N_19NonZeroOpIdEEPKdlEENS0_5tupleIJPlS6_EEENSN_IJSD_SD_EEES6_PiJS6_EEE10hipError_tPvRmT3_T4_T5_T6_T7_T9_mT8_P12ihipStream_tbDpT10_ENKUlT_T0_E_clISt17integral_constantIbLb1EES1A_IbLb0EEEEDaS16_S17_EUlS16_E_NS1_11comp_targetILNS1_3genE3ELNS1_11target_archE908ELNS1_3gpuE7ELNS1_3repE0EEENS1_30default_config_static_selectorELNS0_4arch9wavefront6targetE0EEEvT1_,@function
_ZN7rocprim17ROCPRIM_400000_NS6detail17trampoline_kernelINS0_14default_configENS1_25partition_config_selectorILNS1_17partition_subalgoE5ElNS0_10empty_typeEbEEZZNS1_14partition_implILS5_5ELb0ES3_mN6hipcub16HIPCUB_304000_NS21CountingInputIteratorIllEEPS6_NSA_22TransformInputIteratorIbN2at6native12_GLOBAL__N_19NonZeroOpIdEEPKdlEENS0_5tupleIJPlS6_EEENSN_IJSD_SD_EEES6_PiJS6_EEE10hipError_tPvRmT3_T4_T5_T6_T7_T9_mT8_P12ihipStream_tbDpT10_ENKUlT_T0_E_clISt17integral_constantIbLb1EES1A_IbLb0EEEEDaS16_S17_EUlS16_E_NS1_11comp_targetILNS1_3genE3ELNS1_11target_archE908ELNS1_3gpuE7ELNS1_3repE0EEENS1_30default_config_static_selectorELNS0_4arch9wavefront6targetE0EEEvT1_: ; @_ZN7rocprim17ROCPRIM_400000_NS6detail17trampoline_kernelINS0_14default_configENS1_25partition_config_selectorILNS1_17partition_subalgoE5ElNS0_10empty_typeEbEEZZNS1_14partition_implILS5_5ELb0ES3_mN6hipcub16HIPCUB_304000_NS21CountingInputIteratorIllEEPS6_NSA_22TransformInputIteratorIbN2at6native12_GLOBAL__N_19NonZeroOpIdEEPKdlEENS0_5tupleIJPlS6_EEENSN_IJSD_SD_EEES6_PiJS6_EEE10hipError_tPvRmT3_T4_T5_T6_T7_T9_mT8_P12ihipStream_tbDpT10_ENKUlT_T0_E_clISt17integral_constantIbLb1EES1A_IbLb0EEEEDaS16_S17_EUlS16_E_NS1_11comp_targetILNS1_3genE3ELNS1_11target_archE908ELNS1_3gpuE7ELNS1_3repE0EEENS1_30default_config_static_selectorELNS0_4arch9wavefront6targetE0EEEvT1_
; %bb.0:
	.section	.rodata,"a",@progbits
	.p2align	6, 0x0
	.amdhsa_kernel _ZN7rocprim17ROCPRIM_400000_NS6detail17trampoline_kernelINS0_14default_configENS1_25partition_config_selectorILNS1_17partition_subalgoE5ElNS0_10empty_typeEbEEZZNS1_14partition_implILS5_5ELb0ES3_mN6hipcub16HIPCUB_304000_NS21CountingInputIteratorIllEEPS6_NSA_22TransformInputIteratorIbN2at6native12_GLOBAL__N_19NonZeroOpIdEEPKdlEENS0_5tupleIJPlS6_EEENSN_IJSD_SD_EEES6_PiJS6_EEE10hipError_tPvRmT3_T4_T5_T6_T7_T9_mT8_P12ihipStream_tbDpT10_ENKUlT_T0_E_clISt17integral_constantIbLb1EES1A_IbLb0EEEEDaS16_S17_EUlS16_E_NS1_11comp_targetILNS1_3genE3ELNS1_11target_archE908ELNS1_3gpuE7ELNS1_3repE0EEENS1_30default_config_static_selectorELNS0_4arch9wavefront6targetE0EEEvT1_
		.amdhsa_group_segment_fixed_size 0
		.amdhsa_private_segment_fixed_size 0
		.amdhsa_kernarg_size 120
		.amdhsa_user_sgpr_count 2
		.amdhsa_user_sgpr_dispatch_ptr 0
		.amdhsa_user_sgpr_queue_ptr 0
		.amdhsa_user_sgpr_kernarg_segment_ptr 1
		.amdhsa_user_sgpr_dispatch_id 0
		.amdhsa_user_sgpr_private_segment_size 0
		.amdhsa_wavefront_size32 1
		.amdhsa_uses_dynamic_stack 0
		.amdhsa_enable_private_segment 0
		.amdhsa_system_sgpr_workgroup_id_x 1
		.amdhsa_system_sgpr_workgroup_id_y 0
		.amdhsa_system_sgpr_workgroup_id_z 0
		.amdhsa_system_sgpr_workgroup_info 0
		.amdhsa_system_vgpr_workitem_id 0
		.amdhsa_next_free_vgpr 1
		.amdhsa_next_free_sgpr 1
		.amdhsa_reserve_vcc 0
		.amdhsa_float_round_mode_32 0
		.amdhsa_float_round_mode_16_64 0
		.amdhsa_float_denorm_mode_32 3
		.amdhsa_float_denorm_mode_16_64 3
		.amdhsa_fp16_overflow 0
		.amdhsa_workgroup_processor_mode 1
		.amdhsa_memory_ordered 1
		.amdhsa_forward_progress 1
		.amdhsa_inst_pref_size 0
		.amdhsa_round_robin_scheduling 0
		.amdhsa_exception_fp_ieee_invalid_op 0
		.amdhsa_exception_fp_denorm_src 0
		.amdhsa_exception_fp_ieee_div_zero 0
		.amdhsa_exception_fp_ieee_overflow 0
		.amdhsa_exception_fp_ieee_underflow 0
		.amdhsa_exception_fp_ieee_inexact 0
		.amdhsa_exception_int_div_zero 0
	.end_amdhsa_kernel
	.section	.text._ZN7rocprim17ROCPRIM_400000_NS6detail17trampoline_kernelINS0_14default_configENS1_25partition_config_selectorILNS1_17partition_subalgoE5ElNS0_10empty_typeEbEEZZNS1_14partition_implILS5_5ELb0ES3_mN6hipcub16HIPCUB_304000_NS21CountingInputIteratorIllEEPS6_NSA_22TransformInputIteratorIbN2at6native12_GLOBAL__N_19NonZeroOpIdEEPKdlEENS0_5tupleIJPlS6_EEENSN_IJSD_SD_EEES6_PiJS6_EEE10hipError_tPvRmT3_T4_T5_T6_T7_T9_mT8_P12ihipStream_tbDpT10_ENKUlT_T0_E_clISt17integral_constantIbLb1EES1A_IbLb0EEEEDaS16_S17_EUlS16_E_NS1_11comp_targetILNS1_3genE3ELNS1_11target_archE908ELNS1_3gpuE7ELNS1_3repE0EEENS1_30default_config_static_selectorELNS0_4arch9wavefront6targetE0EEEvT1_,"axG",@progbits,_ZN7rocprim17ROCPRIM_400000_NS6detail17trampoline_kernelINS0_14default_configENS1_25partition_config_selectorILNS1_17partition_subalgoE5ElNS0_10empty_typeEbEEZZNS1_14partition_implILS5_5ELb0ES3_mN6hipcub16HIPCUB_304000_NS21CountingInputIteratorIllEEPS6_NSA_22TransformInputIteratorIbN2at6native12_GLOBAL__N_19NonZeroOpIdEEPKdlEENS0_5tupleIJPlS6_EEENSN_IJSD_SD_EEES6_PiJS6_EEE10hipError_tPvRmT3_T4_T5_T6_T7_T9_mT8_P12ihipStream_tbDpT10_ENKUlT_T0_E_clISt17integral_constantIbLb1EES1A_IbLb0EEEEDaS16_S17_EUlS16_E_NS1_11comp_targetILNS1_3genE3ELNS1_11target_archE908ELNS1_3gpuE7ELNS1_3repE0EEENS1_30default_config_static_selectorELNS0_4arch9wavefront6targetE0EEEvT1_,comdat
.Lfunc_end409:
	.size	_ZN7rocprim17ROCPRIM_400000_NS6detail17trampoline_kernelINS0_14default_configENS1_25partition_config_selectorILNS1_17partition_subalgoE5ElNS0_10empty_typeEbEEZZNS1_14partition_implILS5_5ELb0ES3_mN6hipcub16HIPCUB_304000_NS21CountingInputIteratorIllEEPS6_NSA_22TransformInputIteratorIbN2at6native12_GLOBAL__N_19NonZeroOpIdEEPKdlEENS0_5tupleIJPlS6_EEENSN_IJSD_SD_EEES6_PiJS6_EEE10hipError_tPvRmT3_T4_T5_T6_T7_T9_mT8_P12ihipStream_tbDpT10_ENKUlT_T0_E_clISt17integral_constantIbLb1EES1A_IbLb0EEEEDaS16_S17_EUlS16_E_NS1_11comp_targetILNS1_3genE3ELNS1_11target_archE908ELNS1_3gpuE7ELNS1_3repE0EEENS1_30default_config_static_selectorELNS0_4arch9wavefront6targetE0EEEvT1_, .Lfunc_end409-_ZN7rocprim17ROCPRIM_400000_NS6detail17trampoline_kernelINS0_14default_configENS1_25partition_config_selectorILNS1_17partition_subalgoE5ElNS0_10empty_typeEbEEZZNS1_14partition_implILS5_5ELb0ES3_mN6hipcub16HIPCUB_304000_NS21CountingInputIteratorIllEEPS6_NSA_22TransformInputIteratorIbN2at6native12_GLOBAL__N_19NonZeroOpIdEEPKdlEENS0_5tupleIJPlS6_EEENSN_IJSD_SD_EEES6_PiJS6_EEE10hipError_tPvRmT3_T4_T5_T6_T7_T9_mT8_P12ihipStream_tbDpT10_ENKUlT_T0_E_clISt17integral_constantIbLb1EES1A_IbLb0EEEEDaS16_S17_EUlS16_E_NS1_11comp_targetILNS1_3genE3ELNS1_11target_archE908ELNS1_3gpuE7ELNS1_3repE0EEENS1_30default_config_static_selectorELNS0_4arch9wavefront6targetE0EEEvT1_
                                        ; -- End function
	.set _ZN7rocprim17ROCPRIM_400000_NS6detail17trampoline_kernelINS0_14default_configENS1_25partition_config_selectorILNS1_17partition_subalgoE5ElNS0_10empty_typeEbEEZZNS1_14partition_implILS5_5ELb0ES3_mN6hipcub16HIPCUB_304000_NS21CountingInputIteratorIllEEPS6_NSA_22TransformInputIteratorIbN2at6native12_GLOBAL__N_19NonZeroOpIdEEPKdlEENS0_5tupleIJPlS6_EEENSN_IJSD_SD_EEES6_PiJS6_EEE10hipError_tPvRmT3_T4_T5_T6_T7_T9_mT8_P12ihipStream_tbDpT10_ENKUlT_T0_E_clISt17integral_constantIbLb1EES1A_IbLb0EEEEDaS16_S17_EUlS16_E_NS1_11comp_targetILNS1_3genE3ELNS1_11target_archE908ELNS1_3gpuE7ELNS1_3repE0EEENS1_30default_config_static_selectorELNS0_4arch9wavefront6targetE0EEEvT1_.num_vgpr, 0
	.set _ZN7rocprim17ROCPRIM_400000_NS6detail17trampoline_kernelINS0_14default_configENS1_25partition_config_selectorILNS1_17partition_subalgoE5ElNS0_10empty_typeEbEEZZNS1_14partition_implILS5_5ELb0ES3_mN6hipcub16HIPCUB_304000_NS21CountingInputIteratorIllEEPS6_NSA_22TransformInputIteratorIbN2at6native12_GLOBAL__N_19NonZeroOpIdEEPKdlEENS0_5tupleIJPlS6_EEENSN_IJSD_SD_EEES6_PiJS6_EEE10hipError_tPvRmT3_T4_T5_T6_T7_T9_mT8_P12ihipStream_tbDpT10_ENKUlT_T0_E_clISt17integral_constantIbLb1EES1A_IbLb0EEEEDaS16_S17_EUlS16_E_NS1_11comp_targetILNS1_3genE3ELNS1_11target_archE908ELNS1_3gpuE7ELNS1_3repE0EEENS1_30default_config_static_selectorELNS0_4arch9wavefront6targetE0EEEvT1_.num_agpr, 0
	.set _ZN7rocprim17ROCPRIM_400000_NS6detail17trampoline_kernelINS0_14default_configENS1_25partition_config_selectorILNS1_17partition_subalgoE5ElNS0_10empty_typeEbEEZZNS1_14partition_implILS5_5ELb0ES3_mN6hipcub16HIPCUB_304000_NS21CountingInputIteratorIllEEPS6_NSA_22TransformInputIteratorIbN2at6native12_GLOBAL__N_19NonZeroOpIdEEPKdlEENS0_5tupleIJPlS6_EEENSN_IJSD_SD_EEES6_PiJS6_EEE10hipError_tPvRmT3_T4_T5_T6_T7_T9_mT8_P12ihipStream_tbDpT10_ENKUlT_T0_E_clISt17integral_constantIbLb1EES1A_IbLb0EEEEDaS16_S17_EUlS16_E_NS1_11comp_targetILNS1_3genE3ELNS1_11target_archE908ELNS1_3gpuE7ELNS1_3repE0EEENS1_30default_config_static_selectorELNS0_4arch9wavefront6targetE0EEEvT1_.numbered_sgpr, 0
	.set _ZN7rocprim17ROCPRIM_400000_NS6detail17trampoline_kernelINS0_14default_configENS1_25partition_config_selectorILNS1_17partition_subalgoE5ElNS0_10empty_typeEbEEZZNS1_14partition_implILS5_5ELb0ES3_mN6hipcub16HIPCUB_304000_NS21CountingInputIteratorIllEEPS6_NSA_22TransformInputIteratorIbN2at6native12_GLOBAL__N_19NonZeroOpIdEEPKdlEENS0_5tupleIJPlS6_EEENSN_IJSD_SD_EEES6_PiJS6_EEE10hipError_tPvRmT3_T4_T5_T6_T7_T9_mT8_P12ihipStream_tbDpT10_ENKUlT_T0_E_clISt17integral_constantIbLb1EES1A_IbLb0EEEEDaS16_S17_EUlS16_E_NS1_11comp_targetILNS1_3genE3ELNS1_11target_archE908ELNS1_3gpuE7ELNS1_3repE0EEENS1_30default_config_static_selectorELNS0_4arch9wavefront6targetE0EEEvT1_.num_named_barrier, 0
	.set _ZN7rocprim17ROCPRIM_400000_NS6detail17trampoline_kernelINS0_14default_configENS1_25partition_config_selectorILNS1_17partition_subalgoE5ElNS0_10empty_typeEbEEZZNS1_14partition_implILS5_5ELb0ES3_mN6hipcub16HIPCUB_304000_NS21CountingInputIteratorIllEEPS6_NSA_22TransformInputIteratorIbN2at6native12_GLOBAL__N_19NonZeroOpIdEEPKdlEENS0_5tupleIJPlS6_EEENSN_IJSD_SD_EEES6_PiJS6_EEE10hipError_tPvRmT3_T4_T5_T6_T7_T9_mT8_P12ihipStream_tbDpT10_ENKUlT_T0_E_clISt17integral_constantIbLb1EES1A_IbLb0EEEEDaS16_S17_EUlS16_E_NS1_11comp_targetILNS1_3genE3ELNS1_11target_archE908ELNS1_3gpuE7ELNS1_3repE0EEENS1_30default_config_static_selectorELNS0_4arch9wavefront6targetE0EEEvT1_.private_seg_size, 0
	.set _ZN7rocprim17ROCPRIM_400000_NS6detail17trampoline_kernelINS0_14default_configENS1_25partition_config_selectorILNS1_17partition_subalgoE5ElNS0_10empty_typeEbEEZZNS1_14partition_implILS5_5ELb0ES3_mN6hipcub16HIPCUB_304000_NS21CountingInputIteratorIllEEPS6_NSA_22TransformInputIteratorIbN2at6native12_GLOBAL__N_19NonZeroOpIdEEPKdlEENS0_5tupleIJPlS6_EEENSN_IJSD_SD_EEES6_PiJS6_EEE10hipError_tPvRmT3_T4_T5_T6_T7_T9_mT8_P12ihipStream_tbDpT10_ENKUlT_T0_E_clISt17integral_constantIbLb1EES1A_IbLb0EEEEDaS16_S17_EUlS16_E_NS1_11comp_targetILNS1_3genE3ELNS1_11target_archE908ELNS1_3gpuE7ELNS1_3repE0EEENS1_30default_config_static_selectorELNS0_4arch9wavefront6targetE0EEEvT1_.uses_vcc, 0
	.set _ZN7rocprim17ROCPRIM_400000_NS6detail17trampoline_kernelINS0_14default_configENS1_25partition_config_selectorILNS1_17partition_subalgoE5ElNS0_10empty_typeEbEEZZNS1_14partition_implILS5_5ELb0ES3_mN6hipcub16HIPCUB_304000_NS21CountingInputIteratorIllEEPS6_NSA_22TransformInputIteratorIbN2at6native12_GLOBAL__N_19NonZeroOpIdEEPKdlEENS0_5tupleIJPlS6_EEENSN_IJSD_SD_EEES6_PiJS6_EEE10hipError_tPvRmT3_T4_T5_T6_T7_T9_mT8_P12ihipStream_tbDpT10_ENKUlT_T0_E_clISt17integral_constantIbLb1EES1A_IbLb0EEEEDaS16_S17_EUlS16_E_NS1_11comp_targetILNS1_3genE3ELNS1_11target_archE908ELNS1_3gpuE7ELNS1_3repE0EEENS1_30default_config_static_selectorELNS0_4arch9wavefront6targetE0EEEvT1_.uses_flat_scratch, 0
	.set _ZN7rocprim17ROCPRIM_400000_NS6detail17trampoline_kernelINS0_14default_configENS1_25partition_config_selectorILNS1_17partition_subalgoE5ElNS0_10empty_typeEbEEZZNS1_14partition_implILS5_5ELb0ES3_mN6hipcub16HIPCUB_304000_NS21CountingInputIteratorIllEEPS6_NSA_22TransformInputIteratorIbN2at6native12_GLOBAL__N_19NonZeroOpIdEEPKdlEENS0_5tupleIJPlS6_EEENSN_IJSD_SD_EEES6_PiJS6_EEE10hipError_tPvRmT3_T4_T5_T6_T7_T9_mT8_P12ihipStream_tbDpT10_ENKUlT_T0_E_clISt17integral_constantIbLb1EES1A_IbLb0EEEEDaS16_S17_EUlS16_E_NS1_11comp_targetILNS1_3genE3ELNS1_11target_archE908ELNS1_3gpuE7ELNS1_3repE0EEENS1_30default_config_static_selectorELNS0_4arch9wavefront6targetE0EEEvT1_.has_dyn_sized_stack, 0
	.set _ZN7rocprim17ROCPRIM_400000_NS6detail17trampoline_kernelINS0_14default_configENS1_25partition_config_selectorILNS1_17partition_subalgoE5ElNS0_10empty_typeEbEEZZNS1_14partition_implILS5_5ELb0ES3_mN6hipcub16HIPCUB_304000_NS21CountingInputIteratorIllEEPS6_NSA_22TransformInputIteratorIbN2at6native12_GLOBAL__N_19NonZeroOpIdEEPKdlEENS0_5tupleIJPlS6_EEENSN_IJSD_SD_EEES6_PiJS6_EEE10hipError_tPvRmT3_T4_T5_T6_T7_T9_mT8_P12ihipStream_tbDpT10_ENKUlT_T0_E_clISt17integral_constantIbLb1EES1A_IbLb0EEEEDaS16_S17_EUlS16_E_NS1_11comp_targetILNS1_3genE3ELNS1_11target_archE908ELNS1_3gpuE7ELNS1_3repE0EEENS1_30default_config_static_selectorELNS0_4arch9wavefront6targetE0EEEvT1_.has_recursion, 0
	.set _ZN7rocprim17ROCPRIM_400000_NS6detail17trampoline_kernelINS0_14default_configENS1_25partition_config_selectorILNS1_17partition_subalgoE5ElNS0_10empty_typeEbEEZZNS1_14partition_implILS5_5ELb0ES3_mN6hipcub16HIPCUB_304000_NS21CountingInputIteratorIllEEPS6_NSA_22TransformInputIteratorIbN2at6native12_GLOBAL__N_19NonZeroOpIdEEPKdlEENS0_5tupleIJPlS6_EEENSN_IJSD_SD_EEES6_PiJS6_EEE10hipError_tPvRmT3_T4_T5_T6_T7_T9_mT8_P12ihipStream_tbDpT10_ENKUlT_T0_E_clISt17integral_constantIbLb1EES1A_IbLb0EEEEDaS16_S17_EUlS16_E_NS1_11comp_targetILNS1_3genE3ELNS1_11target_archE908ELNS1_3gpuE7ELNS1_3repE0EEENS1_30default_config_static_selectorELNS0_4arch9wavefront6targetE0EEEvT1_.has_indirect_call, 0
	.section	.AMDGPU.csdata,"",@progbits
; Kernel info:
; codeLenInByte = 0
; TotalNumSgprs: 0
; NumVgprs: 0
; ScratchSize: 0
; MemoryBound: 0
; FloatMode: 240
; IeeeMode: 1
; LDSByteSize: 0 bytes/workgroup (compile time only)
; SGPRBlocks: 0
; VGPRBlocks: 0
; NumSGPRsForWavesPerEU: 1
; NumVGPRsForWavesPerEU: 1
; Occupancy: 16
; WaveLimiterHint : 0
; COMPUTE_PGM_RSRC2:SCRATCH_EN: 0
; COMPUTE_PGM_RSRC2:USER_SGPR: 2
; COMPUTE_PGM_RSRC2:TRAP_HANDLER: 0
; COMPUTE_PGM_RSRC2:TGID_X_EN: 1
; COMPUTE_PGM_RSRC2:TGID_Y_EN: 0
; COMPUTE_PGM_RSRC2:TGID_Z_EN: 0
; COMPUTE_PGM_RSRC2:TIDIG_COMP_CNT: 0
	.section	.text._ZN7rocprim17ROCPRIM_400000_NS6detail17trampoline_kernelINS0_14default_configENS1_25partition_config_selectorILNS1_17partition_subalgoE5ElNS0_10empty_typeEbEEZZNS1_14partition_implILS5_5ELb0ES3_mN6hipcub16HIPCUB_304000_NS21CountingInputIteratorIllEEPS6_NSA_22TransformInputIteratorIbN2at6native12_GLOBAL__N_19NonZeroOpIdEEPKdlEENS0_5tupleIJPlS6_EEENSN_IJSD_SD_EEES6_PiJS6_EEE10hipError_tPvRmT3_T4_T5_T6_T7_T9_mT8_P12ihipStream_tbDpT10_ENKUlT_T0_E_clISt17integral_constantIbLb1EES1A_IbLb0EEEEDaS16_S17_EUlS16_E_NS1_11comp_targetILNS1_3genE2ELNS1_11target_archE906ELNS1_3gpuE6ELNS1_3repE0EEENS1_30default_config_static_selectorELNS0_4arch9wavefront6targetE0EEEvT1_,"axG",@progbits,_ZN7rocprim17ROCPRIM_400000_NS6detail17trampoline_kernelINS0_14default_configENS1_25partition_config_selectorILNS1_17partition_subalgoE5ElNS0_10empty_typeEbEEZZNS1_14partition_implILS5_5ELb0ES3_mN6hipcub16HIPCUB_304000_NS21CountingInputIteratorIllEEPS6_NSA_22TransformInputIteratorIbN2at6native12_GLOBAL__N_19NonZeroOpIdEEPKdlEENS0_5tupleIJPlS6_EEENSN_IJSD_SD_EEES6_PiJS6_EEE10hipError_tPvRmT3_T4_T5_T6_T7_T9_mT8_P12ihipStream_tbDpT10_ENKUlT_T0_E_clISt17integral_constantIbLb1EES1A_IbLb0EEEEDaS16_S17_EUlS16_E_NS1_11comp_targetILNS1_3genE2ELNS1_11target_archE906ELNS1_3gpuE6ELNS1_3repE0EEENS1_30default_config_static_selectorELNS0_4arch9wavefront6targetE0EEEvT1_,comdat
	.globl	_ZN7rocprim17ROCPRIM_400000_NS6detail17trampoline_kernelINS0_14default_configENS1_25partition_config_selectorILNS1_17partition_subalgoE5ElNS0_10empty_typeEbEEZZNS1_14partition_implILS5_5ELb0ES3_mN6hipcub16HIPCUB_304000_NS21CountingInputIteratorIllEEPS6_NSA_22TransformInputIteratorIbN2at6native12_GLOBAL__N_19NonZeroOpIdEEPKdlEENS0_5tupleIJPlS6_EEENSN_IJSD_SD_EEES6_PiJS6_EEE10hipError_tPvRmT3_T4_T5_T6_T7_T9_mT8_P12ihipStream_tbDpT10_ENKUlT_T0_E_clISt17integral_constantIbLb1EES1A_IbLb0EEEEDaS16_S17_EUlS16_E_NS1_11comp_targetILNS1_3genE2ELNS1_11target_archE906ELNS1_3gpuE6ELNS1_3repE0EEENS1_30default_config_static_selectorELNS0_4arch9wavefront6targetE0EEEvT1_ ; -- Begin function _ZN7rocprim17ROCPRIM_400000_NS6detail17trampoline_kernelINS0_14default_configENS1_25partition_config_selectorILNS1_17partition_subalgoE5ElNS0_10empty_typeEbEEZZNS1_14partition_implILS5_5ELb0ES3_mN6hipcub16HIPCUB_304000_NS21CountingInputIteratorIllEEPS6_NSA_22TransformInputIteratorIbN2at6native12_GLOBAL__N_19NonZeroOpIdEEPKdlEENS0_5tupleIJPlS6_EEENSN_IJSD_SD_EEES6_PiJS6_EEE10hipError_tPvRmT3_T4_T5_T6_T7_T9_mT8_P12ihipStream_tbDpT10_ENKUlT_T0_E_clISt17integral_constantIbLb1EES1A_IbLb0EEEEDaS16_S17_EUlS16_E_NS1_11comp_targetILNS1_3genE2ELNS1_11target_archE906ELNS1_3gpuE6ELNS1_3repE0EEENS1_30default_config_static_selectorELNS0_4arch9wavefront6targetE0EEEvT1_
	.p2align	8
	.type	_ZN7rocprim17ROCPRIM_400000_NS6detail17trampoline_kernelINS0_14default_configENS1_25partition_config_selectorILNS1_17partition_subalgoE5ElNS0_10empty_typeEbEEZZNS1_14partition_implILS5_5ELb0ES3_mN6hipcub16HIPCUB_304000_NS21CountingInputIteratorIllEEPS6_NSA_22TransformInputIteratorIbN2at6native12_GLOBAL__N_19NonZeroOpIdEEPKdlEENS0_5tupleIJPlS6_EEENSN_IJSD_SD_EEES6_PiJS6_EEE10hipError_tPvRmT3_T4_T5_T6_T7_T9_mT8_P12ihipStream_tbDpT10_ENKUlT_T0_E_clISt17integral_constantIbLb1EES1A_IbLb0EEEEDaS16_S17_EUlS16_E_NS1_11comp_targetILNS1_3genE2ELNS1_11target_archE906ELNS1_3gpuE6ELNS1_3repE0EEENS1_30default_config_static_selectorELNS0_4arch9wavefront6targetE0EEEvT1_,@function
_ZN7rocprim17ROCPRIM_400000_NS6detail17trampoline_kernelINS0_14default_configENS1_25partition_config_selectorILNS1_17partition_subalgoE5ElNS0_10empty_typeEbEEZZNS1_14partition_implILS5_5ELb0ES3_mN6hipcub16HIPCUB_304000_NS21CountingInputIteratorIllEEPS6_NSA_22TransformInputIteratorIbN2at6native12_GLOBAL__N_19NonZeroOpIdEEPKdlEENS0_5tupleIJPlS6_EEENSN_IJSD_SD_EEES6_PiJS6_EEE10hipError_tPvRmT3_T4_T5_T6_T7_T9_mT8_P12ihipStream_tbDpT10_ENKUlT_T0_E_clISt17integral_constantIbLb1EES1A_IbLb0EEEEDaS16_S17_EUlS16_E_NS1_11comp_targetILNS1_3genE2ELNS1_11target_archE906ELNS1_3gpuE6ELNS1_3repE0EEENS1_30default_config_static_selectorELNS0_4arch9wavefront6targetE0EEEvT1_: ; @_ZN7rocprim17ROCPRIM_400000_NS6detail17trampoline_kernelINS0_14default_configENS1_25partition_config_selectorILNS1_17partition_subalgoE5ElNS0_10empty_typeEbEEZZNS1_14partition_implILS5_5ELb0ES3_mN6hipcub16HIPCUB_304000_NS21CountingInputIteratorIllEEPS6_NSA_22TransformInputIteratorIbN2at6native12_GLOBAL__N_19NonZeroOpIdEEPKdlEENS0_5tupleIJPlS6_EEENSN_IJSD_SD_EEES6_PiJS6_EEE10hipError_tPvRmT3_T4_T5_T6_T7_T9_mT8_P12ihipStream_tbDpT10_ENKUlT_T0_E_clISt17integral_constantIbLb1EES1A_IbLb0EEEEDaS16_S17_EUlS16_E_NS1_11comp_targetILNS1_3genE2ELNS1_11target_archE906ELNS1_3gpuE6ELNS1_3repE0EEENS1_30default_config_static_selectorELNS0_4arch9wavefront6targetE0EEEvT1_
; %bb.0:
	.section	.rodata,"a",@progbits
	.p2align	6, 0x0
	.amdhsa_kernel _ZN7rocprim17ROCPRIM_400000_NS6detail17trampoline_kernelINS0_14default_configENS1_25partition_config_selectorILNS1_17partition_subalgoE5ElNS0_10empty_typeEbEEZZNS1_14partition_implILS5_5ELb0ES3_mN6hipcub16HIPCUB_304000_NS21CountingInputIteratorIllEEPS6_NSA_22TransformInputIteratorIbN2at6native12_GLOBAL__N_19NonZeroOpIdEEPKdlEENS0_5tupleIJPlS6_EEENSN_IJSD_SD_EEES6_PiJS6_EEE10hipError_tPvRmT3_T4_T5_T6_T7_T9_mT8_P12ihipStream_tbDpT10_ENKUlT_T0_E_clISt17integral_constantIbLb1EES1A_IbLb0EEEEDaS16_S17_EUlS16_E_NS1_11comp_targetILNS1_3genE2ELNS1_11target_archE906ELNS1_3gpuE6ELNS1_3repE0EEENS1_30default_config_static_selectorELNS0_4arch9wavefront6targetE0EEEvT1_
		.amdhsa_group_segment_fixed_size 0
		.amdhsa_private_segment_fixed_size 0
		.amdhsa_kernarg_size 120
		.amdhsa_user_sgpr_count 2
		.amdhsa_user_sgpr_dispatch_ptr 0
		.amdhsa_user_sgpr_queue_ptr 0
		.amdhsa_user_sgpr_kernarg_segment_ptr 1
		.amdhsa_user_sgpr_dispatch_id 0
		.amdhsa_user_sgpr_private_segment_size 0
		.amdhsa_wavefront_size32 1
		.amdhsa_uses_dynamic_stack 0
		.amdhsa_enable_private_segment 0
		.amdhsa_system_sgpr_workgroup_id_x 1
		.amdhsa_system_sgpr_workgroup_id_y 0
		.amdhsa_system_sgpr_workgroup_id_z 0
		.amdhsa_system_sgpr_workgroup_info 0
		.amdhsa_system_vgpr_workitem_id 0
		.amdhsa_next_free_vgpr 1
		.amdhsa_next_free_sgpr 1
		.amdhsa_reserve_vcc 0
		.amdhsa_float_round_mode_32 0
		.amdhsa_float_round_mode_16_64 0
		.amdhsa_float_denorm_mode_32 3
		.amdhsa_float_denorm_mode_16_64 3
		.amdhsa_fp16_overflow 0
		.amdhsa_workgroup_processor_mode 1
		.amdhsa_memory_ordered 1
		.amdhsa_forward_progress 1
		.amdhsa_inst_pref_size 0
		.amdhsa_round_robin_scheduling 0
		.amdhsa_exception_fp_ieee_invalid_op 0
		.amdhsa_exception_fp_denorm_src 0
		.amdhsa_exception_fp_ieee_div_zero 0
		.amdhsa_exception_fp_ieee_overflow 0
		.amdhsa_exception_fp_ieee_underflow 0
		.amdhsa_exception_fp_ieee_inexact 0
		.amdhsa_exception_int_div_zero 0
	.end_amdhsa_kernel
	.section	.text._ZN7rocprim17ROCPRIM_400000_NS6detail17trampoline_kernelINS0_14default_configENS1_25partition_config_selectorILNS1_17partition_subalgoE5ElNS0_10empty_typeEbEEZZNS1_14partition_implILS5_5ELb0ES3_mN6hipcub16HIPCUB_304000_NS21CountingInputIteratorIllEEPS6_NSA_22TransformInputIteratorIbN2at6native12_GLOBAL__N_19NonZeroOpIdEEPKdlEENS0_5tupleIJPlS6_EEENSN_IJSD_SD_EEES6_PiJS6_EEE10hipError_tPvRmT3_T4_T5_T6_T7_T9_mT8_P12ihipStream_tbDpT10_ENKUlT_T0_E_clISt17integral_constantIbLb1EES1A_IbLb0EEEEDaS16_S17_EUlS16_E_NS1_11comp_targetILNS1_3genE2ELNS1_11target_archE906ELNS1_3gpuE6ELNS1_3repE0EEENS1_30default_config_static_selectorELNS0_4arch9wavefront6targetE0EEEvT1_,"axG",@progbits,_ZN7rocprim17ROCPRIM_400000_NS6detail17trampoline_kernelINS0_14default_configENS1_25partition_config_selectorILNS1_17partition_subalgoE5ElNS0_10empty_typeEbEEZZNS1_14partition_implILS5_5ELb0ES3_mN6hipcub16HIPCUB_304000_NS21CountingInputIteratorIllEEPS6_NSA_22TransformInputIteratorIbN2at6native12_GLOBAL__N_19NonZeroOpIdEEPKdlEENS0_5tupleIJPlS6_EEENSN_IJSD_SD_EEES6_PiJS6_EEE10hipError_tPvRmT3_T4_T5_T6_T7_T9_mT8_P12ihipStream_tbDpT10_ENKUlT_T0_E_clISt17integral_constantIbLb1EES1A_IbLb0EEEEDaS16_S17_EUlS16_E_NS1_11comp_targetILNS1_3genE2ELNS1_11target_archE906ELNS1_3gpuE6ELNS1_3repE0EEENS1_30default_config_static_selectorELNS0_4arch9wavefront6targetE0EEEvT1_,comdat
.Lfunc_end410:
	.size	_ZN7rocprim17ROCPRIM_400000_NS6detail17trampoline_kernelINS0_14default_configENS1_25partition_config_selectorILNS1_17partition_subalgoE5ElNS0_10empty_typeEbEEZZNS1_14partition_implILS5_5ELb0ES3_mN6hipcub16HIPCUB_304000_NS21CountingInputIteratorIllEEPS6_NSA_22TransformInputIteratorIbN2at6native12_GLOBAL__N_19NonZeroOpIdEEPKdlEENS0_5tupleIJPlS6_EEENSN_IJSD_SD_EEES6_PiJS6_EEE10hipError_tPvRmT3_T4_T5_T6_T7_T9_mT8_P12ihipStream_tbDpT10_ENKUlT_T0_E_clISt17integral_constantIbLb1EES1A_IbLb0EEEEDaS16_S17_EUlS16_E_NS1_11comp_targetILNS1_3genE2ELNS1_11target_archE906ELNS1_3gpuE6ELNS1_3repE0EEENS1_30default_config_static_selectorELNS0_4arch9wavefront6targetE0EEEvT1_, .Lfunc_end410-_ZN7rocprim17ROCPRIM_400000_NS6detail17trampoline_kernelINS0_14default_configENS1_25partition_config_selectorILNS1_17partition_subalgoE5ElNS0_10empty_typeEbEEZZNS1_14partition_implILS5_5ELb0ES3_mN6hipcub16HIPCUB_304000_NS21CountingInputIteratorIllEEPS6_NSA_22TransformInputIteratorIbN2at6native12_GLOBAL__N_19NonZeroOpIdEEPKdlEENS0_5tupleIJPlS6_EEENSN_IJSD_SD_EEES6_PiJS6_EEE10hipError_tPvRmT3_T4_T5_T6_T7_T9_mT8_P12ihipStream_tbDpT10_ENKUlT_T0_E_clISt17integral_constantIbLb1EES1A_IbLb0EEEEDaS16_S17_EUlS16_E_NS1_11comp_targetILNS1_3genE2ELNS1_11target_archE906ELNS1_3gpuE6ELNS1_3repE0EEENS1_30default_config_static_selectorELNS0_4arch9wavefront6targetE0EEEvT1_
                                        ; -- End function
	.set _ZN7rocprim17ROCPRIM_400000_NS6detail17trampoline_kernelINS0_14default_configENS1_25partition_config_selectorILNS1_17partition_subalgoE5ElNS0_10empty_typeEbEEZZNS1_14partition_implILS5_5ELb0ES3_mN6hipcub16HIPCUB_304000_NS21CountingInputIteratorIllEEPS6_NSA_22TransformInputIteratorIbN2at6native12_GLOBAL__N_19NonZeroOpIdEEPKdlEENS0_5tupleIJPlS6_EEENSN_IJSD_SD_EEES6_PiJS6_EEE10hipError_tPvRmT3_T4_T5_T6_T7_T9_mT8_P12ihipStream_tbDpT10_ENKUlT_T0_E_clISt17integral_constantIbLb1EES1A_IbLb0EEEEDaS16_S17_EUlS16_E_NS1_11comp_targetILNS1_3genE2ELNS1_11target_archE906ELNS1_3gpuE6ELNS1_3repE0EEENS1_30default_config_static_selectorELNS0_4arch9wavefront6targetE0EEEvT1_.num_vgpr, 0
	.set _ZN7rocprim17ROCPRIM_400000_NS6detail17trampoline_kernelINS0_14default_configENS1_25partition_config_selectorILNS1_17partition_subalgoE5ElNS0_10empty_typeEbEEZZNS1_14partition_implILS5_5ELb0ES3_mN6hipcub16HIPCUB_304000_NS21CountingInputIteratorIllEEPS6_NSA_22TransformInputIteratorIbN2at6native12_GLOBAL__N_19NonZeroOpIdEEPKdlEENS0_5tupleIJPlS6_EEENSN_IJSD_SD_EEES6_PiJS6_EEE10hipError_tPvRmT3_T4_T5_T6_T7_T9_mT8_P12ihipStream_tbDpT10_ENKUlT_T0_E_clISt17integral_constantIbLb1EES1A_IbLb0EEEEDaS16_S17_EUlS16_E_NS1_11comp_targetILNS1_3genE2ELNS1_11target_archE906ELNS1_3gpuE6ELNS1_3repE0EEENS1_30default_config_static_selectorELNS0_4arch9wavefront6targetE0EEEvT1_.num_agpr, 0
	.set _ZN7rocprim17ROCPRIM_400000_NS6detail17trampoline_kernelINS0_14default_configENS1_25partition_config_selectorILNS1_17partition_subalgoE5ElNS0_10empty_typeEbEEZZNS1_14partition_implILS5_5ELb0ES3_mN6hipcub16HIPCUB_304000_NS21CountingInputIteratorIllEEPS6_NSA_22TransformInputIteratorIbN2at6native12_GLOBAL__N_19NonZeroOpIdEEPKdlEENS0_5tupleIJPlS6_EEENSN_IJSD_SD_EEES6_PiJS6_EEE10hipError_tPvRmT3_T4_T5_T6_T7_T9_mT8_P12ihipStream_tbDpT10_ENKUlT_T0_E_clISt17integral_constantIbLb1EES1A_IbLb0EEEEDaS16_S17_EUlS16_E_NS1_11comp_targetILNS1_3genE2ELNS1_11target_archE906ELNS1_3gpuE6ELNS1_3repE0EEENS1_30default_config_static_selectorELNS0_4arch9wavefront6targetE0EEEvT1_.numbered_sgpr, 0
	.set _ZN7rocprim17ROCPRIM_400000_NS6detail17trampoline_kernelINS0_14default_configENS1_25partition_config_selectorILNS1_17partition_subalgoE5ElNS0_10empty_typeEbEEZZNS1_14partition_implILS5_5ELb0ES3_mN6hipcub16HIPCUB_304000_NS21CountingInputIteratorIllEEPS6_NSA_22TransformInputIteratorIbN2at6native12_GLOBAL__N_19NonZeroOpIdEEPKdlEENS0_5tupleIJPlS6_EEENSN_IJSD_SD_EEES6_PiJS6_EEE10hipError_tPvRmT3_T4_T5_T6_T7_T9_mT8_P12ihipStream_tbDpT10_ENKUlT_T0_E_clISt17integral_constantIbLb1EES1A_IbLb0EEEEDaS16_S17_EUlS16_E_NS1_11comp_targetILNS1_3genE2ELNS1_11target_archE906ELNS1_3gpuE6ELNS1_3repE0EEENS1_30default_config_static_selectorELNS0_4arch9wavefront6targetE0EEEvT1_.num_named_barrier, 0
	.set _ZN7rocprim17ROCPRIM_400000_NS6detail17trampoline_kernelINS0_14default_configENS1_25partition_config_selectorILNS1_17partition_subalgoE5ElNS0_10empty_typeEbEEZZNS1_14partition_implILS5_5ELb0ES3_mN6hipcub16HIPCUB_304000_NS21CountingInputIteratorIllEEPS6_NSA_22TransformInputIteratorIbN2at6native12_GLOBAL__N_19NonZeroOpIdEEPKdlEENS0_5tupleIJPlS6_EEENSN_IJSD_SD_EEES6_PiJS6_EEE10hipError_tPvRmT3_T4_T5_T6_T7_T9_mT8_P12ihipStream_tbDpT10_ENKUlT_T0_E_clISt17integral_constantIbLb1EES1A_IbLb0EEEEDaS16_S17_EUlS16_E_NS1_11comp_targetILNS1_3genE2ELNS1_11target_archE906ELNS1_3gpuE6ELNS1_3repE0EEENS1_30default_config_static_selectorELNS0_4arch9wavefront6targetE0EEEvT1_.private_seg_size, 0
	.set _ZN7rocprim17ROCPRIM_400000_NS6detail17trampoline_kernelINS0_14default_configENS1_25partition_config_selectorILNS1_17partition_subalgoE5ElNS0_10empty_typeEbEEZZNS1_14partition_implILS5_5ELb0ES3_mN6hipcub16HIPCUB_304000_NS21CountingInputIteratorIllEEPS6_NSA_22TransformInputIteratorIbN2at6native12_GLOBAL__N_19NonZeroOpIdEEPKdlEENS0_5tupleIJPlS6_EEENSN_IJSD_SD_EEES6_PiJS6_EEE10hipError_tPvRmT3_T4_T5_T6_T7_T9_mT8_P12ihipStream_tbDpT10_ENKUlT_T0_E_clISt17integral_constantIbLb1EES1A_IbLb0EEEEDaS16_S17_EUlS16_E_NS1_11comp_targetILNS1_3genE2ELNS1_11target_archE906ELNS1_3gpuE6ELNS1_3repE0EEENS1_30default_config_static_selectorELNS0_4arch9wavefront6targetE0EEEvT1_.uses_vcc, 0
	.set _ZN7rocprim17ROCPRIM_400000_NS6detail17trampoline_kernelINS0_14default_configENS1_25partition_config_selectorILNS1_17partition_subalgoE5ElNS0_10empty_typeEbEEZZNS1_14partition_implILS5_5ELb0ES3_mN6hipcub16HIPCUB_304000_NS21CountingInputIteratorIllEEPS6_NSA_22TransformInputIteratorIbN2at6native12_GLOBAL__N_19NonZeroOpIdEEPKdlEENS0_5tupleIJPlS6_EEENSN_IJSD_SD_EEES6_PiJS6_EEE10hipError_tPvRmT3_T4_T5_T6_T7_T9_mT8_P12ihipStream_tbDpT10_ENKUlT_T0_E_clISt17integral_constantIbLb1EES1A_IbLb0EEEEDaS16_S17_EUlS16_E_NS1_11comp_targetILNS1_3genE2ELNS1_11target_archE906ELNS1_3gpuE6ELNS1_3repE0EEENS1_30default_config_static_selectorELNS0_4arch9wavefront6targetE0EEEvT1_.uses_flat_scratch, 0
	.set _ZN7rocprim17ROCPRIM_400000_NS6detail17trampoline_kernelINS0_14default_configENS1_25partition_config_selectorILNS1_17partition_subalgoE5ElNS0_10empty_typeEbEEZZNS1_14partition_implILS5_5ELb0ES3_mN6hipcub16HIPCUB_304000_NS21CountingInputIteratorIllEEPS6_NSA_22TransformInputIteratorIbN2at6native12_GLOBAL__N_19NonZeroOpIdEEPKdlEENS0_5tupleIJPlS6_EEENSN_IJSD_SD_EEES6_PiJS6_EEE10hipError_tPvRmT3_T4_T5_T6_T7_T9_mT8_P12ihipStream_tbDpT10_ENKUlT_T0_E_clISt17integral_constantIbLb1EES1A_IbLb0EEEEDaS16_S17_EUlS16_E_NS1_11comp_targetILNS1_3genE2ELNS1_11target_archE906ELNS1_3gpuE6ELNS1_3repE0EEENS1_30default_config_static_selectorELNS0_4arch9wavefront6targetE0EEEvT1_.has_dyn_sized_stack, 0
	.set _ZN7rocprim17ROCPRIM_400000_NS6detail17trampoline_kernelINS0_14default_configENS1_25partition_config_selectorILNS1_17partition_subalgoE5ElNS0_10empty_typeEbEEZZNS1_14partition_implILS5_5ELb0ES3_mN6hipcub16HIPCUB_304000_NS21CountingInputIteratorIllEEPS6_NSA_22TransformInputIteratorIbN2at6native12_GLOBAL__N_19NonZeroOpIdEEPKdlEENS0_5tupleIJPlS6_EEENSN_IJSD_SD_EEES6_PiJS6_EEE10hipError_tPvRmT3_T4_T5_T6_T7_T9_mT8_P12ihipStream_tbDpT10_ENKUlT_T0_E_clISt17integral_constantIbLb1EES1A_IbLb0EEEEDaS16_S17_EUlS16_E_NS1_11comp_targetILNS1_3genE2ELNS1_11target_archE906ELNS1_3gpuE6ELNS1_3repE0EEENS1_30default_config_static_selectorELNS0_4arch9wavefront6targetE0EEEvT1_.has_recursion, 0
	.set _ZN7rocprim17ROCPRIM_400000_NS6detail17trampoline_kernelINS0_14default_configENS1_25partition_config_selectorILNS1_17partition_subalgoE5ElNS0_10empty_typeEbEEZZNS1_14partition_implILS5_5ELb0ES3_mN6hipcub16HIPCUB_304000_NS21CountingInputIteratorIllEEPS6_NSA_22TransformInputIteratorIbN2at6native12_GLOBAL__N_19NonZeroOpIdEEPKdlEENS0_5tupleIJPlS6_EEENSN_IJSD_SD_EEES6_PiJS6_EEE10hipError_tPvRmT3_T4_T5_T6_T7_T9_mT8_P12ihipStream_tbDpT10_ENKUlT_T0_E_clISt17integral_constantIbLb1EES1A_IbLb0EEEEDaS16_S17_EUlS16_E_NS1_11comp_targetILNS1_3genE2ELNS1_11target_archE906ELNS1_3gpuE6ELNS1_3repE0EEENS1_30default_config_static_selectorELNS0_4arch9wavefront6targetE0EEEvT1_.has_indirect_call, 0
	.section	.AMDGPU.csdata,"",@progbits
; Kernel info:
; codeLenInByte = 0
; TotalNumSgprs: 0
; NumVgprs: 0
; ScratchSize: 0
; MemoryBound: 0
; FloatMode: 240
; IeeeMode: 1
; LDSByteSize: 0 bytes/workgroup (compile time only)
; SGPRBlocks: 0
; VGPRBlocks: 0
; NumSGPRsForWavesPerEU: 1
; NumVGPRsForWavesPerEU: 1
; Occupancy: 16
; WaveLimiterHint : 0
; COMPUTE_PGM_RSRC2:SCRATCH_EN: 0
; COMPUTE_PGM_RSRC2:USER_SGPR: 2
; COMPUTE_PGM_RSRC2:TRAP_HANDLER: 0
; COMPUTE_PGM_RSRC2:TGID_X_EN: 1
; COMPUTE_PGM_RSRC2:TGID_Y_EN: 0
; COMPUTE_PGM_RSRC2:TGID_Z_EN: 0
; COMPUTE_PGM_RSRC2:TIDIG_COMP_CNT: 0
	.section	.text._ZN7rocprim17ROCPRIM_400000_NS6detail17trampoline_kernelINS0_14default_configENS1_25partition_config_selectorILNS1_17partition_subalgoE5ElNS0_10empty_typeEbEEZZNS1_14partition_implILS5_5ELb0ES3_mN6hipcub16HIPCUB_304000_NS21CountingInputIteratorIllEEPS6_NSA_22TransformInputIteratorIbN2at6native12_GLOBAL__N_19NonZeroOpIdEEPKdlEENS0_5tupleIJPlS6_EEENSN_IJSD_SD_EEES6_PiJS6_EEE10hipError_tPvRmT3_T4_T5_T6_T7_T9_mT8_P12ihipStream_tbDpT10_ENKUlT_T0_E_clISt17integral_constantIbLb1EES1A_IbLb0EEEEDaS16_S17_EUlS16_E_NS1_11comp_targetILNS1_3genE10ELNS1_11target_archE1200ELNS1_3gpuE4ELNS1_3repE0EEENS1_30default_config_static_selectorELNS0_4arch9wavefront6targetE0EEEvT1_,"axG",@progbits,_ZN7rocprim17ROCPRIM_400000_NS6detail17trampoline_kernelINS0_14default_configENS1_25partition_config_selectorILNS1_17partition_subalgoE5ElNS0_10empty_typeEbEEZZNS1_14partition_implILS5_5ELb0ES3_mN6hipcub16HIPCUB_304000_NS21CountingInputIteratorIllEEPS6_NSA_22TransformInputIteratorIbN2at6native12_GLOBAL__N_19NonZeroOpIdEEPKdlEENS0_5tupleIJPlS6_EEENSN_IJSD_SD_EEES6_PiJS6_EEE10hipError_tPvRmT3_T4_T5_T6_T7_T9_mT8_P12ihipStream_tbDpT10_ENKUlT_T0_E_clISt17integral_constantIbLb1EES1A_IbLb0EEEEDaS16_S17_EUlS16_E_NS1_11comp_targetILNS1_3genE10ELNS1_11target_archE1200ELNS1_3gpuE4ELNS1_3repE0EEENS1_30default_config_static_selectorELNS0_4arch9wavefront6targetE0EEEvT1_,comdat
	.globl	_ZN7rocprim17ROCPRIM_400000_NS6detail17trampoline_kernelINS0_14default_configENS1_25partition_config_selectorILNS1_17partition_subalgoE5ElNS0_10empty_typeEbEEZZNS1_14partition_implILS5_5ELb0ES3_mN6hipcub16HIPCUB_304000_NS21CountingInputIteratorIllEEPS6_NSA_22TransformInputIteratorIbN2at6native12_GLOBAL__N_19NonZeroOpIdEEPKdlEENS0_5tupleIJPlS6_EEENSN_IJSD_SD_EEES6_PiJS6_EEE10hipError_tPvRmT3_T4_T5_T6_T7_T9_mT8_P12ihipStream_tbDpT10_ENKUlT_T0_E_clISt17integral_constantIbLb1EES1A_IbLb0EEEEDaS16_S17_EUlS16_E_NS1_11comp_targetILNS1_3genE10ELNS1_11target_archE1200ELNS1_3gpuE4ELNS1_3repE0EEENS1_30default_config_static_selectorELNS0_4arch9wavefront6targetE0EEEvT1_ ; -- Begin function _ZN7rocprim17ROCPRIM_400000_NS6detail17trampoline_kernelINS0_14default_configENS1_25partition_config_selectorILNS1_17partition_subalgoE5ElNS0_10empty_typeEbEEZZNS1_14partition_implILS5_5ELb0ES3_mN6hipcub16HIPCUB_304000_NS21CountingInputIteratorIllEEPS6_NSA_22TransformInputIteratorIbN2at6native12_GLOBAL__N_19NonZeroOpIdEEPKdlEENS0_5tupleIJPlS6_EEENSN_IJSD_SD_EEES6_PiJS6_EEE10hipError_tPvRmT3_T4_T5_T6_T7_T9_mT8_P12ihipStream_tbDpT10_ENKUlT_T0_E_clISt17integral_constantIbLb1EES1A_IbLb0EEEEDaS16_S17_EUlS16_E_NS1_11comp_targetILNS1_3genE10ELNS1_11target_archE1200ELNS1_3gpuE4ELNS1_3repE0EEENS1_30default_config_static_selectorELNS0_4arch9wavefront6targetE0EEEvT1_
	.p2align	8
	.type	_ZN7rocprim17ROCPRIM_400000_NS6detail17trampoline_kernelINS0_14default_configENS1_25partition_config_selectorILNS1_17partition_subalgoE5ElNS0_10empty_typeEbEEZZNS1_14partition_implILS5_5ELb0ES3_mN6hipcub16HIPCUB_304000_NS21CountingInputIteratorIllEEPS6_NSA_22TransformInputIteratorIbN2at6native12_GLOBAL__N_19NonZeroOpIdEEPKdlEENS0_5tupleIJPlS6_EEENSN_IJSD_SD_EEES6_PiJS6_EEE10hipError_tPvRmT3_T4_T5_T6_T7_T9_mT8_P12ihipStream_tbDpT10_ENKUlT_T0_E_clISt17integral_constantIbLb1EES1A_IbLb0EEEEDaS16_S17_EUlS16_E_NS1_11comp_targetILNS1_3genE10ELNS1_11target_archE1200ELNS1_3gpuE4ELNS1_3repE0EEENS1_30default_config_static_selectorELNS0_4arch9wavefront6targetE0EEEvT1_,@function
_ZN7rocprim17ROCPRIM_400000_NS6detail17trampoline_kernelINS0_14default_configENS1_25partition_config_selectorILNS1_17partition_subalgoE5ElNS0_10empty_typeEbEEZZNS1_14partition_implILS5_5ELb0ES3_mN6hipcub16HIPCUB_304000_NS21CountingInputIteratorIllEEPS6_NSA_22TransformInputIteratorIbN2at6native12_GLOBAL__N_19NonZeroOpIdEEPKdlEENS0_5tupleIJPlS6_EEENSN_IJSD_SD_EEES6_PiJS6_EEE10hipError_tPvRmT3_T4_T5_T6_T7_T9_mT8_P12ihipStream_tbDpT10_ENKUlT_T0_E_clISt17integral_constantIbLb1EES1A_IbLb0EEEEDaS16_S17_EUlS16_E_NS1_11comp_targetILNS1_3genE10ELNS1_11target_archE1200ELNS1_3gpuE4ELNS1_3repE0EEENS1_30default_config_static_selectorELNS0_4arch9wavefront6targetE0EEEvT1_: ; @_ZN7rocprim17ROCPRIM_400000_NS6detail17trampoline_kernelINS0_14default_configENS1_25partition_config_selectorILNS1_17partition_subalgoE5ElNS0_10empty_typeEbEEZZNS1_14partition_implILS5_5ELb0ES3_mN6hipcub16HIPCUB_304000_NS21CountingInputIteratorIllEEPS6_NSA_22TransformInputIteratorIbN2at6native12_GLOBAL__N_19NonZeroOpIdEEPKdlEENS0_5tupleIJPlS6_EEENSN_IJSD_SD_EEES6_PiJS6_EEE10hipError_tPvRmT3_T4_T5_T6_T7_T9_mT8_P12ihipStream_tbDpT10_ENKUlT_T0_E_clISt17integral_constantIbLb1EES1A_IbLb0EEEEDaS16_S17_EUlS16_E_NS1_11comp_targetILNS1_3genE10ELNS1_11target_archE1200ELNS1_3gpuE4ELNS1_3repE0EEENS1_30default_config_static_selectorELNS0_4arch9wavefront6targetE0EEEvT1_
; %bb.0:
	s_endpgm
	.section	.rodata,"a",@progbits
	.p2align	6, 0x0
	.amdhsa_kernel _ZN7rocprim17ROCPRIM_400000_NS6detail17trampoline_kernelINS0_14default_configENS1_25partition_config_selectorILNS1_17partition_subalgoE5ElNS0_10empty_typeEbEEZZNS1_14partition_implILS5_5ELb0ES3_mN6hipcub16HIPCUB_304000_NS21CountingInputIteratorIllEEPS6_NSA_22TransformInputIteratorIbN2at6native12_GLOBAL__N_19NonZeroOpIdEEPKdlEENS0_5tupleIJPlS6_EEENSN_IJSD_SD_EEES6_PiJS6_EEE10hipError_tPvRmT3_T4_T5_T6_T7_T9_mT8_P12ihipStream_tbDpT10_ENKUlT_T0_E_clISt17integral_constantIbLb1EES1A_IbLb0EEEEDaS16_S17_EUlS16_E_NS1_11comp_targetILNS1_3genE10ELNS1_11target_archE1200ELNS1_3gpuE4ELNS1_3repE0EEENS1_30default_config_static_selectorELNS0_4arch9wavefront6targetE0EEEvT1_
		.amdhsa_group_segment_fixed_size 0
		.amdhsa_private_segment_fixed_size 0
		.amdhsa_kernarg_size 120
		.amdhsa_user_sgpr_count 2
		.amdhsa_user_sgpr_dispatch_ptr 0
		.amdhsa_user_sgpr_queue_ptr 0
		.amdhsa_user_sgpr_kernarg_segment_ptr 1
		.amdhsa_user_sgpr_dispatch_id 0
		.amdhsa_user_sgpr_private_segment_size 0
		.amdhsa_wavefront_size32 1
		.amdhsa_uses_dynamic_stack 0
		.amdhsa_enable_private_segment 0
		.amdhsa_system_sgpr_workgroup_id_x 1
		.amdhsa_system_sgpr_workgroup_id_y 0
		.amdhsa_system_sgpr_workgroup_id_z 0
		.amdhsa_system_sgpr_workgroup_info 0
		.amdhsa_system_vgpr_workitem_id 0
		.amdhsa_next_free_vgpr 1
		.amdhsa_next_free_sgpr 1
		.amdhsa_reserve_vcc 0
		.amdhsa_float_round_mode_32 0
		.amdhsa_float_round_mode_16_64 0
		.amdhsa_float_denorm_mode_32 3
		.amdhsa_float_denorm_mode_16_64 3
		.amdhsa_fp16_overflow 0
		.amdhsa_workgroup_processor_mode 1
		.amdhsa_memory_ordered 1
		.amdhsa_forward_progress 1
		.amdhsa_inst_pref_size 1
		.amdhsa_round_robin_scheduling 0
		.amdhsa_exception_fp_ieee_invalid_op 0
		.amdhsa_exception_fp_denorm_src 0
		.amdhsa_exception_fp_ieee_div_zero 0
		.amdhsa_exception_fp_ieee_overflow 0
		.amdhsa_exception_fp_ieee_underflow 0
		.amdhsa_exception_fp_ieee_inexact 0
		.amdhsa_exception_int_div_zero 0
	.end_amdhsa_kernel
	.section	.text._ZN7rocprim17ROCPRIM_400000_NS6detail17trampoline_kernelINS0_14default_configENS1_25partition_config_selectorILNS1_17partition_subalgoE5ElNS0_10empty_typeEbEEZZNS1_14partition_implILS5_5ELb0ES3_mN6hipcub16HIPCUB_304000_NS21CountingInputIteratorIllEEPS6_NSA_22TransformInputIteratorIbN2at6native12_GLOBAL__N_19NonZeroOpIdEEPKdlEENS0_5tupleIJPlS6_EEENSN_IJSD_SD_EEES6_PiJS6_EEE10hipError_tPvRmT3_T4_T5_T6_T7_T9_mT8_P12ihipStream_tbDpT10_ENKUlT_T0_E_clISt17integral_constantIbLb1EES1A_IbLb0EEEEDaS16_S17_EUlS16_E_NS1_11comp_targetILNS1_3genE10ELNS1_11target_archE1200ELNS1_3gpuE4ELNS1_3repE0EEENS1_30default_config_static_selectorELNS0_4arch9wavefront6targetE0EEEvT1_,"axG",@progbits,_ZN7rocprim17ROCPRIM_400000_NS6detail17trampoline_kernelINS0_14default_configENS1_25partition_config_selectorILNS1_17partition_subalgoE5ElNS0_10empty_typeEbEEZZNS1_14partition_implILS5_5ELb0ES3_mN6hipcub16HIPCUB_304000_NS21CountingInputIteratorIllEEPS6_NSA_22TransformInputIteratorIbN2at6native12_GLOBAL__N_19NonZeroOpIdEEPKdlEENS0_5tupleIJPlS6_EEENSN_IJSD_SD_EEES6_PiJS6_EEE10hipError_tPvRmT3_T4_T5_T6_T7_T9_mT8_P12ihipStream_tbDpT10_ENKUlT_T0_E_clISt17integral_constantIbLb1EES1A_IbLb0EEEEDaS16_S17_EUlS16_E_NS1_11comp_targetILNS1_3genE10ELNS1_11target_archE1200ELNS1_3gpuE4ELNS1_3repE0EEENS1_30default_config_static_selectorELNS0_4arch9wavefront6targetE0EEEvT1_,comdat
.Lfunc_end411:
	.size	_ZN7rocprim17ROCPRIM_400000_NS6detail17trampoline_kernelINS0_14default_configENS1_25partition_config_selectorILNS1_17partition_subalgoE5ElNS0_10empty_typeEbEEZZNS1_14partition_implILS5_5ELb0ES3_mN6hipcub16HIPCUB_304000_NS21CountingInputIteratorIllEEPS6_NSA_22TransformInputIteratorIbN2at6native12_GLOBAL__N_19NonZeroOpIdEEPKdlEENS0_5tupleIJPlS6_EEENSN_IJSD_SD_EEES6_PiJS6_EEE10hipError_tPvRmT3_T4_T5_T6_T7_T9_mT8_P12ihipStream_tbDpT10_ENKUlT_T0_E_clISt17integral_constantIbLb1EES1A_IbLb0EEEEDaS16_S17_EUlS16_E_NS1_11comp_targetILNS1_3genE10ELNS1_11target_archE1200ELNS1_3gpuE4ELNS1_3repE0EEENS1_30default_config_static_selectorELNS0_4arch9wavefront6targetE0EEEvT1_, .Lfunc_end411-_ZN7rocprim17ROCPRIM_400000_NS6detail17trampoline_kernelINS0_14default_configENS1_25partition_config_selectorILNS1_17partition_subalgoE5ElNS0_10empty_typeEbEEZZNS1_14partition_implILS5_5ELb0ES3_mN6hipcub16HIPCUB_304000_NS21CountingInputIteratorIllEEPS6_NSA_22TransformInputIteratorIbN2at6native12_GLOBAL__N_19NonZeroOpIdEEPKdlEENS0_5tupleIJPlS6_EEENSN_IJSD_SD_EEES6_PiJS6_EEE10hipError_tPvRmT3_T4_T5_T6_T7_T9_mT8_P12ihipStream_tbDpT10_ENKUlT_T0_E_clISt17integral_constantIbLb1EES1A_IbLb0EEEEDaS16_S17_EUlS16_E_NS1_11comp_targetILNS1_3genE10ELNS1_11target_archE1200ELNS1_3gpuE4ELNS1_3repE0EEENS1_30default_config_static_selectorELNS0_4arch9wavefront6targetE0EEEvT1_
                                        ; -- End function
	.set _ZN7rocprim17ROCPRIM_400000_NS6detail17trampoline_kernelINS0_14default_configENS1_25partition_config_selectorILNS1_17partition_subalgoE5ElNS0_10empty_typeEbEEZZNS1_14partition_implILS5_5ELb0ES3_mN6hipcub16HIPCUB_304000_NS21CountingInputIteratorIllEEPS6_NSA_22TransformInputIteratorIbN2at6native12_GLOBAL__N_19NonZeroOpIdEEPKdlEENS0_5tupleIJPlS6_EEENSN_IJSD_SD_EEES6_PiJS6_EEE10hipError_tPvRmT3_T4_T5_T6_T7_T9_mT8_P12ihipStream_tbDpT10_ENKUlT_T0_E_clISt17integral_constantIbLb1EES1A_IbLb0EEEEDaS16_S17_EUlS16_E_NS1_11comp_targetILNS1_3genE10ELNS1_11target_archE1200ELNS1_3gpuE4ELNS1_3repE0EEENS1_30default_config_static_selectorELNS0_4arch9wavefront6targetE0EEEvT1_.num_vgpr, 0
	.set _ZN7rocprim17ROCPRIM_400000_NS6detail17trampoline_kernelINS0_14default_configENS1_25partition_config_selectorILNS1_17partition_subalgoE5ElNS0_10empty_typeEbEEZZNS1_14partition_implILS5_5ELb0ES3_mN6hipcub16HIPCUB_304000_NS21CountingInputIteratorIllEEPS6_NSA_22TransformInputIteratorIbN2at6native12_GLOBAL__N_19NonZeroOpIdEEPKdlEENS0_5tupleIJPlS6_EEENSN_IJSD_SD_EEES6_PiJS6_EEE10hipError_tPvRmT3_T4_T5_T6_T7_T9_mT8_P12ihipStream_tbDpT10_ENKUlT_T0_E_clISt17integral_constantIbLb1EES1A_IbLb0EEEEDaS16_S17_EUlS16_E_NS1_11comp_targetILNS1_3genE10ELNS1_11target_archE1200ELNS1_3gpuE4ELNS1_3repE0EEENS1_30default_config_static_selectorELNS0_4arch9wavefront6targetE0EEEvT1_.num_agpr, 0
	.set _ZN7rocprim17ROCPRIM_400000_NS6detail17trampoline_kernelINS0_14default_configENS1_25partition_config_selectorILNS1_17partition_subalgoE5ElNS0_10empty_typeEbEEZZNS1_14partition_implILS5_5ELb0ES3_mN6hipcub16HIPCUB_304000_NS21CountingInputIteratorIllEEPS6_NSA_22TransformInputIteratorIbN2at6native12_GLOBAL__N_19NonZeroOpIdEEPKdlEENS0_5tupleIJPlS6_EEENSN_IJSD_SD_EEES6_PiJS6_EEE10hipError_tPvRmT3_T4_T5_T6_T7_T9_mT8_P12ihipStream_tbDpT10_ENKUlT_T0_E_clISt17integral_constantIbLb1EES1A_IbLb0EEEEDaS16_S17_EUlS16_E_NS1_11comp_targetILNS1_3genE10ELNS1_11target_archE1200ELNS1_3gpuE4ELNS1_3repE0EEENS1_30default_config_static_selectorELNS0_4arch9wavefront6targetE0EEEvT1_.numbered_sgpr, 0
	.set _ZN7rocprim17ROCPRIM_400000_NS6detail17trampoline_kernelINS0_14default_configENS1_25partition_config_selectorILNS1_17partition_subalgoE5ElNS0_10empty_typeEbEEZZNS1_14partition_implILS5_5ELb0ES3_mN6hipcub16HIPCUB_304000_NS21CountingInputIteratorIllEEPS6_NSA_22TransformInputIteratorIbN2at6native12_GLOBAL__N_19NonZeroOpIdEEPKdlEENS0_5tupleIJPlS6_EEENSN_IJSD_SD_EEES6_PiJS6_EEE10hipError_tPvRmT3_T4_T5_T6_T7_T9_mT8_P12ihipStream_tbDpT10_ENKUlT_T0_E_clISt17integral_constantIbLb1EES1A_IbLb0EEEEDaS16_S17_EUlS16_E_NS1_11comp_targetILNS1_3genE10ELNS1_11target_archE1200ELNS1_3gpuE4ELNS1_3repE0EEENS1_30default_config_static_selectorELNS0_4arch9wavefront6targetE0EEEvT1_.num_named_barrier, 0
	.set _ZN7rocprim17ROCPRIM_400000_NS6detail17trampoline_kernelINS0_14default_configENS1_25partition_config_selectorILNS1_17partition_subalgoE5ElNS0_10empty_typeEbEEZZNS1_14partition_implILS5_5ELb0ES3_mN6hipcub16HIPCUB_304000_NS21CountingInputIteratorIllEEPS6_NSA_22TransformInputIteratorIbN2at6native12_GLOBAL__N_19NonZeroOpIdEEPKdlEENS0_5tupleIJPlS6_EEENSN_IJSD_SD_EEES6_PiJS6_EEE10hipError_tPvRmT3_T4_T5_T6_T7_T9_mT8_P12ihipStream_tbDpT10_ENKUlT_T0_E_clISt17integral_constantIbLb1EES1A_IbLb0EEEEDaS16_S17_EUlS16_E_NS1_11comp_targetILNS1_3genE10ELNS1_11target_archE1200ELNS1_3gpuE4ELNS1_3repE0EEENS1_30default_config_static_selectorELNS0_4arch9wavefront6targetE0EEEvT1_.private_seg_size, 0
	.set _ZN7rocprim17ROCPRIM_400000_NS6detail17trampoline_kernelINS0_14default_configENS1_25partition_config_selectorILNS1_17partition_subalgoE5ElNS0_10empty_typeEbEEZZNS1_14partition_implILS5_5ELb0ES3_mN6hipcub16HIPCUB_304000_NS21CountingInputIteratorIllEEPS6_NSA_22TransformInputIteratorIbN2at6native12_GLOBAL__N_19NonZeroOpIdEEPKdlEENS0_5tupleIJPlS6_EEENSN_IJSD_SD_EEES6_PiJS6_EEE10hipError_tPvRmT3_T4_T5_T6_T7_T9_mT8_P12ihipStream_tbDpT10_ENKUlT_T0_E_clISt17integral_constantIbLb1EES1A_IbLb0EEEEDaS16_S17_EUlS16_E_NS1_11comp_targetILNS1_3genE10ELNS1_11target_archE1200ELNS1_3gpuE4ELNS1_3repE0EEENS1_30default_config_static_selectorELNS0_4arch9wavefront6targetE0EEEvT1_.uses_vcc, 0
	.set _ZN7rocprim17ROCPRIM_400000_NS6detail17trampoline_kernelINS0_14default_configENS1_25partition_config_selectorILNS1_17partition_subalgoE5ElNS0_10empty_typeEbEEZZNS1_14partition_implILS5_5ELb0ES3_mN6hipcub16HIPCUB_304000_NS21CountingInputIteratorIllEEPS6_NSA_22TransformInputIteratorIbN2at6native12_GLOBAL__N_19NonZeroOpIdEEPKdlEENS0_5tupleIJPlS6_EEENSN_IJSD_SD_EEES6_PiJS6_EEE10hipError_tPvRmT3_T4_T5_T6_T7_T9_mT8_P12ihipStream_tbDpT10_ENKUlT_T0_E_clISt17integral_constantIbLb1EES1A_IbLb0EEEEDaS16_S17_EUlS16_E_NS1_11comp_targetILNS1_3genE10ELNS1_11target_archE1200ELNS1_3gpuE4ELNS1_3repE0EEENS1_30default_config_static_selectorELNS0_4arch9wavefront6targetE0EEEvT1_.uses_flat_scratch, 0
	.set _ZN7rocprim17ROCPRIM_400000_NS6detail17trampoline_kernelINS0_14default_configENS1_25partition_config_selectorILNS1_17partition_subalgoE5ElNS0_10empty_typeEbEEZZNS1_14partition_implILS5_5ELb0ES3_mN6hipcub16HIPCUB_304000_NS21CountingInputIteratorIllEEPS6_NSA_22TransformInputIteratorIbN2at6native12_GLOBAL__N_19NonZeroOpIdEEPKdlEENS0_5tupleIJPlS6_EEENSN_IJSD_SD_EEES6_PiJS6_EEE10hipError_tPvRmT3_T4_T5_T6_T7_T9_mT8_P12ihipStream_tbDpT10_ENKUlT_T0_E_clISt17integral_constantIbLb1EES1A_IbLb0EEEEDaS16_S17_EUlS16_E_NS1_11comp_targetILNS1_3genE10ELNS1_11target_archE1200ELNS1_3gpuE4ELNS1_3repE0EEENS1_30default_config_static_selectorELNS0_4arch9wavefront6targetE0EEEvT1_.has_dyn_sized_stack, 0
	.set _ZN7rocprim17ROCPRIM_400000_NS6detail17trampoline_kernelINS0_14default_configENS1_25partition_config_selectorILNS1_17partition_subalgoE5ElNS0_10empty_typeEbEEZZNS1_14partition_implILS5_5ELb0ES3_mN6hipcub16HIPCUB_304000_NS21CountingInputIteratorIllEEPS6_NSA_22TransformInputIteratorIbN2at6native12_GLOBAL__N_19NonZeroOpIdEEPKdlEENS0_5tupleIJPlS6_EEENSN_IJSD_SD_EEES6_PiJS6_EEE10hipError_tPvRmT3_T4_T5_T6_T7_T9_mT8_P12ihipStream_tbDpT10_ENKUlT_T0_E_clISt17integral_constantIbLb1EES1A_IbLb0EEEEDaS16_S17_EUlS16_E_NS1_11comp_targetILNS1_3genE10ELNS1_11target_archE1200ELNS1_3gpuE4ELNS1_3repE0EEENS1_30default_config_static_selectorELNS0_4arch9wavefront6targetE0EEEvT1_.has_recursion, 0
	.set _ZN7rocprim17ROCPRIM_400000_NS6detail17trampoline_kernelINS0_14default_configENS1_25partition_config_selectorILNS1_17partition_subalgoE5ElNS0_10empty_typeEbEEZZNS1_14partition_implILS5_5ELb0ES3_mN6hipcub16HIPCUB_304000_NS21CountingInputIteratorIllEEPS6_NSA_22TransformInputIteratorIbN2at6native12_GLOBAL__N_19NonZeroOpIdEEPKdlEENS0_5tupleIJPlS6_EEENSN_IJSD_SD_EEES6_PiJS6_EEE10hipError_tPvRmT3_T4_T5_T6_T7_T9_mT8_P12ihipStream_tbDpT10_ENKUlT_T0_E_clISt17integral_constantIbLb1EES1A_IbLb0EEEEDaS16_S17_EUlS16_E_NS1_11comp_targetILNS1_3genE10ELNS1_11target_archE1200ELNS1_3gpuE4ELNS1_3repE0EEENS1_30default_config_static_selectorELNS0_4arch9wavefront6targetE0EEEvT1_.has_indirect_call, 0
	.section	.AMDGPU.csdata,"",@progbits
; Kernel info:
; codeLenInByte = 4
; TotalNumSgprs: 0
; NumVgprs: 0
; ScratchSize: 0
; MemoryBound: 0
; FloatMode: 240
; IeeeMode: 1
; LDSByteSize: 0 bytes/workgroup (compile time only)
; SGPRBlocks: 0
; VGPRBlocks: 0
; NumSGPRsForWavesPerEU: 1
; NumVGPRsForWavesPerEU: 1
; Occupancy: 16
; WaveLimiterHint : 0
; COMPUTE_PGM_RSRC2:SCRATCH_EN: 0
; COMPUTE_PGM_RSRC2:USER_SGPR: 2
; COMPUTE_PGM_RSRC2:TRAP_HANDLER: 0
; COMPUTE_PGM_RSRC2:TGID_X_EN: 1
; COMPUTE_PGM_RSRC2:TGID_Y_EN: 0
; COMPUTE_PGM_RSRC2:TGID_Z_EN: 0
; COMPUTE_PGM_RSRC2:TIDIG_COMP_CNT: 0
	.section	.text._ZN7rocprim17ROCPRIM_400000_NS6detail17trampoline_kernelINS0_14default_configENS1_25partition_config_selectorILNS1_17partition_subalgoE5ElNS0_10empty_typeEbEEZZNS1_14partition_implILS5_5ELb0ES3_mN6hipcub16HIPCUB_304000_NS21CountingInputIteratorIllEEPS6_NSA_22TransformInputIteratorIbN2at6native12_GLOBAL__N_19NonZeroOpIdEEPKdlEENS0_5tupleIJPlS6_EEENSN_IJSD_SD_EEES6_PiJS6_EEE10hipError_tPvRmT3_T4_T5_T6_T7_T9_mT8_P12ihipStream_tbDpT10_ENKUlT_T0_E_clISt17integral_constantIbLb1EES1A_IbLb0EEEEDaS16_S17_EUlS16_E_NS1_11comp_targetILNS1_3genE9ELNS1_11target_archE1100ELNS1_3gpuE3ELNS1_3repE0EEENS1_30default_config_static_selectorELNS0_4arch9wavefront6targetE0EEEvT1_,"axG",@progbits,_ZN7rocprim17ROCPRIM_400000_NS6detail17trampoline_kernelINS0_14default_configENS1_25partition_config_selectorILNS1_17partition_subalgoE5ElNS0_10empty_typeEbEEZZNS1_14partition_implILS5_5ELb0ES3_mN6hipcub16HIPCUB_304000_NS21CountingInputIteratorIllEEPS6_NSA_22TransformInputIteratorIbN2at6native12_GLOBAL__N_19NonZeroOpIdEEPKdlEENS0_5tupleIJPlS6_EEENSN_IJSD_SD_EEES6_PiJS6_EEE10hipError_tPvRmT3_T4_T5_T6_T7_T9_mT8_P12ihipStream_tbDpT10_ENKUlT_T0_E_clISt17integral_constantIbLb1EES1A_IbLb0EEEEDaS16_S17_EUlS16_E_NS1_11comp_targetILNS1_3genE9ELNS1_11target_archE1100ELNS1_3gpuE3ELNS1_3repE0EEENS1_30default_config_static_selectorELNS0_4arch9wavefront6targetE0EEEvT1_,comdat
	.globl	_ZN7rocprim17ROCPRIM_400000_NS6detail17trampoline_kernelINS0_14default_configENS1_25partition_config_selectorILNS1_17partition_subalgoE5ElNS0_10empty_typeEbEEZZNS1_14partition_implILS5_5ELb0ES3_mN6hipcub16HIPCUB_304000_NS21CountingInputIteratorIllEEPS6_NSA_22TransformInputIteratorIbN2at6native12_GLOBAL__N_19NonZeroOpIdEEPKdlEENS0_5tupleIJPlS6_EEENSN_IJSD_SD_EEES6_PiJS6_EEE10hipError_tPvRmT3_T4_T5_T6_T7_T9_mT8_P12ihipStream_tbDpT10_ENKUlT_T0_E_clISt17integral_constantIbLb1EES1A_IbLb0EEEEDaS16_S17_EUlS16_E_NS1_11comp_targetILNS1_3genE9ELNS1_11target_archE1100ELNS1_3gpuE3ELNS1_3repE0EEENS1_30default_config_static_selectorELNS0_4arch9wavefront6targetE0EEEvT1_ ; -- Begin function _ZN7rocprim17ROCPRIM_400000_NS6detail17trampoline_kernelINS0_14default_configENS1_25partition_config_selectorILNS1_17partition_subalgoE5ElNS0_10empty_typeEbEEZZNS1_14partition_implILS5_5ELb0ES3_mN6hipcub16HIPCUB_304000_NS21CountingInputIteratorIllEEPS6_NSA_22TransformInputIteratorIbN2at6native12_GLOBAL__N_19NonZeroOpIdEEPKdlEENS0_5tupleIJPlS6_EEENSN_IJSD_SD_EEES6_PiJS6_EEE10hipError_tPvRmT3_T4_T5_T6_T7_T9_mT8_P12ihipStream_tbDpT10_ENKUlT_T0_E_clISt17integral_constantIbLb1EES1A_IbLb0EEEEDaS16_S17_EUlS16_E_NS1_11comp_targetILNS1_3genE9ELNS1_11target_archE1100ELNS1_3gpuE3ELNS1_3repE0EEENS1_30default_config_static_selectorELNS0_4arch9wavefront6targetE0EEEvT1_
	.p2align	8
	.type	_ZN7rocprim17ROCPRIM_400000_NS6detail17trampoline_kernelINS0_14default_configENS1_25partition_config_selectorILNS1_17partition_subalgoE5ElNS0_10empty_typeEbEEZZNS1_14partition_implILS5_5ELb0ES3_mN6hipcub16HIPCUB_304000_NS21CountingInputIteratorIllEEPS6_NSA_22TransformInputIteratorIbN2at6native12_GLOBAL__N_19NonZeroOpIdEEPKdlEENS0_5tupleIJPlS6_EEENSN_IJSD_SD_EEES6_PiJS6_EEE10hipError_tPvRmT3_T4_T5_T6_T7_T9_mT8_P12ihipStream_tbDpT10_ENKUlT_T0_E_clISt17integral_constantIbLb1EES1A_IbLb0EEEEDaS16_S17_EUlS16_E_NS1_11comp_targetILNS1_3genE9ELNS1_11target_archE1100ELNS1_3gpuE3ELNS1_3repE0EEENS1_30default_config_static_selectorELNS0_4arch9wavefront6targetE0EEEvT1_,@function
_ZN7rocprim17ROCPRIM_400000_NS6detail17trampoline_kernelINS0_14default_configENS1_25partition_config_selectorILNS1_17partition_subalgoE5ElNS0_10empty_typeEbEEZZNS1_14partition_implILS5_5ELb0ES3_mN6hipcub16HIPCUB_304000_NS21CountingInputIteratorIllEEPS6_NSA_22TransformInputIteratorIbN2at6native12_GLOBAL__N_19NonZeroOpIdEEPKdlEENS0_5tupleIJPlS6_EEENSN_IJSD_SD_EEES6_PiJS6_EEE10hipError_tPvRmT3_T4_T5_T6_T7_T9_mT8_P12ihipStream_tbDpT10_ENKUlT_T0_E_clISt17integral_constantIbLb1EES1A_IbLb0EEEEDaS16_S17_EUlS16_E_NS1_11comp_targetILNS1_3genE9ELNS1_11target_archE1100ELNS1_3gpuE3ELNS1_3repE0EEENS1_30default_config_static_selectorELNS0_4arch9wavefront6targetE0EEEvT1_: ; @_ZN7rocprim17ROCPRIM_400000_NS6detail17trampoline_kernelINS0_14default_configENS1_25partition_config_selectorILNS1_17partition_subalgoE5ElNS0_10empty_typeEbEEZZNS1_14partition_implILS5_5ELb0ES3_mN6hipcub16HIPCUB_304000_NS21CountingInputIteratorIllEEPS6_NSA_22TransformInputIteratorIbN2at6native12_GLOBAL__N_19NonZeroOpIdEEPKdlEENS0_5tupleIJPlS6_EEENSN_IJSD_SD_EEES6_PiJS6_EEE10hipError_tPvRmT3_T4_T5_T6_T7_T9_mT8_P12ihipStream_tbDpT10_ENKUlT_T0_E_clISt17integral_constantIbLb1EES1A_IbLb0EEEEDaS16_S17_EUlS16_E_NS1_11comp_targetILNS1_3genE9ELNS1_11target_archE1100ELNS1_3gpuE3ELNS1_3repE0EEENS1_30default_config_static_selectorELNS0_4arch9wavefront6targetE0EEEvT1_
; %bb.0:
	.section	.rodata,"a",@progbits
	.p2align	6, 0x0
	.amdhsa_kernel _ZN7rocprim17ROCPRIM_400000_NS6detail17trampoline_kernelINS0_14default_configENS1_25partition_config_selectorILNS1_17partition_subalgoE5ElNS0_10empty_typeEbEEZZNS1_14partition_implILS5_5ELb0ES3_mN6hipcub16HIPCUB_304000_NS21CountingInputIteratorIllEEPS6_NSA_22TransformInputIteratorIbN2at6native12_GLOBAL__N_19NonZeroOpIdEEPKdlEENS0_5tupleIJPlS6_EEENSN_IJSD_SD_EEES6_PiJS6_EEE10hipError_tPvRmT3_T4_T5_T6_T7_T9_mT8_P12ihipStream_tbDpT10_ENKUlT_T0_E_clISt17integral_constantIbLb1EES1A_IbLb0EEEEDaS16_S17_EUlS16_E_NS1_11comp_targetILNS1_3genE9ELNS1_11target_archE1100ELNS1_3gpuE3ELNS1_3repE0EEENS1_30default_config_static_selectorELNS0_4arch9wavefront6targetE0EEEvT1_
		.amdhsa_group_segment_fixed_size 0
		.amdhsa_private_segment_fixed_size 0
		.amdhsa_kernarg_size 120
		.amdhsa_user_sgpr_count 2
		.amdhsa_user_sgpr_dispatch_ptr 0
		.amdhsa_user_sgpr_queue_ptr 0
		.amdhsa_user_sgpr_kernarg_segment_ptr 1
		.amdhsa_user_sgpr_dispatch_id 0
		.amdhsa_user_sgpr_private_segment_size 0
		.amdhsa_wavefront_size32 1
		.amdhsa_uses_dynamic_stack 0
		.amdhsa_enable_private_segment 0
		.amdhsa_system_sgpr_workgroup_id_x 1
		.amdhsa_system_sgpr_workgroup_id_y 0
		.amdhsa_system_sgpr_workgroup_id_z 0
		.amdhsa_system_sgpr_workgroup_info 0
		.amdhsa_system_vgpr_workitem_id 0
		.amdhsa_next_free_vgpr 1
		.amdhsa_next_free_sgpr 1
		.amdhsa_reserve_vcc 0
		.amdhsa_float_round_mode_32 0
		.amdhsa_float_round_mode_16_64 0
		.amdhsa_float_denorm_mode_32 3
		.amdhsa_float_denorm_mode_16_64 3
		.amdhsa_fp16_overflow 0
		.amdhsa_workgroup_processor_mode 1
		.amdhsa_memory_ordered 1
		.amdhsa_forward_progress 1
		.amdhsa_inst_pref_size 0
		.amdhsa_round_robin_scheduling 0
		.amdhsa_exception_fp_ieee_invalid_op 0
		.amdhsa_exception_fp_denorm_src 0
		.amdhsa_exception_fp_ieee_div_zero 0
		.amdhsa_exception_fp_ieee_overflow 0
		.amdhsa_exception_fp_ieee_underflow 0
		.amdhsa_exception_fp_ieee_inexact 0
		.amdhsa_exception_int_div_zero 0
	.end_amdhsa_kernel
	.section	.text._ZN7rocprim17ROCPRIM_400000_NS6detail17trampoline_kernelINS0_14default_configENS1_25partition_config_selectorILNS1_17partition_subalgoE5ElNS0_10empty_typeEbEEZZNS1_14partition_implILS5_5ELb0ES3_mN6hipcub16HIPCUB_304000_NS21CountingInputIteratorIllEEPS6_NSA_22TransformInputIteratorIbN2at6native12_GLOBAL__N_19NonZeroOpIdEEPKdlEENS0_5tupleIJPlS6_EEENSN_IJSD_SD_EEES6_PiJS6_EEE10hipError_tPvRmT3_T4_T5_T6_T7_T9_mT8_P12ihipStream_tbDpT10_ENKUlT_T0_E_clISt17integral_constantIbLb1EES1A_IbLb0EEEEDaS16_S17_EUlS16_E_NS1_11comp_targetILNS1_3genE9ELNS1_11target_archE1100ELNS1_3gpuE3ELNS1_3repE0EEENS1_30default_config_static_selectorELNS0_4arch9wavefront6targetE0EEEvT1_,"axG",@progbits,_ZN7rocprim17ROCPRIM_400000_NS6detail17trampoline_kernelINS0_14default_configENS1_25partition_config_selectorILNS1_17partition_subalgoE5ElNS0_10empty_typeEbEEZZNS1_14partition_implILS5_5ELb0ES3_mN6hipcub16HIPCUB_304000_NS21CountingInputIteratorIllEEPS6_NSA_22TransformInputIteratorIbN2at6native12_GLOBAL__N_19NonZeroOpIdEEPKdlEENS0_5tupleIJPlS6_EEENSN_IJSD_SD_EEES6_PiJS6_EEE10hipError_tPvRmT3_T4_T5_T6_T7_T9_mT8_P12ihipStream_tbDpT10_ENKUlT_T0_E_clISt17integral_constantIbLb1EES1A_IbLb0EEEEDaS16_S17_EUlS16_E_NS1_11comp_targetILNS1_3genE9ELNS1_11target_archE1100ELNS1_3gpuE3ELNS1_3repE0EEENS1_30default_config_static_selectorELNS0_4arch9wavefront6targetE0EEEvT1_,comdat
.Lfunc_end412:
	.size	_ZN7rocprim17ROCPRIM_400000_NS6detail17trampoline_kernelINS0_14default_configENS1_25partition_config_selectorILNS1_17partition_subalgoE5ElNS0_10empty_typeEbEEZZNS1_14partition_implILS5_5ELb0ES3_mN6hipcub16HIPCUB_304000_NS21CountingInputIteratorIllEEPS6_NSA_22TransformInputIteratorIbN2at6native12_GLOBAL__N_19NonZeroOpIdEEPKdlEENS0_5tupleIJPlS6_EEENSN_IJSD_SD_EEES6_PiJS6_EEE10hipError_tPvRmT3_T4_T5_T6_T7_T9_mT8_P12ihipStream_tbDpT10_ENKUlT_T0_E_clISt17integral_constantIbLb1EES1A_IbLb0EEEEDaS16_S17_EUlS16_E_NS1_11comp_targetILNS1_3genE9ELNS1_11target_archE1100ELNS1_3gpuE3ELNS1_3repE0EEENS1_30default_config_static_selectorELNS0_4arch9wavefront6targetE0EEEvT1_, .Lfunc_end412-_ZN7rocprim17ROCPRIM_400000_NS6detail17trampoline_kernelINS0_14default_configENS1_25partition_config_selectorILNS1_17partition_subalgoE5ElNS0_10empty_typeEbEEZZNS1_14partition_implILS5_5ELb0ES3_mN6hipcub16HIPCUB_304000_NS21CountingInputIteratorIllEEPS6_NSA_22TransformInputIteratorIbN2at6native12_GLOBAL__N_19NonZeroOpIdEEPKdlEENS0_5tupleIJPlS6_EEENSN_IJSD_SD_EEES6_PiJS6_EEE10hipError_tPvRmT3_T4_T5_T6_T7_T9_mT8_P12ihipStream_tbDpT10_ENKUlT_T0_E_clISt17integral_constantIbLb1EES1A_IbLb0EEEEDaS16_S17_EUlS16_E_NS1_11comp_targetILNS1_3genE9ELNS1_11target_archE1100ELNS1_3gpuE3ELNS1_3repE0EEENS1_30default_config_static_selectorELNS0_4arch9wavefront6targetE0EEEvT1_
                                        ; -- End function
	.set _ZN7rocprim17ROCPRIM_400000_NS6detail17trampoline_kernelINS0_14default_configENS1_25partition_config_selectorILNS1_17partition_subalgoE5ElNS0_10empty_typeEbEEZZNS1_14partition_implILS5_5ELb0ES3_mN6hipcub16HIPCUB_304000_NS21CountingInputIteratorIllEEPS6_NSA_22TransformInputIteratorIbN2at6native12_GLOBAL__N_19NonZeroOpIdEEPKdlEENS0_5tupleIJPlS6_EEENSN_IJSD_SD_EEES6_PiJS6_EEE10hipError_tPvRmT3_T4_T5_T6_T7_T9_mT8_P12ihipStream_tbDpT10_ENKUlT_T0_E_clISt17integral_constantIbLb1EES1A_IbLb0EEEEDaS16_S17_EUlS16_E_NS1_11comp_targetILNS1_3genE9ELNS1_11target_archE1100ELNS1_3gpuE3ELNS1_3repE0EEENS1_30default_config_static_selectorELNS0_4arch9wavefront6targetE0EEEvT1_.num_vgpr, 0
	.set _ZN7rocprim17ROCPRIM_400000_NS6detail17trampoline_kernelINS0_14default_configENS1_25partition_config_selectorILNS1_17partition_subalgoE5ElNS0_10empty_typeEbEEZZNS1_14partition_implILS5_5ELb0ES3_mN6hipcub16HIPCUB_304000_NS21CountingInputIteratorIllEEPS6_NSA_22TransformInputIteratorIbN2at6native12_GLOBAL__N_19NonZeroOpIdEEPKdlEENS0_5tupleIJPlS6_EEENSN_IJSD_SD_EEES6_PiJS6_EEE10hipError_tPvRmT3_T4_T5_T6_T7_T9_mT8_P12ihipStream_tbDpT10_ENKUlT_T0_E_clISt17integral_constantIbLb1EES1A_IbLb0EEEEDaS16_S17_EUlS16_E_NS1_11comp_targetILNS1_3genE9ELNS1_11target_archE1100ELNS1_3gpuE3ELNS1_3repE0EEENS1_30default_config_static_selectorELNS0_4arch9wavefront6targetE0EEEvT1_.num_agpr, 0
	.set _ZN7rocprim17ROCPRIM_400000_NS6detail17trampoline_kernelINS0_14default_configENS1_25partition_config_selectorILNS1_17partition_subalgoE5ElNS0_10empty_typeEbEEZZNS1_14partition_implILS5_5ELb0ES3_mN6hipcub16HIPCUB_304000_NS21CountingInputIteratorIllEEPS6_NSA_22TransformInputIteratorIbN2at6native12_GLOBAL__N_19NonZeroOpIdEEPKdlEENS0_5tupleIJPlS6_EEENSN_IJSD_SD_EEES6_PiJS6_EEE10hipError_tPvRmT3_T4_T5_T6_T7_T9_mT8_P12ihipStream_tbDpT10_ENKUlT_T0_E_clISt17integral_constantIbLb1EES1A_IbLb0EEEEDaS16_S17_EUlS16_E_NS1_11comp_targetILNS1_3genE9ELNS1_11target_archE1100ELNS1_3gpuE3ELNS1_3repE0EEENS1_30default_config_static_selectorELNS0_4arch9wavefront6targetE0EEEvT1_.numbered_sgpr, 0
	.set _ZN7rocprim17ROCPRIM_400000_NS6detail17trampoline_kernelINS0_14default_configENS1_25partition_config_selectorILNS1_17partition_subalgoE5ElNS0_10empty_typeEbEEZZNS1_14partition_implILS5_5ELb0ES3_mN6hipcub16HIPCUB_304000_NS21CountingInputIteratorIllEEPS6_NSA_22TransformInputIteratorIbN2at6native12_GLOBAL__N_19NonZeroOpIdEEPKdlEENS0_5tupleIJPlS6_EEENSN_IJSD_SD_EEES6_PiJS6_EEE10hipError_tPvRmT3_T4_T5_T6_T7_T9_mT8_P12ihipStream_tbDpT10_ENKUlT_T0_E_clISt17integral_constantIbLb1EES1A_IbLb0EEEEDaS16_S17_EUlS16_E_NS1_11comp_targetILNS1_3genE9ELNS1_11target_archE1100ELNS1_3gpuE3ELNS1_3repE0EEENS1_30default_config_static_selectorELNS0_4arch9wavefront6targetE0EEEvT1_.num_named_barrier, 0
	.set _ZN7rocprim17ROCPRIM_400000_NS6detail17trampoline_kernelINS0_14default_configENS1_25partition_config_selectorILNS1_17partition_subalgoE5ElNS0_10empty_typeEbEEZZNS1_14partition_implILS5_5ELb0ES3_mN6hipcub16HIPCUB_304000_NS21CountingInputIteratorIllEEPS6_NSA_22TransformInputIteratorIbN2at6native12_GLOBAL__N_19NonZeroOpIdEEPKdlEENS0_5tupleIJPlS6_EEENSN_IJSD_SD_EEES6_PiJS6_EEE10hipError_tPvRmT3_T4_T5_T6_T7_T9_mT8_P12ihipStream_tbDpT10_ENKUlT_T0_E_clISt17integral_constantIbLb1EES1A_IbLb0EEEEDaS16_S17_EUlS16_E_NS1_11comp_targetILNS1_3genE9ELNS1_11target_archE1100ELNS1_3gpuE3ELNS1_3repE0EEENS1_30default_config_static_selectorELNS0_4arch9wavefront6targetE0EEEvT1_.private_seg_size, 0
	.set _ZN7rocprim17ROCPRIM_400000_NS6detail17trampoline_kernelINS0_14default_configENS1_25partition_config_selectorILNS1_17partition_subalgoE5ElNS0_10empty_typeEbEEZZNS1_14partition_implILS5_5ELb0ES3_mN6hipcub16HIPCUB_304000_NS21CountingInputIteratorIllEEPS6_NSA_22TransformInputIteratorIbN2at6native12_GLOBAL__N_19NonZeroOpIdEEPKdlEENS0_5tupleIJPlS6_EEENSN_IJSD_SD_EEES6_PiJS6_EEE10hipError_tPvRmT3_T4_T5_T6_T7_T9_mT8_P12ihipStream_tbDpT10_ENKUlT_T0_E_clISt17integral_constantIbLb1EES1A_IbLb0EEEEDaS16_S17_EUlS16_E_NS1_11comp_targetILNS1_3genE9ELNS1_11target_archE1100ELNS1_3gpuE3ELNS1_3repE0EEENS1_30default_config_static_selectorELNS0_4arch9wavefront6targetE0EEEvT1_.uses_vcc, 0
	.set _ZN7rocprim17ROCPRIM_400000_NS6detail17trampoline_kernelINS0_14default_configENS1_25partition_config_selectorILNS1_17partition_subalgoE5ElNS0_10empty_typeEbEEZZNS1_14partition_implILS5_5ELb0ES3_mN6hipcub16HIPCUB_304000_NS21CountingInputIteratorIllEEPS6_NSA_22TransformInputIteratorIbN2at6native12_GLOBAL__N_19NonZeroOpIdEEPKdlEENS0_5tupleIJPlS6_EEENSN_IJSD_SD_EEES6_PiJS6_EEE10hipError_tPvRmT3_T4_T5_T6_T7_T9_mT8_P12ihipStream_tbDpT10_ENKUlT_T0_E_clISt17integral_constantIbLb1EES1A_IbLb0EEEEDaS16_S17_EUlS16_E_NS1_11comp_targetILNS1_3genE9ELNS1_11target_archE1100ELNS1_3gpuE3ELNS1_3repE0EEENS1_30default_config_static_selectorELNS0_4arch9wavefront6targetE0EEEvT1_.uses_flat_scratch, 0
	.set _ZN7rocprim17ROCPRIM_400000_NS6detail17trampoline_kernelINS0_14default_configENS1_25partition_config_selectorILNS1_17partition_subalgoE5ElNS0_10empty_typeEbEEZZNS1_14partition_implILS5_5ELb0ES3_mN6hipcub16HIPCUB_304000_NS21CountingInputIteratorIllEEPS6_NSA_22TransformInputIteratorIbN2at6native12_GLOBAL__N_19NonZeroOpIdEEPKdlEENS0_5tupleIJPlS6_EEENSN_IJSD_SD_EEES6_PiJS6_EEE10hipError_tPvRmT3_T4_T5_T6_T7_T9_mT8_P12ihipStream_tbDpT10_ENKUlT_T0_E_clISt17integral_constantIbLb1EES1A_IbLb0EEEEDaS16_S17_EUlS16_E_NS1_11comp_targetILNS1_3genE9ELNS1_11target_archE1100ELNS1_3gpuE3ELNS1_3repE0EEENS1_30default_config_static_selectorELNS0_4arch9wavefront6targetE0EEEvT1_.has_dyn_sized_stack, 0
	.set _ZN7rocprim17ROCPRIM_400000_NS6detail17trampoline_kernelINS0_14default_configENS1_25partition_config_selectorILNS1_17partition_subalgoE5ElNS0_10empty_typeEbEEZZNS1_14partition_implILS5_5ELb0ES3_mN6hipcub16HIPCUB_304000_NS21CountingInputIteratorIllEEPS6_NSA_22TransformInputIteratorIbN2at6native12_GLOBAL__N_19NonZeroOpIdEEPKdlEENS0_5tupleIJPlS6_EEENSN_IJSD_SD_EEES6_PiJS6_EEE10hipError_tPvRmT3_T4_T5_T6_T7_T9_mT8_P12ihipStream_tbDpT10_ENKUlT_T0_E_clISt17integral_constantIbLb1EES1A_IbLb0EEEEDaS16_S17_EUlS16_E_NS1_11comp_targetILNS1_3genE9ELNS1_11target_archE1100ELNS1_3gpuE3ELNS1_3repE0EEENS1_30default_config_static_selectorELNS0_4arch9wavefront6targetE0EEEvT1_.has_recursion, 0
	.set _ZN7rocprim17ROCPRIM_400000_NS6detail17trampoline_kernelINS0_14default_configENS1_25partition_config_selectorILNS1_17partition_subalgoE5ElNS0_10empty_typeEbEEZZNS1_14partition_implILS5_5ELb0ES3_mN6hipcub16HIPCUB_304000_NS21CountingInputIteratorIllEEPS6_NSA_22TransformInputIteratorIbN2at6native12_GLOBAL__N_19NonZeroOpIdEEPKdlEENS0_5tupleIJPlS6_EEENSN_IJSD_SD_EEES6_PiJS6_EEE10hipError_tPvRmT3_T4_T5_T6_T7_T9_mT8_P12ihipStream_tbDpT10_ENKUlT_T0_E_clISt17integral_constantIbLb1EES1A_IbLb0EEEEDaS16_S17_EUlS16_E_NS1_11comp_targetILNS1_3genE9ELNS1_11target_archE1100ELNS1_3gpuE3ELNS1_3repE0EEENS1_30default_config_static_selectorELNS0_4arch9wavefront6targetE0EEEvT1_.has_indirect_call, 0
	.section	.AMDGPU.csdata,"",@progbits
; Kernel info:
; codeLenInByte = 0
; TotalNumSgprs: 0
; NumVgprs: 0
; ScratchSize: 0
; MemoryBound: 0
; FloatMode: 240
; IeeeMode: 1
; LDSByteSize: 0 bytes/workgroup (compile time only)
; SGPRBlocks: 0
; VGPRBlocks: 0
; NumSGPRsForWavesPerEU: 1
; NumVGPRsForWavesPerEU: 1
; Occupancy: 16
; WaveLimiterHint : 0
; COMPUTE_PGM_RSRC2:SCRATCH_EN: 0
; COMPUTE_PGM_RSRC2:USER_SGPR: 2
; COMPUTE_PGM_RSRC2:TRAP_HANDLER: 0
; COMPUTE_PGM_RSRC2:TGID_X_EN: 1
; COMPUTE_PGM_RSRC2:TGID_Y_EN: 0
; COMPUTE_PGM_RSRC2:TGID_Z_EN: 0
; COMPUTE_PGM_RSRC2:TIDIG_COMP_CNT: 0
	.section	.text._ZN7rocprim17ROCPRIM_400000_NS6detail17trampoline_kernelINS0_14default_configENS1_25partition_config_selectorILNS1_17partition_subalgoE5ElNS0_10empty_typeEbEEZZNS1_14partition_implILS5_5ELb0ES3_mN6hipcub16HIPCUB_304000_NS21CountingInputIteratorIllEEPS6_NSA_22TransformInputIteratorIbN2at6native12_GLOBAL__N_19NonZeroOpIdEEPKdlEENS0_5tupleIJPlS6_EEENSN_IJSD_SD_EEES6_PiJS6_EEE10hipError_tPvRmT3_T4_T5_T6_T7_T9_mT8_P12ihipStream_tbDpT10_ENKUlT_T0_E_clISt17integral_constantIbLb1EES1A_IbLb0EEEEDaS16_S17_EUlS16_E_NS1_11comp_targetILNS1_3genE8ELNS1_11target_archE1030ELNS1_3gpuE2ELNS1_3repE0EEENS1_30default_config_static_selectorELNS0_4arch9wavefront6targetE0EEEvT1_,"axG",@progbits,_ZN7rocprim17ROCPRIM_400000_NS6detail17trampoline_kernelINS0_14default_configENS1_25partition_config_selectorILNS1_17partition_subalgoE5ElNS0_10empty_typeEbEEZZNS1_14partition_implILS5_5ELb0ES3_mN6hipcub16HIPCUB_304000_NS21CountingInputIteratorIllEEPS6_NSA_22TransformInputIteratorIbN2at6native12_GLOBAL__N_19NonZeroOpIdEEPKdlEENS0_5tupleIJPlS6_EEENSN_IJSD_SD_EEES6_PiJS6_EEE10hipError_tPvRmT3_T4_T5_T6_T7_T9_mT8_P12ihipStream_tbDpT10_ENKUlT_T0_E_clISt17integral_constantIbLb1EES1A_IbLb0EEEEDaS16_S17_EUlS16_E_NS1_11comp_targetILNS1_3genE8ELNS1_11target_archE1030ELNS1_3gpuE2ELNS1_3repE0EEENS1_30default_config_static_selectorELNS0_4arch9wavefront6targetE0EEEvT1_,comdat
	.globl	_ZN7rocprim17ROCPRIM_400000_NS6detail17trampoline_kernelINS0_14default_configENS1_25partition_config_selectorILNS1_17partition_subalgoE5ElNS0_10empty_typeEbEEZZNS1_14partition_implILS5_5ELb0ES3_mN6hipcub16HIPCUB_304000_NS21CountingInputIteratorIllEEPS6_NSA_22TransformInputIteratorIbN2at6native12_GLOBAL__N_19NonZeroOpIdEEPKdlEENS0_5tupleIJPlS6_EEENSN_IJSD_SD_EEES6_PiJS6_EEE10hipError_tPvRmT3_T4_T5_T6_T7_T9_mT8_P12ihipStream_tbDpT10_ENKUlT_T0_E_clISt17integral_constantIbLb1EES1A_IbLb0EEEEDaS16_S17_EUlS16_E_NS1_11comp_targetILNS1_3genE8ELNS1_11target_archE1030ELNS1_3gpuE2ELNS1_3repE0EEENS1_30default_config_static_selectorELNS0_4arch9wavefront6targetE0EEEvT1_ ; -- Begin function _ZN7rocprim17ROCPRIM_400000_NS6detail17trampoline_kernelINS0_14default_configENS1_25partition_config_selectorILNS1_17partition_subalgoE5ElNS0_10empty_typeEbEEZZNS1_14partition_implILS5_5ELb0ES3_mN6hipcub16HIPCUB_304000_NS21CountingInputIteratorIllEEPS6_NSA_22TransformInputIteratorIbN2at6native12_GLOBAL__N_19NonZeroOpIdEEPKdlEENS0_5tupleIJPlS6_EEENSN_IJSD_SD_EEES6_PiJS6_EEE10hipError_tPvRmT3_T4_T5_T6_T7_T9_mT8_P12ihipStream_tbDpT10_ENKUlT_T0_E_clISt17integral_constantIbLb1EES1A_IbLb0EEEEDaS16_S17_EUlS16_E_NS1_11comp_targetILNS1_3genE8ELNS1_11target_archE1030ELNS1_3gpuE2ELNS1_3repE0EEENS1_30default_config_static_selectorELNS0_4arch9wavefront6targetE0EEEvT1_
	.p2align	8
	.type	_ZN7rocprim17ROCPRIM_400000_NS6detail17trampoline_kernelINS0_14default_configENS1_25partition_config_selectorILNS1_17partition_subalgoE5ElNS0_10empty_typeEbEEZZNS1_14partition_implILS5_5ELb0ES3_mN6hipcub16HIPCUB_304000_NS21CountingInputIteratorIllEEPS6_NSA_22TransformInputIteratorIbN2at6native12_GLOBAL__N_19NonZeroOpIdEEPKdlEENS0_5tupleIJPlS6_EEENSN_IJSD_SD_EEES6_PiJS6_EEE10hipError_tPvRmT3_T4_T5_T6_T7_T9_mT8_P12ihipStream_tbDpT10_ENKUlT_T0_E_clISt17integral_constantIbLb1EES1A_IbLb0EEEEDaS16_S17_EUlS16_E_NS1_11comp_targetILNS1_3genE8ELNS1_11target_archE1030ELNS1_3gpuE2ELNS1_3repE0EEENS1_30default_config_static_selectorELNS0_4arch9wavefront6targetE0EEEvT1_,@function
_ZN7rocprim17ROCPRIM_400000_NS6detail17trampoline_kernelINS0_14default_configENS1_25partition_config_selectorILNS1_17partition_subalgoE5ElNS0_10empty_typeEbEEZZNS1_14partition_implILS5_5ELb0ES3_mN6hipcub16HIPCUB_304000_NS21CountingInputIteratorIllEEPS6_NSA_22TransformInputIteratorIbN2at6native12_GLOBAL__N_19NonZeroOpIdEEPKdlEENS0_5tupleIJPlS6_EEENSN_IJSD_SD_EEES6_PiJS6_EEE10hipError_tPvRmT3_T4_T5_T6_T7_T9_mT8_P12ihipStream_tbDpT10_ENKUlT_T0_E_clISt17integral_constantIbLb1EES1A_IbLb0EEEEDaS16_S17_EUlS16_E_NS1_11comp_targetILNS1_3genE8ELNS1_11target_archE1030ELNS1_3gpuE2ELNS1_3repE0EEENS1_30default_config_static_selectorELNS0_4arch9wavefront6targetE0EEEvT1_: ; @_ZN7rocprim17ROCPRIM_400000_NS6detail17trampoline_kernelINS0_14default_configENS1_25partition_config_selectorILNS1_17partition_subalgoE5ElNS0_10empty_typeEbEEZZNS1_14partition_implILS5_5ELb0ES3_mN6hipcub16HIPCUB_304000_NS21CountingInputIteratorIllEEPS6_NSA_22TransformInputIteratorIbN2at6native12_GLOBAL__N_19NonZeroOpIdEEPKdlEENS0_5tupleIJPlS6_EEENSN_IJSD_SD_EEES6_PiJS6_EEE10hipError_tPvRmT3_T4_T5_T6_T7_T9_mT8_P12ihipStream_tbDpT10_ENKUlT_T0_E_clISt17integral_constantIbLb1EES1A_IbLb0EEEEDaS16_S17_EUlS16_E_NS1_11comp_targetILNS1_3genE8ELNS1_11target_archE1030ELNS1_3gpuE2ELNS1_3repE0EEENS1_30default_config_static_selectorELNS0_4arch9wavefront6targetE0EEEvT1_
; %bb.0:
	.section	.rodata,"a",@progbits
	.p2align	6, 0x0
	.amdhsa_kernel _ZN7rocprim17ROCPRIM_400000_NS6detail17trampoline_kernelINS0_14default_configENS1_25partition_config_selectorILNS1_17partition_subalgoE5ElNS0_10empty_typeEbEEZZNS1_14partition_implILS5_5ELb0ES3_mN6hipcub16HIPCUB_304000_NS21CountingInputIteratorIllEEPS6_NSA_22TransformInputIteratorIbN2at6native12_GLOBAL__N_19NonZeroOpIdEEPKdlEENS0_5tupleIJPlS6_EEENSN_IJSD_SD_EEES6_PiJS6_EEE10hipError_tPvRmT3_T4_T5_T6_T7_T9_mT8_P12ihipStream_tbDpT10_ENKUlT_T0_E_clISt17integral_constantIbLb1EES1A_IbLb0EEEEDaS16_S17_EUlS16_E_NS1_11comp_targetILNS1_3genE8ELNS1_11target_archE1030ELNS1_3gpuE2ELNS1_3repE0EEENS1_30default_config_static_selectorELNS0_4arch9wavefront6targetE0EEEvT1_
		.amdhsa_group_segment_fixed_size 0
		.amdhsa_private_segment_fixed_size 0
		.amdhsa_kernarg_size 120
		.amdhsa_user_sgpr_count 2
		.amdhsa_user_sgpr_dispatch_ptr 0
		.amdhsa_user_sgpr_queue_ptr 0
		.amdhsa_user_sgpr_kernarg_segment_ptr 1
		.amdhsa_user_sgpr_dispatch_id 0
		.amdhsa_user_sgpr_private_segment_size 0
		.amdhsa_wavefront_size32 1
		.amdhsa_uses_dynamic_stack 0
		.amdhsa_enable_private_segment 0
		.amdhsa_system_sgpr_workgroup_id_x 1
		.amdhsa_system_sgpr_workgroup_id_y 0
		.amdhsa_system_sgpr_workgroup_id_z 0
		.amdhsa_system_sgpr_workgroup_info 0
		.amdhsa_system_vgpr_workitem_id 0
		.amdhsa_next_free_vgpr 1
		.amdhsa_next_free_sgpr 1
		.amdhsa_reserve_vcc 0
		.amdhsa_float_round_mode_32 0
		.amdhsa_float_round_mode_16_64 0
		.amdhsa_float_denorm_mode_32 3
		.amdhsa_float_denorm_mode_16_64 3
		.amdhsa_fp16_overflow 0
		.amdhsa_workgroup_processor_mode 1
		.amdhsa_memory_ordered 1
		.amdhsa_forward_progress 1
		.amdhsa_inst_pref_size 0
		.amdhsa_round_robin_scheduling 0
		.amdhsa_exception_fp_ieee_invalid_op 0
		.amdhsa_exception_fp_denorm_src 0
		.amdhsa_exception_fp_ieee_div_zero 0
		.amdhsa_exception_fp_ieee_overflow 0
		.amdhsa_exception_fp_ieee_underflow 0
		.amdhsa_exception_fp_ieee_inexact 0
		.amdhsa_exception_int_div_zero 0
	.end_amdhsa_kernel
	.section	.text._ZN7rocprim17ROCPRIM_400000_NS6detail17trampoline_kernelINS0_14default_configENS1_25partition_config_selectorILNS1_17partition_subalgoE5ElNS0_10empty_typeEbEEZZNS1_14partition_implILS5_5ELb0ES3_mN6hipcub16HIPCUB_304000_NS21CountingInputIteratorIllEEPS6_NSA_22TransformInputIteratorIbN2at6native12_GLOBAL__N_19NonZeroOpIdEEPKdlEENS0_5tupleIJPlS6_EEENSN_IJSD_SD_EEES6_PiJS6_EEE10hipError_tPvRmT3_T4_T5_T6_T7_T9_mT8_P12ihipStream_tbDpT10_ENKUlT_T0_E_clISt17integral_constantIbLb1EES1A_IbLb0EEEEDaS16_S17_EUlS16_E_NS1_11comp_targetILNS1_3genE8ELNS1_11target_archE1030ELNS1_3gpuE2ELNS1_3repE0EEENS1_30default_config_static_selectorELNS0_4arch9wavefront6targetE0EEEvT1_,"axG",@progbits,_ZN7rocprim17ROCPRIM_400000_NS6detail17trampoline_kernelINS0_14default_configENS1_25partition_config_selectorILNS1_17partition_subalgoE5ElNS0_10empty_typeEbEEZZNS1_14partition_implILS5_5ELb0ES3_mN6hipcub16HIPCUB_304000_NS21CountingInputIteratorIllEEPS6_NSA_22TransformInputIteratorIbN2at6native12_GLOBAL__N_19NonZeroOpIdEEPKdlEENS0_5tupleIJPlS6_EEENSN_IJSD_SD_EEES6_PiJS6_EEE10hipError_tPvRmT3_T4_T5_T6_T7_T9_mT8_P12ihipStream_tbDpT10_ENKUlT_T0_E_clISt17integral_constantIbLb1EES1A_IbLb0EEEEDaS16_S17_EUlS16_E_NS1_11comp_targetILNS1_3genE8ELNS1_11target_archE1030ELNS1_3gpuE2ELNS1_3repE0EEENS1_30default_config_static_selectorELNS0_4arch9wavefront6targetE0EEEvT1_,comdat
.Lfunc_end413:
	.size	_ZN7rocprim17ROCPRIM_400000_NS6detail17trampoline_kernelINS0_14default_configENS1_25partition_config_selectorILNS1_17partition_subalgoE5ElNS0_10empty_typeEbEEZZNS1_14partition_implILS5_5ELb0ES3_mN6hipcub16HIPCUB_304000_NS21CountingInputIteratorIllEEPS6_NSA_22TransformInputIteratorIbN2at6native12_GLOBAL__N_19NonZeroOpIdEEPKdlEENS0_5tupleIJPlS6_EEENSN_IJSD_SD_EEES6_PiJS6_EEE10hipError_tPvRmT3_T4_T5_T6_T7_T9_mT8_P12ihipStream_tbDpT10_ENKUlT_T0_E_clISt17integral_constantIbLb1EES1A_IbLb0EEEEDaS16_S17_EUlS16_E_NS1_11comp_targetILNS1_3genE8ELNS1_11target_archE1030ELNS1_3gpuE2ELNS1_3repE0EEENS1_30default_config_static_selectorELNS0_4arch9wavefront6targetE0EEEvT1_, .Lfunc_end413-_ZN7rocprim17ROCPRIM_400000_NS6detail17trampoline_kernelINS0_14default_configENS1_25partition_config_selectorILNS1_17partition_subalgoE5ElNS0_10empty_typeEbEEZZNS1_14partition_implILS5_5ELb0ES3_mN6hipcub16HIPCUB_304000_NS21CountingInputIteratorIllEEPS6_NSA_22TransformInputIteratorIbN2at6native12_GLOBAL__N_19NonZeroOpIdEEPKdlEENS0_5tupleIJPlS6_EEENSN_IJSD_SD_EEES6_PiJS6_EEE10hipError_tPvRmT3_T4_T5_T6_T7_T9_mT8_P12ihipStream_tbDpT10_ENKUlT_T0_E_clISt17integral_constantIbLb1EES1A_IbLb0EEEEDaS16_S17_EUlS16_E_NS1_11comp_targetILNS1_3genE8ELNS1_11target_archE1030ELNS1_3gpuE2ELNS1_3repE0EEENS1_30default_config_static_selectorELNS0_4arch9wavefront6targetE0EEEvT1_
                                        ; -- End function
	.set _ZN7rocprim17ROCPRIM_400000_NS6detail17trampoline_kernelINS0_14default_configENS1_25partition_config_selectorILNS1_17partition_subalgoE5ElNS0_10empty_typeEbEEZZNS1_14partition_implILS5_5ELb0ES3_mN6hipcub16HIPCUB_304000_NS21CountingInputIteratorIllEEPS6_NSA_22TransformInputIteratorIbN2at6native12_GLOBAL__N_19NonZeroOpIdEEPKdlEENS0_5tupleIJPlS6_EEENSN_IJSD_SD_EEES6_PiJS6_EEE10hipError_tPvRmT3_T4_T5_T6_T7_T9_mT8_P12ihipStream_tbDpT10_ENKUlT_T0_E_clISt17integral_constantIbLb1EES1A_IbLb0EEEEDaS16_S17_EUlS16_E_NS1_11comp_targetILNS1_3genE8ELNS1_11target_archE1030ELNS1_3gpuE2ELNS1_3repE0EEENS1_30default_config_static_selectorELNS0_4arch9wavefront6targetE0EEEvT1_.num_vgpr, 0
	.set _ZN7rocprim17ROCPRIM_400000_NS6detail17trampoline_kernelINS0_14default_configENS1_25partition_config_selectorILNS1_17partition_subalgoE5ElNS0_10empty_typeEbEEZZNS1_14partition_implILS5_5ELb0ES3_mN6hipcub16HIPCUB_304000_NS21CountingInputIteratorIllEEPS6_NSA_22TransformInputIteratorIbN2at6native12_GLOBAL__N_19NonZeroOpIdEEPKdlEENS0_5tupleIJPlS6_EEENSN_IJSD_SD_EEES6_PiJS6_EEE10hipError_tPvRmT3_T4_T5_T6_T7_T9_mT8_P12ihipStream_tbDpT10_ENKUlT_T0_E_clISt17integral_constantIbLb1EES1A_IbLb0EEEEDaS16_S17_EUlS16_E_NS1_11comp_targetILNS1_3genE8ELNS1_11target_archE1030ELNS1_3gpuE2ELNS1_3repE0EEENS1_30default_config_static_selectorELNS0_4arch9wavefront6targetE0EEEvT1_.num_agpr, 0
	.set _ZN7rocprim17ROCPRIM_400000_NS6detail17trampoline_kernelINS0_14default_configENS1_25partition_config_selectorILNS1_17partition_subalgoE5ElNS0_10empty_typeEbEEZZNS1_14partition_implILS5_5ELb0ES3_mN6hipcub16HIPCUB_304000_NS21CountingInputIteratorIllEEPS6_NSA_22TransformInputIteratorIbN2at6native12_GLOBAL__N_19NonZeroOpIdEEPKdlEENS0_5tupleIJPlS6_EEENSN_IJSD_SD_EEES6_PiJS6_EEE10hipError_tPvRmT3_T4_T5_T6_T7_T9_mT8_P12ihipStream_tbDpT10_ENKUlT_T0_E_clISt17integral_constantIbLb1EES1A_IbLb0EEEEDaS16_S17_EUlS16_E_NS1_11comp_targetILNS1_3genE8ELNS1_11target_archE1030ELNS1_3gpuE2ELNS1_3repE0EEENS1_30default_config_static_selectorELNS0_4arch9wavefront6targetE0EEEvT1_.numbered_sgpr, 0
	.set _ZN7rocprim17ROCPRIM_400000_NS6detail17trampoline_kernelINS0_14default_configENS1_25partition_config_selectorILNS1_17partition_subalgoE5ElNS0_10empty_typeEbEEZZNS1_14partition_implILS5_5ELb0ES3_mN6hipcub16HIPCUB_304000_NS21CountingInputIteratorIllEEPS6_NSA_22TransformInputIteratorIbN2at6native12_GLOBAL__N_19NonZeroOpIdEEPKdlEENS0_5tupleIJPlS6_EEENSN_IJSD_SD_EEES6_PiJS6_EEE10hipError_tPvRmT3_T4_T5_T6_T7_T9_mT8_P12ihipStream_tbDpT10_ENKUlT_T0_E_clISt17integral_constantIbLb1EES1A_IbLb0EEEEDaS16_S17_EUlS16_E_NS1_11comp_targetILNS1_3genE8ELNS1_11target_archE1030ELNS1_3gpuE2ELNS1_3repE0EEENS1_30default_config_static_selectorELNS0_4arch9wavefront6targetE0EEEvT1_.num_named_barrier, 0
	.set _ZN7rocprim17ROCPRIM_400000_NS6detail17trampoline_kernelINS0_14default_configENS1_25partition_config_selectorILNS1_17partition_subalgoE5ElNS0_10empty_typeEbEEZZNS1_14partition_implILS5_5ELb0ES3_mN6hipcub16HIPCUB_304000_NS21CountingInputIteratorIllEEPS6_NSA_22TransformInputIteratorIbN2at6native12_GLOBAL__N_19NonZeroOpIdEEPKdlEENS0_5tupleIJPlS6_EEENSN_IJSD_SD_EEES6_PiJS6_EEE10hipError_tPvRmT3_T4_T5_T6_T7_T9_mT8_P12ihipStream_tbDpT10_ENKUlT_T0_E_clISt17integral_constantIbLb1EES1A_IbLb0EEEEDaS16_S17_EUlS16_E_NS1_11comp_targetILNS1_3genE8ELNS1_11target_archE1030ELNS1_3gpuE2ELNS1_3repE0EEENS1_30default_config_static_selectorELNS0_4arch9wavefront6targetE0EEEvT1_.private_seg_size, 0
	.set _ZN7rocprim17ROCPRIM_400000_NS6detail17trampoline_kernelINS0_14default_configENS1_25partition_config_selectorILNS1_17partition_subalgoE5ElNS0_10empty_typeEbEEZZNS1_14partition_implILS5_5ELb0ES3_mN6hipcub16HIPCUB_304000_NS21CountingInputIteratorIllEEPS6_NSA_22TransformInputIteratorIbN2at6native12_GLOBAL__N_19NonZeroOpIdEEPKdlEENS0_5tupleIJPlS6_EEENSN_IJSD_SD_EEES6_PiJS6_EEE10hipError_tPvRmT3_T4_T5_T6_T7_T9_mT8_P12ihipStream_tbDpT10_ENKUlT_T0_E_clISt17integral_constantIbLb1EES1A_IbLb0EEEEDaS16_S17_EUlS16_E_NS1_11comp_targetILNS1_3genE8ELNS1_11target_archE1030ELNS1_3gpuE2ELNS1_3repE0EEENS1_30default_config_static_selectorELNS0_4arch9wavefront6targetE0EEEvT1_.uses_vcc, 0
	.set _ZN7rocprim17ROCPRIM_400000_NS6detail17trampoline_kernelINS0_14default_configENS1_25partition_config_selectorILNS1_17partition_subalgoE5ElNS0_10empty_typeEbEEZZNS1_14partition_implILS5_5ELb0ES3_mN6hipcub16HIPCUB_304000_NS21CountingInputIteratorIllEEPS6_NSA_22TransformInputIteratorIbN2at6native12_GLOBAL__N_19NonZeroOpIdEEPKdlEENS0_5tupleIJPlS6_EEENSN_IJSD_SD_EEES6_PiJS6_EEE10hipError_tPvRmT3_T4_T5_T6_T7_T9_mT8_P12ihipStream_tbDpT10_ENKUlT_T0_E_clISt17integral_constantIbLb1EES1A_IbLb0EEEEDaS16_S17_EUlS16_E_NS1_11comp_targetILNS1_3genE8ELNS1_11target_archE1030ELNS1_3gpuE2ELNS1_3repE0EEENS1_30default_config_static_selectorELNS0_4arch9wavefront6targetE0EEEvT1_.uses_flat_scratch, 0
	.set _ZN7rocprim17ROCPRIM_400000_NS6detail17trampoline_kernelINS0_14default_configENS1_25partition_config_selectorILNS1_17partition_subalgoE5ElNS0_10empty_typeEbEEZZNS1_14partition_implILS5_5ELb0ES3_mN6hipcub16HIPCUB_304000_NS21CountingInputIteratorIllEEPS6_NSA_22TransformInputIteratorIbN2at6native12_GLOBAL__N_19NonZeroOpIdEEPKdlEENS0_5tupleIJPlS6_EEENSN_IJSD_SD_EEES6_PiJS6_EEE10hipError_tPvRmT3_T4_T5_T6_T7_T9_mT8_P12ihipStream_tbDpT10_ENKUlT_T0_E_clISt17integral_constantIbLb1EES1A_IbLb0EEEEDaS16_S17_EUlS16_E_NS1_11comp_targetILNS1_3genE8ELNS1_11target_archE1030ELNS1_3gpuE2ELNS1_3repE0EEENS1_30default_config_static_selectorELNS0_4arch9wavefront6targetE0EEEvT1_.has_dyn_sized_stack, 0
	.set _ZN7rocprim17ROCPRIM_400000_NS6detail17trampoline_kernelINS0_14default_configENS1_25partition_config_selectorILNS1_17partition_subalgoE5ElNS0_10empty_typeEbEEZZNS1_14partition_implILS5_5ELb0ES3_mN6hipcub16HIPCUB_304000_NS21CountingInputIteratorIllEEPS6_NSA_22TransformInputIteratorIbN2at6native12_GLOBAL__N_19NonZeroOpIdEEPKdlEENS0_5tupleIJPlS6_EEENSN_IJSD_SD_EEES6_PiJS6_EEE10hipError_tPvRmT3_T4_T5_T6_T7_T9_mT8_P12ihipStream_tbDpT10_ENKUlT_T0_E_clISt17integral_constantIbLb1EES1A_IbLb0EEEEDaS16_S17_EUlS16_E_NS1_11comp_targetILNS1_3genE8ELNS1_11target_archE1030ELNS1_3gpuE2ELNS1_3repE0EEENS1_30default_config_static_selectorELNS0_4arch9wavefront6targetE0EEEvT1_.has_recursion, 0
	.set _ZN7rocprim17ROCPRIM_400000_NS6detail17trampoline_kernelINS0_14default_configENS1_25partition_config_selectorILNS1_17partition_subalgoE5ElNS0_10empty_typeEbEEZZNS1_14partition_implILS5_5ELb0ES3_mN6hipcub16HIPCUB_304000_NS21CountingInputIteratorIllEEPS6_NSA_22TransformInputIteratorIbN2at6native12_GLOBAL__N_19NonZeroOpIdEEPKdlEENS0_5tupleIJPlS6_EEENSN_IJSD_SD_EEES6_PiJS6_EEE10hipError_tPvRmT3_T4_T5_T6_T7_T9_mT8_P12ihipStream_tbDpT10_ENKUlT_T0_E_clISt17integral_constantIbLb1EES1A_IbLb0EEEEDaS16_S17_EUlS16_E_NS1_11comp_targetILNS1_3genE8ELNS1_11target_archE1030ELNS1_3gpuE2ELNS1_3repE0EEENS1_30default_config_static_selectorELNS0_4arch9wavefront6targetE0EEEvT1_.has_indirect_call, 0
	.section	.AMDGPU.csdata,"",@progbits
; Kernel info:
; codeLenInByte = 0
; TotalNumSgprs: 0
; NumVgprs: 0
; ScratchSize: 0
; MemoryBound: 0
; FloatMode: 240
; IeeeMode: 1
; LDSByteSize: 0 bytes/workgroup (compile time only)
; SGPRBlocks: 0
; VGPRBlocks: 0
; NumSGPRsForWavesPerEU: 1
; NumVGPRsForWavesPerEU: 1
; Occupancy: 16
; WaveLimiterHint : 0
; COMPUTE_PGM_RSRC2:SCRATCH_EN: 0
; COMPUTE_PGM_RSRC2:USER_SGPR: 2
; COMPUTE_PGM_RSRC2:TRAP_HANDLER: 0
; COMPUTE_PGM_RSRC2:TGID_X_EN: 1
; COMPUTE_PGM_RSRC2:TGID_Y_EN: 0
; COMPUTE_PGM_RSRC2:TGID_Z_EN: 0
; COMPUTE_PGM_RSRC2:TIDIG_COMP_CNT: 0
	.section	.text._ZN7rocprim17ROCPRIM_400000_NS6detail17trampoline_kernelINS0_14default_configENS1_25partition_config_selectorILNS1_17partition_subalgoE5ElNS0_10empty_typeEbEEZZNS1_14partition_implILS5_5ELb0ES3_mN6hipcub16HIPCUB_304000_NS21CountingInputIteratorIllEEPS6_NSA_22TransformInputIteratorIbN2at6native12_GLOBAL__N_19NonZeroOpIdEEPKdlEENS0_5tupleIJPlS6_EEENSN_IJSD_SD_EEES6_PiJS6_EEE10hipError_tPvRmT3_T4_T5_T6_T7_T9_mT8_P12ihipStream_tbDpT10_ENKUlT_T0_E_clISt17integral_constantIbLb0EES1A_IbLb1EEEEDaS16_S17_EUlS16_E_NS1_11comp_targetILNS1_3genE0ELNS1_11target_archE4294967295ELNS1_3gpuE0ELNS1_3repE0EEENS1_30default_config_static_selectorELNS0_4arch9wavefront6targetE0EEEvT1_,"axG",@progbits,_ZN7rocprim17ROCPRIM_400000_NS6detail17trampoline_kernelINS0_14default_configENS1_25partition_config_selectorILNS1_17partition_subalgoE5ElNS0_10empty_typeEbEEZZNS1_14partition_implILS5_5ELb0ES3_mN6hipcub16HIPCUB_304000_NS21CountingInputIteratorIllEEPS6_NSA_22TransformInputIteratorIbN2at6native12_GLOBAL__N_19NonZeroOpIdEEPKdlEENS0_5tupleIJPlS6_EEENSN_IJSD_SD_EEES6_PiJS6_EEE10hipError_tPvRmT3_T4_T5_T6_T7_T9_mT8_P12ihipStream_tbDpT10_ENKUlT_T0_E_clISt17integral_constantIbLb0EES1A_IbLb1EEEEDaS16_S17_EUlS16_E_NS1_11comp_targetILNS1_3genE0ELNS1_11target_archE4294967295ELNS1_3gpuE0ELNS1_3repE0EEENS1_30default_config_static_selectorELNS0_4arch9wavefront6targetE0EEEvT1_,comdat
	.globl	_ZN7rocprim17ROCPRIM_400000_NS6detail17trampoline_kernelINS0_14default_configENS1_25partition_config_selectorILNS1_17partition_subalgoE5ElNS0_10empty_typeEbEEZZNS1_14partition_implILS5_5ELb0ES3_mN6hipcub16HIPCUB_304000_NS21CountingInputIteratorIllEEPS6_NSA_22TransformInputIteratorIbN2at6native12_GLOBAL__N_19NonZeroOpIdEEPKdlEENS0_5tupleIJPlS6_EEENSN_IJSD_SD_EEES6_PiJS6_EEE10hipError_tPvRmT3_T4_T5_T6_T7_T9_mT8_P12ihipStream_tbDpT10_ENKUlT_T0_E_clISt17integral_constantIbLb0EES1A_IbLb1EEEEDaS16_S17_EUlS16_E_NS1_11comp_targetILNS1_3genE0ELNS1_11target_archE4294967295ELNS1_3gpuE0ELNS1_3repE0EEENS1_30default_config_static_selectorELNS0_4arch9wavefront6targetE0EEEvT1_ ; -- Begin function _ZN7rocprim17ROCPRIM_400000_NS6detail17trampoline_kernelINS0_14default_configENS1_25partition_config_selectorILNS1_17partition_subalgoE5ElNS0_10empty_typeEbEEZZNS1_14partition_implILS5_5ELb0ES3_mN6hipcub16HIPCUB_304000_NS21CountingInputIteratorIllEEPS6_NSA_22TransformInputIteratorIbN2at6native12_GLOBAL__N_19NonZeroOpIdEEPKdlEENS0_5tupleIJPlS6_EEENSN_IJSD_SD_EEES6_PiJS6_EEE10hipError_tPvRmT3_T4_T5_T6_T7_T9_mT8_P12ihipStream_tbDpT10_ENKUlT_T0_E_clISt17integral_constantIbLb0EES1A_IbLb1EEEEDaS16_S17_EUlS16_E_NS1_11comp_targetILNS1_3genE0ELNS1_11target_archE4294967295ELNS1_3gpuE0ELNS1_3repE0EEENS1_30default_config_static_selectorELNS0_4arch9wavefront6targetE0EEEvT1_
	.p2align	8
	.type	_ZN7rocprim17ROCPRIM_400000_NS6detail17trampoline_kernelINS0_14default_configENS1_25partition_config_selectorILNS1_17partition_subalgoE5ElNS0_10empty_typeEbEEZZNS1_14partition_implILS5_5ELb0ES3_mN6hipcub16HIPCUB_304000_NS21CountingInputIteratorIllEEPS6_NSA_22TransformInputIteratorIbN2at6native12_GLOBAL__N_19NonZeroOpIdEEPKdlEENS0_5tupleIJPlS6_EEENSN_IJSD_SD_EEES6_PiJS6_EEE10hipError_tPvRmT3_T4_T5_T6_T7_T9_mT8_P12ihipStream_tbDpT10_ENKUlT_T0_E_clISt17integral_constantIbLb0EES1A_IbLb1EEEEDaS16_S17_EUlS16_E_NS1_11comp_targetILNS1_3genE0ELNS1_11target_archE4294967295ELNS1_3gpuE0ELNS1_3repE0EEENS1_30default_config_static_selectorELNS0_4arch9wavefront6targetE0EEEvT1_,@function
_ZN7rocprim17ROCPRIM_400000_NS6detail17trampoline_kernelINS0_14default_configENS1_25partition_config_selectorILNS1_17partition_subalgoE5ElNS0_10empty_typeEbEEZZNS1_14partition_implILS5_5ELb0ES3_mN6hipcub16HIPCUB_304000_NS21CountingInputIteratorIllEEPS6_NSA_22TransformInputIteratorIbN2at6native12_GLOBAL__N_19NonZeroOpIdEEPKdlEENS0_5tupleIJPlS6_EEENSN_IJSD_SD_EEES6_PiJS6_EEE10hipError_tPvRmT3_T4_T5_T6_T7_T9_mT8_P12ihipStream_tbDpT10_ENKUlT_T0_E_clISt17integral_constantIbLb0EES1A_IbLb1EEEEDaS16_S17_EUlS16_E_NS1_11comp_targetILNS1_3genE0ELNS1_11target_archE4294967295ELNS1_3gpuE0ELNS1_3repE0EEENS1_30default_config_static_selectorELNS0_4arch9wavefront6targetE0EEEvT1_: ; @_ZN7rocprim17ROCPRIM_400000_NS6detail17trampoline_kernelINS0_14default_configENS1_25partition_config_selectorILNS1_17partition_subalgoE5ElNS0_10empty_typeEbEEZZNS1_14partition_implILS5_5ELb0ES3_mN6hipcub16HIPCUB_304000_NS21CountingInputIteratorIllEEPS6_NSA_22TransformInputIteratorIbN2at6native12_GLOBAL__N_19NonZeroOpIdEEPKdlEENS0_5tupleIJPlS6_EEENSN_IJSD_SD_EEES6_PiJS6_EEE10hipError_tPvRmT3_T4_T5_T6_T7_T9_mT8_P12ihipStream_tbDpT10_ENKUlT_T0_E_clISt17integral_constantIbLb0EES1A_IbLb1EEEEDaS16_S17_EUlS16_E_NS1_11comp_targetILNS1_3genE0ELNS1_11target_archE4294967295ELNS1_3gpuE0ELNS1_3repE0EEENS1_30default_config_static_selectorELNS0_4arch9wavefront6targetE0EEEvT1_
; %bb.0:
	.section	.rodata,"a",@progbits
	.p2align	6, 0x0
	.amdhsa_kernel _ZN7rocprim17ROCPRIM_400000_NS6detail17trampoline_kernelINS0_14default_configENS1_25partition_config_selectorILNS1_17partition_subalgoE5ElNS0_10empty_typeEbEEZZNS1_14partition_implILS5_5ELb0ES3_mN6hipcub16HIPCUB_304000_NS21CountingInputIteratorIllEEPS6_NSA_22TransformInputIteratorIbN2at6native12_GLOBAL__N_19NonZeroOpIdEEPKdlEENS0_5tupleIJPlS6_EEENSN_IJSD_SD_EEES6_PiJS6_EEE10hipError_tPvRmT3_T4_T5_T6_T7_T9_mT8_P12ihipStream_tbDpT10_ENKUlT_T0_E_clISt17integral_constantIbLb0EES1A_IbLb1EEEEDaS16_S17_EUlS16_E_NS1_11comp_targetILNS1_3genE0ELNS1_11target_archE4294967295ELNS1_3gpuE0ELNS1_3repE0EEENS1_30default_config_static_selectorELNS0_4arch9wavefront6targetE0EEEvT1_
		.amdhsa_group_segment_fixed_size 0
		.amdhsa_private_segment_fixed_size 0
		.amdhsa_kernarg_size 136
		.amdhsa_user_sgpr_count 2
		.amdhsa_user_sgpr_dispatch_ptr 0
		.amdhsa_user_sgpr_queue_ptr 0
		.amdhsa_user_sgpr_kernarg_segment_ptr 1
		.amdhsa_user_sgpr_dispatch_id 0
		.amdhsa_user_sgpr_private_segment_size 0
		.amdhsa_wavefront_size32 1
		.amdhsa_uses_dynamic_stack 0
		.amdhsa_enable_private_segment 0
		.amdhsa_system_sgpr_workgroup_id_x 1
		.amdhsa_system_sgpr_workgroup_id_y 0
		.amdhsa_system_sgpr_workgroup_id_z 0
		.amdhsa_system_sgpr_workgroup_info 0
		.amdhsa_system_vgpr_workitem_id 0
		.amdhsa_next_free_vgpr 1
		.amdhsa_next_free_sgpr 1
		.amdhsa_reserve_vcc 0
		.amdhsa_float_round_mode_32 0
		.amdhsa_float_round_mode_16_64 0
		.amdhsa_float_denorm_mode_32 3
		.amdhsa_float_denorm_mode_16_64 3
		.amdhsa_fp16_overflow 0
		.amdhsa_workgroup_processor_mode 1
		.amdhsa_memory_ordered 1
		.amdhsa_forward_progress 1
		.amdhsa_inst_pref_size 0
		.amdhsa_round_robin_scheduling 0
		.amdhsa_exception_fp_ieee_invalid_op 0
		.amdhsa_exception_fp_denorm_src 0
		.amdhsa_exception_fp_ieee_div_zero 0
		.amdhsa_exception_fp_ieee_overflow 0
		.amdhsa_exception_fp_ieee_underflow 0
		.amdhsa_exception_fp_ieee_inexact 0
		.amdhsa_exception_int_div_zero 0
	.end_amdhsa_kernel
	.section	.text._ZN7rocprim17ROCPRIM_400000_NS6detail17trampoline_kernelINS0_14default_configENS1_25partition_config_selectorILNS1_17partition_subalgoE5ElNS0_10empty_typeEbEEZZNS1_14partition_implILS5_5ELb0ES3_mN6hipcub16HIPCUB_304000_NS21CountingInputIteratorIllEEPS6_NSA_22TransformInputIteratorIbN2at6native12_GLOBAL__N_19NonZeroOpIdEEPKdlEENS0_5tupleIJPlS6_EEENSN_IJSD_SD_EEES6_PiJS6_EEE10hipError_tPvRmT3_T4_T5_T6_T7_T9_mT8_P12ihipStream_tbDpT10_ENKUlT_T0_E_clISt17integral_constantIbLb0EES1A_IbLb1EEEEDaS16_S17_EUlS16_E_NS1_11comp_targetILNS1_3genE0ELNS1_11target_archE4294967295ELNS1_3gpuE0ELNS1_3repE0EEENS1_30default_config_static_selectorELNS0_4arch9wavefront6targetE0EEEvT1_,"axG",@progbits,_ZN7rocprim17ROCPRIM_400000_NS6detail17trampoline_kernelINS0_14default_configENS1_25partition_config_selectorILNS1_17partition_subalgoE5ElNS0_10empty_typeEbEEZZNS1_14partition_implILS5_5ELb0ES3_mN6hipcub16HIPCUB_304000_NS21CountingInputIteratorIllEEPS6_NSA_22TransformInputIteratorIbN2at6native12_GLOBAL__N_19NonZeroOpIdEEPKdlEENS0_5tupleIJPlS6_EEENSN_IJSD_SD_EEES6_PiJS6_EEE10hipError_tPvRmT3_T4_T5_T6_T7_T9_mT8_P12ihipStream_tbDpT10_ENKUlT_T0_E_clISt17integral_constantIbLb0EES1A_IbLb1EEEEDaS16_S17_EUlS16_E_NS1_11comp_targetILNS1_3genE0ELNS1_11target_archE4294967295ELNS1_3gpuE0ELNS1_3repE0EEENS1_30default_config_static_selectorELNS0_4arch9wavefront6targetE0EEEvT1_,comdat
.Lfunc_end414:
	.size	_ZN7rocprim17ROCPRIM_400000_NS6detail17trampoline_kernelINS0_14default_configENS1_25partition_config_selectorILNS1_17partition_subalgoE5ElNS0_10empty_typeEbEEZZNS1_14partition_implILS5_5ELb0ES3_mN6hipcub16HIPCUB_304000_NS21CountingInputIteratorIllEEPS6_NSA_22TransformInputIteratorIbN2at6native12_GLOBAL__N_19NonZeroOpIdEEPKdlEENS0_5tupleIJPlS6_EEENSN_IJSD_SD_EEES6_PiJS6_EEE10hipError_tPvRmT3_T4_T5_T6_T7_T9_mT8_P12ihipStream_tbDpT10_ENKUlT_T0_E_clISt17integral_constantIbLb0EES1A_IbLb1EEEEDaS16_S17_EUlS16_E_NS1_11comp_targetILNS1_3genE0ELNS1_11target_archE4294967295ELNS1_3gpuE0ELNS1_3repE0EEENS1_30default_config_static_selectorELNS0_4arch9wavefront6targetE0EEEvT1_, .Lfunc_end414-_ZN7rocprim17ROCPRIM_400000_NS6detail17trampoline_kernelINS0_14default_configENS1_25partition_config_selectorILNS1_17partition_subalgoE5ElNS0_10empty_typeEbEEZZNS1_14partition_implILS5_5ELb0ES3_mN6hipcub16HIPCUB_304000_NS21CountingInputIteratorIllEEPS6_NSA_22TransformInputIteratorIbN2at6native12_GLOBAL__N_19NonZeroOpIdEEPKdlEENS0_5tupleIJPlS6_EEENSN_IJSD_SD_EEES6_PiJS6_EEE10hipError_tPvRmT3_T4_T5_T6_T7_T9_mT8_P12ihipStream_tbDpT10_ENKUlT_T0_E_clISt17integral_constantIbLb0EES1A_IbLb1EEEEDaS16_S17_EUlS16_E_NS1_11comp_targetILNS1_3genE0ELNS1_11target_archE4294967295ELNS1_3gpuE0ELNS1_3repE0EEENS1_30default_config_static_selectorELNS0_4arch9wavefront6targetE0EEEvT1_
                                        ; -- End function
	.set _ZN7rocprim17ROCPRIM_400000_NS6detail17trampoline_kernelINS0_14default_configENS1_25partition_config_selectorILNS1_17partition_subalgoE5ElNS0_10empty_typeEbEEZZNS1_14partition_implILS5_5ELb0ES3_mN6hipcub16HIPCUB_304000_NS21CountingInputIteratorIllEEPS6_NSA_22TransformInputIteratorIbN2at6native12_GLOBAL__N_19NonZeroOpIdEEPKdlEENS0_5tupleIJPlS6_EEENSN_IJSD_SD_EEES6_PiJS6_EEE10hipError_tPvRmT3_T4_T5_T6_T7_T9_mT8_P12ihipStream_tbDpT10_ENKUlT_T0_E_clISt17integral_constantIbLb0EES1A_IbLb1EEEEDaS16_S17_EUlS16_E_NS1_11comp_targetILNS1_3genE0ELNS1_11target_archE4294967295ELNS1_3gpuE0ELNS1_3repE0EEENS1_30default_config_static_selectorELNS0_4arch9wavefront6targetE0EEEvT1_.num_vgpr, 0
	.set _ZN7rocprim17ROCPRIM_400000_NS6detail17trampoline_kernelINS0_14default_configENS1_25partition_config_selectorILNS1_17partition_subalgoE5ElNS0_10empty_typeEbEEZZNS1_14partition_implILS5_5ELb0ES3_mN6hipcub16HIPCUB_304000_NS21CountingInputIteratorIllEEPS6_NSA_22TransformInputIteratorIbN2at6native12_GLOBAL__N_19NonZeroOpIdEEPKdlEENS0_5tupleIJPlS6_EEENSN_IJSD_SD_EEES6_PiJS6_EEE10hipError_tPvRmT3_T4_T5_T6_T7_T9_mT8_P12ihipStream_tbDpT10_ENKUlT_T0_E_clISt17integral_constantIbLb0EES1A_IbLb1EEEEDaS16_S17_EUlS16_E_NS1_11comp_targetILNS1_3genE0ELNS1_11target_archE4294967295ELNS1_3gpuE0ELNS1_3repE0EEENS1_30default_config_static_selectorELNS0_4arch9wavefront6targetE0EEEvT1_.num_agpr, 0
	.set _ZN7rocprim17ROCPRIM_400000_NS6detail17trampoline_kernelINS0_14default_configENS1_25partition_config_selectorILNS1_17partition_subalgoE5ElNS0_10empty_typeEbEEZZNS1_14partition_implILS5_5ELb0ES3_mN6hipcub16HIPCUB_304000_NS21CountingInputIteratorIllEEPS6_NSA_22TransformInputIteratorIbN2at6native12_GLOBAL__N_19NonZeroOpIdEEPKdlEENS0_5tupleIJPlS6_EEENSN_IJSD_SD_EEES6_PiJS6_EEE10hipError_tPvRmT3_T4_T5_T6_T7_T9_mT8_P12ihipStream_tbDpT10_ENKUlT_T0_E_clISt17integral_constantIbLb0EES1A_IbLb1EEEEDaS16_S17_EUlS16_E_NS1_11comp_targetILNS1_3genE0ELNS1_11target_archE4294967295ELNS1_3gpuE0ELNS1_3repE0EEENS1_30default_config_static_selectorELNS0_4arch9wavefront6targetE0EEEvT1_.numbered_sgpr, 0
	.set _ZN7rocprim17ROCPRIM_400000_NS6detail17trampoline_kernelINS0_14default_configENS1_25partition_config_selectorILNS1_17partition_subalgoE5ElNS0_10empty_typeEbEEZZNS1_14partition_implILS5_5ELb0ES3_mN6hipcub16HIPCUB_304000_NS21CountingInputIteratorIllEEPS6_NSA_22TransformInputIteratorIbN2at6native12_GLOBAL__N_19NonZeroOpIdEEPKdlEENS0_5tupleIJPlS6_EEENSN_IJSD_SD_EEES6_PiJS6_EEE10hipError_tPvRmT3_T4_T5_T6_T7_T9_mT8_P12ihipStream_tbDpT10_ENKUlT_T0_E_clISt17integral_constantIbLb0EES1A_IbLb1EEEEDaS16_S17_EUlS16_E_NS1_11comp_targetILNS1_3genE0ELNS1_11target_archE4294967295ELNS1_3gpuE0ELNS1_3repE0EEENS1_30default_config_static_selectorELNS0_4arch9wavefront6targetE0EEEvT1_.num_named_barrier, 0
	.set _ZN7rocprim17ROCPRIM_400000_NS6detail17trampoline_kernelINS0_14default_configENS1_25partition_config_selectorILNS1_17partition_subalgoE5ElNS0_10empty_typeEbEEZZNS1_14partition_implILS5_5ELb0ES3_mN6hipcub16HIPCUB_304000_NS21CountingInputIteratorIllEEPS6_NSA_22TransformInputIteratorIbN2at6native12_GLOBAL__N_19NonZeroOpIdEEPKdlEENS0_5tupleIJPlS6_EEENSN_IJSD_SD_EEES6_PiJS6_EEE10hipError_tPvRmT3_T4_T5_T6_T7_T9_mT8_P12ihipStream_tbDpT10_ENKUlT_T0_E_clISt17integral_constantIbLb0EES1A_IbLb1EEEEDaS16_S17_EUlS16_E_NS1_11comp_targetILNS1_3genE0ELNS1_11target_archE4294967295ELNS1_3gpuE0ELNS1_3repE0EEENS1_30default_config_static_selectorELNS0_4arch9wavefront6targetE0EEEvT1_.private_seg_size, 0
	.set _ZN7rocprim17ROCPRIM_400000_NS6detail17trampoline_kernelINS0_14default_configENS1_25partition_config_selectorILNS1_17partition_subalgoE5ElNS0_10empty_typeEbEEZZNS1_14partition_implILS5_5ELb0ES3_mN6hipcub16HIPCUB_304000_NS21CountingInputIteratorIllEEPS6_NSA_22TransformInputIteratorIbN2at6native12_GLOBAL__N_19NonZeroOpIdEEPKdlEENS0_5tupleIJPlS6_EEENSN_IJSD_SD_EEES6_PiJS6_EEE10hipError_tPvRmT3_T4_T5_T6_T7_T9_mT8_P12ihipStream_tbDpT10_ENKUlT_T0_E_clISt17integral_constantIbLb0EES1A_IbLb1EEEEDaS16_S17_EUlS16_E_NS1_11comp_targetILNS1_3genE0ELNS1_11target_archE4294967295ELNS1_3gpuE0ELNS1_3repE0EEENS1_30default_config_static_selectorELNS0_4arch9wavefront6targetE0EEEvT1_.uses_vcc, 0
	.set _ZN7rocprim17ROCPRIM_400000_NS6detail17trampoline_kernelINS0_14default_configENS1_25partition_config_selectorILNS1_17partition_subalgoE5ElNS0_10empty_typeEbEEZZNS1_14partition_implILS5_5ELb0ES3_mN6hipcub16HIPCUB_304000_NS21CountingInputIteratorIllEEPS6_NSA_22TransformInputIteratorIbN2at6native12_GLOBAL__N_19NonZeroOpIdEEPKdlEENS0_5tupleIJPlS6_EEENSN_IJSD_SD_EEES6_PiJS6_EEE10hipError_tPvRmT3_T4_T5_T6_T7_T9_mT8_P12ihipStream_tbDpT10_ENKUlT_T0_E_clISt17integral_constantIbLb0EES1A_IbLb1EEEEDaS16_S17_EUlS16_E_NS1_11comp_targetILNS1_3genE0ELNS1_11target_archE4294967295ELNS1_3gpuE0ELNS1_3repE0EEENS1_30default_config_static_selectorELNS0_4arch9wavefront6targetE0EEEvT1_.uses_flat_scratch, 0
	.set _ZN7rocprim17ROCPRIM_400000_NS6detail17trampoline_kernelINS0_14default_configENS1_25partition_config_selectorILNS1_17partition_subalgoE5ElNS0_10empty_typeEbEEZZNS1_14partition_implILS5_5ELb0ES3_mN6hipcub16HIPCUB_304000_NS21CountingInputIteratorIllEEPS6_NSA_22TransformInputIteratorIbN2at6native12_GLOBAL__N_19NonZeroOpIdEEPKdlEENS0_5tupleIJPlS6_EEENSN_IJSD_SD_EEES6_PiJS6_EEE10hipError_tPvRmT3_T4_T5_T6_T7_T9_mT8_P12ihipStream_tbDpT10_ENKUlT_T0_E_clISt17integral_constantIbLb0EES1A_IbLb1EEEEDaS16_S17_EUlS16_E_NS1_11comp_targetILNS1_3genE0ELNS1_11target_archE4294967295ELNS1_3gpuE0ELNS1_3repE0EEENS1_30default_config_static_selectorELNS0_4arch9wavefront6targetE0EEEvT1_.has_dyn_sized_stack, 0
	.set _ZN7rocprim17ROCPRIM_400000_NS6detail17trampoline_kernelINS0_14default_configENS1_25partition_config_selectorILNS1_17partition_subalgoE5ElNS0_10empty_typeEbEEZZNS1_14partition_implILS5_5ELb0ES3_mN6hipcub16HIPCUB_304000_NS21CountingInputIteratorIllEEPS6_NSA_22TransformInputIteratorIbN2at6native12_GLOBAL__N_19NonZeroOpIdEEPKdlEENS0_5tupleIJPlS6_EEENSN_IJSD_SD_EEES6_PiJS6_EEE10hipError_tPvRmT3_T4_T5_T6_T7_T9_mT8_P12ihipStream_tbDpT10_ENKUlT_T0_E_clISt17integral_constantIbLb0EES1A_IbLb1EEEEDaS16_S17_EUlS16_E_NS1_11comp_targetILNS1_3genE0ELNS1_11target_archE4294967295ELNS1_3gpuE0ELNS1_3repE0EEENS1_30default_config_static_selectorELNS0_4arch9wavefront6targetE0EEEvT1_.has_recursion, 0
	.set _ZN7rocprim17ROCPRIM_400000_NS6detail17trampoline_kernelINS0_14default_configENS1_25partition_config_selectorILNS1_17partition_subalgoE5ElNS0_10empty_typeEbEEZZNS1_14partition_implILS5_5ELb0ES3_mN6hipcub16HIPCUB_304000_NS21CountingInputIteratorIllEEPS6_NSA_22TransformInputIteratorIbN2at6native12_GLOBAL__N_19NonZeroOpIdEEPKdlEENS0_5tupleIJPlS6_EEENSN_IJSD_SD_EEES6_PiJS6_EEE10hipError_tPvRmT3_T4_T5_T6_T7_T9_mT8_P12ihipStream_tbDpT10_ENKUlT_T0_E_clISt17integral_constantIbLb0EES1A_IbLb1EEEEDaS16_S17_EUlS16_E_NS1_11comp_targetILNS1_3genE0ELNS1_11target_archE4294967295ELNS1_3gpuE0ELNS1_3repE0EEENS1_30default_config_static_selectorELNS0_4arch9wavefront6targetE0EEEvT1_.has_indirect_call, 0
	.section	.AMDGPU.csdata,"",@progbits
; Kernel info:
; codeLenInByte = 0
; TotalNumSgprs: 0
; NumVgprs: 0
; ScratchSize: 0
; MemoryBound: 0
; FloatMode: 240
; IeeeMode: 1
; LDSByteSize: 0 bytes/workgroup (compile time only)
; SGPRBlocks: 0
; VGPRBlocks: 0
; NumSGPRsForWavesPerEU: 1
; NumVGPRsForWavesPerEU: 1
; Occupancy: 16
; WaveLimiterHint : 0
; COMPUTE_PGM_RSRC2:SCRATCH_EN: 0
; COMPUTE_PGM_RSRC2:USER_SGPR: 2
; COMPUTE_PGM_RSRC2:TRAP_HANDLER: 0
; COMPUTE_PGM_RSRC2:TGID_X_EN: 1
; COMPUTE_PGM_RSRC2:TGID_Y_EN: 0
; COMPUTE_PGM_RSRC2:TGID_Z_EN: 0
; COMPUTE_PGM_RSRC2:TIDIG_COMP_CNT: 0
	.section	.text._ZN7rocprim17ROCPRIM_400000_NS6detail17trampoline_kernelINS0_14default_configENS1_25partition_config_selectorILNS1_17partition_subalgoE5ElNS0_10empty_typeEbEEZZNS1_14partition_implILS5_5ELb0ES3_mN6hipcub16HIPCUB_304000_NS21CountingInputIteratorIllEEPS6_NSA_22TransformInputIteratorIbN2at6native12_GLOBAL__N_19NonZeroOpIdEEPKdlEENS0_5tupleIJPlS6_EEENSN_IJSD_SD_EEES6_PiJS6_EEE10hipError_tPvRmT3_T4_T5_T6_T7_T9_mT8_P12ihipStream_tbDpT10_ENKUlT_T0_E_clISt17integral_constantIbLb0EES1A_IbLb1EEEEDaS16_S17_EUlS16_E_NS1_11comp_targetILNS1_3genE5ELNS1_11target_archE942ELNS1_3gpuE9ELNS1_3repE0EEENS1_30default_config_static_selectorELNS0_4arch9wavefront6targetE0EEEvT1_,"axG",@progbits,_ZN7rocprim17ROCPRIM_400000_NS6detail17trampoline_kernelINS0_14default_configENS1_25partition_config_selectorILNS1_17partition_subalgoE5ElNS0_10empty_typeEbEEZZNS1_14partition_implILS5_5ELb0ES3_mN6hipcub16HIPCUB_304000_NS21CountingInputIteratorIllEEPS6_NSA_22TransformInputIteratorIbN2at6native12_GLOBAL__N_19NonZeroOpIdEEPKdlEENS0_5tupleIJPlS6_EEENSN_IJSD_SD_EEES6_PiJS6_EEE10hipError_tPvRmT3_T4_T5_T6_T7_T9_mT8_P12ihipStream_tbDpT10_ENKUlT_T0_E_clISt17integral_constantIbLb0EES1A_IbLb1EEEEDaS16_S17_EUlS16_E_NS1_11comp_targetILNS1_3genE5ELNS1_11target_archE942ELNS1_3gpuE9ELNS1_3repE0EEENS1_30default_config_static_selectorELNS0_4arch9wavefront6targetE0EEEvT1_,comdat
	.globl	_ZN7rocprim17ROCPRIM_400000_NS6detail17trampoline_kernelINS0_14default_configENS1_25partition_config_selectorILNS1_17partition_subalgoE5ElNS0_10empty_typeEbEEZZNS1_14partition_implILS5_5ELb0ES3_mN6hipcub16HIPCUB_304000_NS21CountingInputIteratorIllEEPS6_NSA_22TransformInputIteratorIbN2at6native12_GLOBAL__N_19NonZeroOpIdEEPKdlEENS0_5tupleIJPlS6_EEENSN_IJSD_SD_EEES6_PiJS6_EEE10hipError_tPvRmT3_T4_T5_T6_T7_T9_mT8_P12ihipStream_tbDpT10_ENKUlT_T0_E_clISt17integral_constantIbLb0EES1A_IbLb1EEEEDaS16_S17_EUlS16_E_NS1_11comp_targetILNS1_3genE5ELNS1_11target_archE942ELNS1_3gpuE9ELNS1_3repE0EEENS1_30default_config_static_selectorELNS0_4arch9wavefront6targetE0EEEvT1_ ; -- Begin function _ZN7rocprim17ROCPRIM_400000_NS6detail17trampoline_kernelINS0_14default_configENS1_25partition_config_selectorILNS1_17partition_subalgoE5ElNS0_10empty_typeEbEEZZNS1_14partition_implILS5_5ELb0ES3_mN6hipcub16HIPCUB_304000_NS21CountingInputIteratorIllEEPS6_NSA_22TransformInputIteratorIbN2at6native12_GLOBAL__N_19NonZeroOpIdEEPKdlEENS0_5tupleIJPlS6_EEENSN_IJSD_SD_EEES6_PiJS6_EEE10hipError_tPvRmT3_T4_T5_T6_T7_T9_mT8_P12ihipStream_tbDpT10_ENKUlT_T0_E_clISt17integral_constantIbLb0EES1A_IbLb1EEEEDaS16_S17_EUlS16_E_NS1_11comp_targetILNS1_3genE5ELNS1_11target_archE942ELNS1_3gpuE9ELNS1_3repE0EEENS1_30default_config_static_selectorELNS0_4arch9wavefront6targetE0EEEvT1_
	.p2align	8
	.type	_ZN7rocprim17ROCPRIM_400000_NS6detail17trampoline_kernelINS0_14default_configENS1_25partition_config_selectorILNS1_17partition_subalgoE5ElNS0_10empty_typeEbEEZZNS1_14partition_implILS5_5ELb0ES3_mN6hipcub16HIPCUB_304000_NS21CountingInputIteratorIllEEPS6_NSA_22TransformInputIteratorIbN2at6native12_GLOBAL__N_19NonZeroOpIdEEPKdlEENS0_5tupleIJPlS6_EEENSN_IJSD_SD_EEES6_PiJS6_EEE10hipError_tPvRmT3_T4_T5_T6_T7_T9_mT8_P12ihipStream_tbDpT10_ENKUlT_T0_E_clISt17integral_constantIbLb0EES1A_IbLb1EEEEDaS16_S17_EUlS16_E_NS1_11comp_targetILNS1_3genE5ELNS1_11target_archE942ELNS1_3gpuE9ELNS1_3repE0EEENS1_30default_config_static_selectorELNS0_4arch9wavefront6targetE0EEEvT1_,@function
_ZN7rocprim17ROCPRIM_400000_NS6detail17trampoline_kernelINS0_14default_configENS1_25partition_config_selectorILNS1_17partition_subalgoE5ElNS0_10empty_typeEbEEZZNS1_14partition_implILS5_5ELb0ES3_mN6hipcub16HIPCUB_304000_NS21CountingInputIteratorIllEEPS6_NSA_22TransformInputIteratorIbN2at6native12_GLOBAL__N_19NonZeroOpIdEEPKdlEENS0_5tupleIJPlS6_EEENSN_IJSD_SD_EEES6_PiJS6_EEE10hipError_tPvRmT3_T4_T5_T6_T7_T9_mT8_P12ihipStream_tbDpT10_ENKUlT_T0_E_clISt17integral_constantIbLb0EES1A_IbLb1EEEEDaS16_S17_EUlS16_E_NS1_11comp_targetILNS1_3genE5ELNS1_11target_archE942ELNS1_3gpuE9ELNS1_3repE0EEENS1_30default_config_static_selectorELNS0_4arch9wavefront6targetE0EEEvT1_: ; @_ZN7rocprim17ROCPRIM_400000_NS6detail17trampoline_kernelINS0_14default_configENS1_25partition_config_selectorILNS1_17partition_subalgoE5ElNS0_10empty_typeEbEEZZNS1_14partition_implILS5_5ELb0ES3_mN6hipcub16HIPCUB_304000_NS21CountingInputIteratorIllEEPS6_NSA_22TransformInputIteratorIbN2at6native12_GLOBAL__N_19NonZeroOpIdEEPKdlEENS0_5tupleIJPlS6_EEENSN_IJSD_SD_EEES6_PiJS6_EEE10hipError_tPvRmT3_T4_T5_T6_T7_T9_mT8_P12ihipStream_tbDpT10_ENKUlT_T0_E_clISt17integral_constantIbLb0EES1A_IbLb1EEEEDaS16_S17_EUlS16_E_NS1_11comp_targetILNS1_3genE5ELNS1_11target_archE942ELNS1_3gpuE9ELNS1_3repE0EEENS1_30default_config_static_selectorELNS0_4arch9wavefront6targetE0EEEvT1_
; %bb.0:
	.section	.rodata,"a",@progbits
	.p2align	6, 0x0
	.amdhsa_kernel _ZN7rocprim17ROCPRIM_400000_NS6detail17trampoline_kernelINS0_14default_configENS1_25partition_config_selectorILNS1_17partition_subalgoE5ElNS0_10empty_typeEbEEZZNS1_14partition_implILS5_5ELb0ES3_mN6hipcub16HIPCUB_304000_NS21CountingInputIteratorIllEEPS6_NSA_22TransformInputIteratorIbN2at6native12_GLOBAL__N_19NonZeroOpIdEEPKdlEENS0_5tupleIJPlS6_EEENSN_IJSD_SD_EEES6_PiJS6_EEE10hipError_tPvRmT3_T4_T5_T6_T7_T9_mT8_P12ihipStream_tbDpT10_ENKUlT_T0_E_clISt17integral_constantIbLb0EES1A_IbLb1EEEEDaS16_S17_EUlS16_E_NS1_11comp_targetILNS1_3genE5ELNS1_11target_archE942ELNS1_3gpuE9ELNS1_3repE0EEENS1_30default_config_static_selectorELNS0_4arch9wavefront6targetE0EEEvT1_
		.amdhsa_group_segment_fixed_size 0
		.amdhsa_private_segment_fixed_size 0
		.amdhsa_kernarg_size 136
		.amdhsa_user_sgpr_count 2
		.amdhsa_user_sgpr_dispatch_ptr 0
		.amdhsa_user_sgpr_queue_ptr 0
		.amdhsa_user_sgpr_kernarg_segment_ptr 1
		.amdhsa_user_sgpr_dispatch_id 0
		.amdhsa_user_sgpr_private_segment_size 0
		.amdhsa_wavefront_size32 1
		.amdhsa_uses_dynamic_stack 0
		.amdhsa_enable_private_segment 0
		.amdhsa_system_sgpr_workgroup_id_x 1
		.amdhsa_system_sgpr_workgroup_id_y 0
		.amdhsa_system_sgpr_workgroup_id_z 0
		.amdhsa_system_sgpr_workgroup_info 0
		.amdhsa_system_vgpr_workitem_id 0
		.amdhsa_next_free_vgpr 1
		.amdhsa_next_free_sgpr 1
		.amdhsa_reserve_vcc 0
		.amdhsa_float_round_mode_32 0
		.amdhsa_float_round_mode_16_64 0
		.amdhsa_float_denorm_mode_32 3
		.amdhsa_float_denorm_mode_16_64 3
		.amdhsa_fp16_overflow 0
		.amdhsa_workgroup_processor_mode 1
		.amdhsa_memory_ordered 1
		.amdhsa_forward_progress 1
		.amdhsa_inst_pref_size 0
		.amdhsa_round_robin_scheduling 0
		.amdhsa_exception_fp_ieee_invalid_op 0
		.amdhsa_exception_fp_denorm_src 0
		.amdhsa_exception_fp_ieee_div_zero 0
		.amdhsa_exception_fp_ieee_overflow 0
		.amdhsa_exception_fp_ieee_underflow 0
		.amdhsa_exception_fp_ieee_inexact 0
		.amdhsa_exception_int_div_zero 0
	.end_amdhsa_kernel
	.section	.text._ZN7rocprim17ROCPRIM_400000_NS6detail17trampoline_kernelINS0_14default_configENS1_25partition_config_selectorILNS1_17partition_subalgoE5ElNS0_10empty_typeEbEEZZNS1_14partition_implILS5_5ELb0ES3_mN6hipcub16HIPCUB_304000_NS21CountingInputIteratorIllEEPS6_NSA_22TransformInputIteratorIbN2at6native12_GLOBAL__N_19NonZeroOpIdEEPKdlEENS0_5tupleIJPlS6_EEENSN_IJSD_SD_EEES6_PiJS6_EEE10hipError_tPvRmT3_T4_T5_T6_T7_T9_mT8_P12ihipStream_tbDpT10_ENKUlT_T0_E_clISt17integral_constantIbLb0EES1A_IbLb1EEEEDaS16_S17_EUlS16_E_NS1_11comp_targetILNS1_3genE5ELNS1_11target_archE942ELNS1_3gpuE9ELNS1_3repE0EEENS1_30default_config_static_selectorELNS0_4arch9wavefront6targetE0EEEvT1_,"axG",@progbits,_ZN7rocprim17ROCPRIM_400000_NS6detail17trampoline_kernelINS0_14default_configENS1_25partition_config_selectorILNS1_17partition_subalgoE5ElNS0_10empty_typeEbEEZZNS1_14partition_implILS5_5ELb0ES3_mN6hipcub16HIPCUB_304000_NS21CountingInputIteratorIllEEPS6_NSA_22TransformInputIteratorIbN2at6native12_GLOBAL__N_19NonZeroOpIdEEPKdlEENS0_5tupleIJPlS6_EEENSN_IJSD_SD_EEES6_PiJS6_EEE10hipError_tPvRmT3_T4_T5_T6_T7_T9_mT8_P12ihipStream_tbDpT10_ENKUlT_T0_E_clISt17integral_constantIbLb0EES1A_IbLb1EEEEDaS16_S17_EUlS16_E_NS1_11comp_targetILNS1_3genE5ELNS1_11target_archE942ELNS1_3gpuE9ELNS1_3repE0EEENS1_30default_config_static_selectorELNS0_4arch9wavefront6targetE0EEEvT1_,comdat
.Lfunc_end415:
	.size	_ZN7rocprim17ROCPRIM_400000_NS6detail17trampoline_kernelINS0_14default_configENS1_25partition_config_selectorILNS1_17partition_subalgoE5ElNS0_10empty_typeEbEEZZNS1_14partition_implILS5_5ELb0ES3_mN6hipcub16HIPCUB_304000_NS21CountingInputIteratorIllEEPS6_NSA_22TransformInputIteratorIbN2at6native12_GLOBAL__N_19NonZeroOpIdEEPKdlEENS0_5tupleIJPlS6_EEENSN_IJSD_SD_EEES6_PiJS6_EEE10hipError_tPvRmT3_T4_T5_T6_T7_T9_mT8_P12ihipStream_tbDpT10_ENKUlT_T0_E_clISt17integral_constantIbLb0EES1A_IbLb1EEEEDaS16_S17_EUlS16_E_NS1_11comp_targetILNS1_3genE5ELNS1_11target_archE942ELNS1_3gpuE9ELNS1_3repE0EEENS1_30default_config_static_selectorELNS0_4arch9wavefront6targetE0EEEvT1_, .Lfunc_end415-_ZN7rocprim17ROCPRIM_400000_NS6detail17trampoline_kernelINS0_14default_configENS1_25partition_config_selectorILNS1_17partition_subalgoE5ElNS0_10empty_typeEbEEZZNS1_14partition_implILS5_5ELb0ES3_mN6hipcub16HIPCUB_304000_NS21CountingInputIteratorIllEEPS6_NSA_22TransformInputIteratorIbN2at6native12_GLOBAL__N_19NonZeroOpIdEEPKdlEENS0_5tupleIJPlS6_EEENSN_IJSD_SD_EEES6_PiJS6_EEE10hipError_tPvRmT3_T4_T5_T6_T7_T9_mT8_P12ihipStream_tbDpT10_ENKUlT_T0_E_clISt17integral_constantIbLb0EES1A_IbLb1EEEEDaS16_S17_EUlS16_E_NS1_11comp_targetILNS1_3genE5ELNS1_11target_archE942ELNS1_3gpuE9ELNS1_3repE0EEENS1_30default_config_static_selectorELNS0_4arch9wavefront6targetE0EEEvT1_
                                        ; -- End function
	.set _ZN7rocprim17ROCPRIM_400000_NS6detail17trampoline_kernelINS0_14default_configENS1_25partition_config_selectorILNS1_17partition_subalgoE5ElNS0_10empty_typeEbEEZZNS1_14partition_implILS5_5ELb0ES3_mN6hipcub16HIPCUB_304000_NS21CountingInputIteratorIllEEPS6_NSA_22TransformInputIteratorIbN2at6native12_GLOBAL__N_19NonZeroOpIdEEPKdlEENS0_5tupleIJPlS6_EEENSN_IJSD_SD_EEES6_PiJS6_EEE10hipError_tPvRmT3_T4_T5_T6_T7_T9_mT8_P12ihipStream_tbDpT10_ENKUlT_T0_E_clISt17integral_constantIbLb0EES1A_IbLb1EEEEDaS16_S17_EUlS16_E_NS1_11comp_targetILNS1_3genE5ELNS1_11target_archE942ELNS1_3gpuE9ELNS1_3repE0EEENS1_30default_config_static_selectorELNS0_4arch9wavefront6targetE0EEEvT1_.num_vgpr, 0
	.set _ZN7rocprim17ROCPRIM_400000_NS6detail17trampoline_kernelINS0_14default_configENS1_25partition_config_selectorILNS1_17partition_subalgoE5ElNS0_10empty_typeEbEEZZNS1_14partition_implILS5_5ELb0ES3_mN6hipcub16HIPCUB_304000_NS21CountingInputIteratorIllEEPS6_NSA_22TransformInputIteratorIbN2at6native12_GLOBAL__N_19NonZeroOpIdEEPKdlEENS0_5tupleIJPlS6_EEENSN_IJSD_SD_EEES6_PiJS6_EEE10hipError_tPvRmT3_T4_T5_T6_T7_T9_mT8_P12ihipStream_tbDpT10_ENKUlT_T0_E_clISt17integral_constantIbLb0EES1A_IbLb1EEEEDaS16_S17_EUlS16_E_NS1_11comp_targetILNS1_3genE5ELNS1_11target_archE942ELNS1_3gpuE9ELNS1_3repE0EEENS1_30default_config_static_selectorELNS0_4arch9wavefront6targetE0EEEvT1_.num_agpr, 0
	.set _ZN7rocprim17ROCPRIM_400000_NS6detail17trampoline_kernelINS0_14default_configENS1_25partition_config_selectorILNS1_17partition_subalgoE5ElNS0_10empty_typeEbEEZZNS1_14partition_implILS5_5ELb0ES3_mN6hipcub16HIPCUB_304000_NS21CountingInputIteratorIllEEPS6_NSA_22TransformInputIteratorIbN2at6native12_GLOBAL__N_19NonZeroOpIdEEPKdlEENS0_5tupleIJPlS6_EEENSN_IJSD_SD_EEES6_PiJS6_EEE10hipError_tPvRmT3_T4_T5_T6_T7_T9_mT8_P12ihipStream_tbDpT10_ENKUlT_T0_E_clISt17integral_constantIbLb0EES1A_IbLb1EEEEDaS16_S17_EUlS16_E_NS1_11comp_targetILNS1_3genE5ELNS1_11target_archE942ELNS1_3gpuE9ELNS1_3repE0EEENS1_30default_config_static_selectorELNS0_4arch9wavefront6targetE0EEEvT1_.numbered_sgpr, 0
	.set _ZN7rocprim17ROCPRIM_400000_NS6detail17trampoline_kernelINS0_14default_configENS1_25partition_config_selectorILNS1_17partition_subalgoE5ElNS0_10empty_typeEbEEZZNS1_14partition_implILS5_5ELb0ES3_mN6hipcub16HIPCUB_304000_NS21CountingInputIteratorIllEEPS6_NSA_22TransformInputIteratorIbN2at6native12_GLOBAL__N_19NonZeroOpIdEEPKdlEENS0_5tupleIJPlS6_EEENSN_IJSD_SD_EEES6_PiJS6_EEE10hipError_tPvRmT3_T4_T5_T6_T7_T9_mT8_P12ihipStream_tbDpT10_ENKUlT_T0_E_clISt17integral_constantIbLb0EES1A_IbLb1EEEEDaS16_S17_EUlS16_E_NS1_11comp_targetILNS1_3genE5ELNS1_11target_archE942ELNS1_3gpuE9ELNS1_3repE0EEENS1_30default_config_static_selectorELNS0_4arch9wavefront6targetE0EEEvT1_.num_named_barrier, 0
	.set _ZN7rocprim17ROCPRIM_400000_NS6detail17trampoline_kernelINS0_14default_configENS1_25partition_config_selectorILNS1_17partition_subalgoE5ElNS0_10empty_typeEbEEZZNS1_14partition_implILS5_5ELb0ES3_mN6hipcub16HIPCUB_304000_NS21CountingInputIteratorIllEEPS6_NSA_22TransformInputIteratorIbN2at6native12_GLOBAL__N_19NonZeroOpIdEEPKdlEENS0_5tupleIJPlS6_EEENSN_IJSD_SD_EEES6_PiJS6_EEE10hipError_tPvRmT3_T4_T5_T6_T7_T9_mT8_P12ihipStream_tbDpT10_ENKUlT_T0_E_clISt17integral_constantIbLb0EES1A_IbLb1EEEEDaS16_S17_EUlS16_E_NS1_11comp_targetILNS1_3genE5ELNS1_11target_archE942ELNS1_3gpuE9ELNS1_3repE0EEENS1_30default_config_static_selectorELNS0_4arch9wavefront6targetE0EEEvT1_.private_seg_size, 0
	.set _ZN7rocprim17ROCPRIM_400000_NS6detail17trampoline_kernelINS0_14default_configENS1_25partition_config_selectorILNS1_17partition_subalgoE5ElNS0_10empty_typeEbEEZZNS1_14partition_implILS5_5ELb0ES3_mN6hipcub16HIPCUB_304000_NS21CountingInputIteratorIllEEPS6_NSA_22TransformInputIteratorIbN2at6native12_GLOBAL__N_19NonZeroOpIdEEPKdlEENS0_5tupleIJPlS6_EEENSN_IJSD_SD_EEES6_PiJS6_EEE10hipError_tPvRmT3_T4_T5_T6_T7_T9_mT8_P12ihipStream_tbDpT10_ENKUlT_T0_E_clISt17integral_constantIbLb0EES1A_IbLb1EEEEDaS16_S17_EUlS16_E_NS1_11comp_targetILNS1_3genE5ELNS1_11target_archE942ELNS1_3gpuE9ELNS1_3repE0EEENS1_30default_config_static_selectorELNS0_4arch9wavefront6targetE0EEEvT1_.uses_vcc, 0
	.set _ZN7rocprim17ROCPRIM_400000_NS6detail17trampoline_kernelINS0_14default_configENS1_25partition_config_selectorILNS1_17partition_subalgoE5ElNS0_10empty_typeEbEEZZNS1_14partition_implILS5_5ELb0ES3_mN6hipcub16HIPCUB_304000_NS21CountingInputIteratorIllEEPS6_NSA_22TransformInputIteratorIbN2at6native12_GLOBAL__N_19NonZeroOpIdEEPKdlEENS0_5tupleIJPlS6_EEENSN_IJSD_SD_EEES6_PiJS6_EEE10hipError_tPvRmT3_T4_T5_T6_T7_T9_mT8_P12ihipStream_tbDpT10_ENKUlT_T0_E_clISt17integral_constantIbLb0EES1A_IbLb1EEEEDaS16_S17_EUlS16_E_NS1_11comp_targetILNS1_3genE5ELNS1_11target_archE942ELNS1_3gpuE9ELNS1_3repE0EEENS1_30default_config_static_selectorELNS0_4arch9wavefront6targetE0EEEvT1_.uses_flat_scratch, 0
	.set _ZN7rocprim17ROCPRIM_400000_NS6detail17trampoline_kernelINS0_14default_configENS1_25partition_config_selectorILNS1_17partition_subalgoE5ElNS0_10empty_typeEbEEZZNS1_14partition_implILS5_5ELb0ES3_mN6hipcub16HIPCUB_304000_NS21CountingInputIteratorIllEEPS6_NSA_22TransformInputIteratorIbN2at6native12_GLOBAL__N_19NonZeroOpIdEEPKdlEENS0_5tupleIJPlS6_EEENSN_IJSD_SD_EEES6_PiJS6_EEE10hipError_tPvRmT3_T4_T5_T6_T7_T9_mT8_P12ihipStream_tbDpT10_ENKUlT_T0_E_clISt17integral_constantIbLb0EES1A_IbLb1EEEEDaS16_S17_EUlS16_E_NS1_11comp_targetILNS1_3genE5ELNS1_11target_archE942ELNS1_3gpuE9ELNS1_3repE0EEENS1_30default_config_static_selectorELNS0_4arch9wavefront6targetE0EEEvT1_.has_dyn_sized_stack, 0
	.set _ZN7rocprim17ROCPRIM_400000_NS6detail17trampoline_kernelINS0_14default_configENS1_25partition_config_selectorILNS1_17partition_subalgoE5ElNS0_10empty_typeEbEEZZNS1_14partition_implILS5_5ELb0ES3_mN6hipcub16HIPCUB_304000_NS21CountingInputIteratorIllEEPS6_NSA_22TransformInputIteratorIbN2at6native12_GLOBAL__N_19NonZeroOpIdEEPKdlEENS0_5tupleIJPlS6_EEENSN_IJSD_SD_EEES6_PiJS6_EEE10hipError_tPvRmT3_T4_T5_T6_T7_T9_mT8_P12ihipStream_tbDpT10_ENKUlT_T0_E_clISt17integral_constantIbLb0EES1A_IbLb1EEEEDaS16_S17_EUlS16_E_NS1_11comp_targetILNS1_3genE5ELNS1_11target_archE942ELNS1_3gpuE9ELNS1_3repE0EEENS1_30default_config_static_selectorELNS0_4arch9wavefront6targetE0EEEvT1_.has_recursion, 0
	.set _ZN7rocprim17ROCPRIM_400000_NS6detail17trampoline_kernelINS0_14default_configENS1_25partition_config_selectorILNS1_17partition_subalgoE5ElNS0_10empty_typeEbEEZZNS1_14partition_implILS5_5ELb0ES3_mN6hipcub16HIPCUB_304000_NS21CountingInputIteratorIllEEPS6_NSA_22TransformInputIteratorIbN2at6native12_GLOBAL__N_19NonZeroOpIdEEPKdlEENS0_5tupleIJPlS6_EEENSN_IJSD_SD_EEES6_PiJS6_EEE10hipError_tPvRmT3_T4_T5_T6_T7_T9_mT8_P12ihipStream_tbDpT10_ENKUlT_T0_E_clISt17integral_constantIbLb0EES1A_IbLb1EEEEDaS16_S17_EUlS16_E_NS1_11comp_targetILNS1_3genE5ELNS1_11target_archE942ELNS1_3gpuE9ELNS1_3repE0EEENS1_30default_config_static_selectorELNS0_4arch9wavefront6targetE0EEEvT1_.has_indirect_call, 0
	.section	.AMDGPU.csdata,"",@progbits
; Kernel info:
; codeLenInByte = 0
; TotalNumSgprs: 0
; NumVgprs: 0
; ScratchSize: 0
; MemoryBound: 0
; FloatMode: 240
; IeeeMode: 1
; LDSByteSize: 0 bytes/workgroup (compile time only)
; SGPRBlocks: 0
; VGPRBlocks: 0
; NumSGPRsForWavesPerEU: 1
; NumVGPRsForWavesPerEU: 1
; Occupancy: 16
; WaveLimiterHint : 0
; COMPUTE_PGM_RSRC2:SCRATCH_EN: 0
; COMPUTE_PGM_RSRC2:USER_SGPR: 2
; COMPUTE_PGM_RSRC2:TRAP_HANDLER: 0
; COMPUTE_PGM_RSRC2:TGID_X_EN: 1
; COMPUTE_PGM_RSRC2:TGID_Y_EN: 0
; COMPUTE_PGM_RSRC2:TGID_Z_EN: 0
; COMPUTE_PGM_RSRC2:TIDIG_COMP_CNT: 0
	.section	.text._ZN7rocprim17ROCPRIM_400000_NS6detail17trampoline_kernelINS0_14default_configENS1_25partition_config_selectorILNS1_17partition_subalgoE5ElNS0_10empty_typeEbEEZZNS1_14partition_implILS5_5ELb0ES3_mN6hipcub16HIPCUB_304000_NS21CountingInputIteratorIllEEPS6_NSA_22TransformInputIteratorIbN2at6native12_GLOBAL__N_19NonZeroOpIdEEPKdlEENS0_5tupleIJPlS6_EEENSN_IJSD_SD_EEES6_PiJS6_EEE10hipError_tPvRmT3_T4_T5_T6_T7_T9_mT8_P12ihipStream_tbDpT10_ENKUlT_T0_E_clISt17integral_constantIbLb0EES1A_IbLb1EEEEDaS16_S17_EUlS16_E_NS1_11comp_targetILNS1_3genE4ELNS1_11target_archE910ELNS1_3gpuE8ELNS1_3repE0EEENS1_30default_config_static_selectorELNS0_4arch9wavefront6targetE0EEEvT1_,"axG",@progbits,_ZN7rocprim17ROCPRIM_400000_NS6detail17trampoline_kernelINS0_14default_configENS1_25partition_config_selectorILNS1_17partition_subalgoE5ElNS0_10empty_typeEbEEZZNS1_14partition_implILS5_5ELb0ES3_mN6hipcub16HIPCUB_304000_NS21CountingInputIteratorIllEEPS6_NSA_22TransformInputIteratorIbN2at6native12_GLOBAL__N_19NonZeroOpIdEEPKdlEENS0_5tupleIJPlS6_EEENSN_IJSD_SD_EEES6_PiJS6_EEE10hipError_tPvRmT3_T4_T5_T6_T7_T9_mT8_P12ihipStream_tbDpT10_ENKUlT_T0_E_clISt17integral_constantIbLb0EES1A_IbLb1EEEEDaS16_S17_EUlS16_E_NS1_11comp_targetILNS1_3genE4ELNS1_11target_archE910ELNS1_3gpuE8ELNS1_3repE0EEENS1_30default_config_static_selectorELNS0_4arch9wavefront6targetE0EEEvT1_,comdat
	.globl	_ZN7rocprim17ROCPRIM_400000_NS6detail17trampoline_kernelINS0_14default_configENS1_25partition_config_selectorILNS1_17partition_subalgoE5ElNS0_10empty_typeEbEEZZNS1_14partition_implILS5_5ELb0ES3_mN6hipcub16HIPCUB_304000_NS21CountingInputIteratorIllEEPS6_NSA_22TransformInputIteratorIbN2at6native12_GLOBAL__N_19NonZeroOpIdEEPKdlEENS0_5tupleIJPlS6_EEENSN_IJSD_SD_EEES6_PiJS6_EEE10hipError_tPvRmT3_T4_T5_T6_T7_T9_mT8_P12ihipStream_tbDpT10_ENKUlT_T0_E_clISt17integral_constantIbLb0EES1A_IbLb1EEEEDaS16_S17_EUlS16_E_NS1_11comp_targetILNS1_3genE4ELNS1_11target_archE910ELNS1_3gpuE8ELNS1_3repE0EEENS1_30default_config_static_selectorELNS0_4arch9wavefront6targetE0EEEvT1_ ; -- Begin function _ZN7rocprim17ROCPRIM_400000_NS6detail17trampoline_kernelINS0_14default_configENS1_25partition_config_selectorILNS1_17partition_subalgoE5ElNS0_10empty_typeEbEEZZNS1_14partition_implILS5_5ELb0ES3_mN6hipcub16HIPCUB_304000_NS21CountingInputIteratorIllEEPS6_NSA_22TransformInputIteratorIbN2at6native12_GLOBAL__N_19NonZeroOpIdEEPKdlEENS0_5tupleIJPlS6_EEENSN_IJSD_SD_EEES6_PiJS6_EEE10hipError_tPvRmT3_T4_T5_T6_T7_T9_mT8_P12ihipStream_tbDpT10_ENKUlT_T0_E_clISt17integral_constantIbLb0EES1A_IbLb1EEEEDaS16_S17_EUlS16_E_NS1_11comp_targetILNS1_3genE4ELNS1_11target_archE910ELNS1_3gpuE8ELNS1_3repE0EEENS1_30default_config_static_selectorELNS0_4arch9wavefront6targetE0EEEvT1_
	.p2align	8
	.type	_ZN7rocprim17ROCPRIM_400000_NS6detail17trampoline_kernelINS0_14default_configENS1_25partition_config_selectorILNS1_17partition_subalgoE5ElNS0_10empty_typeEbEEZZNS1_14partition_implILS5_5ELb0ES3_mN6hipcub16HIPCUB_304000_NS21CountingInputIteratorIllEEPS6_NSA_22TransformInputIteratorIbN2at6native12_GLOBAL__N_19NonZeroOpIdEEPKdlEENS0_5tupleIJPlS6_EEENSN_IJSD_SD_EEES6_PiJS6_EEE10hipError_tPvRmT3_T4_T5_T6_T7_T9_mT8_P12ihipStream_tbDpT10_ENKUlT_T0_E_clISt17integral_constantIbLb0EES1A_IbLb1EEEEDaS16_S17_EUlS16_E_NS1_11comp_targetILNS1_3genE4ELNS1_11target_archE910ELNS1_3gpuE8ELNS1_3repE0EEENS1_30default_config_static_selectorELNS0_4arch9wavefront6targetE0EEEvT1_,@function
_ZN7rocprim17ROCPRIM_400000_NS6detail17trampoline_kernelINS0_14default_configENS1_25partition_config_selectorILNS1_17partition_subalgoE5ElNS0_10empty_typeEbEEZZNS1_14partition_implILS5_5ELb0ES3_mN6hipcub16HIPCUB_304000_NS21CountingInputIteratorIllEEPS6_NSA_22TransformInputIteratorIbN2at6native12_GLOBAL__N_19NonZeroOpIdEEPKdlEENS0_5tupleIJPlS6_EEENSN_IJSD_SD_EEES6_PiJS6_EEE10hipError_tPvRmT3_T4_T5_T6_T7_T9_mT8_P12ihipStream_tbDpT10_ENKUlT_T0_E_clISt17integral_constantIbLb0EES1A_IbLb1EEEEDaS16_S17_EUlS16_E_NS1_11comp_targetILNS1_3genE4ELNS1_11target_archE910ELNS1_3gpuE8ELNS1_3repE0EEENS1_30default_config_static_selectorELNS0_4arch9wavefront6targetE0EEEvT1_: ; @_ZN7rocprim17ROCPRIM_400000_NS6detail17trampoline_kernelINS0_14default_configENS1_25partition_config_selectorILNS1_17partition_subalgoE5ElNS0_10empty_typeEbEEZZNS1_14partition_implILS5_5ELb0ES3_mN6hipcub16HIPCUB_304000_NS21CountingInputIteratorIllEEPS6_NSA_22TransformInputIteratorIbN2at6native12_GLOBAL__N_19NonZeroOpIdEEPKdlEENS0_5tupleIJPlS6_EEENSN_IJSD_SD_EEES6_PiJS6_EEE10hipError_tPvRmT3_T4_T5_T6_T7_T9_mT8_P12ihipStream_tbDpT10_ENKUlT_T0_E_clISt17integral_constantIbLb0EES1A_IbLb1EEEEDaS16_S17_EUlS16_E_NS1_11comp_targetILNS1_3genE4ELNS1_11target_archE910ELNS1_3gpuE8ELNS1_3repE0EEENS1_30default_config_static_selectorELNS0_4arch9wavefront6targetE0EEEvT1_
; %bb.0:
	.section	.rodata,"a",@progbits
	.p2align	6, 0x0
	.amdhsa_kernel _ZN7rocprim17ROCPRIM_400000_NS6detail17trampoline_kernelINS0_14default_configENS1_25partition_config_selectorILNS1_17partition_subalgoE5ElNS0_10empty_typeEbEEZZNS1_14partition_implILS5_5ELb0ES3_mN6hipcub16HIPCUB_304000_NS21CountingInputIteratorIllEEPS6_NSA_22TransformInputIteratorIbN2at6native12_GLOBAL__N_19NonZeroOpIdEEPKdlEENS0_5tupleIJPlS6_EEENSN_IJSD_SD_EEES6_PiJS6_EEE10hipError_tPvRmT3_T4_T5_T6_T7_T9_mT8_P12ihipStream_tbDpT10_ENKUlT_T0_E_clISt17integral_constantIbLb0EES1A_IbLb1EEEEDaS16_S17_EUlS16_E_NS1_11comp_targetILNS1_3genE4ELNS1_11target_archE910ELNS1_3gpuE8ELNS1_3repE0EEENS1_30default_config_static_selectorELNS0_4arch9wavefront6targetE0EEEvT1_
		.amdhsa_group_segment_fixed_size 0
		.amdhsa_private_segment_fixed_size 0
		.amdhsa_kernarg_size 136
		.amdhsa_user_sgpr_count 2
		.amdhsa_user_sgpr_dispatch_ptr 0
		.amdhsa_user_sgpr_queue_ptr 0
		.amdhsa_user_sgpr_kernarg_segment_ptr 1
		.amdhsa_user_sgpr_dispatch_id 0
		.amdhsa_user_sgpr_private_segment_size 0
		.amdhsa_wavefront_size32 1
		.amdhsa_uses_dynamic_stack 0
		.amdhsa_enable_private_segment 0
		.amdhsa_system_sgpr_workgroup_id_x 1
		.amdhsa_system_sgpr_workgroup_id_y 0
		.amdhsa_system_sgpr_workgroup_id_z 0
		.amdhsa_system_sgpr_workgroup_info 0
		.amdhsa_system_vgpr_workitem_id 0
		.amdhsa_next_free_vgpr 1
		.amdhsa_next_free_sgpr 1
		.amdhsa_reserve_vcc 0
		.amdhsa_float_round_mode_32 0
		.amdhsa_float_round_mode_16_64 0
		.amdhsa_float_denorm_mode_32 3
		.amdhsa_float_denorm_mode_16_64 3
		.amdhsa_fp16_overflow 0
		.amdhsa_workgroup_processor_mode 1
		.amdhsa_memory_ordered 1
		.amdhsa_forward_progress 1
		.amdhsa_inst_pref_size 0
		.amdhsa_round_robin_scheduling 0
		.amdhsa_exception_fp_ieee_invalid_op 0
		.amdhsa_exception_fp_denorm_src 0
		.amdhsa_exception_fp_ieee_div_zero 0
		.amdhsa_exception_fp_ieee_overflow 0
		.amdhsa_exception_fp_ieee_underflow 0
		.amdhsa_exception_fp_ieee_inexact 0
		.amdhsa_exception_int_div_zero 0
	.end_amdhsa_kernel
	.section	.text._ZN7rocprim17ROCPRIM_400000_NS6detail17trampoline_kernelINS0_14default_configENS1_25partition_config_selectorILNS1_17partition_subalgoE5ElNS0_10empty_typeEbEEZZNS1_14partition_implILS5_5ELb0ES3_mN6hipcub16HIPCUB_304000_NS21CountingInputIteratorIllEEPS6_NSA_22TransformInputIteratorIbN2at6native12_GLOBAL__N_19NonZeroOpIdEEPKdlEENS0_5tupleIJPlS6_EEENSN_IJSD_SD_EEES6_PiJS6_EEE10hipError_tPvRmT3_T4_T5_T6_T7_T9_mT8_P12ihipStream_tbDpT10_ENKUlT_T0_E_clISt17integral_constantIbLb0EES1A_IbLb1EEEEDaS16_S17_EUlS16_E_NS1_11comp_targetILNS1_3genE4ELNS1_11target_archE910ELNS1_3gpuE8ELNS1_3repE0EEENS1_30default_config_static_selectorELNS0_4arch9wavefront6targetE0EEEvT1_,"axG",@progbits,_ZN7rocprim17ROCPRIM_400000_NS6detail17trampoline_kernelINS0_14default_configENS1_25partition_config_selectorILNS1_17partition_subalgoE5ElNS0_10empty_typeEbEEZZNS1_14partition_implILS5_5ELb0ES3_mN6hipcub16HIPCUB_304000_NS21CountingInputIteratorIllEEPS6_NSA_22TransformInputIteratorIbN2at6native12_GLOBAL__N_19NonZeroOpIdEEPKdlEENS0_5tupleIJPlS6_EEENSN_IJSD_SD_EEES6_PiJS6_EEE10hipError_tPvRmT3_T4_T5_T6_T7_T9_mT8_P12ihipStream_tbDpT10_ENKUlT_T0_E_clISt17integral_constantIbLb0EES1A_IbLb1EEEEDaS16_S17_EUlS16_E_NS1_11comp_targetILNS1_3genE4ELNS1_11target_archE910ELNS1_3gpuE8ELNS1_3repE0EEENS1_30default_config_static_selectorELNS0_4arch9wavefront6targetE0EEEvT1_,comdat
.Lfunc_end416:
	.size	_ZN7rocprim17ROCPRIM_400000_NS6detail17trampoline_kernelINS0_14default_configENS1_25partition_config_selectorILNS1_17partition_subalgoE5ElNS0_10empty_typeEbEEZZNS1_14partition_implILS5_5ELb0ES3_mN6hipcub16HIPCUB_304000_NS21CountingInputIteratorIllEEPS6_NSA_22TransformInputIteratorIbN2at6native12_GLOBAL__N_19NonZeroOpIdEEPKdlEENS0_5tupleIJPlS6_EEENSN_IJSD_SD_EEES6_PiJS6_EEE10hipError_tPvRmT3_T4_T5_T6_T7_T9_mT8_P12ihipStream_tbDpT10_ENKUlT_T0_E_clISt17integral_constantIbLb0EES1A_IbLb1EEEEDaS16_S17_EUlS16_E_NS1_11comp_targetILNS1_3genE4ELNS1_11target_archE910ELNS1_3gpuE8ELNS1_3repE0EEENS1_30default_config_static_selectorELNS0_4arch9wavefront6targetE0EEEvT1_, .Lfunc_end416-_ZN7rocprim17ROCPRIM_400000_NS6detail17trampoline_kernelINS0_14default_configENS1_25partition_config_selectorILNS1_17partition_subalgoE5ElNS0_10empty_typeEbEEZZNS1_14partition_implILS5_5ELb0ES3_mN6hipcub16HIPCUB_304000_NS21CountingInputIteratorIllEEPS6_NSA_22TransformInputIteratorIbN2at6native12_GLOBAL__N_19NonZeroOpIdEEPKdlEENS0_5tupleIJPlS6_EEENSN_IJSD_SD_EEES6_PiJS6_EEE10hipError_tPvRmT3_T4_T5_T6_T7_T9_mT8_P12ihipStream_tbDpT10_ENKUlT_T0_E_clISt17integral_constantIbLb0EES1A_IbLb1EEEEDaS16_S17_EUlS16_E_NS1_11comp_targetILNS1_3genE4ELNS1_11target_archE910ELNS1_3gpuE8ELNS1_3repE0EEENS1_30default_config_static_selectorELNS0_4arch9wavefront6targetE0EEEvT1_
                                        ; -- End function
	.set _ZN7rocprim17ROCPRIM_400000_NS6detail17trampoline_kernelINS0_14default_configENS1_25partition_config_selectorILNS1_17partition_subalgoE5ElNS0_10empty_typeEbEEZZNS1_14partition_implILS5_5ELb0ES3_mN6hipcub16HIPCUB_304000_NS21CountingInputIteratorIllEEPS6_NSA_22TransformInputIteratorIbN2at6native12_GLOBAL__N_19NonZeroOpIdEEPKdlEENS0_5tupleIJPlS6_EEENSN_IJSD_SD_EEES6_PiJS6_EEE10hipError_tPvRmT3_T4_T5_T6_T7_T9_mT8_P12ihipStream_tbDpT10_ENKUlT_T0_E_clISt17integral_constantIbLb0EES1A_IbLb1EEEEDaS16_S17_EUlS16_E_NS1_11comp_targetILNS1_3genE4ELNS1_11target_archE910ELNS1_3gpuE8ELNS1_3repE0EEENS1_30default_config_static_selectorELNS0_4arch9wavefront6targetE0EEEvT1_.num_vgpr, 0
	.set _ZN7rocprim17ROCPRIM_400000_NS6detail17trampoline_kernelINS0_14default_configENS1_25partition_config_selectorILNS1_17partition_subalgoE5ElNS0_10empty_typeEbEEZZNS1_14partition_implILS5_5ELb0ES3_mN6hipcub16HIPCUB_304000_NS21CountingInputIteratorIllEEPS6_NSA_22TransformInputIteratorIbN2at6native12_GLOBAL__N_19NonZeroOpIdEEPKdlEENS0_5tupleIJPlS6_EEENSN_IJSD_SD_EEES6_PiJS6_EEE10hipError_tPvRmT3_T4_T5_T6_T7_T9_mT8_P12ihipStream_tbDpT10_ENKUlT_T0_E_clISt17integral_constantIbLb0EES1A_IbLb1EEEEDaS16_S17_EUlS16_E_NS1_11comp_targetILNS1_3genE4ELNS1_11target_archE910ELNS1_3gpuE8ELNS1_3repE0EEENS1_30default_config_static_selectorELNS0_4arch9wavefront6targetE0EEEvT1_.num_agpr, 0
	.set _ZN7rocprim17ROCPRIM_400000_NS6detail17trampoline_kernelINS0_14default_configENS1_25partition_config_selectorILNS1_17partition_subalgoE5ElNS0_10empty_typeEbEEZZNS1_14partition_implILS5_5ELb0ES3_mN6hipcub16HIPCUB_304000_NS21CountingInputIteratorIllEEPS6_NSA_22TransformInputIteratorIbN2at6native12_GLOBAL__N_19NonZeroOpIdEEPKdlEENS0_5tupleIJPlS6_EEENSN_IJSD_SD_EEES6_PiJS6_EEE10hipError_tPvRmT3_T4_T5_T6_T7_T9_mT8_P12ihipStream_tbDpT10_ENKUlT_T0_E_clISt17integral_constantIbLb0EES1A_IbLb1EEEEDaS16_S17_EUlS16_E_NS1_11comp_targetILNS1_3genE4ELNS1_11target_archE910ELNS1_3gpuE8ELNS1_3repE0EEENS1_30default_config_static_selectorELNS0_4arch9wavefront6targetE0EEEvT1_.numbered_sgpr, 0
	.set _ZN7rocprim17ROCPRIM_400000_NS6detail17trampoline_kernelINS0_14default_configENS1_25partition_config_selectorILNS1_17partition_subalgoE5ElNS0_10empty_typeEbEEZZNS1_14partition_implILS5_5ELb0ES3_mN6hipcub16HIPCUB_304000_NS21CountingInputIteratorIllEEPS6_NSA_22TransformInputIteratorIbN2at6native12_GLOBAL__N_19NonZeroOpIdEEPKdlEENS0_5tupleIJPlS6_EEENSN_IJSD_SD_EEES6_PiJS6_EEE10hipError_tPvRmT3_T4_T5_T6_T7_T9_mT8_P12ihipStream_tbDpT10_ENKUlT_T0_E_clISt17integral_constantIbLb0EES1A_IbLb1EEEEDaS16_S17_EUlS16_E_NS1_11comp_targetILNS1_3genE4ELNS1_11target_archE910ELNS1_3gpuE8ELNS1_3repE0EEENS1_30default_config_static_selectorELNS0_4arch9wavefront6targetE0EEEvT1_.num_named_barrier, 0
	.set _ZN7rocprim17ROCPRIM_400000_NS6detail17trampoline_kernelINS0_14default_configENS1_25partition_config_selectorILNS1_17partition_subalgoE5ElNS0_10empty_typeEbEEZZNS1_14partition_implILS5_5ELb0ES3_mN6hipcub16HIPCUB_304000_NS21CountingInputIteratorIllEEPS6_NSA_22TransformInputIteratorIbN2at6native12_GLOBAL__N_19NonZeroOpIdEEPKdlEENS0_5tupleIJPlS6_EEENSN_IJSD_SD_EEES6_PiJS6_EEE10hipError_tPvRmT3_T4_T5_T6_T7_T9_mT8_P12ihipStream_tbDpT10_ENKUlT_T0_E_clISt17integral_constantIbLb0EES1A_IbLb1EEEEDaS16_S17_EUlS16_E_NS1_11comp_targetILNS1_3genE4ELNS1_11target_archE910ELNS1_3gpuE8ELNS1_3repE0EEENS1_30default_config_static_selectorELNS0_4arch9wavefront6targetE0EEEvT1_.private_seg_size, 0
	.set _ZN7rocprim17ROCPRIM_400000_NS6detail17trampoline_kernelINS0_14default_configENS1_25partition_config_selectorILNS1_17partition_subalgoE5ElNS0_10empty_typeEbEEZZNS1_14partition_implILS5_5ELb0ES3_mN6hipcub16HIPCUB_304000_NS21CountingInputIteratorIllEEPS6_NSA_22TransformInputIteratorIbN2at6native12_GLOBAL__N_19NonZeroOpIdEEPKdlEENS0_5tupleIJPlS6_EEENSN_IJSD_SD_EEES6_PiJS6_EEE10hipError_tPvRmT3_T4_T5_T6_T7_T9_mT8_P12ihipStream_tbDpT10_ENKUlT_T0_E_clISt17integral_constantIbLb0EES1A_IbLb1EEEEDaS16_S17_EUlS16_E_NS1_11comp_targetILNS1_3genE4ELNS1_11target_archE910ELNS1_3gpuE8ELNS1_3repE0EEENS1_30default_config_static_selectorELNS0_4arch9wavefront6targetE0EEEvT1_.uses_vcc, 0
	.set _ZN7rocprim17ROCPRIM_400000_NS6detail17trampoline_kernelINS0_14default_configENS1_25partition_config_selectorILNS1_17partition_subalgoE5ElNS0_10empty_typeEbEEZZNS1_14partition_implILS5_5ELb0ES3_mN6hipcub16HIPCUB_304000_NS21CountingInputIteratorIllEEPS6_NSA_22TransformInputIteratorIbN2at6native12_GLOBAL__N_19NonZeroOpIdEEPKdlEENS0_5tupleIJPlS6_EEENSN_IJSD_SD_EEES6_PiJS6_EEE10hipError_tPvRmT3_T4_T5_T6_T7_T9_mT8_P12ihipStream_tbDpT10_ENKUlT_T0_E_clISt17integral_constantIbLb0EES1A_IbLb1EEEEDaS16_S17_EUlS16_E_NS1_11comp_targetILNS1_3genE4ELNS1_11target_archE910ELNS1_3gpuE8ELNS1_3repE0EEENS1_30default_config_static_selectorELNS0_4arch9wavefront6targetE0EEEvT1_.uses_flat_scratch, 0
	.set _ZN7rocprim17ROCPRIM_400000_NS6detail17trampoline_kernelINS0_14default_configENS1_25partition_config_selectorILNS1_17partition_subalgoE5ElNS0_10empty_typeEbEEZZNS1_14partition_implILS5_5ELb0ES3_mN6hipcub16HIPCUB_304000_NS21CountingInputIteratorIllEEPS6_NSA_22TransformInputIteratorIbN2at6native12_GLOBAL__N_19NonZeroOpIdEEPKdlEENS0_5tupleIJPlS6_EEENSN_IJSD_SD_EEES6_PiJS6_EEE10hipError_tPvRmT3_T4_T5_T6_T7_T9_mT8_P12ihipStream_tbDpT10_ENKUlT_T0_E_clISt17integral_constantIbLb0EES1A_IbLb1EEEEDaS16_S17_EUlS16_E_NS1_11comp_targetILNS1_3genE4ELNS1_11target_archE910ELNS1_3gpuE8ELNS1_3repE0EEENS1_30default_config_static_selectorELNS0_4arch9wavefront6targetE0EEEvT1_.has_dyn_sized_stack, 0
	.set _ZN7rocprim17ROCPRIM_400000_NS6detail17trampoline_kernelINS0_14default_configENS1_25partition_config_selectorILNS1_17partition_subalgoE5ElNS0_10empty_typeEbEEZZNS1_14partition_implILS5_5ELb0ES3_mN6hipcub16HIPCUB_304000_NS21CountingInputIteratorIllEEPS6_NSA_22TransformInputIteratorIbN2at6native12_GLOBAL__N_19NonZeroOpIdEEPKdlEENS0_5tupleIJPlS6_EEENSN_IJSD_SD_EEES6_PiJS6_EEE10hipError_tPvRmT3_T4_T5_T6_T7_T9_mT8_P12ihipStream_tbDpT10_ENKUlT_T0_E_clISt17integral_constantIbLb0EES1A_IbLb1EEEEDaS16_S17_EUlS16_E_NS1_11comp_targetILNS1_3genE4ELNS1_11target_archE910ELNS1_3gpuE8ELNS1_3repE0EEENS1_30default_config_static_selectorELNS0_4arch9wavefront6targetE0EEEvT1_.has_recursion, 0
	.set _ZN7rocprim17ROCPRIM_400000_NS6detail17trampoline_kernelINS0_14default_configENS1_25partition_config_selectorILNS1_17partition_subalgoE5ElNS0_10empty_typeEbEEZZNS1_14partition_implILS5_5ELb0ES3_mN6hipcub16HIPCUB_304000_NS21CountingInputIteratorIllEEPS6_NSA_22TransformInputIteratorIbN2at6native12_GLOBAL__N_19NonZeroOpIdEEPKdlEENS0_5tupleIJPlS6_EEENSN_IJSD_SD_EEES6_PiJS6_EEE10hipError_tPvRmT3_T4_T5_T6_T7_T9_mT8_P12ihipStream_tbDpT10_ENKUlT_T0_E_clISt17integral_constantIbLb0EES1A_IbLb1EEEEDaS16_S17_EUlS16_E_NS1_11comp_targetILNS1_3genE4ELNS1_11target_archE910ELNS1_3gpuE8ELNS1_3repE0EEENS1_30default_config_static_selectorELNS0_4arch9wavefront6targetE0EEEvT1_.has_indirect_call, 0
	.section	.AMDGPU.csdata,"",@progbits
; Kernel info:
; codeLenInByte = 0
; TotalNumSgprs: 0
; NumVgprs: 0
; ScratchSize: 0
; MemoryBound: 0
; FloatMode: 240
; IeeeMode: 1
; LDSByteSize: 0 bytes/workgroup (compile time only)
; SGPRBlocks: 0
; VGPRBlocks: 0
; NumSGPRsForWavesPerEU: 1
; NumVGPRsForWavesPerEU: 1
; Occupancy: 16
; WaveLimiterHint : 0
; COMPUTE_PGM_RSRC2:SCRATCH_EN: 0
; COMPUTE_PGM_RSRC2:USER_SGPR: 2
; COMPUTE_PGM_RSRC2:TRAP_HANDLER: 0
; COMPUTE_PGM_RSRC2:TGID_X_EN: 1
; COMPUTE_PGM_RSRC2:TGID_Y_EN: 0
; COMPUTE_PGM_RSRC2:TGID_Z_EN: 0
; COMPUTE_PGM_RSRC2:TIDIG_COMP_CNT: 0
	.section	.text._ZN7rocprim17ROCPRIM_400000_NS6detail17trampoline_kernelINS0_14default_configENS1_25partition_config_selectorILNS1_17partition_subalgoE5ElNS0_10empty_typeEbEEZZNS1_14partition_implILS5_5ELb0ES3_mN6hipcub16HIPCUB_304000_NS21CountingInputIteratorIllEEPS6_NSA_22TransformInputIteratorIbN2at6native12_GLOBAL__N_19NonZeroOpIdEEPKdlEENS0_5tupleIJPlS6_EEENSN_IJSD_SD_EEES6_PiJS6_EEE10hipError_tPvRmT3_T4_T5_T6_T7_T9_mT8_P12ihipStream_tbDpT10_ENKUlT_T0_E_clISt17integral_constantIbLb0EES1A_IbLb1EEEEDaS16_S17_EUlS16_E_NS1_11comp_targetILNS1_3genE3ELNS1_11target_archE908ELNS1_3gpuE7ELNS1_3repE0EEENS1_30default_config_static_selectorELNS0_4arch9wavefront6targetE0EEEvT1_,"axG",@progbits,_ZN7rocprim17ROCPRIM_400000_NS6detail17trampoline_kernelINS0_14default_configENS1_25partition_config_selectorILNS1_17partition_subalgoE5ElNS0_10empty_typeEbEEZZNS1_14partition_implILS5_5ELb0ES3_mN6hipcub16HIPCUB_304000_NS21CountingInputIteratorIllEEPS6_NSA_22TransformInputIteratorIbN2at6native12_GLOBAL__N_19NonZeroOpIdEEPKdlEENS0_5tupleIJPlS6_EEENSN_IJSD_SD_EEES6_PiJS6_EEE10hipError_tPvRmT3_T4_T5_T6_T7_T9_mT8_P12ihipStream_tbDpT10_ENKUlT_T0_E_clISt17integral_constantIbLb0EES1A_IbLb1EEEEDaS16_S17_EUlS16_E_NS1_11comp_targetILNS1_3genE3ELNS1_11target_archE908ELNS1_3gpuE7ELNS1_3repE0EEENS1_30default_config_static_selectorELNS0_4arch9wavefront6targetE0EEEvT1_,comdat
	.globl	_ZN7rocprim17ROCPRIM_400000_NS6detail17trampoline_kernelINS0_14default_configENS1_25partition_config_selectorILNS1_17partition_subalgoE5ElNS0_10empty_typeEbEEZZNS1_14partition_implILS5_5ELb0ES3_mN6hipcub16HIPCUB_304000_NS21CountingInputIteratorIllEEPS6_NSA_22TransformInputIteratorIbN2at6native12_GLOBAL__N_19NonZeroOpIdEEPKdlEENS0_5tupleIJPlS6_EEENSN_IJSD_SD_EEES6_PiJS6_EEE10hipError_tPvRmT3_T4_T5_T6_T7_T9_mT8_P12ihipStream_tbDpT10_ENKUlT_T0_E_clISt17integral_constantIbLb0EES1A_IbLb1EEEEDaS16_S17_EUlS16_E_NS1_11comp_targetILNS1_3genE3ELNS1_11target_archE908ELNS1_3gpuE7ELNS1_3repE0EEENS1_30default_config_static_selectorELNS0_4arch9wavefront6targetE0EEEvT1_ ; -- Begin function _ZN7rocprim17ROCPRIM_400000_NS6detail17trampoline_kernelINS0_14default_configENS1_25partition_config_selectorILNS1_17partition_subalgoE5ElNS0_10empty_typeEbEEZZNS1_14partition_implILS5_5ELb0ES3_mN6hipcub16HIPCUB_304000_NS21CountingInputIteratorIllEEPS6_NSA_22TransformInputIteratorIbN2at6native12_GLOBAL__N_19NonZeroOpIdEEPKdlEENS0_5tupleIJPlS6_EEENSN_IJSD_SD_EEES6_PiJS6_EEE10hipError_tPvRmT3_T4_T5_T6_T7_T9_mT8_P12ihipStream_tbDpT10_ENKUlT_T0_E_clISt17integral_constantIbLb0EES1A_IbLb1EEEEDaS16_S17_EUlS16_E_NS1_11comp_targetILNS1_3genE3ELNS1_11target_archE908ELNS1_3gpuE7ELNS1_3repE0EEENS1_30default_config_static_selectorELNS0_4arch9wavefront6targetE0EEEvT1_
	.p2align	8
	.type	_ZN7rocprim17ROCPRIM_400000_NS6detail17trampoline_kernelINS0_14default_configENS1_25partition_config_selectorILNS1_17partition_subalgoE5ElNS0_10empty_typeEbEEZZNS1_14partition_implILS5_5ELb0ES3_mN6hipcub16HIPCUB_304000_NS21CountingInputIteratorIllEEPS6_NSA_22TransformInputIteratorIbN2at6native12_GLOBAL__N_19NonZeroOpIdEEPKdlEENS0_5tupleIJPlS6_EEENSN_IJSD_SD_EEES6_PiJS6_EEE10hipError_tPvRmT3_T4_T5_T6_T7_T9_mT8_P12ihipStream_tbDpT10_ENKUlT_T0_E_clISt17integral_constantIbLb0EES1A_IbLb1EEEEDaS16_S17_EUlS16_E_NS1_11comp_targetILNS1_3genE3ELNS1_11target_archE908ELNS1_3gpuE7ELNS1_3repE0EEENS1_30default_config_static_selectorELNS0_4arch9wavefront6targetE0EEEvT1_,@function
_ZN7rocprim17ROCPRIM_400000_NS6detail17trampoline_kernelINS0_14default_configENS1_25partition_config_selectorILNS1_17partition_subalgoE5ElNS0_10empty_typeEbEEZZNS1_14partition_implILS5_5ELb0ES3_mN6hipcub16HIPCUB_304000_NS21CountingInputIteratorIllEEPS6_NSA_22TransformInputIteratorIbN2at6native12_GLOBAL__N_19NonZeroOpIdEEPKdlEENS0_5tupleIJPlS6_EEENSN_IJSD_SD_EEES6_PiJS6_EEE10hipError_tPvRmT3_T4_T5_T6_T7_T9_mT8_P12ihipStream_tbDpT10_ENKUlT_T0_E_clISt17integral_constantIbLb0EES1A_IbLb1EEEEDaS16_S17_EUlS16_E_NS1_11comp_targetILNS1_3genE3ELNS1_11target_archE908ELNS1_3gpuE7ELNS1_3repE0EEENS1_30default_config_static_selectorELNS0_4arch9wavefront6targetE0EEEvT1_: ; @_ZN7rocprim17ROCPRIM_400000_NS6detail17trampoline_kernelINS0_14default_configENS1_25partition_config_selectorILNS1_17partition_subalgoE5ElNS0_10empty_typeEbEEZZNS1_14partition_implILS5_5ELb0ES3_mN6hipcub16HIPCUB_304000_NS21CountingInputIteratorIllEEPS6_NSA_22TransformInputIteratorIbN2at6native12_GLOBAL__N_19NonZeroOpIdEEPKdlEENS0_5tupleIJPlS6_EEENSN_IJSD_SD_EEES6_PiJS6_EEE10hipError_tPvRmT3_T4_T5_T6_T7_T9_mT8_P12ihipStream_tbDpT10_ENKUlT_T0_E_clISt17integral_constantIbLb0EES1A_IbLb1EEEEDaS16_S17_EUlS16_E_NS1_11comp_targetILNS1_3genE3ELNS1_11target_archE908ELNS1_3gpuE7ELNS1_3repE0EEENS1_30default_config_static_selectorELNS0_4arch9wavefront6targetE0EEEvT1_
; %bb.0:
	.section	.rodata,"a",@progbits
	.p2align	6, 0x0
	.amdhsa_kernel _ZN7rocprim17ROCPRIM_400000_NS6detail17trampoline_kernelINS0_14default_configENS1_25partition_config_selectorILNS1_17partition_subalgoE5ElNS0_10empty_typeEbEEZZNS1_14partition_implILS5_5ELb0ES3_mN6hipcub16HIPCUB_304000_NS21CountingInputIteratorIllEEPS6_NSA_22TransformInputIteratorIbN2at6native12_GLOBAL__N_19NonZeroOpIdEEPKdlEENS0_5tupleIJPlS6_EEENSN_IJSD_SD_EEES6_PiJS6_EEE10hipError_tPvRmT3_T4_T5_T6_T7_T9_mT8_P12ihipStream_tbDpT10_ENKUlT_T0_E_clISt17integral_constantIbLb0EES1A_IbLb1EEEEDaS16_S17_EUlS16_E_NS1_11comp_targetILNS1_3genE3ELNS1_11target_archE908ELNS1_3gpuE7ELNS1_3repE0EEENS1_30default_config_static_selectorELNS0_4arch9wavefront6targetE0EEEvT1_
		.amdhsa_group_segment_fixed_size 0
		.amdhsa_private_segment_fixed_size 0
		.amdhsa_kernarg_size 136
		.amdhsa_user_sgpr_count 2
		.amdhsa_user_sgpr_dispatch_ptr 0
		.amdhsa_user_sgpr_queue_ptr 0
		.amdhsa_user_sgpr_kernarg_segment_ptr 1
		.amdhsa_user_sgpr_dispatch_id 0
		.amdhsa_user_sgpr_private_segment_size 0
		.amdhsa_wavefront_size32 1
		.amdhsa_uses_dynamic_stack 0
		.amdhsa_enable_private_segment 0
		.amdhsa_system_sgpr_workgroup_id_x 1
		.amdhsa_system_sgpr_workgroup_id_y 0
		.amdhsa_system_sgpr_workgroup_id_z 0
		.amdhsa_system_sgpr_workgroup_info 0
		.amdhsa_system_vgpr_workitem_id 0
		.amdhsa_next_free_vgpr 1
		.amdhsa_next_free_sgpr 1
		.amdhsa_reserve_vcc 0
		.amdhsa_float_round_mode_32 0
		.amdhsa_float_round_mode_16_64 0
		.amdhsa_float_denorm_mode_32 3
		.amdhsa_float_denorm_mode_16_64 3
		.amdhsa_fp16_overflow 0
		.amdhsa_workgroup_processor_mode 1
		.amdhsa_memory_ordered 1
		.amdhsa_forward_progress 1
		.amdhsa_inst_pref_size 0
		.amdhsa_round_robin_scheduling 0
		.amdhsa_exception_fp_ieee_invalid_op 0
		.amdhsa_exception_fp_denorm_src 0
		.amdhsa_exception_fp_ieee_div_zero 0
		.amdhsa_exception_fp_ieee_overflow 0
		.amdhsa_exception_fp_ieee_underflow 0
		.amdhsa_exception_fp_ieee_inexact 0
		.amdhsa_exception_int_div_zero 0
	.end_amdhsa_kernel
	.section	.text._ZN7rocprim17ROCPRIM_400000_NS6detail17trampoline_kernelINS0_14default_configENS1_25partition_config_selectorILNS1_17partition_subalgoE5ElNS0_10empty_typeEbEEZZNS1_14partition_implILS5_5ELb0ES3_mN6hipcub16HIPCUB_304000_NS21CountingInputIteratorIllEEPS6_NSA_22TransformInputIteratorIbN2at6native12_GLOBAL__N_19NonZeroOpIdEEPKdlEENS0_5tupleIJPlS6_EEENSN_IJSD_SD_EEES6_PiJS6_EEE10hipError_tPvRmT3_T4_T5_T6_T7_T9_mT8_P12ihipStream_tbDpT10_ENKUlT_T0_E_clISt17integral_constantIbLb0EES1A_IbLb1EEEEDaS16_S17_EUlS16_E_NS1_11comp_targetILNS1_3genE3ELNS1_11target_archE908ELNS1_3gpuE7ELNS1_3repE0EEENS1_30default_config_static_selectorELNS0_4arch9wavefront6targetE0EEEvT1_,"axG",@progbits,_ZN7rocprim17ROCPRIM_400000_NS6detail17trampoline_kernelINS0_14default_configENS1_25partition_config_selectorILNS1_17partition_subalgoE5ElNS0_10empty_typeEbEEZZNS1_14partition_implILS5_5ELb0ES3_mN6hipcub16HIPCUB_304000_NS21CountingInputIteratorIllEEPS6_NSA_22TransformInputIteratorIbN2at6native12_GLOBAL__N_19NonZeroOpIdEEPKdlEENS0_5tupleIJPlS6_EEENSN_IJSD_SD_EEES6_PiJS6_EEE10hipError_tPvRmT3_T4_T5_T6_T7_T9_mT8_P12ihipStream_tbDpT10_ENKUlT_T0_E_clISt17integral_constantIbLb0EES1A_IbLb1EEEEDaS16_S17_EUlS16_E_NS1_11comp_targetILNS1_3genE3ELNS1_11target_archE908ELNS1_3gpuE7ELNS1_3repE0EEENS1_30default_config_static_selectorELNS0_4arch9wavefront6targetE0EEEvT1_,comdat
.Lfunc_end417:
	.size	_ZN7rocprim17ROCPRIM_400000_NS6detail17trampoline_kernelINS0_14default_configENS1_25partition_config_selectorILNS1_17partition_subalgoE5ElNS0_10empty_typeEbEEZZNS1_14partition_implILS5_5ELb0ES3_mN6hipcub16HIPCUB_304000_NS21CountingInputIteratorIllEEPS6_NSA_22TransformInputIteratorIbN2at6native12_GLOBAL__N_19NonZeroOpIdEEPKdlEENS0_5tupleIJPlS6_EEENSN_IJSD_SD_EEES6_PiJS6_EEE10hipError_tPvRmT3_T4_T5_T6_T7_T9_mT8_P12ihipStream_tbDpT10_ENKUlT_T0_E_clISt17integral_constantIbLb0EES1A_IbLb1EEEEDaS16_S17_EUlS16_E_NS1_11comp_targetILNS1_3genE3ELNS1_11target_archE908ELNS1_3gpuE7ELNS1_3repE0EEENS1_30default_config_static_selectorELNS0_4arch9wavefront6targetE0EEEvT1_, .Lfunc_end417-_ZN7rocprim17ROCPRIM_400000_NS6detail17trampoline_kernelINS0_14default_configENS1_25partition_config_selectorILNS1_17partition_subalgoE5ElNS0_10empty_typeEbEEZZNS1_14partition_implILS5_5ELb0ES3_mN6hipcub16HIPCUB_304000_NS21CountingInputIteratorIllEEPS6_NSA_22TransformInputIteratorIbN2at6native12_GLOBAL__N_19NonZeroOpIdEEPKdlEENS0_5tupleIJPlS6_EEENSN_IJSD_SD_EEES6_PiJS6_EEE10hipError_tPvRmT3_T4_T5_T6_T7_T9_mT8_P12ihipStream_tbDpT10_ENKUlT_T0_E_clISt17integral_constantIbLb0EES1A_IbLb1EEEEDaS16_S17_EUlS16_E_NS1_11comp_targetILNS1_3genE3ELNS1_11target_archE908ELNS1_3gpuE7ELNS1_3repE0EEENS1_30default_config_static_selectorELNS0_4arch9wavefront6targetE0EEEvT1_
                                        ; -- End function
	.set _ZN7rocprim17ROCPRIM_400000_NS6detail17trampoline_kernelINS0_14default_configENS1_25partition_config_selectorILNS1_17partition_subalgoE5ElNS0_10empty_typeEbEEZZNS1_14partition_implILS5_5ELb0ES3_mN6hipcub16HIPCUB_304000_NS21CountingInputIteratorIllEEPS6_NSA_22TransformInputIteratorIbN2at6native12_GLOBAL__N_19NonZeroOpIdEEPKdlEENS0_5tupleIJPlS6_EEENSN_IJSD_SD_EEES6_PiJS6_EEE10hipError_tPvRmT3_T4_T5_T6_T7_T9_mT8_P12ihipStream_tbDpT10_ENKUlT_T0_E_clISt17integral_constantIbLb0EES1A_IbLb1EEEEDaS16_S17_EUlS16_E_NS1_11comp_targetILNS1_3genE3ELNS1_11target_archE908ELNS1_3gpuE7ELNS1_3repE0EEENS1_30default_config_static_selectorELNS0_4arch9wavefront6targetE0EEEvT1_.num_vgpr, 0
	.set _ZN7rocprim17ROCPRIM_400000_NS6detail17trampoline_kernelINS0_14default_configENS1_25partition_config_selectorILNS1_17partition_subalgoE5ElNS0_10empty_typeEbEEZZNS1_14partition_implILS5_5ELb0ES3_mN6hipcub16HIPCUB_304000_NS21CountingInputIteratorIllEEPS6_NSA_22TransformInputIteratorIbN2at6native12_GLOBAL__N_19NonZeroOpIdEEPKdlEENS0_5tupleIJPlS6_EEENSN_IJSD_SD_EEES6_PiJS6_EEE10hipError_tPvRmT3_T4_T5_T6_T7_T9_mT8_P12ihipStream_tbDpT10_ENKUlT_T0_E_clISt17integral_constantIbLb0EES1A_IbLb1EEEEDaS16_S17_EUlS16_E_NS1_11comp_targetILNS1_3genE3ELNS1_11target_archE908ELNS1_3gpuE7ELNS1_3repE0EEENS1_30default_config_static_selectorELNS0_4arch9wavefront6targetE0EEEvT1_.num_agpr, 0
	.set _ZN7rocprim17ROCPRIM_400000_NS6detail17trampoline_kernelINS0_14default_configENS1_25partition_config_selectorILNS1_17partition_subalgoE5ElNS0_10empty_typeEbEEZZNS1_14partition_implILS5_5ELb0ES3_mN6hipcub16HIPCUB_304000_NS21CountingInputIteratorIllEEPS6_NSA_22TransformInputIteratorIbN2at6native12_GLOBAL__N_19NonZeroOpIdEEPKdlEENS0_5tupleIJPlS6_EEENSN_IJSD_SD_EEES6_PiJS6_EEE10hipError_tPvRmT3_T4_T5_T6_T7_T9_mT8_P12ihipStream_tbDpT10_ENKUlT_T0_E_clISt17integral_constantIbLb0EES1A_IbLb1EEEEDaS16_S17_EUlS16_E_NS1_11comp_targetILNS1_3genE3ELNS1_11target_archE908ELNS1_3gpuE7ELNS1_3repE0EEENS1_30default_config_static_selectorELNS0_4arch9wavefront6targetE0EEEvT1_.numbered_sgpr, 0
	.set _ZN7rocprim17ROCPRIM_400000_NS6detail17trampoline_kernelINS0_14default_configENS1_25partition_config_selectorILNS1_17partition_subalgoE5ElNS0_10empty_typeEbEEZZNS1_14partition_implILS5_5ELb0ES3_mN6hipcub16HIPCUB_304000_NS21CountingInputIteratorIllEEPS6_NSA_22TransformInputIteratorIbN2at6native12_GLOBAL__N_19NonZeroOpIdEEPKdlEENS0_5tupleIJPlS6_EEENSN_IJSD_SD_EEES6_PiJS6_EEE10hipError_tPvRmT3_T4_T5_T6_T7_T9_mT8_P12ihipStream_tbDpT10_ENKUlT_T0_E_clISt17integral_constantIbLb0EES1A_IbLb1EEEEDaS16_S17_EUlS16_E_NS1_11comp_targetILNS1_3genE3ELNS1_11target_archE908ELNS1_3gpuE7ELNS1_3repE0EEENS1_30default_config_static_selectorELNS0_4arch9wavefront6targetE0EEEvT1_.num_named_barrier, 0
	.set _ZN7rocprim17ROCPRIM_400000_NS6detail17trampoline_kernelINS0_14default_configENS1_25partition_config_selectorILNS1_17partition_subalgoE5ElNS0_10empty_typeEbEEZZNS1_14partition_implILS5_5ELb0ES3_mN6hipcub16HIPCUB_304000_NS21CountingInputIteratorIllEEPS6_NSA_22TransformInputIteratorIbN2at6native12_GLOBAL__N_19NonZeroOpIdEEPKdlEENS0_5tupleIJPlS6_EEENSN_IJSD_SD_EEES6_PiJS6_EEE10hipError_tPvRmT3_T4_T5_T6_T7_T9_mT8_P12ihipStream_tbDpT10_ENKUlT_T0_E_clISt17integral_constantIbLb0EES1A_IbLb1EEEEDaS16_S17_EUlS16_E_NS1_11comp_targetILNS1_3genE3ELNS1_11target_archE908ELNS1_3gpuE7ELNS1_3repE0EEENS1_30default_config_static_selectorELNS0_4arch9wavefront6targetE0EEEvT1_.private_seg_size, 0
	.set _ZN7rocprim17ROCPRIM_400000_NS6detail17trampoline_kernelINS0_14default_configENS1_25partition_config_selectorILNS1_17partition_subalgoE5ElNS0_10empty_typeEbEEZZNS1_14partition_implILS5_5ELb0ES3_mN6hipcub16HIPCUB_304000_NS21CountingInputIteratorIllEEPS6_NSA_22TransformInputIteratorIbN2at6native12_GLOBAL__N_19NonZeroOpIdEEPKdlEENS0_5tupleIJPlS6_EEENSN_IJSD_SD_EEES6_PiJS6_EEE10hipError_tPvRmT3_T4_T5_T6_T7_T9_mT8_P12ihipStream_tbDpT10_ENKUlT_T0_E_clISt17integral_constantIbLb0EES1A_IbLb1EEEEDaS16_S17_EUlS16_E_NS1_11comp_targetILNS1_3genE3ELNS1_11target_archE908ELNS1_3gpuE7ELNS1_3repE0EEENS1_30default_config_static_selectorELNS0_4arch9wavefront6targetE0EEEvT1_.uses_vcc, 0
	.set _ZN7rocprim17ROCPRIM_400000_NS6detail17trampoline_kernelINS0_14default_configENS1_25partition_config_selectorILNS1_17partition_subalgoE5ElNS0_10empty_typeEbEEZZNS1_14partition_implILS5_5ELb0ES3_mN6hipcub16HIPCUB_304000_NS21CountingInputIteratorIllEEPS6_NSA_22TransformInputIteratorIbN2at6native12_GLOBAL__N_19NonZeroOpIdEEPKdlEENS0_5tupleIJPlS6_EEENSN_IJSD_SD_EEES6_PiJS6_EEE10hipError_tPvRmT3_T4_T5_T6_T7_T9_mT8_P12ihipStream_tbDpT10_ENKUlT_T0_E_clISt17integral_constantIbLb0EES1A_IbLb1EEEEDaS16_S17_EUlS16_E_NS1_11comp_targetILNS1_3genE3ELNS1_11target_archE908ELNS1_3gpuE7ELNS1_3repE0EEENS1_30default_config_static_selectorELNS0_4arch9wavefront6targetE0EEEvT1_.uses_flat_scratch, 0
	.set _ZN7rocprim17ROCPRIM_400000_NS6detail17trampoline_kernelINS0_14default_configENS1_25partition_config_selectorILNS1_17partition_subalgoE5ElNS0_10empty_typeEbEEZZNS1_14partition_implILS5_5ELb0ES3_mN6hipcub16HIPCUB_304000_NS21CountingInputIteratorIllEEPS6_NSA_22TransformInputIteratorIbN2at6native12_GLOBAL__N_19NonZeroOpIdEEPKdlEENS0_5tupleIJPlS6_EEENSN_IJSD_SD_EEES6_PiJS6_EEE10hipError_tPvRmT3_T4_T5_T6_T7_T9_mT8_P12ihipStream_tbDpT10_ENKUlT_T0_E_clISt17integral_constantIbLb0EES1A_IbLb1EEEEDaS16_S17_EUlS16_E_NS1_11comp_targetILNS1_3genE3ELNS1_11target_archE908ELNS1_3gpuE7ELNS1_3repE0EEENS1_30default_config_static_selectorELNS0_4arch9wavefront6targetE0EEEvT1_.has_dyn_sized_stack, 0
	.set _ZN7rocprim17ROCPRIM_400000_NS6detail17trampoline_kernelINS0_14default_configENS1_25partition_config_selectorILNS1_17partition_subalgoE5ElNS0_10empty_typeEbEEZZNS1_14partition_implILS5_5ELb0ES3_mN6hipcub16HIPCUB_304000_NS21CountingInputIteratorIllEEPS6_NSA_22TransformInputIteratorIbN2at6native12_GLOBAL__N_19NonZeroOpIdEEPKdlEENS0_5tupleIJPlS6_EEENSN_IJSD_SD_EEES6_PiJS6_EEE10hipError_tPvRmT3_T4_T5_T6_T7_T9_mT8_P12ihipStream_tbDpT10_ENKUlT_T0_E_clISt17integral_constantIbLb0EES1A_IbLb1EEEEDaS16_S17_EUlS16_E_NS1_11comp_targetILNS1_3genE3ELNS1_11target_archE908ELNS1_3gpuE7ELNS1_3repE0EEENS1_30default_config_static_selectorELNS0_4arch9wavefront6targetE0EEEvT1_.has_recursion, 0
	.set _ZN7rocprim17ROCPRIM_400000_NS6detail17trampoline_kernelINS0_14default_configENS1_25partition_config_selectorILNS1_17partition_subalgoE5ElNS0_10empty_typeEbEEZZNS1_14partition_implILS5_5ELb0ES3_mN6hipcub16HIPCUB_304000_NS21CountingInputIteratorIllEEPS6_NSA_22TransformInputIteratorIbN2at6native12_GLOBAL__N_19NonZeroOpIdEEPKdlEENS0_5tupleIJPlS6_EEENSN_IJSD_SD_EEES6_PiJS6_EEE10hipError_tPvRmT3_T4_T5_T6_T7_T9_mT8_P12ihipStream_tbDpT10_ENKUlT_T0_E_clISt17integral_constantIbLb0EES1A_IbLb1EEEEDaS16_S17_EUlS16_E_NS1_11comp_targetILNS1_3genE3ELNS1_11target_archE908ELNS1_3gpuE7ELNS1_3repE0EEENS1_30default_config_static_selectorELNS0_4arch9wavefront6targetE0EEEvT1_.has_indirect_call, 0
	.section	.AMDGPU.csdata,"",@progbits
; Kernel info:
; codeLenInByte = 0
; TotalNumSgprs: 0
; NumVgprs: 0
; ScratchSize: 0
; MemoryBound: 0
; FloatMode: 240
; IeeeMode: 1
; LDSByteSize: 0 bytes/workgroup (compile time only)
; SGPRBlocks: 0
; VGPRBlocks: 0
; NumSGPRsForWavesPerEU: 1
; NumVGPRsForWavesPerEU: 1
; Occupancy: 16
; WaveLimiterHint : 0
; COMPUTE_PGM_RSRC2:SCRATCH_EN: 0
; COMPUTE_PGM_RSRC2:USER_SGPR: 2
; COMPUTE_PGM_RSRC2:TRAP_HANDLER: 0
; COMPUTE_PGM_RSRC2:TGID_X_EN: 1
; COMPUTE_PGM_RSRC2:TGID_Y_EN: 0
; COMPUTE_PGM_RSRC2:TGID_Z_EN: 0
; COMPUTE_PGM_RSRC2:TIDIG_COMP_CNT: 0
	.section	.text._ZN7rocprim17ROCPRIM_400000_NS6detail17trampoline_kernelINS0_14default_configENS1_25partition_config_selectorILNS1_17partition_subalgoE5ElNS0_10empty_typeEbEEZZNS1_14partition_implILS5_5ELb0ES3_mN6hipcub16HIPCUB_304000_NS21CountingInputIteratorIllEEPS6_NSA_22TransformInputIteratorIbN2at6native12_GLOBAL__N_19NonZeroOpIdEEPKdlEENS0_5tupleIJPlS6_EEENSN_IJSD_SD_EEES6_PiJS6_EEE10hipError_tPvRmT3_T4_T5_T6_T7_T9_mT8_P12ihipStream_tbDpT10_ENKUlT_T0_E_clISt17integral_constantIbLb0EES1A_IbLb1EEEEDaS16_S17_EUlS16_E_NS1_11comp_targetILNS1_3genE2ELNS1_11target_archE906ELNS1_3gpuE6ELNS1_3repE0EEENS1_30default_config_static_selectorELNS0_4arch9wavefront6targetE0EEEvT1_,"axG",@progbits,_ZN7rocprim17ROCPRIM_400000_NS6detail17trampoline_kernelINS0_14default_configENS1_25partition_config_selectorILNS1_17partition_subalgoE5ElNS0_10empty_typeEbEEZZNS1_14partition_implILS5_5ELb0ES3_mN6hipcub16HIPCUB_304000_NS21CountingInputIteratorIllEEPS6_NSA_22TransformInputIteratorIbN2at6native12_GLOBAL__N_19NonZeroOpIdEEPKdlEENS0_5tupleIJPlS6_EEENSN_IJSD_SD_EEES6_PiJS6_EEE10hipError_tPvRmT3_T4_T5_T6_T7_T9_mT8_P12ihipStream_tbDpT10_ENKUlT_T0_E_clISt17integral_constantIbLb0EES1A_IbLb1EEEEDaS16_S17_EUlS16_E_NS1_11comp_targetILNS1_3genE2ELNS1_11target_archE906ELNS1_3gpuE6ELNS1_3repE0EEENS1_30default_config_static_selectorELNS0_4arch9wavefront6targetE0EEEvT1_,comdat
	.globl	_ZN7rocprim17ROCPRIM_400000_NS6detail17trampoline_kernelINS0_14default_configENS1_25partition_config_selectorILNS1_17partition_subalgoE5ElNS0_10empty_typeEbEEZZNS1_14partition_implILS5_5ELb0ES3_mN6hipcub16HIPCUB_304000_NS21CountingInputIteratorIllEEPS6_NSA_22TransformInputIteratorIbN2at6native12_GLOBAL__N_19NonZeroOpIdEEPKdlEENS0_5tupleIJPlS6_EEENSN_IJSD_SD_EEES6_PiJS6_EEE10hipError_tPvRmT3_T4_T5_T6_T7_T9_mT8_P12ihipStream_tbDpT10_ENKUlT_T0_E_clISt17integral_constantIbLb0EES1A_IbLb1EEEEDaS16_S17_EUlS16_E_NS1_11comp_targetILNS1_3genE2ELNS1_11target_archE906ELNS1_3gpuE6ELNS1_3repE0EEENS1_30default_config_static_selectorELNS0_4arch9wavefront6targetE0EEEvT1_ ; -- Begin function _ZN7rocprim17ROCPRIM_400000_NS6detail17trampoline_kernelINS0_14default_configENS1_25partition_config_selectorILNS1_17partition_subalgoE5ElNS0_10empty_typeEbEEZZNS1_14partition_implILS5_5ELb0ES3_mN6hipcub16HIPCUB_304000_NS21CountingInputIteratorIllEEPS6_NSA_22TransformInputIteratorIbN2at6native12_GLOBAL__N_19NonZeroOpIdEEPKdlEENS0_5tupleIJPlS6_EEENSN_IJSD_SD_EEES6_PiJS6_EEE10hipError_tPvRmT3_T4_T5_T6_T7_T9_mT8_P12ihipStream_tbDpT10_ENKUlT_T0_E_clISt17integral_constantIbLb0EES1A_IbLb1EEEEDaS16_S17_EUlS16_E_NS1_11comp_targetILNS1_3genE2ELNS1_11target_archE906ELNS1_3gpuE6ELNS1_3repE0EEENS1_30default_config_static_selectorELNS0_4arch9wavefront6targetE0EEEvT1_
	.p2align	8
	.type	_ZN7rocprim17ROCPRIM_400000_NS6detail17trampoline_kernelINS0_14default_configENS1_25partition_config_selectorILNS1_17partition_subalgoE5ElNS0_10empty_typeEbEEZZNS1_14partition_implILS5_5ELb0ES3_mN6hipcub16HIPCUB_304000_NS21CountingInputIteratorIllEEPS6_NSA_22TransformInputIteratorIbN2at6native12_GLOBAL__N_19NonZeroOpIdEEPKdlEENS0_5tupleIJPlS6_EEENSN_IJSD_SD_EEES6_PiJS6_EEE10hipError_tPvRmT3_T4_T5_T6_T7_T9_mT8_P12ihipStream_tbDpT10_ENKUlT_T0_E_clISt17integral_constantIbLb0EES1A_IbLb1EEEEDaS16_S17_EUlS16_E_NS1_11comp_targetILNS1_3genE2ELNS1_11target_archE906ELNS1_3gpuE6ELNS1_3repE0EEENS1_30default_config_static_selectorELNS0_4arch9wavefront6targetE0EEEvT1_,@function
_ZN7rocprim17ROCPRIM_400000_NS6detail17trampoline_kernelINS0_14default_configENS1_25partition_config_selectorILNS1_17partition_subalgoE5ElNS0_10empty_typeEbEEZZNS1_14partition_implILS5_5ELb0ES3_mN6hipcub16HIPCUB_304000_NS21CountingInputIteratorIllEEPS6_NSA_22TransformInputIteratorIbN2at6native12_GLOBAL__N_19NonZeroOpIdEEPKdlEENS0_5tupleIJPlS6_EEENSN_IJSD_SD_EEES6_PiJS6_EEE10hipError_tPvRmT3_T4_T5_T6_T7_T9_mT8_P12ihipStream_tbDpT10_ENKUlT_T0_E_clISt17integral_constantIbLb0EES1A_IbLb1EEEEDaS16_S17_EUlS16_E_NS1_11comp_targetILNS1_3genE2ELNS1_11target_archE906ELNS1_3gpuE6ELNS1_3repE0EEENS1_30default_config_static_selectorELNS0_4arch9wavefront6targetE0EEEvT1_: ; @_ZN7rocprim17ROCPRIM_400000_NS6detail17trampoline_kernelINS0_14default_configENS1_25partition_config_selectorILNS1_17partition_subalgoE5ElNS0_10empty_typeEbEEZZNS1_14partition_implILS5_5ELb0ES3_mN6hipcub16HIPCUB_304000_NS21CountingInputIteratorIllEEPS6_NSA_22TransformInputIteratorIbN2at6native12_GLOBAL__N_19NonZeroOpIdEEPKdlEENS0_5tupleIJPlS6_EEENSN_IJSD_SD_EEES6_PiJS6_EEE10hipError_tPvRmT3_T4_T5_T6_T7_T9_mT8_P12ihipStream_tbDpT10_ENKUlT_T0_E_clISt17integral_constantIbLb0EES1A_IbLb1EEEEDaS16_S17_EUlS16_E_NS1_11comp_targetILNS1_3genE2ELNS1_11target_archE906ELNS1_3gpuE6ELNS1_3repE0EEENS1_30default_config_static_selectorELNS0_4arch9wavefront6targetE0EEEvT1_
; %bb.0:
	.section	.rodata,"a",@progbits
	.p2align	6, 0x0
	.amdhsa_kernel _ZN7rocprim17ROCPRIM_400000_NS6detail17trampoline_kernelINS0_14default_configENS1_25partition_config_selectorILNS1_17partition_subalgoE5ElNS0_10empty_typeEbEEZZNS1_14partition_implILS5_5ELb0ES3_mN6hipcub16HIPCUB_304000_NS21CountingInputIteratorIllEEPS6_NSA_22TransformInputIteratorIbN2at6native12_GLOBAL__N_19NonZeroOpIdEEPKdlEENS0_5tupleIJPlS6_EEENSN_IJSD_SD_EEES6_PiJS6_EEE10hipError_tPvRmT3_T4_T5_T6_T7_T9_mT8_P12ihipStream_tbDpT10_ENKUlT_T0_E_clISt17integral_constantIbLb0EES1A_IbLb1EEEEDaS16_S17_EUlS16_E_NS1_11comp_targetILNS1_3genE2ELNS1_11target_archE906ELNS1_3gpuE6ELNS1_3repE0EEENS1_30default_config_static_selectorELNS0_4arch9wavefront6targetE0EEEvT1_
		.amdhsa_group_segment_fixed_size 0
		.amdhsa_private_segment_fixed_size 0
		.amdhsa_kernarg_size 136
		.amdhsa_user_sgpr_count 2
		.amdhsa_user_sgpr_dispatch_ptr 0
		.amdhsa_user_sgpr_queue_ptr 0
		.amdhsa_user_sgpr_kernarg_segment_ptr 1
		.amdhsa_user_sgpr_dispatch_id 0
		.amdhsa_user_sgpr_private_segment_size 0
		.amdhsa_wavefront_size32 1
		.amdhsa_uses_dynamic_stack 0
		.amdhsa_enable_private_segment 0
		.amdhsa_system_sgpr_workgroup_id_x 1
		.amdhsa_system_sgpr_workgroup_id_y 0
		.amdhsa_system_sgpr_workgroup_id_z 0
		.amdhsa_system_sgpr_workgroup_info 0
		.amdhsa_system_vgpr_workitem_id 0
		.amdhsa_next_free_vgpr 1
		.amdhsa_next_free_sgpr 1
		.amdhsa_reserve_vcc 0
		.amdhsa_float_round_mode_32 0
		.amdhsa_float_round_mode_16_64 0
		.amdhsa_float_denorm_mode_32 3
		.amdhsa_float_denorm_mode_16_64 3
		.amdhsa_fp16_overflow 0
		.amdhsa_workgroup_processor_mode 1
		.amdhsa_memory_ordered 1
		.amdhsa_forward_progress 1
		.amdhsa_inst_pref_size 0
		.amdhsa_round_robin_scheduling 0
		.amdhsa_exception_fp_ieee_invalid_op 0
		.amdhsa_exception_fp_denorm_src 0
		.amdhsa_exception_fp_ieee_div_zero 0
		.amdhsa_exception_fp_ieee_overflow 0
		.amdhsa_exception_fp_ieee_underflow 0
		.amdhsa_exception_fp_ieee_inexact 0
		.amdhsa_exception_int_div_zero 0
	.end_amdhsa_kernel
	.section	.text._ZN7rocprim17ROCPRIM_400000_NS6detail17trampoline_kernelINS0_14default_configENS1_25partition_config_selectorILNS1_17partition_subalgoE5ElNS0_10empty_typeEbEEZZNS1_14partition_implILS5_5ELb0ES3_mN6hipcub16HIPCUB_304000_NS21CountingInputIteratorIllEEPS6_NSA_22TransformInputIteratorIbN2at6native12_GLOBAL__N_19NonZeroOpIdEEPKdlEENS0_5tupleIJPlS6_EEENSN_IJSD_SD_EEES6_PiJS6_EEE10hipError_tPvRmT3_T4_T5_T6_T7_T9_mT8_P12ihipStream_tbDpT10_ENKUlT_T0_E_clISt17integral_constantIbLb0EES1A_IbLb1EEEEDaS16_S17_EUlS16_E_NS1_11comp_targetILNS1_3genE2ELNS1_11target_archE906ELNS1_3gpuE6ELNS1_3repE0EEENS1_30default_config_static_selectorELNS0_4arch9wavefront6targetE0EEEvT1_,"axG",@progbits,_ZN7rocprim17ROCPRIM_400000_NS6detail17trampoline_kernelINS0_14default_configENS1_25partition_config_selectorILNS1_17partition_subalgoE5ElNS0_10empty_typeEbEEZZNS1_14partition_implILS5_5ELb0ES3_mN6hipcub16HIPCUB_304000_NS21CountingInputIteratorIllEEPS6_NSA_22TransformInputIteratorIbN2at6native12_GLOBAL__N_19NonZeroOpIdEEPKdlEENS0_5tupleIJPlS6_EEENSN_IJSD_SD_EEES6_PiJS6_EEE10hipError_tPvRmT3_T4_T5_T6_T7_T9_mT8_P12ihipStream_tbDpT10_ENKUlT_T0_E_clISt17integral_constantIbLb0EES1A_IbLb1EEEEDaS16_S17_EUlS16_E_NS1_11comp_targetILNS1_3genE2ELNS1_11target_archE906ELNS1_3gpuE6ELNS1_3repE0EEENS1_30default_config_static_selectorELNS0_4arch9wavefront6targetE0EEEvT1_,comdat
.Lfunc_end418:
	.size	_ZN7rocprim17ROCPRIM_400000_NS6detail17trampoline_kernelINS0_14default_configENS1_25partition_config_selectorILNS1_17partition_subalgoE5ElNS0_10empty_typeEbEEZZNS1_14partition_implILS5_5ELb0ES3_mN6hipcub16HIPCUB_304000_NS21CountingInputIteratorIllEEPS6_NSA_22TransformInputIteratorIbN2at6native12_GLOBAL__N_19NonZeroOpIdEEPKdlEENS0_5tupleIJPlS6_EEENSN_IJSD_SD_EEES6_PiJS6_EEE10hipError_tPvRmT3_T4_T5_T6_T7_T9_mT8_P12ihipStream_tbDpT10_ENKUlT_T0_E_clISt17integral_constantIbLb0EES1A_IbLb1EEEEDaS16_S17_EUlS16_E_NS1_11comp_targetILNS1_3genE2ELNS1_11target_archE906ELNS1_3gpuE6ELNS1_3repE0EEENS1_30default_config_static_selectorELNS0_4arch9wavefront6targetE0EEEvT1_, .Lfunc_end418-_ZN7rocprim17ROCPRIM_400000_NS6detail17trampoline_kernelINS0_14default_configENS1_25partition_config_selectorILNS1_17partition_subalgoE5ElNS0_10empty_typeEbEEZZNS1_14partition_implILS5_5ELb0ES3_mN6hipcub16HIPCUB_304000_NS21CountingInputIteratorIllEEPS6_NSA_22TransformInputIteratorIbN2at6native12_GLOBAL__N_19NonZeroOpIdEEPKdlEENS0_5tupleIJPlS6_EEENSN_IJSD_SD_EEES6_PiJS6_EEE10hipError_tPvRmT3_T4_T5_T6_T7_T9_mT8_P12ihipStream_tbDpT10_ENKUlT_T0_E_clISt17integral_constantIbLb0EES1A_IbLb1EEEEDaS16_S17_EUlS16_E_NS1_11comp_targetILNS1_3genE2ELNS1_11target_archE906ELNS1_3gpuE6ELNS1_3repE0EEENS1_30default_config_static_selectorELNS0_4arch9wavefront6targetE0EEEvT1_
                                        ; -- End function
	.set _ZN7rocprim17ROCPRIM_400000_NS6detail17trampoline_kernelINS0_14default_configENS1_25partition_config_selectorILNS1_17partition_subalgoE5ElNS0_10empty_typeEbEEZZNS1_14partition_implILS5_5ELb0ES3_mN6hipcub16HIPCUB_304000_NS21CountingInputIteratorIllEEPS6_NSA_22TransformInputIteratorIbN2at6native12_GLOBAL__N_19NonZeroOpIdEEPKdlEENS0_5tupleIJPlS6_EEENSN_IJSD_SD_EEES6_PiJS6_EEE10hipError_tPvRmT3_T4_T5_T6_T7_T9_mT8_P12ihipStream_tbDpT10_ENKUlT_T0_E_clISt17integral_constantIbLb0EES1A_IbLb1EEEEDaS16_S17_EUlS16_E_NS1_11comp_targetILNS1_3genE2ELNS1_11target_archE906ELNS1_3gpuE6ELNS1_3repE0EEENS1_30default_config_static_selectorELNS0_4arch9wavefront6targetE0EEEvT1_.num_vgpr, 0
	.set _ZN7rocprim17ROCPRIM_400000_NS6detail17trampoline_kernelINS0_14default_configENS1_25partition_config_selectorILNS1_17partition_subalgoE5ElNS0_10empty_typeEbEEZZNS1_14partition_implILS5_5ELb0ES3_mN6hipcub16HIPCUB_304000_NS21CountingInputIteratorIllEEPS6_NSA_22TransformInputIteratorIbN2at6native12_GLOBAL__N_19NonZeroOpIdEEPKdlEENS0_5tupleIJPlS6_EEENSN_IJSD_SD_EEES6_PiJS6_EEE10hipError_tPvRmT3_T4_T5_T6_T7_T9_mT8_P12ihipStream_tbDpT10_ENKUlT_T0_E_clISt17integral_constantIbLb0EES1A_IbLb1EEEEDaS16_S17_EUlS16_E_NS1_11comp_targetILNS1_3genE2ELNS1_11target_archE906ELNS1_3gpuE6ELNS1_3repE0EEENS1_30default_config_static_selectorELNS0_4arch9wavefront6targetE0EEEvT1_.num_agpr, 0
	.set _ZN7rocprim17ROCPRIM_400000_NS6detail17trampoline_kernelINS0_14default_configENS1_25partition_config_selectorILNS1_17partition_subalgoE5ElNS0_10empty_typeEbEEZZNS1_14partition_implILS5_5ELb0ES3_mN6hipcub16HIPCUB_304000_NS21CountingInputIteratorIllEEPS6_NSA_22TransformInputIteratorIbN2at6native12_GLOBAL__N_19NonZeroOpIdEEPKdlEENS0_5tupleIJPlS6_EEENSN_IJSD_SD_EEES6_PiJS6_EEE10hipError_tPvRmT3_T4_T5_T6_T7_T9_mT8_P12ihipStream_tbDpT10_ENKUlT_T0_E_clISt17integral_constantIbLb0EES1A_IbLb1EEEEDaS16_S17_EUlS16_E_NS1_11comp_targetILNS1_3genE2ELNS1_11target_archE906ELNS1_3gpuE6ELNS1_3repE0EEENS1_30default_config_static_selectorELNS0_4arch9wavefront6targetE0EEEvT1_.numbered_sgpr, 0
	.set _ZN7rocprim17ROCPRIM_400000_NS6detail17trampoline_kernelINS0_14default_configENS1_25partition_config_selectorILNS1_17partition_subalgoE5ElNS0_10empty_typeEbEEZZNS1_14partition_implILS5_5ELb0ES3_mN6hipcub16HIPCUB_304000_NS21CountingInputIteratorIllEEPS6_NSA_22TransformInputIteratorIbN2at6native12_GLOBAL__N_19NonZeroOpIdEEPKdlEENS0_5tupleIJPlS6_EEENSN_IJSD_SD_EEES6_PiJS6_EEE10hipError_tPvRmT3_T4_T5_T6_T7_T9_mT8_P12ihipStream_tbDpT10_ENKUlT_T0_E_clISt17integral_constantIbLb0EES1A_IbLb1EEEEDaS16_S17_EUlS16_E_NS1_11comp_targetILNS1_3genE2ELNS1_11target_archE906ELNS1_3gpuE6ELNS1_3repE0EEENS1_30default_config_static_selectorELNS0_4arch9wavefront6targetE0EEEvT1_.num_named_barrier, 0
	.set _ZN7rocprim17ROCPRIM_400000_NS6detail17trampoline_kernelINS0_14default_configENS1_25partition_config_selectorILNS1_17partition_subalgoE5ElNS0_10empty_typeEbEEZZNS1_14partition_implILS5_5ELb0ES3_mN6hipcub16HIPCUB_304000_NS21CountingInputIteratorIllEEPS6_NSA_22TransformInputIteratorIbN2at6native12_GLOBAL__N_19NonZeroOpIdEEPKdlEENS0_5tupleIJPlS6_EEENSN_IJSD_SD_EEES6_PiJS6_EEE10hipError_tPvRmT3_T4_T5_T6_T7_T9_mT8_P12ihipStream_tbDpT10_ENKUlT_T0_E_clISt17integral_constantIbLb0EES1A_IbLb1EEEEDaS16_S17_EUlS16_E_NS1_11comp_targetILNS1_3genE2ELNS1_11target_archE906ELNS1_3gpuE6ELNS1_3repE0EEENS1_30default_config_static_selectorELNS0_4arch9wavefront6targetE0EEEvT1_.private_seg_size, 0
	.set _ZN7rocprim17ROCPRIM_400000_NS6detail17trampoline_kernelINS0_14default_configENS1_25partition_config_selectorILNS1_17partition_subalgoE5ElNS0_10empty_typeEbEEZZNS1_14partition_implILS5_5ELb0ES3_mN6hipcub16HIPCUB_304000_NS21CountingInputIteratorIllEEPS6_NSA_22TransformInputIteratorIbN2at6native12_GLOBAL__N_19NonZeroOpIdEEPKdlEENS0_5tupleIJPlS6_EEENSN_IJSD_SD_EEES6_PiJS6_EEE10hipError_tPvRmT3_T4_T5_T6_T7_T9_mT8_P12ihipStream_tbDpT10_ENKUlT_T0_E_clISt17integral_constantIbLb0EES1A_IbLb1EEEEDaS16_S17_EUlS16_E_NS1_11comp_targetILNS1_3genE2ELNS1_11target_archE906ELNS1_3gpuE6ELNS1_3repE0EEENS1_30default_config_static_selectorELNS0_4arch9wavefront6targetE0EEEvT1_.uses_vcc, 0
	.set _ZN7rocprim17ROCPRIM_400000_NS6detail17trampoline_kernelINS0_14default_configENS1_25partition_config_selectorILNS1_17partition_subalgoE5ElNS0_10empty_typeEbEEZZNS1_14partition_implILS5_5ELb0ES3_mN6hipcub16HIPCUB_304000_NS21CountingInputIteratorIllEEPS6_NSA_22TransformInputIteratorIbN2at6native12_GLOBAL__N_19NonZeroOpIdEEPKdlEENS0_5tupleIJPlS6_EEENSN_IJSD_SD_EEES6_PiJS6_EEE10hipError_tPvRmT3_T4_T5_T6_T7_T9_mT8_P12ihipStream_tbDpT10_ENKUlT_T0_E_clISt17integral_constantIbLb0EES1A_IbLb1EEEEDaS16_S17_EUlS16_E_NS1_11comp_targetILNS1_3genE2ELNS1_11target_archE906ELNS1_3gpuE6ELNS1_3repE0EEENS1_30default_config_static_selectorELNS0_4arch9wavefront6targetE0EEEvT1_.uses_flat_scratch, 0
	.set _ZN7rocprim17ROCPRIM_400000_NS6detail17trampoline_kernelINS0_14default_configENS1_25partition_config_selectorILNS1_17partition_subalgoE5ElNS0_10empty_typeEbEEZZNS1_14partition_implILS5_5ELb0ES3_mN6hipcub16HIPCUB_304000_NS21CountingInputIteratorIllEEPS6_NSA_22TransformInputIteratorIbN2at6native12_GLOBAL__N_19NonZeroOpIdEEPKdlEENS0_5tupleIJPlS6_EEENSN_IJSD_SD_EEES6_PiJS6_EEE10hipError_tPvRmT3_T4_T5_T6_T7_T9_mT8_P12ihipStream_tbDpT10_ENKUlT_T0_E_clISt17integral_constantIbLb0EES1A_IbLb1EEEEDaS16_S17_EUlS16_E_NS1_11comp_targetILNS1_3genE2ELNS1_11target_archE906ELNS1_3gpuE6ELNS1_3repE0EEENS1_30default_config_static_selectorELNS0_4arch9wavefront6targetE0EEEvT1_.has_dyn_sized_stack, 0
	.set _ZN7rocprim17ROCPRIM_400000_NS6detail17trampoline_kernelINS0_14default_configENS1_25partition_config_selectorILNS1_17partition_subalgoE5ElNS0_10empty_typeEbEEZZNS1_14partition_implILS5_5ELb0ES3_mN6hipcub16HIPCUB_304000_NS21CountingInputIteratorIllEEPS6_NSA_22TransformInputIteratorIbN2at6native12_GLOBAL__N_19NonZeroOpIdEEPKdlEENS0_5tupleIJPlS6_EEENSN_IJSD_SD_EEES6_PiJS6_EEE10hipError_tPvRmT3_T4_T5_T6_T7_T9_mT8_P12ihipStream_tbDpT10_ENKUlT_T0_E_clISt17integral_constantIbLb0EES1A_IbLb1EEEEDaS16_S17_EUlS16_E_NS1_11comp_targetILNS1_3genE2ELNS1_11target_archE906ELNS1_3gpuE6ELNS1_3repE0EEENS1_30default_config_static_selectorELNS0_4arch9wavefront6targetE0EEEvT1_.has_recursion, 0
	.set _ZN7rocprim17ROCPRIM_400000_NS6detail17trampoline_kernelINS0_14default_configENS1_25partition_config_selectorILNS1_17partition_subalgoE5ElNS0_10empty_typeEbEEZZNS1_14partition_implILS5_5ELb0ES3_mN6hipcub16HIPCUB_304000_NS21CountingInputIteratorIllEEPS6_NSA_22TransformInputIteratorIbN2at6native12_GLOBAL__N_19NonZeroOpIdEEPKdlEENS0_5tupleIJPlS6_EEENSN_IJSD_SD_EEES6_PiJS6_EEE10hipError_tPvRmT3_T4_T5_T6_T7_T9_mT8_P12ihipStream_tbDpT10_ENKUlT_T0_E_clISt17integral_constantIbLb0EES1A_IbLb1EEEEDaS16_S17_EUlS16_E_NS1_11comp_targetILNS1_3genE2ELNS1_11target_archE906ELNS1_3gpuE6ELNS1_3repE0EEENS1_30default_config_static_selectorELNS0_4arch9wavefront6targetE0EEEvT1_.has_indirect_call, 0
	.section	.AMDGPU.csdata,"",@progbits
; Kernel info:
; codeLenInByte = 0
; TotalNumSgprs: 0
; NumVgprs: 0
; ScratchSize: 0
; MemoryBound: 0
; FloatMode: 240
; IeeeMode: 1
; LDSByteSize: 0 bytes/workgroup (compile time only)
; SGPRBlocks: 0
; VGPRBlocks: 0
; NumSGPRsForWavesPerEU: 1
; NumVGPRsForWavesPerEU: 1
; Occupancy: 16
; WaveLimiterHint : 0
; COMPUTE_PGM_RSRC2:SCRATCH_EN: 0
; COMPUTE_PGM_RSRC2:USER_SGPR: 2
; COMPUTE_PGM_RSRC2:TRAP_HANDLER: 0
; COMPUTE_PGM_RSRC2:TGID_X_EN: 1
; COMPUTE_PGM_RSRC2:TGID_Y_EN: 0
; COMPUTE_PGM_RSRC2:TGID_Z_EN: 0
; COMPUTE_PGM_RSRC2:TIDIG_COMP_CNT: 0
	.section	.text._ZN7rocprim17ROCPRIM_400000_NS6detail17trampoline_kernelINS0_14default_configENS1_25partition_config_selectorILNS1_17partition_subalgoE5ElNS0_10empty_typeEbEEZZNS1_14partition_implILS5_5ELb0ES3_mN6hipcub16HIPCUB_304000_NS21CountingInputIteratorIllEEPS6_NSA_22TransformInputIteratorIbN2at6native12_GLOBAL__N_19NonZeroOpIdEEPKdlEENS0_5tupleIJPlS6_EEENSN_IJSD_SD_EEES6_PiJS6_EEE10hipError_tPvRmT3_T4_T5_T6_T7_T9_mT8_P12ihipStream_tbDpT10_ENKUlT_T0_E_clISt17integral_constantIbLb0EES1A_IbLb1EEEEDaS16_S17_EUlS16_E_NS1_11comp_targetILNS1_3genE10ELNS1_11target_archE1200ELNS1_3gpuE4ELNS1_3repE0EEENS1_30default_config_static_selectorELNS0_4arch9wavefront6targetE0EEEvT1_,"axG",@progbits,_ZN7rocprim17ROCPRIM_400000_NS6detail17trampoline_kernelINS0_14default_configENS1_25partition_config_selectorILNS1_17partition_subalgoE5ElNS0_10empty_typeEbEEZZNS1_14partition_implILS5_5ELb0ES3_mN6hipcub16HIPCUB_304000_NS21CountingInputIteratorIllEEPS6_NSA_22TransformInputIteratorIbN2at6native12_GLOBAL__N_19NonZeroOpIdEEPKdlEENS0_5tupleIJPlS6_EEENSN_IJSD_SD_EEES6_PiJS6_EEE10hipError_tPvRmT3_T4_T5_T6_T7_T9_mT8_P12ihipStream_tbDpT10_ENKUlT_T0_E_clISt17integral_constantIbLb0EES1A_IbLb1EEEEDaS16_S17_EUlS16_E_NS1_11comp_targetILNS1_3genE10ELNS1_11target_archE1200ELNS1_3gpuE4ELNS1_3repE0EEENS1_30default_config_static_selectorELNS0_4arch9wavefront6targetE0EEEvT1_,comdat
	.globl	_ZN7rocprim17ROCPRIM_400000_NS6detail17trampoline_kernelINS0_14default_configENS1_25partition_config_selectorILNS1_17partition_subalgoE5ElNS0_10empty_typeEbEEZZNS1_14partition_implILS5_5ELb0ES3_mN6hipcub16HIPCUB_304000_NS21CountingInputIteratorIllEEPS6_NSA_22TransformInputIteratorIbN2at6native12_GLOBAL__N_19NonZeroOpIdEEPKdlEENS0_5tupleIJPlS6_EEENSN_IJSD_SD_EEES6_PiJS6_EEE10hipError_tPvRmT3_T4_T5_T6_T7_T9_mT8_P12ihipStream_tbDpT10_ENKUlT_T0_E_clISt17integral_constantIbLb0EES1A_IbLb1EEEEDaS16_S17_EUlS16_E_NS1_11comp_targetILNS1_3genE10ELNS1_11target_archE1200ELNS1_3gpuE4ELNS1_3repE0EEENS1_30default_config_static_selectorELNS0_4arch9wavefront6targetE0EEEvT1_ ; -- Begin function _ZN7rocprim17ROCPRIM_400000_NS6detail17trampoline_kernelINS0_14default_configENS1_25partition_config_selectorILNS1_17partition_subalgoE5ElNS0_10empty_typeEbEEZZNS1_14partition_implILS5_5ELb0ES3_mN6hipcub16HIPCUB_304000_NS21CountingInputIteratorIllEEPS6_NSA_22TransformInputIteratorIbN2at6native12_GLOBAL__N_19NonZeroOpIdEEPKdlEENS0_5tupleIJPlS6_EEENSN_IJSD_SD_EEES6_PiJS6_EEE10hipError_tPvRmT3_T4_T5_T6_T7_T9_mT8_P12ihipStream_tbDpT10_ENKUlT_T0_E_clISt17integral_constantIbLb0EES1A_IbLb1EEEEDaS16_S17_EUlS16_E_NS1_11comp_targetILNS1_3genE10ELNS1_11target_archE1200ELNS1_3gpuE4ELNS1_3repE0EEENS1_30default_config_static_selectorELNS0_4arch9wavefront6targetE0EEEvT1_
	.p2align	8
	.type	_ZN7rocprim17ROCPRIM_400000_NS6detail17trampoline_kernelINS0_14default_configENS1_25partition_config_selectorILNS1_17partition_subalgoE5ElNS0_10empty_typeEbEEZZNS1_14partition_implILS5_5ELb0ES3_mN6hipcub16HIPCUB_304000_NS21CountingInputIteratorIllEEPS6_NSA_22TransformInputIteratorIbN2at6native12_GLOBAL__N_19NonZeroOpIdEEPKdlEENS0_5tupleIJPlS6_EEENSN_IJSD_SD_EEES6_PiJS6_EEE10hipError_tPvRmT3_T4_T5_T6_T7_T9_mT8_P12ihipStream_tbDpT10_ENKUlT_T0_E_clISt17integral_constantIbLb0EES1A_IbLb1EEEEDaS16_S17_EUlS16_E_NS1_11comp_targetILNS1_3genE10ELNS1_11target_archE1200ELNS1_3gpuE4ELNS1_3repE0EEENS1_30default_config_static_selectorELNS0_4arch9wavefront6targetE0EEEvT1_,@function
_ZN7rocprim17ROCPRIM_400000_NS6detail17trampoline_kernelINS0_14default_configENS1_25partition_config_selectorILNS1_17partition_subalgoE5ElNS0_10empty_typeEbEEZZNS1_14partition_implILS5_5ELb0ES3_mN6hipcub16HIPCUB_304000_NS21CountingInputIteratorIllEEPS6_NSA_22TransformInputIteratorIbN2at6native12_GLOBAL__N_19NonZeroOpIdEEPKdlEENS0_5tupleIJPlS6_EEENSN_IJSD_SD_EEES6_PiJS6_EEE10hipError_tPvRmT3_T4_T5_T6_T7_T9_mT8_P12ihipStream_tbDpT10_ENKUlT_T0_E_clISt17integral_constantIbLb0EES1A_IbLb1EEEEDaS16_S17_EUlS16_E_NS1_11comp_targetILNS1_3genE10ELNS1_11target_archE1200ELNS1_3gpuE4ELNS1_3repE0EEENS1_30default_config_static_selectorELNS0_4arch9wavefront6targetE0EEEvT1_: ; @_ZN7rocprim17ROCPRIM_400000_NS6detail17trampoline_kernelINS0_14default_configENS1_25partition_config_selectorILNS1_17partition_subalgoE5ElNS0_10empty_typeEbEEZZNS1_14partition_implILS5_5ELb0ES3_mN6hipcub16HIPCUB_304000_NS21CountingInputIteratorIllEEPS6_NSA_22TransformInputIteratorIbN2at6native12_GLOBAL__N_19NonZeroOpIdEEPKdlEENS0_5tupleIJPlS6_EEENSN_IJSD_SD_EEES6_PiJS6_EEE10hipError_tPvRmT3_T4_T5_T6_T7_T9_mT8_P12ihipStream_tbDpT10_ENKUlT_T0_E_clISt17integral_constantIbLb0EES1A_IbLb1EEEEDaS16_S17_EUlS16_E_NS1_11comp_targetILNS1_3genE10ELNS1_11target_archE1200ELNS1_3gpuE4ELNS1_3repE0EEENS1_30default_config_static_selectorELNS0_4arch9wavefront6targetE0EEEvT1_
; %bb.0:
	s_clause 0x3
	s_load_b64 s[12:13], s[0:1], 0x30
	s_load_b128 s[4:7], s[0:1], 0x48
	s_load_b64 s[18:19], s[0:1], 0x58
	s_load_b64 s[14:15], s[0:1], 0x68
	v_cmp_eq_u32_e64 s2, 0, v0
	s_and_saveexec_b32 s3, s2
	s_cbranch_execz .LBB419_4
; %bb.1:
	s_mov_b32 s9, exec_lo
	s_mov_b32 s8, exec_lo
	v_mbcnt_lo_u32_b32 v1, s9, 0
                                        ; implicit-def: $vgpr2
	s_delay_alu instid0(VALU_DEP_1)
	v_cmpx_eq_u32_e32 0, v1
	s_cbranch_execz .LBB419_3
; %bb.2:
	s_load_b64 s[10:11], s[0:1], 0x78
	s_bcnt1_i32_b32 s9, s9
	s_wait_alu 0xfffe
	v_dual_mov_b32 v2, 0 :: v_dual_mov_b32 v3, s9
	s_wait_kmcnt 0x0
	global_atomic_add_u32 v2, v2, v3, s[10:11] th:TH_ATOMIC_RETURN scope:SCOPE_DEV
.LBB419_3:
	s_or_b32 exec_lo, exec_lo, s8
	s_wait_loadcnt 0x0
	v_readfirstlane_b32 s8, v2
	s_wait_alu 0xf1ff
	s_delay_alu instid0(VALU_DEP_1)
	v_dual_mov_b32 v2, 0 :: v_dual_add_nc_u32 v1, s8, v1
	ds_store_b32 v2, v1
.LBB419_4:
	s_or_b32 exec_lo, exec_lo, s3
	v_mov_b32_e32 v1, 0
	s_clause 0x2
	s_load_b128 s[8:11], s[0:1], 0x8
	s_load_b64 s[16:17], s[0:1], 0x20
	s_load_b32 s0, s[0:1], 0x70
	s_wait_dscnt 0x0
	s_barrier_signal -1
	s_barrier_wait -1
	global_inv scope:SCOPE_SE
	ds_load_b32 v2, v1
	s_wait_loadcnt_dscnt 0x0
	s_barrier_signal -1
	s_barrier_wait -1
	global_inv scope:SCOPE_SE
	s_wait_kmcnt 0x0
	global_load_b64 v[17:18], v1, s[6:7]
	s_mov_b32 s7, 0
	v_lshrrev_b32_e32 v1, 2, v0
	v_or_b32_e32 v10, 0x200, v0
	v_or_b32_e32 v9, 0x300, v0
	s_add_nc_u64 s[8:9], s[10:11], s[8:9]
	s_lshl_b32 s6, s0, 10
	s_add_co_i32 s20, s0, -1
	s_add_nc_u64 s[0:1], s[10:11], s[6:7]
	s_lshl_b32 s6, s20, 10
	v_cmp_le_u64_e64 s1, s[18:19], s[0:1]
	v_readfirstlane_b32 s21, v2
	s_add_co_i32 s0, s10, s6
	s_lshl_b32 s3, s21, 10
	s_cmp_eq_u32 s21, s20
	s_mov_b32 s6, s3
	s_cselect_b32 s19, -1, 0
	s_wait_alu 0xfffe
	s_and_b32 s1, s1, s19
	s_wait_alu 0xfffe
	s_xor_b32 s20, s1, -1
	s_mov_b32 s1, -1
	s_and_b32 vcc_lo, exec_lo, s20
	s_cbranch_vccz .LBB419_6
; %bb.5:
	v_or_b32_e32 v8, 0x100, v0
	s_add_nc_u64 s[22:23], s[6:7], s[8:9]
	v_lshrrev_b32_e32 v11, 2, v10
	v_add_co_u32 v2, s1, s22, v0
	s_delay_alu instid0(VALU_DEP_3)
	v_lshrrev_b32_e32 v8, 2, v8
	v_lshrrev_b32_e32 v12, 2, v9
	s_wait_alu 0xf1fe
	v_add_co_ci_u32_e64 v3, null, s23, 0, s1
	v_and_b32_e32 v13, 56, v1
	v_lshlrev_b32_e32 v14, 3, v0
	v_and_b32_e32 v8, 0x78, v8
	v_add_co_u32 v4, vcc_lo, 0x100, v2
	v_and_b32_e32 v15, 0xb8, v11
	v_and_b32_e32 v16, 0xf8, v12
	v_add_co_ci_u32_e64 v5, null, 0, v3, vcc_lo
	v_add_co_u32 v6, vcc_lo, 0x200, v2
	v_add_nc_u32_e32 v13, v13, v14
	s_wait_alu 0xfffd
	v_add_co_ci_u32_e64 v7, null, 0, v3, vcc_lo
	v_add_co_u32 v11, vcc_lo, 0x300, v2
	v_add_nc_u32_e32 v8, v8, v14
	v_add_nc_u32_e32 v15, v15, v14
	s_wait_alu 0xfffd
	v_add_co_ci_u32_e64 v12, null, 0, v3, vcc_lo
	v_add_nc_u32_e32 v14, v16, v14
	ds_store_b64 v13, v[2:3]
	ds_store_b64 v8, v[4:5] offset:2048
	ds_store_b64 v15, v[6:7] offset:4096
	;; [unrolled: 1-line block ×3, first 2 shown]
	s_wait_loadcnt_dscnt 0x0
	s_barrier_signal -1
	s_mov_b32 s1, s7
	s_barrier_wait -1
.LBB419_6:
	s_sub_co_i32 s3, s18, s0
	s_wait_alu 0xfffe
	s_and_not1_b32 vcc_lo, exec_lo, s1
	v_cmp_gt_u32_e64 s0, s3, v0
	s_wait_alu 0xfffe
	s_cbranch_vccnz .LBB419_8
; %bb.7:
	v_or_b32_e32 v8, 0x100, v0
	s_add_nc_u64 s[8:9], s[8:9], s[6:7]
	v_lshrrev_b32_e32 v13, 2, v10
	s_wait_alu 0xfffe
	v_add_co_u32 v2, s1, s8, v0
	s_wait_alu 0xf1ff
	v_add_co_ci_u32_e64 v3, null, s9, 0, s1
	v_add_co_u32 v4, s1, s8, v8
	s_wait_alu 0xf1ff
	v_add_co_ci_u32_e64 v5, null, s9, 0, s1
	v_cmp_gt_u32_e32 vcc_lo, s3, v8
	v_add_co_u32 v11, s1, s8, v9
	s_wait_alu 0xf1ff
	v_add_co_ci_u32_e64 v12, null, s9, 0, s1
	s_wait_alu 0xfffd
	v_dual_cndmask_b32 v5, 0, v5 :: v_dual_cndmask_b32 v4, 0, v4
	v_cmp_gt_u32_e32 vcc_lo, s3, v9
	v_lshrrev_b32_e32 v8, 2, v8
	v_lshrrev_b32_e32 v14, 2, v9
	v_cndmask_b32_e64 v3, 0, v3, s0
	v_cndmask_b32_e64 v2, 0, v2, s0
	v_add_co_u32 v6, s0, s8, v10
	s_wait_alu 0xfffd
	v_dual_cndmask_b32 v12, 0, v12 :: v_dual_and_b32 v1, 56, v1
	v_lshlrev_b32_e32 v15, 3, v0
	v_dual_cndmask_b32 v11, 0, v11 :: v_dual_and_b32 v8, 0x78, v8
	s_wait_alu 0xf1ff
	v_add_co_ci_u32_e64 v7, null, s9, 0, s0
	v_cmp_gt_u32_e64 s0, s3, v10
	v_and_b32_e32 v13, 0xb8, v13
	v_and_b32_e32 v14, 0xf8, v14
	v_add_nc_u32_e32 v1, v1, v15
	v_add_nc_u32_e32 v8, v8, v15
	s_wait_alu 0xf1ff
	v_cndmask_b32_e64 v7, 0, v7, s0
	v_cndmask_b32_e64 v6, 0, v6, s0
	v_add_nc_u32_e32 v13, v13, v15
	v_add_nc_u32_e32 v14, v14, v15
	ds_store_b64 v1, v[2:3]
	ds_store_b64 v8, v[4:5] offset:2048
	ds_store_b64 v13, v[6:7] offset:4096
	;; [unrolled: 1-line block ×3, first 2 shown]
	s_wait_loadcnt_dscnt 0x0
	s_barrier_signal -1
	s_barrier_wait -1
.LBB419_8:
	v_and_b32_e32 v1, 0xf8, v0
	s_wait_loadcnt 0x0
	global_inv scope:SCOPE_SE
	s_lshl_b64 s[0:1], s[10:11], 3
	v_lshrrev_b32_e32 v28, 5, v0
	s_wait_alu 0xfffe
	s_add_nc_u64 s[0:1], s[16:17], s[0:1]
	v_lshl_add_u32 v1, v0, 5, v1
	s_lshl_b64 s[6:7], s[6:7], 3
	s_and_b32 vcc_lo, exec_lo, s20
	s_wait_alu 0xfffe
	s_add_nc_u64 s[0:1], s[0:1], s[6:7]
	s_mov_b32 s6, -1
	ds_load_2addr_b64 v[5:8], v1 offset1:1
	ds_load_2addr_b64 v[1:4], v1 offset0:2 offset1:3
	s_wait_loadcnt_dscnt 0x0
	s_barrier_signal -1
	s_barrier_wait -1
	global_inv scope:SCOPE_SE
	s_cbranch_vccz .LBB419_10
; %bb.9:
	v_lshlrev_b32_e32 v19, 3, v0
	v_or_b32_e32 v21, 0x100, v0
	v_lshrrev_b32_e32 v22, 5, v10
	v_lshrrev_b32_e32 v23, 5, v9
	v_and_b32_e32 v24, 4, v28
	s_clause 0x3
	global_load_b64 v[11:12], v19, s[0:1]
	global_load_b64 v[13:14], v19, s[0:1] offset:2048
	global_load_b64 v[15:16], v19, s[0:1] offset:4096
	;; [unrolled: 1-line block ×3, first 2 shown]
	v_lshrrev_b32_e32 v21, 5, v21
	v_and_b32_e32 v22, 20, v22
	v_and_b32_e32 v23, 28, v23
	v_add_nc_u32_e32 v24, v24, v0
	s_mov_b32 s6, 0
	v_and_b32_e32 v21, 12, v21
	v_add_nc_u32_e32 v22, v22, v0
	v_add_nc_u32_e32 v23, v23, v0
	s_delay_alu instid0(VALU_DEP_3)
	v_add_nc_u32_e32 v21, v21, v0
	s_wait_loadcnt 0x3
	v_cmp_neq_f64_e32 vcc_lo, 0, v[11:12]
	s_wait_alu 0xfffd
	v_cndmask_b32_e64 v11, 0, 1, vcc_lo
	s_wait_loadcnt 0x2
	v_cmp_neq_f64_e32 vcc_lo, 0, v[13:14]
	s_wait_alu 0xfffd
	v_cndmask_b32_e64 v12, 0, 1, vcc_lo
	;; [unrolled: 4-line block ×4, first 2 shown]
	ds_store_b8 v24, v11
	ds_store_b8 v21, v12 offset:256
	ds_store_b8 v22, v13 offset:512
	;; [unrolled: 1-line block ×3, first 2 shown]
	s_wait_dscnt 0x0
	s_barrier_signal -1
	s_barrier_wait -1
.LBB419_10:
	v_lshlrev_b32_e32 v11, 2, v0
	v_lshrrev_b32_e32 v12, 3, v0
	s_and_not1_b32 vcc_lo, exec_lo, s6
	s_wait_alu 0xfffe
	s_cbranch_vccnz .LBB419_18
; %bb.11:
	v_dual_mov_b32 v13, 0 :: v_dual_mov_b32 v14, 0
	s_mov_b32 s6, exec_lo
	v_cmpx_gt_u32_e64 s3, v0
	s_cbranch_execz .LBB419_13
; %bb.12:
	v_lshlrev_b32_e32 v13, 3, v0
	global_load_b64 v[13:14], v13, s[0:1]
	s_wait_loadcnt 0x0
	v_cmp_neq_f64_e32 vcc_lo, 0, v[13:14]
	s_wait_alu 0xfffd
	v_cndmask_b32_e64 v13, 0, 1, vcc_lo
	v_cndmask_b32_e64 v14, 0, 1, vcc_lo
.LBB419_13:
	s_or_b32 exec_lo, exec_lo, s6
	v_or_b32_e32 v15, 0x100, v0
	s_mov_b32 s6, exec_lo
	s_delay_alu instid0(VALU_DEP_1)
	v_cmpx_gt_u32_e64 s3, v15
	s_cbranch_execnz .LBB419_132
; %bb.14:
	s_or_b32 exec_lo, exec_lo, s6
	s_delay_alu instid0(SALU_CYCLE_1)
	s_mov_b32 s6, exec_lo
	v_cmpx_gt_u32_e64 s3, v10
	s_cbranch_execnz .LBB419_133
.LBB419_15:
	s_or_b32 exec_lo, exec_lo, s6
	v_cmp_gt_u32_e32 vcc_lo, s3, v9
	s_and_saveexec_b32 s3, vcc_lo
	s_cbranch_execz .LBB419_17
.LBB419_16:
	v_lshlrev_b32_e32 v16, 3, v0
	global_load_b64 v[19:20], v16, s[0:1] offset:6144
	s_wait_loadcnt 0x0
	v_cmp_neq_f64_e32 vcc_lo, 0, v[19:20]
	v_lshrrev_b32_e32 v19, 16, v14
	s_wait_alu 0xfffd
	v_cndmask_b32_e64 v16, 0, 1, vcc_lo
	s_delay_alu instid0(VALU_DEP_1) | instskip(NEXT) | instid1(VALU_DEP_1)
	v_lshlrev_b16 v16, 8, v16
	v_or_b32_e32 v16, v19, v16
	s_delay_alu instid0(VALU_DEP_1) | instskip(NEXT) | instid1(VALU_DEP_1)
	v_lshlrev_b32_e32 v16, 16, v16
	v_and_or_b32 v14, 0xffff, v14, v16
.LBB419_17:
	s_wait_alu 0xfffe
	s_or_b32 exec_lo, exec_lo, s3
	v_lshrrev_b32_e32 v15, 5, v15
	v_lshrrev_b32_e32 v10, 5, v10
	;; [unrolled: 1-line block ×3, first 2 shown]
	v_and_b32_e32 v16, 4, v28
	v_lshrrev_b32_e32 v19, 8, v14
	v_and_b32_e32 v15, 12, v15
	v_and_b32_e32 v10, 28, v10
	;; [unrolled: 1-line block ×3, first 2 shown]
	v_add_nc_u32_e32 v16, v16, v0
	v_lshrrev_b32_e32 v20, 24, v14
	v_add_nc_u32_e32 v15, v15, v0
	v_add_nc_u32_e32 v10, v10, v0
	;; [unrolled: 1-line block ×3, first 2 shown]
	ds_store_b8 v16, v13
	ds_store_b8 v15, v19 offset:256
	ds_store_b8_d16_hi v10, v14 offset:512
	ds_store_b8 v9, v20 offset:768
	s_wait_loadcnt_dscnt 0x0
	s_barrier_signal -1
	s_barrier_wait -1
.LBB419_18:
	s_delay_alu instid0(VALU_DEP_1)
	v_dual_mov_b32 v10, 0 :: v_dual_and_b32 v9, 28, v12
	s_wait_loadcnt 0x0
	global_inv scope:SCOPE_SE
	v_mbcnt_lo_u32_b32 v33, -1, 0
	s_cmp_lg_u32 s21, 0
	v_add_nc_u32_e32 v9, v9, v11
	s_mov_b32 s1, -1
	s_delay_alu instid0(VALU_DEP_2)
	v_and_b32_e32 v34, 15, v33
	ds_load_b32 v29, v9
	s_wait_loadcnt_dscnt 0x0
	s_barrier_signal -1
	s_barrier_wait -1
	global_inv scope:SCOPE_SE
	v_and_b32_e32 v32, 0xff, v29
	v_bfe_u32 v31, v29, 8, 8
	v_bfe_u32 v30, v29, 16, 8
	v_lshrrev_b32_e32 v27, 24, v29
	s_delay_alu instid0(VALU_DEP_2) | instskip(NEXT) | instid1(VALU_DEP_1)
	v_add3_u32 v9, v31, v32, v30
	v_add_co_u32 v19, s0, v9, v27
	s_wait_alu 0xf1ff
	v_add_co_ci_u32_e64 v20, null, 0, 0, s0
	v_cmp_ne_u32_e64 s0, 0, v34
	s_cbranch_scc0 .LBB419_75
; %bb.19:
	v_mov_b32_e32 v11, v19
	v_mov_b32_dpp v9, v19 row_shr:1 row_mask:0xf bank_mask:0xf
	v_mov_b32_dpp v14, v10 row_shr:1 row_mask:0xf bank_mask:0xf
	v_dual_mov_b32 v13, v19 :: v_dual_mov_b32 v12, v20
	s_and_saveexec_b32 s1, s0
; %bb.20:
	s_delay_alu instid0(VALU_DEP_3) | instskip(SKIP_2) | instid1(VALU_DEP_2)
	v_add_co_u32 v13, vcc_lo, v19, v9
	s_wait_alu 0xfffd
	v_add_co_ci_u32_e64 v10, null, 0, v20, vcc_lo
	v_add_co_u32 v9, vcc_lo, 0, v13
	s_wait_alu 0xfffd
	s_delay_alu instid0(VALU_DEP_2) | instskip(NEXT) | instid1(VALU_DEP_1)
	v_add_co_ci_u32_e64 v10, null, v14, v10, vcc_lo
	v_dual_mov_b32 v12, v10 :: v_dual_mov_b32 v11, v9
; %bb.21:
	s_wait_alu 0xfffe
	s_or_b32 exec_lo, exec_lo, s1
	v_mov_b32_dpp v9, v13 row_shr:2 row_mask:0xf bank_mask:0xf
	v_mov_b32_dpp v14, v10 row_shr:2 row_mask:0xf bank_mask:0xf
	s_mov_b32 s1, exec_lo
	v_cmpx_lt_u32_e32 1, v34
; %bb.22:
	s_delay_alu instid0(VALU_DEP_3) | instskip(SKIP_2) | instid1(VALU_DEP_2)
	v_add_co_u32 v13, vcc_lo, v11, v9
	s_wait_alu 0xfffd
	v_add_co_ci_u32_e64 v10, null, 0, v12, vcc_lo
	v_add_co_u32 v9, vcc_lo, 0, v13
	s_wait_alu 0xfffd
	s_delay_alu instid0(VALU_DEP_2) | instskip(NEXT) | instid1(VALU_DEP_1)
	v_add_co_ci_u32_e64 v10, null, v14, v10, vcc_lo
	v_dual_mov_b32 v12, v10 :: v_dual_mov_b32 v11, v9
; %bb.23:
	s_wait_alu 0xfffe
	s_or_b32 exec_lo, exec_lo, s1
	v_mov_b32_dpp v9, v13 row_shr:4 row_mask:0xf bank_mask:0xf
	v_mov_b32_dpp v14, v10 row_shr:4 row_mask:0xf bank_mask:0xf
	s_mov_b32 s1, exec_lo
	v_cmpx_lt_u32_e32 3, v34
	;; [unrolled: 17-line block ×3, first 2 shown]
; %bb.26:
	s_delay_alu instid0(VALU_DEP_3) | instskip(SKIP_2) | instid1(VALU_DEP_2)
	v_add_co_u32 v13, vcc_lo, v11, v14
	s_wait_alu 0xfffd
	v_add_co_ci_u32_e64 v10, null, 0, v12, vcc_lo
	v_add_co_u32 v11, vcc_lo, 0, v13
	s_wait_alu 0xfffd
	s_delay_alu instid0(VALU_DEP_2) | instskip(NEXT) | instid1(VALU_DEP_1)
	v_add_co_ci_u32_e64 v12, null, v9, v10, vcc_lo
	v_mov_b32_e32 v10, v12
; %bb.27:
	s_wait_alu 0xfffe
	s_or_b32 exec_lo, exec_lo, s1
	ds_swizzle_b32 v9, v13 offset:swizzle(BROADCAST,32,15)
	ds_swizzle_b32 v14, v10 offset:swizzle(BROADCAST,32,15)
	v_and_b32_e32 v15, 16, v33
	s_mov_b32 s1, exec_lo
	s_delay_alu instid0(VALU_DEP_1)
	v_cmpx_ne_u32_e32 0, v15
	s_cbranch_execz .LBB419_29
; %bb.28:
	s_wait_dscnt 0x1
	v_add_co_u32 v13, vcc_lo, v11, v9
	s_wait_alu 0xfffd
	v_add_co_ci_u32_e64 v10, null, 0, v12, vcc_lo
	s_delay_alu instid0(VALU_DEP_2) | instskip(SKIP_2) | instid1(VALU_DEP_2)
	v_add_co_u32 v9, vcc_lo, 0, v13
	s_wait_dscnt 0x0
	s_wait_alu 0xfffd
	v_add_co_ci_u32_e64 v10, null, v14, v10, vcc_lo
	s_delay_alu instid0(VALU_DEP_1)
	v_dual_mov_b32 v12, v10 :: v_dual_mov_b32 v11, v9
.LBB419_29:
	s_wait_alu 0xfffe
	s_or_b32 exec_lo, exec_lo, s1
	s_wait_dscnt 0x1
	v_or_b32_e32 v9, 31, v0
	s_mov_b32 s1, exec_lo
	s_delay_alu instid0(VALU_DEP_1)
	v_cmpx_eq_u32_e64 v0, v9
; %bb.30:
	v_lshlrev_b32_e32 v9, 3, v28
	ds_store_b64 v9, v[11:12]
; %bb.31:
	s_wait_alu 0xfffe
	s_or_b32 exec_lo, exec_lo, s1
	s_delay_alu instid0(SALU_CYCLE_1)
	s_mov_b32 s1, exec_lo
	s_wait_loadcnt_dscnt 0x0
	s_barrier_signal -1
	s_barrier_wait -1
	global_inv scope:SCOPE_SE
	v_cmpx_gt_u32_e32 8, v0
	s_cbranch_execz .LBB419_39
; %bb.32:
	v_lshlrev_b32_e32 v9, 3, v0
	s_mov_b32 s3, exec_lo
	ds_load_b64 v[11:12], v9
	s_wait_dscnt 0x0
	v_dual_mov_b32 v15, v11 :: v_dual_and_b32 v14, 7, v33
	v_mov_b32_dpp v21, v11 row_shr:1 row_mask:0xf bank_mask:0xf
	v_mov_b32_dpp v16, v12 row_shr:1 row_mask:0xf bank_mask:0xf
	s_delay_alu instid0(VALU_DEP_3)
	v_cmpx_ne_u32_e32 0, v14
; %bb.33:
	s_delay_alu instid0(VALU_DEP_3) | instskip(SKIP_2) | instid1(VALU_DEP_2)
	v_add_co_u32 v15, vcc_lo, v11, v21
	s_wait_alu 0xfffd
	v_add_co_ci_u32_e64 v12, null, 0, v12, vcc_lo
	v_add_co_u32 v11, vcc_lo, 0, v15
	s_wait_alu 0xfffd
	s_delay_alu instid0(VALU_DEP_2)
	v_add_co_ci_u32_e64 v12, null, v16, v12, vcc_lo
; %bb.34:
	s_wait_alu 0xfffe
	s_or_b32 exec_lo, exec_lo, s3
	v_mov_b32_dpp v21, v15 row_shr:2 row_mask:0xf bank_mask:0xf
	s_delay_alu instid0(VALU_DEP_2)
	v_mov_b32_dpp v16, v12 row_shr:2 row_mask:0xf bank_mask:0xf
	s_mov_b32 s3, exec_lo
	v_cmpx_lt_u32_e32 1, v14
; %bb.35:
	s_delay_alu instid0(VALU_DEP_3) | instskip(SKIP_2) | instid1(VALU_DEP_2)
	v_add_co_u32 v15, vcc_lo, v11, v21
	s_wait_alu 0xfffd
	v_add_co_ci_u32_e64 v12, null, 0, v12, vcc_lo
	v_add_co_u32 v11, vcc_lo, 0, v15
	s_wait_alu 0xfffd
	s_delay_alu instid0(VALU_DEP_2)
	v_add_co_ci_u32_e64 v12, null, v16, v12, vcc_lo
; %bb.36:
	s_wait_alu 0xfffe
	s_or_b32 exec_lo, exec_lo, s3
	v_mov_b32_dpp v16, v15 row_shr:4 row_mask:0xf bank_mask:0xf
	s_delay_alu instid0(VALU_DEP_2)
	v_mov_b32_dpp v15, v12 row_shr:4 row_mask:0xf bank_mask:0xf
	s_mov_b32 s3, exec_lo
	v_cmpx_lt_u32_e32 3, v14
; %bb.37:
	s_delay_alu instid0(VALU_DEP_3) | instskip(SKIP_2) | instid1(VALU_DEP_2)
	v_add_co_u32 v11, vcc_lo, v11, v16
	s_wait_alu 0xfffd
	v_add_co_ci_u32_e64 v12, null, 0, v12, vcc_lo
	v_add_co_u32 v11, vcc_lo, v11, 0
	s_wait_alu 0xfffd
	s_delay_alu instid0(VALU_DEP_2)
	v_add_co_ci_u32_e64 v12, null, v12, v15, vcc_lo
; %bb.38:
	s_wait_alu 0xfffe
	s_or_b32 exec_lo, exec_lo, s3
	ds_store_b64 v9, v[11:12]
.LBB419_39:
	s_wait_alu 0xfffe
	s_or_b32 exec_lo, exec_lo, s1
	s_delay_alu instid0(SALU_CYCLE_1)
	s_mov_b32 s3, exec_lo
	v_cmp_gt_u32_e32 vcc_lo, 32, v0
	s_wait_loadcnt_dscnt 0x0
	s_barrier_signal -1
	s_barrier_wait -1
	global_inv scope:SCOPE_SE
                                        ; implicit-def: $vgpr21_vgpr22
	v_cmpx_lt_u32_e32 31, v0
	s_cbranch_execz .LBB419_41
; %bb.40:
	v_lshl_add_u32 v9, v28, 3, -8
	ds_load_b64 v[21:22], v9
	s_wait_dscnt 0x0
	v_add_co_u32 v13, s1, v13, v21
	s_wait_alu 0xf1ff
	v_add_co_ci_u32_e64 v10, null, v10, v22, s1
.LBB419_41:
	s_wait_alu 0xfffe
	s_or_b32 exec_lo, exec_lo, s3
	v_sub_co_u32 v9, s1, v33, 1
	s_delay_alu instid0(VALU_DEP_1) | instskip(SKIP_1) | instid1(VALU_DEP_1)
	v_cmp_gt_i32_e64 s3, 0, v9
	s_wait_alu 0xf1ff
	v_cndmask_b32_e64 v9, v9, v33, s3
	s_delay_alu instid0(VALU_DEP_1)
	v_lshlrev_b32_e32 v9, 2, v9
	ds_bpermute_b32 v35, v9, v13
	ds_bpermute_b32 v36, v9, v10
	s_and_saveexec_b32 s3, vcc_lo
	s_cbranch_execz .LBB419_80
; %bb.42:
	v_mov_b32_e32 v12, 0
	ds_load_b64 v[9:10], v12 offset:56
	s_and_saveexec_b32 s6, s1
	s_cbranch_execz .LBB419_44
; %bb.43:
	s_add_co_i32 s8, s21, 32
	s_mov_b32 s9, 0
	s_wait_alu 0xfffe
	s_lshl_b64 s[8:9], s[8:9], 4
	s_wait_alu 0xfffe
	s_add_nc_u64 s[8:9], s[14:15], s[8:9]
	s_wait_alu 0xfffe
	v_dual_mov_b32 v11, 1 :: v_dual_mov_b32 v14, s9
	v_mov_b32_e32 v13, s8
	s_wait_dscnt 0x0
	;;#ASMSTART
	global_store_b128 v[13:14], v[9:12] off scope:SCOPE_DEV	
s_wait_storecnt 0x0
	;;#ASMEND
.LBB419_44:
	s_or_b32 exec_lo, exec_lo, s6
	v_xad_u32 v23, v33, -1, s21
	s_mov_b32 s7, 0
	s_mov_b32 s6, exec_lo
	s_delay_alu instid0(VALU_DEP_1) | instskip(NEXT) | instid1(VALU_DEP_1)
	v_add_nc_u32_e32 v11, 32, v23
	v_lshlrev_b64_e32 v[11:12], 4, v[11:12]
	s_delay_alu instid0(VALU_DEP_1) | instskip(SKIP_1) | instid1(VALU_DEP_2)
	v_add_co_u32 v11, vcc_lo, s14, v11
	s_wait_alu 0xfffd
	v_add_co_ci_u32_e64 v12, null, s15, v12, vcc_lo
	;;#ASMSTART
	global_load_b128 v[13:16], v[11:12] off scope:SCOPE_DEV	
s_wait_loadcnt 0x0
	;;#ASMEND
	v_and_b32_e32 v16, 0xff, v15
	s_delay_alu instid0(VALU_DEP_1)
	v_cmpx_eq_u16_e32 0, v16
	s_cbranch_execz .LBB419_47
.LBB419_45:                             ; =>This Inner Loop Header: Depth=1
	;;#ASMSTART
	global_load_b128 v[13:16], v[11:12] off scope:SCOPE_DEV	
s_wait_loadcnt 0x0
	;;#ASMEND
	v_and_b32_e32 v16, 0xff, v15
	s_delay_alu instid0(VALU_DEP_1) | instskip(SKIP_1) | instid1(SALU_CYCLE_1)
	v_cmp_ne_u16_e32 vcc_lo, 0, v16
	s_or_b32 s7, vcc_lo, s7
	s_and_not1_b32 exec_lo, exec_lo, s7
	s_cbranch_execnz .LBB419_45
; %bb.46:
	s_or_b32 exec_lo, exec_lo, s7
.LBB419_47:
	s_delay_alu instid0(SALU_CYCLE_1)
	s_or_b32 exec_lo, exec_lo, s6
	v_cmp_ne_u32_e32 vcc_lo, 31, v33
	v_and_b32_e32 v12, 0xff, v15
	v_lshlrev_b32_e64 v38, v33, -1
	s_mov_b32 s6, exec_lo
	s_wait_alu 0xfffd
	v_add_co_ci_u32_e64 v11, null, 0, v33, vcc_lo
	v_cmp_eq_u16_e32 vcc_lo, 2, v12
	s_delay_alu instid0(VALU_DEP_2)
	v_dual_mov_b32 v12, v13 :: v_dual_lshlrev_b32 v37, 2, v11
	s_wait_alu 0xfffd
	v_and_or_b32 v11, vcc_lo, v38, 0x80000000
	ds_bpermute_b32 v24, v37, v13
	ds_bpermute_b32 v16, v37, v14
	v_ctz_i32_b32_e32 v11, v11
	s_delay_alu instid0(VALU_DEP_1)
	v_cmpx_lt_u32_e64 v33, v11
	s_cbranch_execz .LBB419_49
; %bb.48:
	s_wait_dscnt 0x1
	v_add_co_u32 v12, vcc_lo, v13, v24
	s_wait_alu 0xfffd
	v_add_co_ci_u32_e64 v14, null, 0, v14, vcc_lo
	s_delay_alu instid0(VALU_DEP_2) | instskip(SKIP_2) | instid1(VALU_DEP_2)
	v_add_co_u32 v13, vcc_lo, 0, v12
	s_wait_dscnt 0x0
	s_wait_alu 0xfffd
	v_add_co_ci_u32_e64 v14, null, v16, v14, vcc_lo
.LBB419_49:
	s_or_b32 exec_lo, exec_lo, s6
	v_cmp_gt_u32_e32 vcc_lo, 30, v33
	v_add_nc_u32_e32 v40, 2, v33
	s_mov_b32 s6, exec_lo
	s_wait_dscnt 0x0
	s_wait_alu 0xfffd
	v_cndmask_b32_e64 v16, 0, 2, vcc_lo
	s_delay_alu instid0(VALU_DEP_1)
	v_add_lshl_u32 v39, v16, v33, 2
	ds_bpermute_b32 v24, v39, v12
	ds_bpermute_b32 v16, v39, v14
	v_cmpx_le_u32_e64 v40, v11
	s_cbranch_execz .LBB419_51
; %bb.50:
	s_wait_dscnt 0x1
	v_add_co_u32 v12, vcc_lo, v13, v24
	s_wait_alu 0xfffd
	v_add_co_ci_u32_e64 v14, null, 0, v14, vcc_lo
	s_delay_alu instid0(VALU_DEP_2) | instskip(SKIP_2) | instid1(VALU_DEP_2)
	v_add_co_u32 v13, vcc_lo, 0, v12
	s_wait_dscnt 0x0
	s_wait_alu 0xfffd
	v_add_co_ci_u32_e64 v14, null, v16, v14, vcc_lo
.LBB419_51:
	s_or_b32 exec_lo, exec_lo, s6
	v_cmp_gt_u32_e32 vcc_lo, 28, v33
	v_add_nc_u32_e32 v42, 4, v33
	s_mov_b32 s6, exec_lo
	s_wait_dscnt 0x0
	s_wait_alu 0xfffd
	v_cndmask_b32_e64 v16, 0, 4, vcc_lo
	s_delay_alu instid0(VALU_DEP_1)
	v_add_lshl_u32 v41, v16, v33, 2
	ds_bpermute_b32 v24, v41, v12
	ds_bpermute_b32 v16, v41, v14
	v_cmpx_le_u32_e64 v42, v11
	;; [unrolled: 24-line block ×3, first 2 shown]
	s_cbranch_execz .LBB419_55
; %bb.54:
	s_wait_dscnt 0x1
	v_add_co_u32 v12, vcc_lo, v13, v24
	s_wait_alu 0xfffd
	v_add_co_ci_u32_e64 v14, null, 0, v14, vcc_lo
	s_delay_alu instid0(VALU_DEP_2) | instskip(SKIP_2) | instid1(VALU_DEP_2)
	v_add_co_u32 v13, vcc_lo, 0, v12
	s_wait_dscnt 0x0
	s_wait_alu 0xfffd
	v_add_co_ci_u32_e64 v14, null, v16, v14, vcc_lo
.LBB419_55:
	s_or_b32 exec_lo, exec_lo, s6
	v_lshl_or_b32 v45, v33, 2, 64
	v_add_nc_u32_e32 v46, 16, v33
	s_mov_b32 s6, exec_lo
	s_wait_dscnt 0x0
	ds_bpermute_b32 v16, v45, v12
	ds_bpermute_b32 v12, v45, v14
	v_cmpx_le_u32_e64 v46, v11
	s_cbranch_execz .LBB419_57
; %bb.56:
	s_wait_dscnt 0x1
	v_add_co_u32 v11, vcc_lo, v13, v16
	s_wait_alu 0xfffd
	v_add_co_ci_u32_e64 v14, null, 0, v14, vcc_lo
	s_delay_alu instid0(VALU_DEP_2) | instskip(SKIP_2) | instid1(VALU_DEP_2)
	v_add_co_u32 v13, vcc_lo, v11, 0
	s_wait_dscnt 0x0
	s_wait_alu 0xfffd
	v_add_co_ci_u32_e64 v14, null, v14, v12, vcc_lo
.LBB419_57:
	s_or_b32 exec_lo, exec_lo, s6
	v_mov_b32_e32 v24, 0
	s_branch .LBB419_60
.LBB419_58:                             ;   in Loop: Header=BB419_60 Depth=1
	s_or_b32 exec_lo, exec_lo, s6
	v_add_co_u32 v13, vcc_lo, v13, v11
	v_subrev_nc_u32_e32 v23, 32, v23
	s_wait_alu 0xfffd
	v_add_co_ci_u32_e64 v14, null, v14, v12, vcc_lo
	s_mov_b32 s6, 0
.LBB419_59:                             ;   in Loop: Header=BB419_60 Depth=1
	s_delay_alu instid0(SALU_CYCLE_1)
	s_and_b32 vcc_lo, exec_lo, s6
	s_wait_alu 0xfffe
	s_cbranch_vccnz .LBB419_76
.LBB419_60:                             ; =>This Loop Header: Depth=1
                                        ;     Child Loop BB419_63 Depth 2
	v_and_b32_e32 v11, 0xff, v15
	s_mov_b32 s6, -1
	s_delay_alu instid0(VALU_DEP_1)
	v_cmp_ne_u16_e32 vcc_lo, 2, v11
	s_wait_dscnt 0x0
	v_dual_mov_b32 v11, v13 :: v_dual_mov_b32 v12, v14
                                        ; implicit-def: $vgpr13_vgpr14
	s_cmp_lg_u32 vcc_lo, exec_lo
	s_cbranch_scc1 .LBB419_59
; %bb.61:                               ;   in Loop: Header=BB419_60 Depth=1
	v_lshlrev_b64_e32 v[13:14], 4, v[23:24]
	s_mov_b32 s6, exec_lo
	s_delay_alu instid0(VALU_DEP_1) | instskip(SKIP_1) | instid1(VALU_DEP_2)
	v_add_co_u32 v25, vcc_lo, s14, v13
	s_wait_alu 0xfffd
	v_add_co_ci_u32_e64 v26, null, s15, v14, vcc_lo
	;;#ASMSTART
	global_load_b128 v[13:16], v[25:26] off scope:SCOPE_DEV	
s_wait_loadcnt 0x0
	;;#ASMEND
	v_and_b32_e32 v16, 0xff, v15
	s_delay_alu instid0(VALU_DEP_1)
	v_cmpx_eq_u16_e32 0, v16
	s_cbranch_execz .LBB419_65
; %bb.62:                               ;   in Loop: Header=BB419_60 Depth=1
	s_mov_b32 s7, 0
.LBB419_63:                             ;   Parent Loop BB419_60 Depth=1
                                        ; =>  This Inner Loop Header: Depth=2
	;;#ASMSTART
	global_load_b128 v[13:16], v[25:26] off scope:SCOPE_DEV	
s_wait_loadcnt 0x0
	;;#ASMEND
	v_and_b32_e32 v16, 0xff, v15
	s_delay_alu instid0(VALU_DEP_1) | instskip(SKIP_1) | instid1(SALU_CYCLE_1)
	v_cmp_ne_u16_e32 vcc_lo, 0, v16
	s_or_b32 s7, vcc_lo, s7
	s_and_not1_b32 exec_lo, exec_lo, s7
	s_cbranch_execnz .LBB419_63
; %bb.64:                               ;   in Loop: Header=BB419_60 Depth=1
	s_or_b32 exec_lo, exec_lo, s7
.LBB419_65:                             ;   in Loop: Header=BB419_60 Depth=1
	s_delay_alu instid0(SALU_CYCLE_1)
	s_or_b32 exec_lo, exec_lo, s6
	v_dual_mov_b32 v25, v13 :: v_dual_and_b32 v16, 0xff, v15
	ds_bpermute_b32 v47, v37, v13
	ds_bpermute_b32 v26, v37, v14
	s_mov_b32 s6, exec_lo
	v_cmp_eq_u16_e32 vcc_lo, 2, v16
	s_wait_alu 0xfffd
	v_and_or_b32 v16, vcc_lo, v38, 0x80000000
	s_delay_alu instid0(VALU_DEP_1) | instskip(NEXT) | instid1(VALU_DEP_1)
	v_ctz_i32_b32_e32 v16, v16
	v_cmpx_lt_u32_e64 v33, v16
	s_cbranch_execz .LBB419_67
; %bb.66:                               ;   in Loop: Header=BB419_60 Depth=1
	s_wait_dscnt 0x1
	v_add_co_u32 v25, vcc_lo, v13, v47
	s_wait_alu 0xfffd
	v_add_co_ci_u32_e64 v14, null, 0, v14, vcc_lo
	s_delay_alu instid0(VALU_DEP_2) | instskip(SKIP_2) | instid1(VALU_DEP_2)
	v_add_co_u32 v13, vcc_lo, 0, v25
	s_wait_dscnt 0x0
	s_wait_alu 0xfffd
	v_add_co_ci_u32_e64 v14, null, v26, v14, vcc_lo
.LBB419_67:                             ;   in Loop: Header=BB419_60 Depth=1
	s_or_b32 exec_lo, exec_lo, s6
	s_wait_dscnt 0x1
	ds_bpermute_b32 v47, v39, v25
	s_wait_dscnt 0x1
	ds_bpermute_b32 v26, v39, v14
	s_mov_b32 s6, exec_lo
	v_cmpx_le_u32_e64 v40, v16
	s_cbranch_execz .LBB419_69
; %bb.68:                               ;   in Loop: Header=BB419_60 Depth=1
	s_wait_dscnt 0x1
	v_add_co_u32 v25, vcc_lo, v13, v47
	s_wait_alu 0xfffd
	v_add_co_ci_u32_e64 v14, null, 0, v14, vcc_lo
	s_delay_alu instid0(VALU_DEP_2) | instskip(SKIP_2) | instid1(VALU_DEP_2)
	v_add_co_u32 v13, vcc_lo, 0, v25
	s_wait_dscnt 0x0
	s_wait_alu 0xfffd
	v_add_co_ci_u32_e64 v14, null, v26, v14, vcc_lo
.LBB419_69:                             ;   in Loop: Header=BB419_60 Depth=1
	s_or_b32 exec_lo, exec_lo, s6
	s_wait_dscnt 0x1
	ds_bpermute_b32 v47, v41, v25
	s_wait_dscnt 0x1
	ds_bpermute_b32 v26, v41, v14
	s_mov_b32 s6, exec_lo
	v_cmpx_le_u32_e64 v42, v16
	;; [unrolled: 19-line block ×3, first 2 shown]
	s_cbranch_execz .LBB419_73
; %bb.72:                               ;   in Loop: Header=BB419_60 Depth=1
	s_wait_dscnt 0x1
	v_add_co_u32 v25, vcc_lo, v13, v47
	s_wait_alu 0xfffd
	v_add_co_ci_u32_e64 v14, null, 0, v14, vcc_lo
	s_delay_alu instid0(VALU_DEP_2) | instskip(SKIP_2) | instid1(VALU_DEP_2)
	v_add_co_u32 v13, vcc_lo, 0, v25
	s_wait_dscnt 0x0
	s_wait_alu 0xfffd
	v_add_co_ci_u32_e64 v14, null, v26, v14, vcc_lo
.LBB419_73:                             ;   in Loop: Header=BB419_60 Depth=1
	s_or_b32 exec_lo, exec_lo, s6
	s_wait_dscnt 0x0
	ds_bpermute_b32 v26, v45, v25
	ds_bpermute_b32 v25, v45, v14
	s_mov_b32 s6, exec_lo
	v_cmpx_le_u32_e64 v46, v16
	s_cbranch_execz .LBB419_58
; %bb.74:                               ;   in Loop: Header=BB419_60 Depth=1
	s_wait_dscnt 0x1
	v_add_co_u32 v13, vcc_lo, v13, v26
	s_wait_alu 0xfffd
	v_add_co_ci_u32_e64 v14, null, 0, v14, vcc_lo
	s_delay_alu instid0(VALU_DEP_2) | instskip(SKIP_2) | instid1(VALU_DEP_2)
	v_add_co_u32 v13, vcc_lo, v13, 0
	s_wait_dscnt 0x0
	s_wait_alu 0xfffd
	v_add_co_ci_u32_e64 v14, null, v14, v25, vcc_lo
	s_branch .LBB419_58
.LBB419_75:
                                        ; implicit-def: $vgpr15_vgpr16
                                        ; implicit-def: $vgpr13_vgpr14
                                        ; implicit-def: $vgpr21_vgpr22
                                        ; implicit-def: $vgpr23_vgpr24
                                        ; implicit-def: $vgpr11_vgpr12
	s_wait_alu 0xfffe
	s_and_b32 vcc_lo, exec_lo, s1
	s_wait_alu 0xfffe
	s_cbranch_vccnz .LBB419_81
	s_branch .LBB419_106
.LBB419_76:
	s_and_saveexec_b32 s6, s1
	s_cbranch_execz .LBB419_78
; %bb.77:
	s_add_co_i32 s8, s21, 32
	s_mov_b32 s9, 0
	v_add_co_u32 v13, vcc_lo, v11, v9
	s_wait_alu 0xfffe
	s_lshl_b64 s[8:9], s[8:9], 4
	v_dual_mov_b32 v15, 2 :: v_dual_mov_b32 v16, 0
	s_wait_alu 0xfffe
	s_add_nc_u64 s[8:9], s[14:15], s[8:9]
	s_wait_alu 0xfffd
	v_add_co_ci_u32_e64 v14, null, v12, v10, vcc_lo
	s_wait_alu 0xfffe
	v_dual_mov_b32 v24, s9 :: v_dual_mov_b32 v23, s8
	;;#ASMSTART
	global_store_b128 v[23:24], v[13:16] off scope:SCOPE_DEV	
s_wait_storecnt 0x0
	;;#ASMEND
	ds_store_b128 v16, v[9:12] offset:8448
.LBB419_78:
	s_or_b32 exec_lo, exec_lo, s6
	s_delay_alu instid0(SALU_CYCLE_1)
	s_and_b32 exec_lo, exec_lo, s2
; %bb.79:
	v_mov_b32_e32 v9, 0
	ds_store_b64 v9, v[11:12] offset:56
.LBB419_80:
	s_wait_alu 0xfffe
	s_or_b32 exec_lo, exec_lo, s3
	v_mov_b32_e32 v9, 0
	s_wait_loadcnt_dscnt 0x0
	s_barrier_signal -1
	s_barrier_wait -1
	global_inv scope:SCOPE_SE
	ds_load_b64 v[13:14], v9 offset:56
	v_cndmask_b32_e64 v11, v35, v21, s1
	v_cndmask_b32_e64 v10, v36, v22, s1
	s_wait_loadcnt_dscnt 0x0
	s_barrier_signal -1
	s_barrier_wait -1
	v_cndmask_b32_e64 v16, v11, 0, s2
	v_cndmask_b32_e64 v15, v10, 0, s2
	global_inv scope:SCOPE_SE
	ds_load_b128 v[9:12], v9 offset:8448
	v_add_co_u32 v23, vcc_lo, v13, v16
	s_wait_alu 0xfffd
	v_add_co_ci_u32_e64 v24, null, v14, v15, vcc_lo
	s_delay_alu instid0(VALU_DEP_2) | instskip(SKIP_1) | instid1(VALU_DEP_2)
	v_add_co_u32 v21, vcc_lo, v23, v32
	s_wait_alu 0xfffd
	v_add_co_ci_u32_e64 v22, null, 0, v24, vcc_lo
	s_delay_alu instid0(VALU_DEP_2) | instskip(SKIP_1) | instid1(VALU_DEP_2)
	;; [unrolled: 4-line block ×3, first 2 shown]
	v_add_co_u32 v15, vcc_lo, v13, v30
	s_wait_alu 0xfffd
	v_add_co_ci_u32_e64 v16, null, 0, v14, vcc_lo
	s_branch .LBB419_106
.LBB419_81:
	s_wait_dscnt 0x0
	v_dual_mov_b32 v10, 0 :: v_dual_mov_b32 v11, v19
	v_mov_b32_dpp v12, v19 row_shr:1 row_mask:0xf bank_mask:0xf
	s_delay_alu instid0(VALU_DEP_2)
	v_mov_b32_dpp v9, v10 row_shr:1 row_mask:0xf bank_mask:0xf
	s_and_saveexec_b32 s1, s0
; %bb.82:
	s_delay_alu instid0(VALU_DEP_2) | instskip(SKIP_2) | instid1(VALU_DEP_2)
	v_add_co_u32 v11, vcc_lo, v19, v12
	s_wait_alu 0xfffd
	v_add_co_ci_u32_e64 v10, null, 0, v20, vcc_lo
	v_add_co_u32 v19, vcc_lo, 0, v11
	s_wait_alu 0xfffd
	s_delay_alu instid0(VALU_DEP_2) | instskip(NEXT) | instid1(VALU_DEP_1)
	v_add_co_ci_u32_e64 v20, null, v9, v10, vcc_lo
	v_mov_b32_e32 v10, v20
; %bb.83:
	s_wait_alu 0xfffe
	s_or_b32 exec_lo, exec_lo, s1
	v_mov_b32_dpp v9, v11 row_shr:2 row_mask:0xf bank_mask:0xf
	s_delay_alu instid0(VALU_DEP_2)
	v_mov_b32_dpp v12, v10 row_shr:2 row_mask:0xf bank_mask:0xf
	s_mov_b32 s0, exec_lo
	v_cmpx_lt_u32_e32 1, v34
; %bb.84:
	s_delay_alu instid0(VALU_DEP_3) | instskip(SKIP_2) | instid1(VALU_DEP_2)
	v_add_co_u32 v11, vcc_lo, v19, v9
	s_wait_alu 0xfffd
	v_add_co_ci_u32_e64 v10, null, 0, v20, vcc_lo
	v_add_co_u32 v9, vcc_lo, 0, v11
	s_wait_alu 0xfffd
	s_delay_alu instid0(VALU_DEP_2) | instskip(NEXT) | instid1(VALU_DEP_1)
	v_add_co_ci_u32_e64 v10, null, v12, v10, vcc_lo
	v_dual_mov_b32 v20, v10 :: v_dual_mov_b32 v19, v9
; %bb.85:
	s_wait_alu 0xfffe
	s_or_b32 exec_lo, exec_lo, s0
	v_mov_b32_dpp v9, v11 row_shr:4 row_mask:0xf bank_mask:0xf
	v_mov_b32_dpp v12, v10 row_shr:4 row_mask:0xf bank_mask:0xf
	s_mov_b32 s0, exec_lo
	v_cmpx_lt_u32_e32 3, v34
; %bb.86:
	s_delay_alu instid0(VALU_DEP_3) | instskip(SKIP_2) | instid1(VALU_DEP_2)
	v_add_co_u32 v11, vcc_lo, v19, v9
	s_wait_alu 0xfffd
	v_add_co_ci_u32_e64 v10, null, 0, v20, vcc_lo
	v_add_co_u32 v9, vcc_lo, 0, v11
	s_wait_alu 0xfffd
	s_delay_alu instid0(VALU_DEP_2) | instskip(NEXT) | instid1(VALU_DEP_1)
	v_add_co_ci_u32_e64 v10, null, v12, v10, vcc_lo
	v_dual_mov_b32 v20, v10 :: v_dual_mov_b32 v19, v9
; %bb.87:
	s_wait_alu 0xfffe
	s_or_b32 exec_lo, exec_lo, s0
	v_mov_b32_dpp v12, v11 row_shr:8 row_mask:0xf bank_mask:0xf
	v_mov_b32_dpp v9, v10 row_shr:8 row_mask:0xf bank_mask:0xf
	s_mov_b32 s0, exec_lo
	v_cmpx_lt_u32_e32 7, v34
; %bb.88:
	s_delay_alu instid0(VALU_DEP_3) | instskip(SKIP_2) | instid1(VALU_DEP_2)
	v_add_co_u32 v11, vcc_lo, v19, v12
	s_wait_alu 0xfffd
	v_add_co_ci_u32_e64 v10, null, 0, v20, vcc_lo
	v_add_co_u32 v19, vcc_lo, 0, v11
	s_wait_alu 0xfffd
	s_delay_alu instid0(VALU_DEP_2) | instskip(NEXT) | instid1(VALU_DEP_1)
	v_add_co_ci_u32_e64 v20, null, v9, v10, vcc_lo
	v_mov_b32_e32 v10, v20
; %bb.89:
	s_wait_alu 0xfffe
	s_or_b32 exec_lo, exec_lo, s0
	ds_swizzle_b32 v11, v11 offset:swizzle(BROADCAST,32,15)
	ds_swizzle_b32 v9, v10 offset:swizzle(BROADCAST,32,15)
	v_and_b32_e32 v10, 16, v33
	s_mov_b32 s0, exec_lo
	s_delay_alu instid0(VALU_DEP_1)
	v_cmpx_ne_u32_e32 0, v10
	s_cbranch_execz .LBB419_91
; %bb.90:
	s_wait_dscnt 0x1
	v_add_co_u32 v10, vcc_lo, v19, v11
	s_wait_alu 0xfffd
	v_add_co_ci_u32_e64 v11, null, 0, v20, vcc_lo
	s_delay_alu instid0(VALU_DEP_2) | instskip(SKIP_2) | instid1(VALU_DEP_2)
	v_add_co_u32 v19, vcc_lo, v10, 0
	s_wait_dscnt 0x0
	s_wait_alu 0xfffd
	v_add_co_ci_u32_e64 v20, null, v11, v9, vcc_lo
.LBB419_91:
	s_wait_alu 0xfffe
	s_or_b32 exec_lo, exec_lo, s0
	s_wait_dscnt 0x0
	v_or_b32_e32 v9, 31, v0
	s_mov_b32 s0, exec_lo
	s_delay_alu instid0(VALU_DEP_1)
	v_cmpx_eq_u32_e64 v0, v9
; %bb.92:
	v_lshlrev_b32_e32 v9, 3, v28
	ds_store_b64 v9, v[19:20]
; %bb.93:
	s_wait_alu 0xfffe
	s_or_b32 exec_lo, exec_lo, s0
	s_delay_alu instid0(SALU_CYCLE_1)
	s_mov_b32 s0, exec_lo
	s_wait_loadcnt_dscnt 0x0
	s_barrier_signal -1
	s_barrier_wait -1
	global_inv scope:SCOPE_SE
	v_cmpx_gt_u32_e32 8, v0
	s_cbranch_execz .LBB419_101
; %bb.94:
	v_lshlrev_b32_e32 v11, 3, v0
	s_mov_b32 s1, exec_lo
	ds_load_b64 v[9:10], v11
	s_wait_dscnt 0x0
	v_dual_mov_b32 v13, v9 :: v_dual_and_b32 v12, 7, v33
	v_mov_b32_dpp v15, v9 row_shr:1 row_mask:0xf bank_mask:0xf
	v_mov_b32_dpp v14, v10 row_shr:1 row_mask:0xf bank_mask:0xf
	s_delay_alu instid0(VALU_DEP_3)
	v_cmpx_ne_u32_e32 0, v12
; %bb.95:
	s_delay_alu instid0(VALU_DEP_3) | instskip(SKIP_2) | instid1(VALU_DEP_2)
	v_add_co_u32 v13, vcc_lo, v9, v15
	s_wait_alu 0xfffd
	v_add_co_ci_u32_e64 v10, null, 0, v10, vcc_lo
	v_add_co_u32 v9, vcc_lo, 0, v13
	s_wait_alu 0xfffd
	s_delay_alu instid0(VALU_DEP_2)
	v_add_co_ci_u32_e64 v10, null, v14, v10, vcc_lo
; %bb.96:
	s_wait_alu 0xfffe
	s_or_b32 exec_lo, exec_lo, s1
	v_mov_b32_dpp v15, v13 row_shr:2 row_mask:0xf bank_mask:0xf
	s_delay_alu instid0(VALU_DEP_2)
	v_mov_b32_dpp v14, v10 row_shr:2 row_mask:0xf bank_mask:0xf
	s_mov_b32 s1, exec_lo
	v_cmpx_lt_u32_e32 1, v12
; %bb.97:
	s_delay_alu instid0(VALU_DEP_3) | instskip(SKIP_2) | instid1(VALU_DEP_2)
	v_add_co_u32 v13, vcc_lo, v9, v15
	s_wait_alu 0xfffd
	v_add_co_ci_u32_e64 v10, null, 0, v10, vcc_lo
	v_add_co_u32 v9, vcc_lo, 0, v13
	s_wait_alu 0xfffd
	s_delay_alu instid0(VALU_DEP_2)
	v_add_co_ci_u32_e64 v10, null, v14, v10, vcc_lo
; %bb.98:
	s_wait_alu 0xfffe
	s_or_b32 exec_lo, exec_lo, s1
	v_mov_b32_dpp v14, v13 row_shr:4 row_mask:0xf bank_mask:0xf
	s_delay_alu instid0(VALU_DEP_2)
	v_mov_b32_dpp v13, v10 row_shr:4 row_mask:0xf bank_mask:0xf
	s_mov_b32 s1, exec_lo
	v_cmpx_lt_u32_e32 3, v12
; %bb.99:
	s_delay_alu instid0(VALU_DEP_3) | instskip(SKIP_2) | instid1(VALU_DEP_2)
	v_add_co_u32 v9, vcc_lo, v9, v14
	s_wait_alu 0xfffd
	v_add_co_ci_u32_e64 v10, null, 0, v10, vcc_lo
	v_add_co_u32 v9, vcc_lo, v9, 0
	s_wait_alu 0xfffd
	s_delay_alu instid0(VALU_DEP_2)
	v_add_co_ci_u32_e64 v10, null, v10, v13, vcc_lo
; %bb.100:
	s_wait_alu 0xfffe
	s_or_b32 exec_lo, exec_lo, s1
	ds_store_b64 v11, v[9:10]
.LBB419_101:
	s_wait_alu 0xfffe
	s_or_b32 exec_lo, exec_lo, s0
	v_mov_b32_e32 v13, 0
	v_mov_b32_e32 v14, 0
	s_mov_b32 s0, exec_lo
	s_wait_loadcnt_dscnt 0x0
	s_barrier_signal -1
	s_barrier_wait -1
	global_inv scope:SCOPE_SE
	v_cmpx_lt_u32_e32 31, v0
; %bb.102:
	v_lshl_add_u32 v9, v28, 3, -8
	ds_load_b64 v[13:14], v9
; %bb.103:
	s_wait_alu 0xfffe
	s_or_b32 exec_lo, exec_lo, s0
	v_sub_co_u32 v9, vcc_lo, v33, 1
	v_mov_b32_e32 v12, 0
	s_delay_alu instid0(VALU_DEP_2) | instskip(SKIP_1) | instid1(VALU_DEP_1)
	v_cmp_gt_i32_e64 s0, 0, v9
	s_wait_alu 0xf1ff
	v_cndmask_b32_e64 v9, v9, v33, s0
	s_wait_dscnt 0x0
	v_add_co_u32 v10, s0, v13, v19
	s_wait_alu 0xf1ff
	v_add_co_ci_u32_e64 v11, null, v14, v20, s0
	v_lshlrev_b32_e32 v9, 2, v9
	ds_bpermute_b32 v15, v9, v10
	ds_bpermute_b32 v16, v9, v11
	ds_load_b64 v[9:10], v12 offset:56
	s_and_saveexec_b32 s0, s2
	s_cbranch_execz .LBB419_105
; %bb.104:
	s_add_nc_u64 s[6:7], s[14:15], 0x200
	s_delay_alu instid0(SALU_CYCLE_1)
	v_dual_mov_b32 v11, 2 :: v_dual_mov_b32 v20, s7
	v_mov_b32_e32 v19, s6
	s_wait_dscnt 0x0
	;;#ASMSTART
	global_store_b128 v[19:20], v[9:12] off scope:SCOPE_DEV	
s_wait_storecnt 0x0
	;;#ASMEND
.LBB419_105:
	s_wait_alu 0xfffe
	s_or_b32 exec_lo, exec_lo, s0
	s_wait_dscnt 0x1
	s_wait_alu 0xfffd
	v_dual_cndmask_b32 v11, v15, v13 :: v_dual_cndmask_b32 v12, v16, v14
	s_wait_loadcnt_dscnt 0x0
	s_barrier_signal -1
	s_barrier_wait -1
	s_delay_alu instid0(VALU_DEP_1)
	v_cndmask_b32_e64 v23, v11, 0, s2
	v_cndmask_b32_e64 v24, v12, 0, s2
	v_mov_b32_e32 v11, 0
	v_mov_b32_e32 v12, 0
	global_inv scope:SCOPE_SE
	v_add_co_u32 v21, vcc_lo, v23, v32
	s_wait_alu 0xfffd
	v_add_co_ci_u32_e64 v22, null, 0, v24, vcc_lo
	s_delay_alu instid0(VALU_DEP_2) | instskip(SKIP_1) | instid1(VALU_DEP_2)
	v_add_co_u32 v13, vcc_lo, v21, v31
	s_wait_alu 0xfffd
	v_add_co_ci_u32_e64 v14, null, 0, v22, vcc_lo
	s_delay_alu instid0(VALU_DEP_2) | instskip(SKIP_1) | instid1(VALU_DEP_2)
	v_add_co_u32 v15, vcc_lo, v13, v30
	s_wait_alu 0xfffd
	v_add_co_ci_u32_e64 v16, null, 0, v14, vcc_lo
.LBB419_106:
	v_and_b32_e32 v28, 1, v29
	s_wait_dscnt 0x0
	v_cmp_gt_u64_e32 vcc_lo, 0x101, v[9:10]
	v_lshrrev_b32_e32 v25, 16, v29
	v_lshrrev_b32_e32 v26, 8, v29
	s_mov_b32 s1, -1
	v_cmp_eq_u32_e64 s0, 1, v28
	s_cbranch_vccnz .LBB419_110
; %bb.107:
	s_wait_alu 0xfffe
	s_and_b32 vcc_lo, exec_lo, s1
	s_wait_alu 0xfffe
	s_cbranch_vccnz .LBB419_119
.LBB419_108:
	s_and_b32 s0, s2, s19
	s_wait_alu 0xfffe
	s_and_saveexec_b32 s1, s0
	s_cbranch_execnz .LBB419_131
.LBB419_109:
	s_endpgm
.LBB419_110:
	v_add_co_u32 v19, vcc_lo, v11, v9
	s_wait_alu 0xfffd
	v_add_co_ci_u32_e64 v20, null, v12, v10, vcc_lo
	s_delay_alu instid0(VALU_DEP_1)
	v_cmp_lt_u64_e32 vcc_lo, v[23:24], v[19:20]
	s_or_b32 s1, s20, vcc_lo
	s_wait_alu 0xfffe
	s_and_b32 s1, s1, s0
	s_wait_alu 0xfffe
	s_and_saveexec_b32 s0, s1
	s_cbranch_execz .LBB419_112
; %bb.111:
	v_lshlrev_b64_e32 v[29:30], 3, v[17:18]
	v_lshlrev_b64_e32 v[31:32], 3, v[23:24]
	s_delay_alu instid0(VALU_DEP_2) | instskip(SKIP_1) | instid1(VALU_DEP_3)
	v_add_co_u32 v24, vcc_lo, s12, v29
	s_wait_alu 0xfffd
	v_add_co_ci_u32_e64 v30, null, s13, v30, vcc_lo
	s_delay_alu instid0(VALU_DEP_2) | instskip(SKIP_1) | instid1(VALU_DEP_2)
	v_add_co_u32 v29, vcc_lo, v24, v31
	s_wait_alu 0xfffd
	v_add_co_ci_u32_e64 v30, null, v30, v32, vcc_lo
	global_store_b64 v[29:30], v[5:6], off
.LBB419_112:
	s_wait_alu 0xfffe
	s_or_b32 exec_lo, exec_lo, s0
	v_and_b32_e32 v24, 1, v26
	v_cmp_lt_u64_e32 vcc_lo, v[21:22], v[19:20]
	s_delay_alu instid0(VALU_DEP_2)
	v_cmp_eq_u32_e64 s0, 1, v24
	s_or_b32 s1, s20, vcc_lo
	s_wait_alu 0xfffe
	s_and_b32 s1, s1, s0
	s_wait_alu 0xfffe
	s_and_saveexec_b32 s0, s1
	s_cbranch_execz .LBB419_114
; %bb.113:
	v_lshlrev_b64_e32 v[29:30], 3, v[17:18]
	v_lshlrev_b64_e32 v[31:32], 3, v[21:22]
	s_delay_alu instid0(VALU_DEP_2) | instskip(SKIP_1) | instid1(VALU_DEP_3)
	v_add_co_u32 v22, vcc_lo, s12, v29
	s_wait_alu 0xfffd
	v_add_co_ci_u32_e64 v24, null, s13, v30, vcc_lo
	s_delay_alu instid0(VALU_DEP_2) | instskip(SKIP_1) | instid1(VALU_DEP_2)
	v_add_co_u32 v29, vcc_lo, v22, v31
	s_wait_alu 0xfffd
	v_add_co_ci_u32_e64 v30, null, v24, v32, vcc_lo
	global_store_b64 v[29:30], v[7:8], off
.LBB419_114:
	s_wait_alu 0xfffe
	s_or_b32 exec_lo, exec_lo, s0
	v_and_b32_e32 v22, 1, v25
	v_cmp_lt_u64_e32 vcc_lo, v[13:14], v[19:20]
	s_delay_alu instid0(VALU_DEP_2)
	v_cmp_eq_u32_e64 s0, 1, v22
	;; [unrolled: 25-line block ×3, first 2 shown]
	s_or_b32 s1, s20, vcc_lo
	s_wait_alu 0xfffe
	s_and_b32 s1, s1, s0
	s_wait_alu 0xfffe
	s_and_saveexec_b32 s0, s1
	s_cbranch_execz .LBB419_118
; %bb.117:
	v_lshlrev_b64_e32 v[19:20], 3, v[17:18]
	v_lshlrev_b64_e32 v[29:30], 3, v[15:16]
	s_delay_alu instid0(VALU_DEP_2) | instskip(SKIP_1) | instid1(VALU_DEP_3)
	v_add_co_u32 v14, vcc_lo, s12, v19
	s_wait_alu 0xfffd
	v_add_co_ci_u32_e64 v16, null, s13, v20, vcc_lo
	s_delay_alu instid0(VALU_DEP_2) | instskip(SKIP_1) | instid1(VALU_DEP_2)
	v_add_co_u32 v19, vcc_lo, v14, v29
	s_wait_alu 0xfffd
	v_add_co_ci_u32_e64 v20, null, v16, v30, vcc_lo
	global_store_b64 v[19:20], v[3:4], off
.LBB419_118:
	s_wait_alu 0xfffe
	s_or_b32 exec_lo, exec_lo, s0
	s_branch .LBB419_108
.LBB419_119:
	s_mov_b32 s0, exec_lo
	v_cmpx_eq_u32_e32 1, v28
; %bb.120:
	v_sub_nc_u32_e32 v14, v23, v11
	s_delay_alu instid0(VALU_DEP_1)
	v_lshlrev_b32_e32 v14, 3, v14
	ds_store_b64 v14, v[5:6]
; %bb.121:
	s_wait_alu 0xfffe
	s_or_b32 exec_lo, exec_lo, s0
	v_and_b32_e32 v5, 1, v26
	s_mov_b32 s0, exec_lo
	s_delay_alu instid0(VALU_DEP_1)
	v_cmpx_eq_u32_e32 1, v5
; %bb.122:
	v_sub_nc_u32_e32 v5, v21, v11
	s_delay_alu instid0(VALU_DEP_1)
	v_lshlrev_b32_e32 v5, 3, v5
	ds_store_b64 v5, v[7:8]
; %bb.123:
	s_wait_alu 0xfffe
	s_or_b32 exec_lo, exec_lo, s0
	v_and_b32_e32 v5, 1, v25
	s_mov_b32 s0, exec_lo
	s_delay_alu instid0(VALU_DEP_1)
	;; [unrolled: 12-line block ×3, first 2 shown]
	v_cmpx_eq_u32_e32 1, v1
; %bb.126:
	v_sub_nc_u32_e32 v1, v15, v11
	s_delay_alu instid0(VALU_DEP_1)
	v_lshlrev_b32_e32 v1, 3, v1
	ds_store_b64 v1, v[3:4]
; %bb.127:
	s_wait_alu 0xfffe
	s_or_b32 exec_lo, exec_lo, s0
	v_mov_b32_e32 v1, 0
	s_mov_b32 s1, exec_lo
	s_wait_storecnt 0x0
	s_wait_loadcnt_dscnt 0x0
	s_barrier_signal -1
	s_barrier_wait -1
	global_inv scope:SCOPE_SE
	v_cmpx_gt_u64_e64 v[9:10], v[0:1]
	s_cbranch_execz .LBB419_130
; %bb.128:
	v_lshlrev_b64_e32 v[2:3], 3, v[11:12]
	v_lshlrev_b64_e32 v[4:5], 3, v[17:18]
	s_mov_b32 s3, 0
	s_delay_alu instid0(VALU_DEP_2) | instskip(SKIP_1) | instid1(VALU_DEP_3)
	v_add_co_u32 v6, vcc_lo, s12, v2
	s_wait_alu 0xfffd
	v_add_co_ci_u32_e64 v7, null, s13, v3, vcc_lo
	v_dual_mov_b32 v3, v1 :: v_dual_mov_b32 v2, v0
	s_delay_alu instid0(VALU_DEP_3) | instskip(SKIP_1) | instid1(VALU_DEP_3)
	v_add_co_u32 v4, vcc_lo, v6, v4
	s_wait_alu 0xfffd
	v_add_co_ci_u32_e64 v5, null, v7, v5, vcc_lo
	v_or_b32_e32 v0, 0x100, v0
.LBB419_129:                            ; =>This Inner Loop Header: Depth=1
	v_lshlrev_b32_e32 v6, 3, v2
	v_lshlrev_b64_e32 v[13:14], 3, v[2:3]
	v_mov_b32_e32 v3, v1
	s_delay_alu instid0(VALU_DEP_4)
	v_cmp_le_u64_e32 vcc_lo, v[9:10], v[0:1]
	v_mov_b32_e32 v2, v0
	ds_load_b64 v[6:7], v6
	v_add_nc_u32_e32 v0, 0x100, v0
	v_add_co_u32 v13, s0, v4, v13
	s_wait_alu 0xf1ff
	v_add_co_ci_u32_e64 v14, null, v5, v14, s0
	s_wait_alu 0xfffe
	s_or_b32 s3, vcc_lo, s3
	s_wait_dscnt 0x0
	global_store_b64 v[13:14], v[6:7], off
	s_wait_alu 0xfffe
	s_and_not1_b32 exec_lo, exec_lo, s3
	s_cbranch_execnz .LBB419_129
.LBB419_130:
	s_wait_alu 0xfffe
	s_or_b32 exec_lo, exec_lo, s1
	s_and_b32 s0, s2, s19
	s_wait_alu 0xfffe
	s_and_saveexec_b32 s1, s0
	s_cbranch_execz .LBB419_109
.LBB419_131:
	v_add_co_u32 v0, vcc_lo, v11, v9
	s_wait_alu 0xfffd
	v_add_co_ci_u32_e64 v1, null, v12, v10, vcc_lo
	v_mov_b32_e32 v2, 0
	s_delay_alu instid0(VALU_DEP_3) | instskip(SKIP_1) | instid1(VALU_DEP_3)
	v_add_co_u32 v0, vcc_lo, v0, v17
	s_wait_alu 0xfffd
	v_add_co_ci_u32_e64 v1, null, v1, v18, vcc_lo
	global_store_b64 v2, v[0:1], s[4:5]
	s_endpgm
.LBB419_132:
	v_lshlrev_b32_e32 v16, 3, v0
	global_load_b64 v[19:20], v16, s[0:1] offset:2048
	s_wait_loadcnt 0x0
	v_cmp_neq_f64_e32 vcc_lo, 0, v[19:20]
	s_wait_alu 0xfffd
	v_cndmask_b32_e64 v16, 0, 1, vcc_lo
	s_delay_alu instid0(VALU_DEP_1) | instskip(NEXT) | instid1(VALU_DEP_1)
	v_lshlrev_b16 v16, 8, v16
	v_or_b32_e32 v14, v14, v16
	s_delay_alu instid0(VALU_DEP_1) | instskip(SKIP_1) | instid1(SALU_CYCLE_1)
	v_and_b32_e32 v14, 0xffff, v14
	s_or_b32 exec_lo, exec_lo, s6
	s_mov_b32 s6, exec_lo
	v_cmpx_gt_u32_e64 s3, v10
	s_cbranch_execz .LBB419_15
.LBB419_133:
	v_lshlrev_b32_e32 v16, 3, v0
	global_load_b64 v[19:20], v16, s[0:1] offset:4096
	s_wait_loadcnt 0x0
	v_cmp_neq_f64_e32 vcc_lo, 0, v[19:20]
	s_wait_alu 0xfffd
	v_cndmask_b32_e64 v16, 0, 1, vcc_lo
	s_delay_alu instid0(VALU_DEP_1)
	v_lshl_or_b32 v14, v16, 16, v14
	s_or_b32 exec_lo, exec_lo, s6
	v_cmp_gt_u32_e32 vcc_lo, s3, v9
	s_and_saveexec_b32 s3, vcc_lo
	s_cbranch_execnz .LBB419_16
	s_branch .LBB419_17
	.section	.rodata,"a",@progbits
	.p2align	6, 0x0
	.amdhsa_kernel _ZN7rocprim17ROCPRIM_400000_NS6detail17trampoline_kernelINS0_14default_configENS1_25partition_config_selectorILNS1_17partition_subalgoE5ElNS0_10empty_typeEbEEZZNS1_14partition_implILS5_5ELb0ES3_mN6hipcub16HIPCUB_304000_NS21CountingInputIteratorIllEEPS6_NSA_22TransformInputIteratorIbN2at6native12_GLOBAL__N_19NonZeroOpIdEEPKdlEENS0_5tupleIJPlS6_EEENSN_IJSD_SD_EEES6_PiJS6_EEE10hipError_tPvRmT3_T4_T5_T6_T7_T9_mT8_P12ihipStream_tbDpT10_ENKUlT_T0_E_clISt17integral_constantIbLb0EES1A_IbLb1EEEEDaS16_S17_EUlS16_E_NS1_11comp_targetILNS1_3genE10ELNS1_11target_archE1200ELNS1_3gpuE4ELNS1_3repE0EEENS1_30default_config_static_selectorELNS0_4arch9wavefront6targetE0EEEvT1_
		.amdhsa_group_segment_fixed_size 8464
		.amdhsa_private_segment_fixed_size 0
		.amdhsa_kernarg_size 136
		.amdhsa_user_sgpr_count 2
		.amdhsa_user_sgpr_dispatch_ptr 0
		.amdhsa_user_sgpr_queue_ptr 0
		.amdhsa_user_sgpr_kernarg_segment_ptr 1
		.amdhsa_user_sgpr_dispatch_id 0
		.amdhsa_user_sgpr_private_segment_size 0
		.amdhsa_wavefront_size32 1
		.amdhsa_uses_dynamic_stack 0
		.amdhsa_enable_private_segment 0
		.amdhsa_system_sgpr_workgroup_id_x 1
		.amdhsa_system_sgpr_workgroup_id_y 0
		.amdhsa_system_sgpr_workgroup_id_z 0
		.amdhsa_system_sgpr_workgroup_info 0
		.amdhsa_system_vgpr_workitem_id 0
		.amdhsa_next_free_vgpr 48
		.amdhsa_next_free_sgpr 24
		.amdhsa_reserve_vcc 1
		.amdhsa_float_round_mode_32 0
		.amdhsa_float_round_mode_16_64 0
		.amdhsa_float_denorm_mode_32 3
		.amdhsa_float_denorm_mode_16_64 3
		.amdhsa_fp16_overflow 0
		.amdhsa_workgroup_processor_mode 1
		.amdhsa_memory_ordered 1
		.amdhsa_forward_progress 1
		.amdhsa_inst_pref_size 55
		.amdhsa_round_robin_scheduling 0
		.amdhsa_exception_fp_ieee_invalid_op 0
		.amdhsa_exception_fp_denorm_src 0
		.amdhsa_exception_fp_ieee_div_zero 0
		.amdhsa_exception_fp_ieee_overflow 0
		.amdhsa_exception_fp_ieee_underflow 0
		.amdhsa_exception_fp_ieee_inexact 0
		.amdhsa_exception_int_div_zero 0
	.end_amdhsa_kernel
	.section	.text._ZN7rocprim17ROCPRIM_400000_NS6detail17trampoline_kernelINS0_14default_configENS1_25partition_config_selectorILNS1_17partition_subalgoE5ElNS0_10empty_typeEbEEZZNS1_14partition_implILS5_5ELb0ES3_mN6hipcub16HIPCUB_304000_NS21CountingInputIteratorIllEEPS6_NSA_22TransformInputIteratorIbN2at6native12_GLOBAL__N_19NonZeroOpIdEEPKdlEENS0_5tupleIJPlS6_EEENSN_IJSD_SD_EEES6_PiJS6_EEE10hipError_tPvRmT3_T4_T5_T6_T7_T9_mT8_P12ihipStream_tbDpT10_ENKUlT_T0_E_clISt17integral_constantIbLb0EES1A_IbLb1EEEEDaS16_S17_EUlS16_E_NS1_11comp_targetILNS1_3genE10ELNS1_11target_archE1200ELNS1_3gpuE4ELNS1_3repE0EEENS1_30default_config_static_selectorELNS0_4arch9wavefront6targetE0EEEvT1_,"axG",@progbits,_ZN7rocprim17ROCPRIM_400000_NS6detail17trampoline_kernelINS0_14default_configENS1_25partition_config_selectorILNS1_17partition_subalgoE5ElNS0_10empty_typeEbEEZZNS1_14partition_implILS5_5ELb0ES3_mN6hipcub16HIPCUB_304000_NS21CountingInputIteratorIllEEPS6_NSA_22TransformInputIteratorIbN2at6native12_GLOBAL__N_19NonZeroOpIdEEPKdlEENS0_5tupleIJPlS6_EEENSN_IJSD_SD_EEES6_PiJS6_EEE10hipError_tPvRmT3_T4_T5_T6_T7_T9_mT8_P12ihipStream_tbDpT10_ENKUlT_T0_E_clISt17integral_constantIbLb0EES1A_IbLb1EEEEDaS16_S17_EUlS16_E_NS1_11comp_targetILNS1_3genE10ELNS1_11target_archE1200ELNS1_3gpuE4ELNS1_3repE0EEENS1_30default_config_static_selectorELNS0_4arch9wavefront6targetE0EEEvT1_,comdat
.Lfunc_end419:
	.size	_ZN7rocprim17ROCPRIM_400000_NS6detail17trampoline_kernelINS0_14default_configENS1_25partition_config_selectorILNS1_17partition_subalgoE5ElNS0_10empty_typeEbEEZZNS1_14partition_implILS5_5ELb0ES3_mN6hipcub16HIPCUB_304000_NS21CountingInputIteratorIllEEPS6_NSA_22TransformInputIteratorIbN2at6native12_GLOBAL__N_19NonZeroOpIdEEPKdlEENS0_5tupleIJPlS6_EEENSN_IJSD_SD_EEES6_PiJS6_EEE10hipError_tPvRmT3_T4_T5_T6_T7_T9_mT8_P12ihipStream_tbDpT10_ENKUlT_T0_E_clISt17integral_constantIbLb0EES1A_IbLb1EEEEDaS16_S17_EUlS16_E_NS1_11comp_targetILNS1_3genE10ELNS1_11target_archE1200ELNS1_3gpuE4ELNS1_3repE0EEENS1_30default_config_static_selectorELNS0_4arch9wavefront6targetE0EEEvT1_, .Lfunc_end419-_ZN7rocprim17ROCPRIM_400000_NS6detail17trampoline_kernelINS0_14default_configENS1_25partition_config_selectorILNS1_17partition_subalgoE5ElNS0_10empty_typeEbEEZZNS1_14partition_implILS5_5ELb0ES3_mN6hipcub16HIPCUB_304000_NS21CountingInputIteratorIllEEPS6_NSA_22TransformInputIteratorIbN2at6native12_GLOBAL__N_19NonZeroOpIdEEPKdlEENS0_5tupleIJPlS6_EEENSN_IJSD_SD_EEES6_PiJS6_EEE10hipError_tPvRmT3_T4_T5_T6_T7_T9_mT8_P12ihipStream_tbDpT10_ENKUlT_T0_E_clISt17integral_constantIbLb0EES1A_IbLb1EEEEDaS16_S17_EUlS16_E_NS1_11comp_targetILNS1_3genE10ELNS1_11target_archE1200ELNS1_3gpuE4ELNS1_3repE0EEENS1_30default_config_static_selectorELNS0_4arch9wavefront6targetE0EEEvT1_
                                        ; -- End function
	.set _ZN7rocprim17ROCPRIM_400000_NS6detail17trampoline_kernelINS0_14default_configENS1_25partition_config_selectorILNS1_17partition_subalgoE5ElNS0_10empty_typeEbEEZZNS1_14partition_implILS5_5ELb0ES3_mN6hipcub16HIPCUB_304000_NS21CountingInputIteratorIllEEPS6_NSA_22TransformInputIteratorIbN2at6native12_GLOBAL__N_19NonZeroOpIdEEPKdlEENS0_5tupleIJPlS6_EEENSN_IJSD_SD_EEES6_PiJS6_EEE10hipError_tPvRmT3_T4_T5_T6_T7_T9_mT8_P12ihipStream_tbDpT10_ENKUlT_T0_E_clISt17integral_constantIbLb0EES1A_IbLb1EEEEDaS16_S17_EUlS16_E_NS1_11comp_targetILNS1_3genE10ELNS1_11target_archE1200ELNS1_3gpuE4ELNS1_3repE0EEENS1_30default_config_static_selectorELNS0_4arch9wavefront6targetE0EEEvT1_.num_vgpr, 48
	.set _ZN7rocprim17ROCPRIM_400000_NS6detail17trampoline_kernelINS0_14default_configENS1_25partition_config_selectorILNS1_17partition_subalgoE5ElNS0_10empty_typeEbEEZZNS1_14partition_implILS5_5ELb0ES3_mN6hipcub16HIPCUB_304000_NS21CountingInputIteratorIllEEPS6_NSA_22TransformInputIteratorIbN2at6native12_GLOBAL__N_19NonZeroOpIdEEPKdlEENS0_5tupleIJPlS6_EEENSN_IJSD_SD_EEES6_PiJS6_EEE10hipError_tPvRmT3_T4_T5_T6_T7_T9_mT8_P12ihipStream_tbDpT10_ENKUlT_T0_E_clISt17integral_constantIbLb0EES1A_IbLb1EEEEDaS16_S17_EUlS16_E_NS1_11comp_targetILNS1_3genE10ELNS1_11target_archE1200ELNS1_3gpuE4ELNS1_3repE0EEENS1_30default_config_static_selectorELNS0_4arch9wavefront6targetE0EEEvT1_.num_agpr, 0
	.set _ZN7rocprim17ROCPRIM_400000_NS6detail17trampoline_kernelINS0_14default_configENS1_25partition_config_selectorILNS1_17partition_subalgoE5ElNS0_10empty_typeEbEEZZNS1_14partition_implILS5_5ELb0ES3_mN6hipcub16HIPCUB_304000_NS21CountingInputIteratorIllEEPS6_NSA_22TransformInputIteratorIbN2at6native12_GLOBAL__N_19NonZeroOpIdEEPKdlEENS0_5tupleIJPlS6_EEENSN_IJSD_SD_EEES6_PiJS6_EEE10hipError_tPvRmT3_T4_T5_T6_T7_T9_mT8_P12ihipStream_tbDpT10_ENKUlT_T0_E_clISt17integral_constantIbLb0EES1A_IbLb1EEEEDaS16_S17_EUlS16_E_NS1_11comp_targetILNS1_3genE10ELNS1_11target_archE1200ELNS1_3gpuE4ELNS1_3repE0EEENS1_30default_config_static_selectorELNS0_4arch9wavefront6targetE0EEEvT1_.numbered_sgpr, 24
	.set _ZN7rocprim17ROCPRIM_400000_NS6detail17trampoline_kernelINS0_14default_configENS1_25partition_config_selectorILNS1_17partition_subalgoE5ElNS0_10empty_typeEbEEZZNS1_14partition_implILS5_5ELb0ES3_mN6hipcub16HIPCUB_304000_NS21CountingInputIteratorIllEEPS6_NSA_22TransformInputIteratorIbN2at6native12_GLOBAL__N_19NonZeroOpIdEEPKdlEENS0_5tupleIJPlS6_EEENSN_IJSD_SD_EEES6_PiJS6_EEE10hipError_tPvRmT3_T4_T5_T6_T7_T9_mT8_P12ihipStream_tbDpT10_ENKUlT_T0_E_clISt17integral_constantIbLb0EES1A_IbLb1EEEEDaS16_S17_EUlS16_E_NS1_11comp_targetILNS1_3genE10ELNS1_11target_archE1200ELNS1_3gpuE4ELNS1_3repE0EEENS1_30default_config_static_selectorELNS0_4arch9wavefront6targetE0EEEvT1_.num_named_barrier, 0
	.set _ZN7rocprim17ROCPRIM_400000_NS6detail17trampoline_kernelINS0_14default_configENS1_25partition_config_selectorILNS1_17partition_subalgoE5ElNS0_10empty_typeEbEEZZNS1_14partition_implILS5_5ELb0ES3_mN6hipcub16HIPCUB_304000_NS21CountingInputIteratorIllEEPS6_NSA_22TransformInputIteratorIbN2at6native12_GLOBAL__N_19NonZeroOpIdEEPKdlEENS0_5tupleIJPlS6_EEENSN_IJSD_SD_EEES6_PiJS6_EEE10hipError_tPvRmT3_T4_T5_T6_T7_T9_mT8_P12ihipStream_tbDpT10_ENKUlT_T0_E_clISt17integral_constantIbLb0EES1A_IbLb1EEEEDaS16_S17_EUlS16_E_NS1_11comp_targetILNS1_3genE10ELNS1_11target_archE1200ELNS1_3gpuE4ELNS1_3repE0EEENS1_30default_config_static_selectorELNS0_4arch9wavefront6targetE0EEEvT1_.private_seg_size, 0
	.set _ZN7rocprim17ROCPRIM_400000_NS6detail17trampoline_kernelINS0_14default_configENS1_25partition_config_selectorILNS1_17partition_subalgoE5ElNS0_10empty_typeEbEEZZNS1_14partition_implILS5_5ELb0ES3_mN6hipcub16HIPCUB_304000_NS21CountingInputIteratorIllEEPS6_NSA_22TransformInputIteratorIbN2at6native12_GLOBAL__N_19NonZeroOpIdEEPKdlEENS0_5tupleIJPlS6_EEENSN_IJSD_SD_EEES6_PiJS6_EEE10hipError_tPvRmT3_T4_T5_T6_T7_T9_mT8_P12ihipStream_tbDpT10_ENKUlT_T0_E_clISt17integral_constantIbLb0EES1A_IbLb1EEEEDaS16_S17_EUlS16_E_NS1_11comp_targetILNS1_3genE10ELNS1_11target_archE1200ELNS1_3gpuE4ELNS1_3repE0EEENS1_30default_config_static_selectorELNS0_4arch9wavefront6targetE0EEEvT1_.uses_vcc, 1
	.set _ZN7rocprim17ROCPRIM_400000_NS6detail17trampoline_kernelINS0_14default_configENS1_25partition_config_selectorILNS1_17partition_subalgoE5ElNS0_10empty_typeEbEEZZNS1_14partition_implILS5_5ELb0ES3_mN6hipcub16HIPCUB_304000_NS21CountingInputIteratorIllEEPS6_NSA_22TransformInputIteratorIbN2at6native12_GLOBAL__N_19NonZeroOpIdEEPKdlEENS0_5tupleIJPlS6_EEENSN_IJSD_SD_EEES6_PiJS6_EEE10hipError_tPvRmT3_T4_T5_T6_T7_T9_mT8_P12ihipStream_tbDpT10_ENKUlT_T0_E_clISt17integral_constantIbLb0EES1A_IbLb1EEEEDaS16_S17_EUlS16_E_NS1_11comp_targetILNS1_3genE10ELNS1_11target_archE1200ELNS1_3gpuE4ELNS1_3repE0EEENS1_30default_config_static_selectorELNS0_4arch9wavefront6targetE0EEEvT1_.uses_flat_scratch, 0
	.set _ZN7rocprim17ROCPRIM_400000_NS6detail17trampoline_kernelINS0_14default_configENS1_25partition_config_selectorILNS1_17partition_subalgoE5ElNS0_10empty_typeEbEEZZNS1_14partition_implILS5_5ELb0ES3_mN6hipcub16HIPCUB_304000_NS21CountingInputIteratorIllEEPS6_NSA_22TransformInputIteratorIbN2at6native12_GLOBAL__N_19NonZeroOpIdEEPKdlEENS0_5tupleIJPlS6_EEENSN_IJSD_SD_EEES6_PiJS6_EEE10hipError_tPvRmT3_T4_T5_T6_T7_T9_mT8_P12ihipStream_tbDpT10_ENKUlT_T0_E_clISt17integral_constantIbLb0EES1A_IbLb1EEEEDaS16_S17_EUlS16_E_NS1_11comp_targetILNS1_3genE10ELNS1_11target_archE1200ELNS1_3gpuE4ELNS1_3repE0EEENS1_30default_config_static_selectorELNS0_4arch9wavefront6targetE0EEEvT1_.has_dyn_sized_stack, 0
	.set _ZN7rocprim17ROCPRIM_400000_NS6detail17trampoline_kernelINS0_14default_configENS1_25partition_config_selectorILNS1_17partition_subalgoE5ElNS0_10empty_typeEbEEZZNS1_14partition_implILS5_5ELb0ES3_mN6hipcub16HIPCUB_304000_NS21CountingInputIteratorIllEEPS6_NSA_22TransformInputIteratorIbN2at6native12_GLOBAL__N_19NonZeroOpIdEEPKdlEENS0_5tupleIJPlS6_EEENSN_IJSD_SD_EEES6_PiJS6_EEE10hipError_tPvRmT3_T4_T5_T6_T7_T9_mT8_P12ihipStream_tbDpT10_ENKUlT_T0_E_clISt17integral_constantIbLb0EES1A_IbLb1EEEEDaS16_S17_EUlS16_E_NS1_11comp_targetILNS1_3genE10ELNS1_11target_archE1200ELNS1_3gpuE4ELNS1_3repE0EEENS1_30default_config_static_selectorELNS0_4arch9wavefront6targetE0EEEvT1_.has_recursion, 0
	.set _ZN7rocprim17ROCPRIM_400000_NS6detail17trampoline_kernelINS0_14default_configENS1_25partition_config_selectorILNS1_17partition_subalgoE5ElNS0_10empty_typeEbEEZZNS1_14partition_implILS5_5ELb0ES3_mN6hipcub16HIPCUB_304000_NS21CountingInputIteratorIllEEPS6_NSA_22TransformInputIteratorIbN2at6native12_GLOBAL__N_19NonZeroOpIdEEPKdlEENS0_5tupleIJPlS6_EEENSN_IJSD_SD_EEES6_PiJS6_EEE10hipError_tPvRmT3_T4_T5_T6_T7_T9_mT8_P12ihipStream_tbDpT10_ENKUlT_T0_E_clISt17integral_constantIbLb0EES1A_IbLb1EEEEDaS16_S17_EUlS16_E_NS1_11comp_targetILNS1_3genE10ELNS1_11target_archE1200ELNS1_3gpuE4ELNS1_3repE0EEENS1_30default_config_static_selectorELNS0_4arch9wavefront6targetE0EEEvT1_.has_indirect_call, 0
	.section	.AMDGPU.csdata,"",@progbits
; Kernel info:
; codeLenInByte = 6936
; TotalNumSgprs: 26
; NumVgprs: 48
; ScratchSize: 0
; MemoryBound: 0
; FloatMode: 240
; IeeeMode: 1
; LDSByteSize: 8464 bytes/workgroup (compile time only)
; SGPRBlocks: 0
; VGPRBlocks: 5
; NumSGPRsForWavesPerEU: 26
; NumVGPRsForWavesPerEU: 48
; Occupancy: 16
; WaveLimiterHint : 1
; COMPUTE_PGM_RSRC2:SCRATCH_EN: 0
; COMPUTE_PGM_RSRC2:USER_SGPR: 2
; COMPUTE_PGM_RSRC2:TRAP_HANDLER: 0
; COMPUTE_PGM_RSRC2:TGID_X_EN: 1
; COMPUTE_PGM_RSRC2:TGID_Y_EN: 0
; COMPUTE_PGM_RSRC2:TGID_Z_EN: 0
; COMPUTE_PGM_RSRC2:TIDIG_COMP_CNT: 0
	.section	.text._ZN7rocprim17ROCPRIM_400000_NS6detail17trampoline_kernelINS0_14default_configENS1_25partition_config_selectorILNS1_17partition_subalgoE5ElNS0_10empty_typeEbEEZZNS1_14partition_implILS5_5ELb0ES3_mN6hipcub16HIPCUB_304000_NS21CountingInputIteratorIllEEPS6_NSA_22TransformInputIteratorIbN2at6native12_GLOBAL__N_19NonZeroOpIdEEPKdlEENS0_5tupleIJPlS6_EEENSN_IJSD_SD_EEES6_PiJS6_EEE10hipError_tPvRmT3_T4_T5_T6_T7_T9_mT8_P12ihipStream_tbDpT10_ENKUlT_T0_E_clISt17integral_constantIbLb0EES1A_IbLb1EEEEDaS16_S17_EUlS16_E_NS1_11comp_targetILNS1_3genE9ELNS1_11target_archE1100ELNS1_3gpuE3ELNS1_3repE0EEENS1_30default_config_static_selectorELNS0_4arch9wavefront6targetE0EEEvT1_,"axG",@progbits,_ZN7rocprim17ROCPRIM_400000_NS6detail17trampoline_kernelINS0_14default_configENS1_25partition_config_selectorILNS1_17partition_subalgoE5ElNS0_10empty_typeEbEEZZNS1_14partition_implILS5_5ELb0ES3_mN6hipcub16HIPCUB_304000_NS21CountingInputIteratorIllEEPS6_NSA_22TransformInputIteratorIbN2at6native12_GLOBAL__N_19NonZeroOpIdEEPKdlEENS0_5tupleIJPlS6_EEENSN_IJSD_SD_EEES6_PiJS6_EEE10hipError_tPvRmT3_T4_T5_T6_T7_T9_mT8_P12ihipStream_tbDpT10_ENKUlT_T0_E_clISt17integral_constantIbLb0EES1A_IbLb1EEEEDaS16_S17_EUlS16_E_NS1_11comp_targetILNS1_3genE9ELNS1_11target_archE1100ELNS1_3gpuE3ELNS1_3repE0EEENS1_30default_config_static_selectorELNS0_4arch9wavefront6targetE0EEEvT1_,comdat
	.globl	_ZN7rocprim17ROCPRIM_400000_NS6detail17trampoline_kernelINS0_14default_configENS1_25partition_config_selectorILNS1_17partition_subalgoE5ElNS0_10empty_typeEbEEZZNS1_14partition_implILS5_5ELb0ES3_mN6hipcub16HIPCUB_304000_NS21CountingInputIteratorIllEEPS6_NSA_22TransformInputIteratorIbN2at6native12_GLOBAL__N_19NonZeroOpIdEEPKdlEENS0_5tupleIJPlS6_EEENSN_IJSD_SD_EEES6_PiJS6_EEE10hipError_tPvRmT3_T4_T5_T6_T7_T9_mT8_P12ihipStream_tbDpT10_ENKUlT_T0_E_clISt17integral_constantIbLb0EES1A_IbLb1EEEEDaS16_S17_EUlS16_E_NS1_11comp_targetILNS1_3genE9ELNS1_11target_archE1100ELNS1_3gpuE3ELNS1_3repE0EEENS1_30default_config_static_selectorELNS0_4arch9wavefront6targetE0EEEvT1_ ; -- Begin function _ZN7rocprim17ROCPRIM_400000_NS6detail17trampoline_kernelINS0_14default_configENS1_25partition_config_selectorILNS1_17partition_subalgoE5ElNS0_10empty_typeEbEEZZNS1_14partition_implILS5_5ELb0ES3_mN6hipcub16HIPCUB_304000_NS21CountingInputIteratorIllEEPS6_NSA_22TransformInputIteratorIbN2at6native12_GLOBAL__N_19NonZeroOpIdEEPKdlEENS0_5tupleIJPlS6_EEENSN_IJSD_SD_EEES6_PiJS6_EEE10hipError_tPvRmT3_T4_T5_T6_T7_T9_mT8_P12ihipStream_tbDpT10_ENKUlT_T0_E_clISt17integral_constantIbLb0EES1A_IbLb1EEEEDaS16_S17_EUlS16_E_NS1_11comp_targetILNS1_3genE9ELNS1_11target_archE1100ELNS1_3gpuE3ELNS1_3repE0EEENS1_30default_config_static_selectorELNS0_4arch9wavefront6targetE0EEEvT1_
	.p2align	8
	.type	_ZN7rocprim17ROCPRIM_400000_NS6detail17trampoline_kernelINS0_14default_configENS1_25partition_config_selectorILNS1_17partition_subalgoE5ElNS0_10empty_typeEbEEZZNS1_14partition_implILS5_5ELb0ES3_mN6hipcub16HIPCUB_304000_NS21CountingInputIteratorIllEEPS6_NSA_22TransformInputIteratorIbN2at6native12_GLOBAL__N_19NonZeroOpIdEEPKdlEENS0_5tupleIJPlS6_EEENSN_IJSD_SD_EEES6_PiJS6_EEE10hipError_tPvRmT3_T4_T5_T6_T7_T9_mT8_P12ihipStream_tbDpT10_ENKUlT_T0_E_clISt17integral_constantIbLb0EES1A_IbLb1EEEEDaS16_S17_EUlS16_E_NS1_11comp_targetILNS1_3genE9ELNS1_11target_archE1100ELNS1_3gpuE3ELNS1_3repE0EEENS1_30default_config_static_selectorELNS0_4arch9wavefront6targetE0EEEvT1_,@function
_ZN7rocprim17ROCPRIM_400000_NS6detail17trampoline_kernelINS0_14default_configENS1_25partition_config_selectorILNS1_17partition_subalgoE5ElNS0_10empty_typeEbEEZZNS1_14partition_implILS5_5ELb0ES3_mN6hipcub16HIPCUB_304000_NS21CountingInputIteratorIllEEPS6_NSA_22TransformInputIteratorIbN2at6native12_GLOBAL__N_19NonZeroOpIdEEPKdlEENS0_5tupleIJPlS6_EEENSN_IJSD_SD_EEES6_PiJS6_EEE10hipError_tPvRmT3_T4_T5_T6_T7_T9_mT8_P12ihipStream_tbDpT10_ENKUlT_T0_E_clISt17integral_constantIbLb0EES1A_IbLb1EEEEDaS16_S17_EUlS16_E_NS1_11comp_targetILNS1_3genE9ELNS1_11target_archE1100ELNS1_3gpuE3ELNS1_3repE0EEENS1_30default_config_static_selectorELNS0_4arch9wavefront6targetE0EEEvT1_: ; @_ZN7rocprim17ROCPRIM_400000_NS6detail17trampoline_kernelINS0_14default_configENS1_25partition_config_selectorILNS1_17partition_subalgoE5ElNS0_10empty_typeEbEEZZNS1_14partition_implILS5_5ELb0ES3_mN6hipcub16HIPCUB_304000_NS21CountingInputIteratorIllEEPS6_NSA_22TransformInputIteratorIbN2at6native12_GLOBAL__N_19NonZeroOpIdEEPKdlEENS0_5tupleIJPlS6_EEENSN_IJSD_SD_EEES6_PiJS6_EEE10hipError_tPvRmT3_T4_T5_T6_T7_T9_mT8_P12ihipStream_tbDpT10_ENKUlT_T0_E_clISt17integral_constantIbLb0EES1A_IbLb1EEEEDaS16_S17_EUlS16_E_NS1_11comp_targetILNS1_3genE9ELNS1_11target_archE1100ELNS1_3gpuE3ELNS1_3repE0EEENS1_30default_config_static_selectorELNS0_4arch9wavefront6targetE0EEEvT1_
; %bb.0:
	.section	.rodata,"a",@progbits
	.p2align	6, 0x0
	.amdhsa_kernel _ZN7rocprim17ROCPRIM_400000_NS6detail17trampoline_kernelINS0_14default_configENS1_25partition_config_selectorILNS1_17partition_subalgoE5ElNS0_10empty_typeEbEEZZNS1_14partition_implILS5_5ELb0ES3_mN6hipcub16HIPCUB_304000_NS21CountingInputIteratorIllEEPS6_NSA_22TransformInputIteratorIbN2at6native12_GLOBAL__N_19NonZeroOpIdEEPKdlEENS0_5tupleIJPlS6_EEENSN_IJSD_SD_EEES6_PiJS6_EEE10hipError_tPvRmT3_T4_T5_T6_T7_T9_mT8_P12ihipStream_tbDpT10_ENKUlT_T0_E_clISt17integral_constantIbLb0EES1A_IbLb1EEEEDaS16_S17_EUlS16_E_NS1_11comp_targetILNS1_3genE9ELNS1_11target_archE1100ELNS1_3gpuE3ELNS1_3repE0EEENS1_30default_config_static_selectorELNS0_4arch9wavefront6targetE0EEEvT1_
		.amdhsa_group_segment_fixed_size 0
		.amdhsa_private_segment_fixed_size 0
		.amdhsa_kernarg_size 136
		.amdhsa_user_sgpr_count 2
		.amdhsa_user_sgpr_dispatch_ptr 0
		.amdhsa_user_sgpr_queue_ptr 0
		.amdhsa_user_sgpr_kernarg_segment_ptr 1
		.amdhsa_user_sgpr_dispatch_id 0
		.amdhsa_user_sgpr_private_segment_size 0
		.amdhsa_wavefront_size32 1
		.amdhsa_uses_dynamic_stack 0
		.amdhsa_enable_private_segment 0
		.amdhsa_system_sgpr_workgroup_id_x 1
		.amdhsa_system_sgpr_workgroup_id_y 0
		.amdhsa_system_sgpr_workgroup_id_z 0
		.amdhsa_system_sgpr_workgroup_info 0
		.amdhsa_system_vgpr_workitem_id 0
		.amdhsa_next_free_vgpr 1
		.amdhsa_next_free_sgpr 1
		.amdhsa_reserve_vcc 0
		.amdhsa_float_round_mode_32 0
		.amdhsa_float_round_mode_16_64 0
		.amdhsa_float_denorm_mode_32 3
		.amdhsa_float_denorm_mode_16_64 3
		.amdhsa_fp16_overflow 0
		.amdhsa_workgroup_processor_mode 1
		.amdhsa_memory_ordered 1
		.amdhsa_forward_progress 1
		.amdhsa_inst_pref_size 0
		.amdhsa_round_robin_scheduling 0
		.amdhsa_exception_fp_ieee_invalid_op 0
		.amdhsa_exception_fp_denorm_src 0
		.amdhsa_exception_fp_ieee_div_zero 0
		.amdhsa_exception_fp_ieee_overflow 0
		.amdhsa_exception_fp_ieee_underflow 0
		.amdhsa_exception_fp_ieee_inexact 0
		.amdhsa_exception_int_div_zero 0
	.end_amdhsa_kernel
	.section	.text._ZN7rocprim17ROCPRIM_400000_NS6detail17trampoline_kernelINS0_14default_configENS1_25partition_config_selectorILNS1_17partition_subalgoE5ElNS0_10empty_typeEbEEZZNS1_14partition_implILS5_5ELb0ES3_mN6hipcub16HIPCUB_304000_NS21CountingInputIteratorIllEEPS6_NSA_22TransformInputIteratorIbN2at6native12_GLOBAL__N_19NonZeroOpIdEEPKdlEENS0_5tupleIJPlS6_EEENSN_IJSD_SD_EEES6_PiJS6_EEE10hipError_tPvRmT3_T4_T5_T6_T7_T9_mT8_P12ihipStream_tbDpT10_ENKUlT_T0_E_clISt17integral_constantIbLb0EES1A_IbLb1EEEEDaS16_S17_EUlS16_E_NS1_11comp_targetILNS1_3genE9ELNS1_11target_archE1100ELNS1_3gpuE3ELNS1_3repE0EEENS1_30default_config_static_selectorELNS0_4arch9wavefront6targetE0EEEvT1_,"axG",@progbits,_ZN7rocprim17ROCPRIM_400000_NS6detail17trampoline_kernelINS0_14default_configENS1_25partition_config_selectorILNS1_17partition_subalgoE5ElNS0_10empty_typeEbEEZZNS1_14partition_implILS5_5ELb0ES3_mN6hipcub16HIPCUB_304000_NS21CountingInputIteratorIllEEPS6_NSA_22TransformInputIteratorIbN2at6native12_GLOBAL__N_19NonZeroOpIdEEPKdlEENS0_5tupleIJPlS6_EEENSN_IJSD_SD_EEES6_PiJS6_EEE10hipError_tPvRmT3_T4_T5_T6_T7_T9_mT8_P12ihipStream_tbDpT10_ENKUlT_T0_E_clISt17integral_constantIbLb0EES1A_IbLb1EEEEDaS16_S17_EUlS16_E_NS1_11comp_targetILNS1_3genE9ELNS1_11target_archE1100ELNS1_3gpuE3ELNS1_3repE0EEENS1_30default_config_static_selectorELNS0_4arch9wavefront6targetE0EEEvT1_,comdat
.Lfunc_end420:
	.size	_ZN7rocprim17ROCPRIM_400000_NS6detail17trampoline_kernelINS0_14default_configENS1_25partition_config_selectorILNS1_17partition_subalgoE5ElNS0_10empty_typeEbEEZZNS1_14partition_implILS5_5ELb0ES3_mN6hipcub16HIPCUB_304000_NS21CountingInputIteratorIllEEPS6_NSA_22TransformInputIteratorIbN2at6native12_GLOBAL__N_19NonZeroOpIdEEPKdlEENS0_5tupleIJPlS6_EEENSN_IJSD_SD_EEES6_PiJS6_EEE10hipError_tPvRmT3_T4_T5_T6_T7_T9_mT8_P12ihipStream_tbDpT10_ENKUlT_T0_E_clISt17integral_constantIbLb0EES1A_IbLb1EEEEDaS16_S17_EUlS16_E_NS1_11comp_targetILNS1_3genE9ELNS1_11target_archE1100ELNS1_3gpuE3ELNS1_3repE0EEENS1_30default_config_static_selectorELNS0_4arch9wavefront6targetE0EEEvT1_, .Lfunc_end420-_ZN7rocprim17ROCPRIM_400000_NS6detail17trampoline_kernelINS0_14default_configENS1_25partition_config_selectorILNS1_17partition_subalgoE5ElNS0_10empty_typeEbEEZZNS1_14partition_implILS5_5ELb0ES3_mN6hipcub16HIPCUB_304000_NS21CountingInputIteratorIllEEPS6_NSA_22TransformInputIteratorIbN2at6native12_GLOBAL__N_19NonZeroOpIdEEPKdlEENS0_5tupleIJPlS6_EEENSN_IJSD_SD_EEES6_PiJS6_EEE10hipError_tPvRmT3_T4_T5_T6_T7_T9_mT8_P12ihipStream_tbDpT10_ENKUlT_T0_E_clISt17integral_constantIbLb0EES1A_IbLb1EEEEDaS16_S17_EUlS16_E_NS1_11comp_targetILNS1_3genE9ELNS1_11target_archE1100ELNS1_3gpuE3ELNS1_3repE0EEENS1_30default_config_static_selectorELNS0_4arch9wavefront6targetE0EEEvT1_
                                        ; -- End function
	.set _ZN7rocprim17ROCPRIM_400000_NS6detail17trampoline_kernelINS0_14default_configENS1_25partition_config_selectorILNS1_17partition_subalgoE5ElNS0_10empty_typeEbEEZZNS1_14partition_implILS5_5ELb0ES3_mN6hipcub16HIPCUB_304000_NS21CountingInputIteratorIllEEPS6_NSA_22TransformInputIteratorIbN2at6native12_GLOBAL__N_19NonZeroOpIdEEPKdlEENS0_5tupleIJPlS6_EEENSN_IJSD_SD_EEES6_PiJS6_EEE10hipError_tPvRmT3_T4_T5_T6_T7_T9_mT8_P12ihipStream_tbDpT10_ENKUlT_T0_E_clISt17integral_constantIbLb0EES1A_IbLb1EEEEDaS16_S17_EUlS16_E_NS1_11comp_targetILNS1_3genE9ELNS1_11target_archE1100ELNS1_3gpuE3ELNS1_3repE0EEENS1_30default_config_static_selectorELNS0_4arch9wavefront6targetE0EEEvT1_.num_vgpr, 0
	.set _ZN7rocprim17ROCPRIM_400000_NS6detail17trampoline_kernelINS0_14default_configENS1_25partition_config_selectorILNS1_17partition_subalgoE5ElNS0_10empty_typeEbEEZZNS1_14partition_implILS5_5ELb0ES3_mN6hipcub16HIPCUB_304000_NS21CountingInputIteratorIllEEPS6_NSA_22TransformInputIteratorIbN2at6native12_GLOBAL__N_19NonZeroOpIdEEPKdlEENS0_5tupleIJPlS6_EEENSN_IJSD_SD_EEES6_PiJS6_EEE10hipError_tPvRmT3_T4_T5_T6_T7_T9_mT8_P12ihipStream_tbDpT10_ENKUlT_T0_E_clISt17integral_constantIbLb0EES1A_IbLb1EEEEDaS16_S17_EUlS16_E_NS1_11comp_targetILNS1_3genE9ELNS1_11target_archE1100ELNS1_3gpuE3ELNS1_3repE0EEENS1_30default_config_static_selectorELNS0_4arch9wavefront6targetE0EEEvT1_.num_agpr, 0
	.set _ZN7rocprim17ROCPRIM_400000_NS6detail17trampoline_kernelINS0_14default_configENS1_25partition_config_selectorILNS1_17partition_subalgoE5ElNS0_10empty_typeEbEEZZNS1_14partition_implILS5_5ELb0ES3_mN6hipcub16HIPCUB_304000_NS21CountingInputIteratorIllEEPS6_NSA_22TransformInputIteratorIbN2at6native12_GLOBAL__N_19NonZeroOpIdEEPKdlEENS0_5tupleIJPlS6_EEENSN_IJSD_SD_EEES6_PiJS6_EEE10hipError_tPvRmT3_T4_T5_T6_T7_T9_mT8_P12ihipStream_tbDpT10_ENKUlT_T0_E_clISt17integral_constantIbLb0EES1A_IbLb1EEEEDaS16_S17_EUlS16_E_NS1_11comp_targetILNS1_3genE9ELNS1_11target_archE1100ELNS1_3gpuE3ELNS1_3repE0EEENS1_30default_config_static_selectorELNS0_4arch9wavefront6targetE0EEEvT1_.numbered_sgpr, 0
	.set _ZN7rocprim17ROCPRIM_400000_NS6detail17trampoline_kernelINS0_14default_configENS1_25partition_config_selectorILNS1_17partition_subalgoE5ElNS0_10empty_typeEbEEZZNS1_14partition_implILS5_5ELb0ES3_mN6hipcub16HIPCUB_304000_NS21CountingInputIteratorIllEEPS6_NSA_22TransformInputIteratorIbN2at6native12_GLOBAL__N_19NonZeroOpIdEEPKdlEENS0_5tupleIJPlS6_EEENSN_IJSD_SD_EEES6_PiJS6_EEE10hipError_tPvRmT3_T4_T5_T6_T7_T9_mT8_P12ihipStream_tbDpT10_ENKUlT_T0_E_clISt17integral_constantIbLb0EES1A_IbLb1EEEEDaS16_S17_EUlS16_E_NS1_11comp_targetILNS1_3genE9ELNS1_11target_archE1100ELNS1_3gpuE3ELNS1_3repE0EEENS1_30default_config_static_selectorELNS0_4arch9wavefront6targetE0EEEvT1_.num_named_barrier, 0
	.set _ZN7rocprim17ROCPRIM_400000_NS6detail17trampoline_kernelINS0_14default_configENS1_25partition_config_selectorILNS1_17partition_subalgoE5ElNS0_10empty_typeEbEEZZNS1_14partition_implILS5_5ELb0ES3_mN6hipcub16HIPCUB_304000_NS21CountingInputIteratorIllEEPS6_NSA_22TransformInputIteratorIbN2at6native12_GLOBAL__N_19NonZeroOpIdEEPKdlEENS0_5tupleIJPlS6_EEENSN_IJSD_SD_EEES6_PiJS6_EEE10hipError_tPvRmT3_T4_T5_T6_T7_T9_mT8_P12ihipStream_tbDpT10_ENKUlT_T0_E_clISt17integral_constantIbLb0EES1A_IbLb1EEEEDaS16_S17_EUlS16_E_NS1_11comp_targetILNS1_3genE9ELNS1_11target_archE1100ELNS1_3gpuE3ELNS1_3repE0EEENS1_30default_config_static_selectorELNS0_4arch9wavefront6targetE0EEEvT1_.private_seg_size, 0
	.set _ZN7rocprim17ROCPRIM_400000_NS6detail17trampoline_kernelINS0_14default_configENS1_25partition_config_selectorILNS1_17partition_subalgoE5ElNS0_10empty_typeEbEEZZNS1_14partition_implILS5_5ELb0ES3_mN6hipcub16HIPCUB_304000_NS21CountingInputIteratorIllEEPS6_NSA_22TransformInputIteratorIbN2at6native12_GLOBAL__N_19NonZeroOpIdEEPKdlEENS0_5tupleIJPlS6_EEENSN_IJSD_SD_EEES6_PiJS6_EEE10hipError_tPvRmT3_T4_T5_T6_T7_T9_mT8_P12ihipStream_tbDpT10_ENKUlT_T0_E_clISt17integral_constantIbLb0EES1A_IbLb1EEEEDaS16_S17_EUlS16_E_NS1_11comp_targetILNS1_3genE9ELNS1_11target_archE1100ELNS1_3gpuE3ELNS1_3repE0EEENS1_30default_config_static_selectorELNS0_4arch9wavefront6targetE0EEEvT1_.uses_vcc, 0
	.set _ZN7rocprim17ROCPRIM_400000_NS6detail17trampoline_kernelINS0_14default_configENS1_25partition_config_selectorILNS1_17partition_subalgoE5ElNS0_10empty_typeEbEEZZNS1_14partition_implILS5_5ELb0ES3_mN6hipcub16HIPCUB_304000_NS21CountingInputIteratorIllEEPS6_NSA_22TransformInputIteratorIbN2at6native12_GLOBAL__N_19NonZeroOpIdEEPKdlEENS0_5tupleIJPlS6_EEENSN_IJSD_SD_EEES6_PiJS6_EEE10hipError_tPvRmT3_T4_T5_T6_T7_T9_mT8_P12ihipStream_tbDpT10_ENKUlT_T0_E_clISt17integral_constantIbLb0EES1A_IbLb1EEEEDaS16_S17_EUlS16_E_NS1_11comp_targetILNS1_3genE9ELNS1_11target_archE1100ELNS1_3gpuE3ELNS1_3repE0EEENS1_30default_config_static_selectorELNS0_4arch9wavefront6targetE0EEEvT1_.uses_flat_scratch, 0
	.set _ZN7rocprim17ROCPRIM_400000_NS6detail17trampoline_kernelINS0_14default_configENS1_25partition_config_selectorILNS1_17partition_subalgoE5ElNS0_10empty_typeEbEEZZNS1_14partition_implILS5_5ELb0ES3_mN6hipcub16HIPCUB_304000_NS21CountingInputIteratorIllEEPS6_NSA_22TransformInputIteratorIbN2at6native12_GLOBAL__N_19NonZeroOpIdEEPKdlEENS0_5tupleIJPlS6_EEENSN_IJSD_SD_EEES6_PiJS6_EEE10hipError_tPvRmT3_T4_T5_T6_T7_T9_mT8_P12ihipStream_tbDpT10_ENKUlT_T0_E_clISt17integral_constantIbLb0EES1A_IbLb1EEEEDaS16_S17_EUlS16_E_NS1_11comp_targetILNS1_3genE9ELNS1_11target_archE1100ELNS1_3gpuE3ELNS1_3repE0EEENS1_30default_config_static_selectorELNS0_4arch9wavefront6targetE0EEEvT1_.has_dyn_sized_stack, 0
	.set _ZN7rocprim17ROCPRIM_400000_NS6detail17trampoline_kernelINS0_14default_configENS1_25partition_config_selectorILNS1_17partition_subalgoE5ElNS0_10empty_typeEbEEZZNS1_14partition_implILS5_5ELb0ES3_mN6hipcub16HIPCUB_304000_NS21CountingInputIteratorIllEEPS6_NSA_22TransformInputIteratorIbN2at6native12_GLOBAL__N_19NonZeroOpIdEEPKdlEENS0_5tupleIJPlS6_EEENSN_IJSD_SD_EEES6_PiJS6_EEE10hipError_tPvRmT3_T4_T5_T6_T7_T9_mT8_P12ihipStream_tbDpT10_ENKUlT_T0_E_clISt17integral_constantIbLb0EES1A_IbLb1EEEEDaS16_S17_EUlS16_E_NS1_11comp_targetILNS1_3genE9ELNS1_11target_archE1100ELNS1_3gpuE3ELNS1_3repE0EEENS1_30default_config_static_selectorELNS0_4arch9wavefront6targetE0EEEvT1_.has_recursion, 0
	.set _ZN7rocprim17ROCPRIM_400000_NS6detail17trampoline_kernelINS0_14default_configENS1_25partition_config_selectorILNS1_17partition_subalgoE5ElNS0_10empty_typeEbEEZZNS1_14partition_implILS5_5ELb0ES3_mN6hipcub16HIPCUB_304000_NS21CountingInputIteratorIllEEPS6_NSA_22TransformInputIteratorIbN2at6native12_GLOBAL__N_19NonZeroOpIdEEPKdlEENS0_5tupleIJPlS6_EEENSN_IJSD_SD_EEES6_PiJS6_EEE10hipError_tPvRmT3_T4_T5_T6_T7_T9_mT8_P12ihipStream_tbDpT10_ENKUlT_T0_E_clISt17integral_constantIbLb0EES1A_IbLb1EEEEDaS16_S17_EUlS16_E_NS1_11comp_targetILNS1_3genE9ELNS1_11target_archE1100ELNS1_3gpuE3ELNS1_3repE0EEENS1_30default_config_static_selectorELNS0_4arch9wavefront6targetE0EEEvT1_.has_indirect_call, 0
	.section	.AMDGPU.csdata,"",@progbits
; Kernel info:
; codeLenInByte = 0
; TotalNumSgprs: 0
; NumVgprs: 0
; ScratchSize: 0
; MemoryBound: 0
; FloatMode: 240
; IeeeMode: 1
; LDSByteSize: 0 bytes/workgroup (compile time only)
; SGPRBlocks: 0
; VGPRBlocks: 0
; NumSGPRsForWavesPerEU: 1
; NumVGPRsForWavesPerEU: 1
; Occupancy: 16
; WaveLimiterHint : 0
; COMPUTE_PGM_RSRC2:SCRATCH_EN: 0
; COMPUTE_PGM_RSRC2:USER_SGPR: 2
; COMPUTE_PGM_RSRC2:TRAP_HANDLER: 0
; COMPUTE_PGM_RSRC2:TGID_X_EN: 1
; COMPUTE_PGM_RSRC2:TGID_Y_EN: 0
; COMPUTE_PGM_RSRC2:TGID_Z_EN: 0
; COMPUTE_PGM_RSRC2:TIDIG_COMP_CNT: 0
	.section	.text._ZN7rocprim17ROCPRIM_400000_NS6detail17trampoline_kernelINS0_14default_configENS1_25partition_config_selectorILNS1_17partition_subalgoE5ElNS0_10empty_typeEbEEZZNS1_14partition_implILS5_5ELb0ES3_mN6hipcub16HIPCUB_304000_NS21CountingInputIteratorIllEEPS6_NSA_22TransformInputIteratorIbN2at6native12_GLOBAL__N_19NonZeroOpIdEEPKdlEENS0_5tupleIJPlS6_EEENSN_IJSD_SD_EEES6_PiJS6_EEE10hipError_tPvRmT3_T4_T5_T6_T7_T9_mT8_P12ihipStream_tbDpT10_ENKUlT_T0_E_clISt17integral_constantIbLb0EES1A_IbLb1EEEEDaS16_S17_EUlS16_E_NS1_11comp_targetILNS1_3genE8ELNS1_11target_archE1030ELNS1_3gpuE2ELNS1_3repE0EEENS1_30default_config_static_selectorELNS0_4arch9wavefront6targetE0EEEvT1_,"axG",@progbits,_ZN7rocprim17ROCPRIM_400000_NS6detail17trampoline_kernelINS0_14default_configENS1_25partition_config_selectorILNS1_17partition_subalgoE5ElNS0_10empty_typeEbEEZZNS1_14partition_implILS5_5ELb0ES3_mN6hipcub16HIPCUB_304000_NS21CountingInputIteratorIllEEPS6_NSA_22TransformInputIteratorIbN2at6native12_GLOBAL__N_19NonZeroOpIdEEPKdlEENS0_5tupleIJPlS6_EEENSN_IJSD_SD_EEES6_PiJS6_EEE10hipError_tPvRmT3_T4_T5_T6_T7_T9_mT8_P12ihipStream_tbDpT10_ENKUlT_T0_E_clISt17integral_constantIbLb0EES1A_IbLb1EEEEDaS16_S17_EUlS16_E_NS1_11comp_targetILNS1_3genE8ELNS1_11target_archE1030ELNS1_3gpuE2ELNS1_3repE0EEENS1_30default_config_static_selectorELNS0_4arch9wavefront6targetE0EEEvT1_,comdat
	.globl	_ZN7rocprim17ROCPRIM_400000_NS6detail17trampoline_kernelINS0_14default_configENS1_25partition_config_selectorILNS1_17partition_subalgoE5ElNS0_10empty_typeEbEEZZNS1_14partition_implILS5_5ELb0ES3_mN6hipcub16HIPCUB_304000_NS21CountingInputIteratorIllEEPS6_NSA_22TransformInputIteratorIbN2at6native12_GLOBAL__N_19NonZeroOpIdEEPKdlEENS0_5tupleIJPlS6_EEENSN_IJSD_SD_EEES6_PiJS6_EEE10hipError_tPvRmT3_T4_T5_T6_T7_T9_mT8_P12ihipStream_tbDpT10_ENKUlT_T0_E_clISt17integral_constantIbLb0EES1A_IbLb1EEEEDaS16_S17_EUlS16_E_NS1_11comp_targetILNS1_3genE8ELNS1_11target_archE1030ELNS1_3gpuE2ELNS1_3repE0EEENS1_30default_config_static_selectorELNS0_4arch9wavefront6targetE0EEEvT1_ ; -- Begin function _ZN7rocprim17ROCPRIM_400000_NS6detail17trampoline_kernelINS0_14default_configENS1_25partition_config_selectorILNS1_17partition_subalgoE5ElNS0_10empty_typeEbEEZZNS1_14partition_implILS5_5ELb0ES3_mN6hipcub16HIPCUB_304000_NS21CountingInputIteratorIllEEPS6_NSA_22TransformInputIteratorIbN2at6native12_GLOBAL__N_19NonZeroOpIdEEPKdlEENS0_5tupleIJPlS6_EEENSN_IJSD_SD_EEES6_PiJS6_EEE10hipError_tPvRmT3_T4_T5_T6_T7_T9_mT8_P12ihipStream_tbDpT10_ENKUlT_T0_E_clISt17integral_constantIbLb0EES1A_IbLb1EEEEDaS16_S17_EUlS16_E_NS1_11comp_targetILNS1_3genE8ELNS1_11target_archE1030ELNS1_3gpuE2ELNS1_3repE0EEENS1_30default_config_static_selectorELNS0_4arch9wavefront6targetE0EEEvT1_
	.p2align	8
	.type	_ZN7rocprim17ROCPRIM_400000_NS6detail17trampoline_kernelINS0_14default_configENS1_25partition_config_selectorILNS1_17partition_subalgoE5ElNS0_10empty_typeEbEEZZNS1_14partition_implILS5_5ELb0ES3_mN6hipcub16HIPCUB_304000_NS21CountingInputIteratorIllEEPS6_NSA_22TransformInputIteratorIbN2at6native12_GLOBAL__N_19NonZeroOpIdEEPKdlEENS0_5tupleIJPlS6_EEENSN_IJSD_SD_EEES6_PiJS6_EEE10hipError_tPvRmT3_T4_T5_T6_T7_T9_mT8_P12ihipStream_tbDpT10_ENKUlT_T0_E_clISt17integral_constantIbLb0EES1A_IbLb1EEEEDaS16_S17_EUlS16_E_NS1_11comp_targetILNS1_3genE8ELNS1_11target_archE1030ELNS1_3gpuE2ELNS1_3repE0EEENS1_30default_config_static_selectorELNS0_4arch9wavefront6targetE0EEEvT1_,@function
_ZN7rocprim17ROCPRIM_400000_NS6detail17trampoline_kernelINS0_14default_configENS1_25partition_config_selectorILNS1_17partition_subalgoE5ElNS0_10empty_typeEbEEZZNS1_14partition_implILS5_5ELb0ES3_mN6hipcub16HIPCUB_304000_NS21CountingInputIteratorIllEEPS6_NSA_22TransformInputIteratorIbN2at6native12_GLOBAL__N_19NonZeroOpIdEEPKdlEENS0_5tupleIJPlS6_EEENSN_IJSD_SD_EEES6_PiJS6_EEE10hipError_tPvRmT3_T4_T5_T6_T7_T9_mT8_P12ihipStream_tbDpT10_ENKUlT_T0_E_clISt17integral_constantIbLb0EES1A_IbLb1EEEEDaS16_S17_EUlS16_E_NS1_11comp_targetILNS1_3genE8ELNS1_11target_archE1030ELNS1_3gpuE2ELNS1_3repE0EEENS1_30default_config_static_selectorELNS0_4arch9wavefront6targetE0EEEvT1_: ; @_ZN7rocprim17ROCPRIM_400000_NS6detail17trampoline_kernelINS0_14default_configENS1_25partition_config_selectorILNS1_17partition_subalgoE5ElNS0_10empty_typeEbEEZZNS1_14partition_implILS5_5ELb0ES3_mN6hipcub16HIPCUB_304000_NS21CountingInputIteratorIllEEPS6_NSA_22TransformInputIteratorIbN2at6native12_GLOBAL__N_19NonZeroOpIdEEPKdlEENS0_5tupleIJPlS6_EEENSN_IJSD_SD_EEES6_PiJS6_EEE10hipError_tPvRmT3_T4_T5_T6_T7_T9_mT8_P12ihipStream_tbDpT10_ENKUlT_T0_E_clISt17integral_constantIbLb0EES1A_IbLb1EEEEDaS16_S17_EUlS16_E_NS1_11comp_targetILNS1_3genE8ELNS1_11target_archE1030ELNS1_3gpuE2ELNS1_3repE0EEENS1_30default_config_static_selectorELNS0_4arch9wavefront6targetE0EEEvT1_
; %bb.0:
	.section	.rodata,"a",@progbits
	.p2align	6, 0x0
	.amdhsa_kernel _ZN7rocprim17ROCPRIM_400000_NS6detail17trampoline_kernelINS0_14default_configENS1_25partition_config_selectorILNS1_17partition_subalgoE5ElNS0_10empty_typeEbEEZZNS1_14partition_implILS5_5ELb0ES3_mN6hipcub16HIPCUB_304000_NS21CountingInputIteratorIllEEPS6_NSA_22TransformInputIteratorIbN2at6native12_GLOBAL__N_19NonZeroOpIdEEPKdlEENS0_5tupleIJPlS6_EEENSN_IJSD_SD_EEES6_PiJS6_EEE10hipError_tPvRmT3_T4_T5_T6_T7_T9_mT8_P12ihipStream_tbDpT10_ENKUlT_T0_E_clISt17integral_constantIbLb0EES1A_IbLb1EEEEDaS16_S17_EUlS16_E_NS1_11comp_targetILNS1_3genE8ELNS1_11target_archE1030ELNS1_3gpuE2ELNS1_3repE0EEENS1_30default_config_static_selectorELNS0_4arch9wavefront6targetE0EEEvT1_
		.amdhsa_group_segment_fixed_size 0
		.amdhsa_private_segment_fixed_size 0
		.amdhsa_kernarg_size 136
		.amdhsa_user_sgpr_count 2
		.amdhsa_user_sgpr_dispatch_ptr 0
		.amdhsa_user_sgpr_queue_ptr 0
		.amdhsa_user_sgpr_kernarg_segment_ptr 1
		.amdhsa_user_sgpr_dispatch_id 0
		.amdhsa_user_sgpr_private_segment_size 0
		.amdhsa_wavefront_size32 1
		.amdhsa_uses_dynamic_stack 0
		.amdhsa_enable_private_segment 0
		.amdhsa_system_sgpr_workgroup_id_x 1
		.amdhsa_system_sgpr_workgroup_id_y 0
		.amdhsa_system_sgpr_workgroup_id_z 0
		.amdhsa_system_sgpr_workgroup_info 0
		.amdhsa_system_vgpr_workitem_id 0
		.amdhsa_next_free_vgpr 1
		.amdhsa_next_free_sgpr 1
		.amdhsa_reserve_vcc 0
		.amdhsa_float_round_mode_32 0
		.amdhsa_float_round_mode_16_64 0
		.amdhsa_float_denorm_mode_32 3
		.amdhsa_float_denorm_mode_16_64 3
		.amdhsa_fp16_overflow 0
		.amdhsa_workgroup_processor_mode 1
		.amdhsa_memory_ordered 1
		.amdhsa_forward_progress 1
		.amdhsa_inst_pref_size 0
		.amdhsa_round_robin_scheduling 0
		.amdhsa_exception_fp_ieee_invalid_op 0
		.amdhsa_exception_fp_denorm_src 0
		.amdhsa_exception_fp_ieee_div_zero 0
		.amdhsa_exception_fp_ieee_overflow 0
		.amdhsa_exception_fp_ieee_underflow 0
		.amdhsa_exception_fp_ieee_inexact 0
		.amdhsa_exception_int_div_zero 0
	.end_amdhsa_kernel
	.section	.text._ZN7rocprim17ROCPRIM_400000_NS6detail17trampoline_kernelINS0_14default_configENS1_25partition_config_selectorILNS1_17partition_subalgoE5ElNS0_10empty_typeEbEEZZNS1_14partition_implILS5_5ELb0ES3_mN6hipcub16HIPCUB_304000_NS21CountingInputIteratorIllEEPS6_NSA_22TransformInputIteratorIbN2at6native12_GLOBAL__N_19NonZeroOpIdEEPKdlEENS0_5tupleIJPlS6_EEENSN_IJSD_SD_EEES6_PiJS6_EEE10hipError_tPvRmT3_T4_T5_T6_T7_T9_mT8_P12ihipStream_tbDpT10_ENKUlT_T0_E_clISt17integral_constantIbLb0EES1A_IbLb1EEEEDaS16_S17_EUlS16_E_NS1_11comp_targetILNS1_3genE8ELNS1_11target_archE1030ELNS1_3gpuE2ELNS1_3repE0EEENS1_30default_config_static_selectorELNS0_4arch9wavefront6targetE0EEEvT1_,"axG",@progbits,_ZN7rocprim17ROCPRIM_400000_NS6detail17trampoline_kernelINS0_14default_configENS1_25partition_config_selectorILNS1_17partition_subalgoE5ElNS0_10empty_typeEbEEZZNS1_14partition_implILS5_5ELb0ES3_mN6hipcub16HIPCUB_304000_NS21CountingInputIteratorIllEEPS6_NSA_22TransformInputIteratorIbN2at6native12_GLOBAL__N_19NonZeroOpIdEEPKdlEENS0_5tupleIJPlS6_EEENSN_IJSD_SD_EEES6_PiJS6_EEE10hipError_tPvRmT3_T4_T5_T6_T7_T9_mT8_P12ihipStream_tbDpT10_ENKUlT_T0_E_clISt17integral_constantIbLb0EES1A_IbLb1EEEEDaS16_S17_EUlS16_E_NS1_11comp_targetILNS1_3genE8ELNS1_11target_archE1030ELNS1_3gpuE2ELNS1_3repE0EEENS1_30default_config_static_selectorELNS0_4arch9wavefront6targetE0EEEvT1_,comdat
.Lfunc_end421:
	.size	_ZN7rocprim17ROCPRIM_400000_NS6detail17trampoline_kernelINS0_14default_configENS1_25partition_config_selectorILNS1_17partition_subalgoE5ElNS0_10empty_typeEbEEZZNS1_14partition_implILS5_5ELb0ES3_mN6hipcub16HIPCUB_304000_NS21CountingInputIteratorIllEEPS6_NSA_22TransformInputIteratorIbN2at6native12_GLOBAL__N_19NonZeroOpIdEEPKdlEENS0_5tupleIJPlS6_EEENSN_IJSD_SD_EEES6_PiJS6_EEE10hipError_tPvRmT3_T4_T5_T6_T7_T9_mT8_P12ihipStream_tbDpT10_ENKUlT_T0_E_clISt17integral_constantIbLb0EES1A_IbLb1EEEEDaS16_S17_EUlS16_E_NS1_11comp_targetILNS1_3genE8ELNS1_11target_archE1030ELNS1_3gpuE2ELNS1_3repE0EEENS1_30default_config_static_selectorELNS0_4arch9wavefront6targetE0EEEvT1_, .Lfunc_end421-_ZN7rocprim17ROCPRIM_400000_NS6detail17trampoline_kernelINS0_14default_configENS1_25partition_config_selectorILNS1_17partition_subalgoE5ElNS0_10empty_typeEbEEZZNS1_14partition_implILS5_5ELb0ES3_mN6hipcub16HIPCUB_304000_NS21CountingInputIteratorIllEEPS6_NSA_22TransformInputIteratorIbN2at6native12_GLOBAL__N_19NonZeroOpIdEEPKdlEENS0_5tupleIJPlS6_EEENSN_IJSD_SD_EEES6_PiJS6_EEE10hipError_tPvRmT3_T4_T5_T6_T7_T9_mT8_P12ihipStream_tbDpT10_ENKUlT_T0_E_clISt17integral_constantIbLb0EES1A_IbLb1EEEEDaS16_S17_EUlS16_E_NS1_11comp_targetILNS1_3genE8ELNS1_11target_archE1030ELNS1_3gpuE2ELNS1_3repE0EEENS1_30default_config_static_selectorELNS0_4arch9wavefront6targetE0EEEvT1_
                                        ; -- End function
	.set _ZN7rocprim17ROCPRIM_400000_NS6detail17trampoline_kernelINS0_14default_configENS1_25partition_config_selectorILNS1_17partition_subalgoE5ElNS0_10empty_typeEbEEZZNS1_14partition_implILS5_5ELb0ES3_mN6hipcub16HIPCUB_304000_NS21CountingInputIteratorIllEEPS6_NSA_22TransformInputIteratorIbN2at6native12_GLOBAL__N_19NonZeroOpIdEEPKdlEENS0_5tupleIJPlS6_EEENSN_IJSD_SD_EEES6_PiJS6_EEE10hipError_tPvRmT3_T4_T5_T6_T7_T9_mT8_P12ihipStream_tbDpT10_ENKUlT_T0_E_clISt17integral_constantIbLb0EES1A_IbLb1EEEEDaS16_S17_EUlS16_E_NS1_11comp_targetILNS1_3genE8ELNS1_11target_archE1030ELNS1_3gpuE2ELNS1_3repE0EEENS1_30default_config_static_selectorELNS0_4arch9wavefront6targetE0EEEvT1_.num_vgpr, 0
	.set _ZN7rocprim17ROCPRIM_400000_NS6detail17trampoline_kernelINS0_14default_configENS1_25partition_config_selectorILNS1_17partition_subalgoE5ElNS0_10empty_typeEbEEZZNS1_14partition_implILS5_5ELb0ES3_mN6hipcub16HIPCUB_304000_NS21CountingInputIteratorIllEEPS6_NSA_22TransformInputIteratorIbN2at6native12_GLOBAL__N_19NonZeroOpIdEEPKdlEENS0_5tupleIJPlS6_EEENSN_IJSD_SD_EEES6_PiJS6_EEE10hipError_tPvRmT3_T4_T5_T6_T7_T9_mT8_P12ihipStream_tbDpT10_ENKUlT_T0_E_clISt17integral_constantIbLb0EES1A_IbLb1EEEEDaS16_S17_EUlS16_E_NS1_11comp_targetILNS1_3genE8ELNS1_11target_archE1030ELNS1_3gpuE2ELNS1_3repE0EEENS1_30default_config_static_selectorELNS0_4arch9wavefront6targetE0EEEvT1_.num_agpr, 0
	.set _ZN7rocprim17ROCPRIM_400000_NS6detail17trampoline_kernelINS0_14default_configENS1_25partition_config_selectorILNS1_17partition_subalgoE5ElNS0_10empty_typeEbEEZZNS1_14partition_implILS5_5ELb0ES3_mN6hipcub16HIPCUB_304000_NS21CountingInputIteratorIllEEPS6_NSA_22TransformInputIteratorIbN2at6native12_GLOBAL__N_19NonZeroOpIdEEPKdlEENS0_5tupleIJPlS6_EEENSN_IJSD_SD_EEES6_PiJS6_EEE10hipError_tPvRmT3_T4_T5_T6_T7_T9_mT8_P12ihipStream_tbDpT10_ENKUlT_T0_E_clISt17integral_constantIbLb0EES1A_IbLb1EEEEDaS16_S17_EUlS16_E_NS1_11comp_targetILNS1_3genE8ELNS1_11target_archE1030ELNS1_3gpuE2ELNS1_3repE0EEENS1_30default_config_static_selectorELNS0_4arch9wavefront6targetE0EEEvT1_.numbered_sgpr, 0
	.set _ZN7rocprim17ROCPRIM_400000_NS6detail17trampoline_kernelINS0_14default_configENS1_25partition_config_selectorILNS1_17partition_subalgoE5ElNS0_10empty_typeEbEEZZNS1_14partition_implILS5_5ELb0ES3_mN6hipcub16HIPCUB_304000_NS21CountingInputIteratorIllEEPS6_NSA_22TransformInputIteratorIbN2at6native12_GLOBAL__N_19NonZeroOpIdEEPKdlEENS0_5tupleIJPlS6_EEENSN_IJSD_SD_EEES6_PiJS6_EEE10hipError_tPvRmT3_T4_T5_T6_T7_T9_mT8_P12ihipStream_tbDpT10_ENKUlT_T0_E_clISt17integral_constantIbLb0EES1A_IbLb1EEEEDaS16_S17_EUlS16_E_NS1_11comp_targetILNS1_3genE8ELNS1_11target_archE1030ELNS1_3gpuE2ELNS1_3repE0EEENS1_30default_config_static_selectorELNS0_4arch9wavefront6targetE0EEEvT1_.num_named_barrier, 0
	.set _ZN7rocprim17ROCPRIM_400000_NS6detail17trampoline_kernelINS0_14default_configENS1_25partition_config_selectorILNS1_17partition_subalgoE5ElNS0_10empty_typeEbEEZZNS1_14partition_implILS5_5ELb0ES3_mN6hipcub16HIPCUB_304000_NS21CountingInputIteratorIllEEPS6_NSA_22TransformInputIteratorIbN2at6native12_GLOBAL__N_19NonZeroOpIdEEPKdlEENS0_5tupleIJPlS6_EEENSN_IJSD_SD_EEES6_PiJS6_EEE10hipError_tPvRmT3_T4_T5_T6_T7_T9_mT8_P12ihipStream_tbDpT10_ENKUlT_T0_E_clISt17integral_constantIbLb0EES1A_IbLb1EEEEDaS16_S17_EUlS16_E_NS1_11comp_targetILNS1_3genE8ELNS1_11target_archE1030ELNS1_3gpuE2ELNS1_3repE0EEENS1_30default_config_static_selectorELNS0_4arch9wavefront6targetE0EEEvT1_.private_seg_size, 0
	.set _ZN7rocprim17ROCPRIM_400000_NS6detail17trampoline_kernelINS0_14default_configENS1_25partition_config_selectorILNS1_17partition_subalgoE5ElNS0_10empty_typeEbEEZZNS1_14partition_implILS5_5ELb0ES3_mN6hipcub16HIPCUB_304000_NS21CountingInputIteratorIllEEPS6_NSA_22TransformInputIteratorIbN2at6native12_GLOBAL__N_19NonZeroOpIdEEPKdlEENS0_5tupleIJPlS6_EEENSN_IJSD_SD_EEES6_PiJS6_EEE10hipError_tPvRmT3_T4_T5_T6_T7_T9_mT8_P12ihipStream_tbDpT10_ENKUlT_T0_E_clISt17integral_constantIbLb0EES1A_IbLb1EEEEDaS16_S17_EUlS16_E_NS1_11comp_targetILNS1_3genE8ELNS1_11target_archE1030ELNS1_3gpuE2ELNS1_3repE0EEENS1_30default_config_static_selectorELNS0_4arch9wavefront6targetE0EEEvT1_.uses_vcc, 0
	.set _ZN7rocprim17ROCPRIM_400000_NS6detail17trampoline_kernelINS0_14default_configENS1_25partition_config_selectorILNS1_17partition_subalgoE5ElNS0_10empty_typeEbEEZZNS1_14partition_implILS5_5ELb0ES3_mN6hipcub16HIPCUB_304000_NS21CountingInputIteratorIllEEPS6_NSA_22TransformInputIteratorIbN2at6native12_GLOBAL__N_19NonZeroOpIdEEPKdlEENS0_5tupleIJPlS6_EEENSN_IJSD_SD_EEES6_PiJS6_EEE10hipError_tPvRmT3_T4_T5_T6_T7_T9_mT8_P12ihipStream_tbDpT10_ENKUlT_T0_E_clISt17integral_constantIbLb0EES1A_IbLb1EEEEDaS16_S17_EUlS16_E_NS1_11comp_targetILNS1_3genE8ELNS1_11target_archE1030ELNS1_3gpuE2ELNS1_3repE0EEENS1_30default_config_static_selectorELNS0_4arch9wavefront6targetE0EEEvT1_.uses_flat_scratch, 0
	.set _ZN7rocprim17ROCPRIM_400000_NS6detail17trampoline_kernelINS0_14default_configENS1_25partition_config_selectorILNS1_17partition_subalgoE5ElNS0_10empty_typeEbEEZZNS1_14partition_implILS5_5ELb0ES3_mN6hipcub16HIPCUB_304000_NS21CountingInputIteratorIllEEPS6_NSA_22TransformInputIteratorIbN2at6native12_GLOBAL__N_19NonZeroOpIdEEPKdlEENS0_5tupleIJPlS6_EEENSN_IJSD_SD_EEES6_PiJS6_EEE10hipError_tPvRmT3_T4_T5_T6_T7_T9_mT8_P12ihipStream_tbDpT10_ENKUlT_T0_E_clISt17integral_constantIbLb0EES1A_IbLb1EEEEDaS16_S17_EUlS16_E_NS1_11comp_targetILNS1_3genE8ELNS1_11target_archE1030ELNS1_3gpuE2ELNS1_3repE0EEENS1_30default_config_static_selectorELNS0_4arch9wavefront6targetE0EEEvT1_.has_dyn_sized_stack, 0
	.set _ZN7rocprim17ROCPRIM_400000_NS6detail17trampoline_kernelINS0_14default_configENS1_25partition_config_selectorILNS1_17partition_subalgoE5ElNS0_10empty_typeEbEEZZNS1_14partition_implILS5_5ELb0ES3_mN6hipcub16HIPCUB_304000_NS21CountingInputIteratorIllEEPS6_NSA_22TransformInputIteratorIbN2at6native12_GLOBAL__N_19NonZeroOpIdEEPKdlEENS0_5tupleIJPlS6_EEENSN_IJSD_SD_EEES6_PiJS6_EEE10hipError_tPvRmT3_T4_T5_T6_T7_T9_mT8_P12ihipStream_tbDpT10_ENKUlT_T0_E_clISt17integral_constantIbLb0EES1A_IbLb1EEEEDaS16_S17_EUlS16_E_NS1_11comp_targetILNS1_3genE8ELNS1_11target_archE1030ELNS1_3gpuE2ELNS1_3repE0EEENS1_30default_config_static_selectorELNS0_4arch9wavefront6targetE0EEEvT1_.has_recursion, 0
	.set _ZN7rocprim17ROCPRIM_400000_NS6detail17trampoline_kernelINS0_14default_configENS1_25partition_config_selectorILNS1_17partition_subalgoE5ElNS0_10empty_typeEbEEZZNS1_14partition_implILS5_5ELb0ES3_mN6hipcub16HIPCUB_304000_NS21CountingInputIteratorIllEEPS6_NSA_22TransformInputIteratorIbN2at6native12_GLOBAL__N_19NonZeroOpIdEEPKdlEENS0_5tupleIJPlS6_EEENSN_IJSD_SD_EEES6_PiJS6_EEE10hipError_tPvRmT3_T4_T5_T6_T7_T9_mT8_P12ihipStream_tbDpT10_ENKUlT_T0_E_clISt17integral_constantIbLb0EES1A_IbLb1EEEEDaS16_S17_EUlS16_E_NS1_11comp_targetILNS1_3genE8ELNS1_11target_archE1030ELNS1_3gpuE2ELNS1_3repE0EEENS1_30default_config_static_selectorELNS0_4arch9wavefront6targetE0EEEvT1_.has_indirect_call, 0
	.section	.AMDGPU.csdata,"",@progbits
; Kernel info:
; codeLenInByte = 0
; TotalNumSgprs: 0
; NumVgprs: 0
; ScratchSize: 0
; MemoryBound: 0
; FloatMode: 240
; IeeeMode: 1
; LDSByteSize: 0 bytes/workgroup (compile time only)
; SGPRBlocks: 0
; VGPRBlocks: 0
; NumSGPRsForWavesPerEU: 1
; NumVGPRsForWavesPerEU: 1
; Occupancy: 16
; WaveLimiterHint : 0
; COMPUTE_PGM_RSRC2:SCRATCH_EN: 0
; COMPUTE_PGM_RSRC2:USER_SGPR: 2
; COMPUTE_PGM_RSRC2:TRAP_HANDLER: 0
; COMPUTE_PGM_RSRC2:TGID_X_EN: 1
; COMPUTE_PGM_RSRC2:TGID_Y_EN: 0
; COMPUTE_PGM_RSRC2:TGID_Z_EN: 0
; COMPUTE_PGM_RSRC2:TIDIG_COMP_CNT: 0
	.section	.text._ZN7rocprim17ROCPRIM_400000_NS6detail17trampoline_kernelINS0_14default_configENS1_22reduce_config_selectorIiEEZNS1_11reduce_implILb1ES3_PiS7_iN6hipcub16HIPCUB_304000_NS6detail34convert_binary_result_type_wrapperINS9_3SumENS9_22TransformInputIteratorIbN2at6native12_GLOBAL__N_19NonZeroOpIfEEPKflEEiEEEE10hipError_tPvRmT1_T2_T3_mT4_P12ihipStream_tbEUlT_E0_NS1_11comp_targetILNS1_3genE0ELNS1_11target_archE4294967295ELNS1_3gpuE0ELNS1_3repE0EEENS1_30default_config_static_selectorELNS0_4arch9wavefront6targetE0EEEvSQ_,"axG",@progbits,_ZN7rocprim17ROCPRIM_400000_NS6detail17trampoline_kernelINS0_14default_configENS1_22reduce_config_selectorIiEEZNS1_11reduce_implILb1ES3_PiS7_iN6hipcub16HIPCUB_304000_NS6detail34convert_binary_result_type_wrapperINS9_3SumENS9_22TransformInputIteratorIbN2at6native12_GLOBAL__N_19NonZeroOpIfEEPKflEEiEEEE10hipError_tPvRmT1_T2_T3_mT4_P12ihipStream_tbEUlT_E0_NS1_11comp_targetILNS1_3genE0ELNS1_11target_archE4294967295ELNS1_3gpuE0ELNS1_3repE0EEENS1_30default_config_static_selectorELNS0_4arch9wavefront6targetE0EEEvSQ_,comdat
	.globl	_ZN7rocprim17ROCPRIM_400000_NS6detail17trampoline_kernelINS0_14default_configENS1_22reduce_config_selectorIiEEZNS1_11reduce_implILb1ES3_PiS7_iN6hipcub16HIPCUB_304000_NS6detail34convert_binary_result_type_wrapperINS9_3SumENS9_22TransformInputIteratorIbN2at6native12_GLOBAL__N_19NonZeroOpIfEEPKflEEiEEEE10hipError_tPvRmT1_T2_T3_mT4_P12ihipStream_tbEUlT_E0_NS1_11comp_targetILNS1_3genE0ELNS1_11target_archE4294967295ELNS1_3gpuE0ELNS1_3repE0EEENS1_30default_config_static_selectorELNS0_4arch9wavefront6targetE0EEEvSQ_ ; -- Begin function _ZN7rocprim17ROCPRIM_400000_NS6detail17trampoline_kernelINS0_14default_configENS1_22reduce_config_selectorIiEEZNS1_11reduce_implILb1ES3_PiS7_iN6hipcub16HIPCUB_304000_NS6detail34convert_binary_result_type_wrapperINS9_3SumENS9_22TransformInputIteratorIbN2at6native12_GLOBAL__N_19NonZeroOpIfEEPKflEEiEEEE10hipError_tPvRmT1_T2_T3_mT4_P12ihipStream_tbEUlT_E0_NS1_11comp_targetILNS1_3genE0ELNS1_11target_archE4294967295ELNS1_3gpuE0ELNS1_3repE0EEENS1_30default_config_static_selectorELNS0_4arch9wavefront6targetE0EEEvSQ_
	.p2align	8
	.type	_ZN7rocprim17ROCPRIM_400000_NS6detail17trampoline_kernelINS0_14default_configENS1_22reduce_config_selectorIiEEZNS1_11reduce_implILb1ES3_PiS7_iN6hipcub16HIPCUB_304000_NS6detail34convert_binary_result_type_wrapperINS9_3SumENS9_22TransformInputIteratorIbN2at6native12_GLOBAL__N_19NonZeroOpIfEEPKflEEiEEEE10hipError_tPvRmT1_T2_T3_mT4_P12ihipStream_tbEUlT_E0_NS1_11comp_targetILNS1_3genE0ELNS1_11target_archE4294967295ELNS1_3gpuE0ELNS1_3repE0EEENS1_30default_config_static_selectorELNS0_4arch9wavefront6targetE0EEEvSQ_,@function
_ZN7rocprim17ROCPRIM_400000_NS6detail17trampoline_kernelINS0_14default_configENS1_22reduce_config_selectorIiEEZNS1_11reduce_implILb1ES3_PiS7_iN6hipcub16HIPCUB_304000_NS6detail34convert_binary_result_type_wrapperINS9_3SumENS9_22TransformInputIteratorIbN2at6native12_GLOBAL__N_19NonZeroOpIfEEPKflEEiEEEE10hipError_tPvRmT1_T2_T3_mT4_P12ihipStream_tbEUlT_E0_NS1_11comp_targetILNS1_3genE0ELNS1_11target_archE4294967295ELNS1_3gpuE0ELNS1_3repE0EEENS1_30default_config_static_selectorELNS0_4arch9wavefront6targetE0EEEvSQ_: ; @_ZN7rocprim17ROCPRIM_400000_NS6detail17trampoline_kernelINS0_14default_configENS1_22reduce_config_selectorIiEEZNS1_11reduce_implILb1ES3_PiS7_iN6hipcub16HIPCUB_304000_NS6detail34convert_binary_result_type_wrapperINS9_3SumENS9_22TransformInputIteratorIbN2at6native12_GLOBAL__N_19NonZeroOpIfEEPKflEEiEEEE10hipError_tPvRmT1_T2_T3_mT4_P12ihipStream_tbEUlT_E0_NS1_11comp_targetILNS1_3genE0ELNS1_11target_archE4294967295ELNS1_3gpuE0ELNS1_3repE0EEENS1_30default_config_static_selectorELNS0_4arch9wavefront6targetE0EEEvSQ_
; %bb.0:
	.section	.rodata,"a",@progbits
	.p2align	6, 0x0
	.amdhsa_kernel _ZN7rocprim17ROCPRIM_400000_NS6detail17trampoline_kernelINS0_14default_configENS1_22reduce_config_selectorIiEEZNS1_11reduce_implILb1ES3_PiS7_iN6hipcub16HIPCUB_304000_NS6detail34convert_binary_result_type_wrapperINS9_3SumENS9_22TransformInputIteratorIbN2at6native12_GLOBAL__N_19NonZeroOpIfEEPKflEEiEEEE10hipError_tPvRmT1_T2_T3_mT4_P12ihipStream_tbEUlT_E0_NS1_11comp_targetILNS1_3genE0ELNS1_11target_archE4294967295ELNS1_3gpuE0ELNS1_3repE0EEENS1_30default_config_static_selectorELNS0_4arch9wavefront6targetE0EEEvSQ_
		.amdhsa_group_segment_fixed_size 0
		.amdhsa_private_segment_fixed_size 0
		.amdhsa_kernarg_size 56
		.amdhsa_user_sgpr_count 2
		.amdhsa_user_sgpr_dispatch_ptr 0
		.amdhsa_user_sgpr_queue_ptr 0
		.amdhsa_user_sgpr_kernarg_segment_ptr 1
		.amdhsa_user_sgpr_dispatch_id 0
		.amdhsa_user_sgpr_private_segment_size 0
		.amdhsa_wavefront_size32 1
		.amdhsa_uses_dynamic_stack 0
		.amdhsa_enable_private_segment 0
		.amdhsa_system_sgpr_workgroup_id_x 1
		.amdhsa_system_sgpr_workgroup_id_y 0
		.amdhsa_system_sgpr_workgroup_id_z 0
		.amdhsa_system_sgpr_workgroup_info 0
		.amdhsa_system_vgpr_workitem_id 0
		.amdhsa_next_free_vgpr 1
		.amdhsa_next_free_sgpr 1
		.amdhsa_reserve_vcc 0
		.amdhsa_float_round_mode_32 0
		.amdhsa_float_round_mode_16_64 0
		.amdhsa_float_denorm_mode_32 3
		.amdhsa_float_denorm_mode_16_64 3
		.amdhsa_fp16_overflow 0
		.amdhsa_workgroup_processor_mode 1
		.amdhsa_memory_ordered 1
		.amdhsa_forward_progress 1
		.amdhsa_inst_pref_size 0
		.amdhsa_round_robin_scheduling 0
		.amdhsa_exception_fp_ieee_invalid_op 0
		.amdhsa_exception_fp_denorm_src 0
		.amdhsa_exception_fp_ieee_div_zero 0
		.amdhsa_exception_fp_ieee_overflow 0
		.amdhsa_exception_fp_ieee_underflow 0
		.amdhsa_exception_fp_ieee_inexact 0
		.amdhsa_exception_int_div_zero 0
	.end_amdhsa_kernel
	.section	.text._ZN7rocprim17ROCPRIM_400000_NS6detail17trampoline_kernelINS0_14default_configENS1_22reduce_config_selectorIiEEZNS1_11reduce_implILb1ES3_PiS7_iN6hipcub16HIPCUB_304000_NS6detail34convert_binary_result_type_wrapperINS9_3SumENS9_22TransformInputIteratorIbN2at6native12_GLOBAL__N_19NonZeroOpIfEEPKflEEiEEEE10hipError_tPvRmT1_T2_T3_mT4_P12ihipStream_tbEUlT_E0_NS1_11comp_targetILNS1_3genE0ELNS1_11target_archE4294967295ELNS1_3gpuE0ELNS1_3repE0EEENS1_30default_config_static_selectorELNS0_4arch9wavefront6targetE0EEEvSQ_,"axG",@progbits,_ZN7rocprim17ROCPRIM_400000_NS6detail17trampoline_kernelINS0_14default_configENS1_22reduce_config_selectorIiEEZNS1_11reduce_implILb1ES3_PiS7_iN6hipcub16HIPCUB_304000_NS6detail34convert_binary_result_type_wrapperINS9_3SumENS9_22TransformInputIteratorIbN2at6native12_GLOBAL__N_19NonZeroOpIfEEPKflEEiEEEE10hipError_tPvRmT1_T2_T3_mT4_P12ihipStream_tbEUlT_E0_NS1_11comp_targetILNS1_3genE0ELNS1_11target_archE4294967295ELNS1_3gpuE0ELNS1_3repE0EEENS1_30default_config_static_selectorELNS0_4arch9wavefront6targetE0EEEvSQ_,comdat
.Lfunc_end422:
	.size	_ZN7rocprim17ROCPRIM_400000_NS6detail17trampoline_kernelINS0_14default_configENS1_22reduce_config_selectorIiEEZNS1_11reduce_implILb1ES3_PiS7_iN6hipcub16HIPCUB_304000_NS6detail34convert_binary_result_type_wrapperINS9_3SumENS9_22TransformInputIteratorIbN2at6native12_GLOBAL__N_19NonZeroOpIfEEPKflEEiEEEE10hipError_tPvRmT1_T2_T3_mT4_P12ihipStream_tbEUlT_E0_NS1_11comp_targetILNS1_3genE0ELNS1_11target_archE4294967295ELNS1_3gpuE0ELNS1_3repE0EEENS1_30default_config_static_selectorELNS0_4arch9wavefront6targetE0EEEvSQ_, .Lfunc_end422-_ZN7rocprim17ROCPRIM_400000_NS6detail17trampoline_kernelINS0_14default_configENS1_22reduce_config_selectorIiEEZNS1_11reduce_implILb1ES3_PiS7_iN6hipcub16HIPCUB_304000_NS6detail34convert_binary_result_type_wrapperINS9_3SumENS9_22TransformInputIteratorIbN2at6native12_GLOBAL__N_19NonZeroOpIfEEPKflEEiEEEE10hipError_tPvRmT1_T2_T3_mT4_P12ihipStream_tbEUlT_E0_NS1_11comp_targetILNS1_3genE0ELNS1_11target_archE4294967295ELNS1_3gpuE0ELNS1_3repE0EEENS1_30default_config_static_selectorELNS0_4arch9wavefront6targetE0EEEvSQ_
                                        ; -- End function
	.set _ZN7rocprim17ROCPRIM_400000_NS6detail17trampoline_kernelINS0_14default_configENS1_22reduce_config_selectorIiEEZNS1_11reduce_implILb1ES3_PiS7_iN6hipcub16HIPCUB_304000_NS6detail34convert_binary_result_type_wrapperINS9_3SumENS9_22TransformInputIteratorIbN2at6native12_GLOBAL__N_19NonZeroOpIfEEPKflEEiEEEE10hipError_tPvRmT1_T2_T3_mT4_P12ihipStream_tbEUlT_E0_NS1_11comp_targetILNS1_3genE0ELNS1_11target_archE4294967295ELNS1_3gpuE0ELNS1_3repE0EEENS1_30default_config_static_selectorELNS0_4arch9wavefront6targetE0EEEvSQ_.num_vgpr, 0
	.set _ZN7rocprim17ROCPRIM_400000_NS6detail17trampoline_kernelINS0_14default_configENS1_22reduce_config_selectorIiEEZNS1_11reduce_implILb1ES3_PiS7_iN6hipcub16HIPCUB_304000_NS6detail34convert_binary_result_type_wrapperINS9_3SumENS9_22TransformInputIteratorIbN2at6native12_GLOBAL__N_19NonZeroOpIfEEPKflEEiEEEE10hipError_tPvRmT1_T2_T3_mT4_P12ihipStream_tbEUlT_E0_NS1_11comp_targetILNS1_3genE0ELNS1_11target_archE4294967295ELNS1_3gpuE0ELNS1_3repE0EEENS1_30default_config_static_selectorELNS0_4arch9wavefront6targetE0EEEvSQ_.num_agpr, 0
	.set _ZN7rocprim17ROCPRIM_400000_NS6detail17trampoline_kernelINS0_14default_configENS1_22reduce_config_selectorIiEEZNS1_11reduce_implILb1ES3_PiS7_iN6hipcub16HIPCUB_304000_NS6detail34convert_binary_result_type_wrapperINS9_3SumENS9_22TransformInputIteratorIbN2at6native12_GLOBAL__N_19NonZeroOpIfEEPKflEEiEEEE10hipError_tPvRmT1_T2_T3_mT4_P12ihipStream_tbEUlT_E0_NS1_11comp_targetILNS1_3genE0ELNS1_11target_archE4294967295ELNS1_3gpuE0ELNS1_3repE0EEENS1_30default_config_static_selectorELNS0_4arch9wavefront6targetE0EEEvSQ_.numbered_sgpr, 0
	.set _ZN7rocprim17ROCPRIM_400000_NS6detail17trampoline_kernelINS0_14default_configENS1_22reduce_config_selectorIiEEZNS1_11reduce_implILb1ES3_PiS7_iN6hipcub16HIPCUB_304000_NS6detail34convert_binary_result_type_wrapperINS9_3SumENS9_22TransformInputIteratorIbN2at6native12_GLOBAL__N_19NonZeroOpIfEEPKflEEiEEEE10hipError_tPvRmT1_T2_T3_mT4_P12ihipStream_tbEUlT_E0_NS1_11comp_targetILNS1_3genE0ELNS1_11target_archE4294967295ELNS1_3gpuE0ELNS1_3repE0EEENS1_30default_config_static_selectorELNS0_4arch9wavefront6targetE0EEEvSQ_.num_named_barrier, 0
	.set _ZN7rocprim17ROCPRIM_400000_NS6detail17trampoline_kernelINS0_14default_configENS1_22reduce_config_selectorIiEEZNS1_11reduce_implILb1ES3_PiS7_iN6hipcub16HIPCUB_304000_NS6detail34convert_binary_result_type_wrapperINS9_3SumENS9_22TransformInputIteratorIbN2at6native12_GLOBAL__N_19NonZeroOpIfEEPKflEEiEEEE10hipError_tPvRmT1_T2_T3_mT4_P12ihipStream_tbEUlT_E0_NS1_11comp_targetILNS1_3genE0ELNS1_11target_archE4294967295ELNS1_3gpuE0ELNS1_3repE0EEENS1_30default_config_static_selectorELNS0_4arch9wavefront6targetE0EEEvSQ_.private_seg_size, 0
	.set _ZN7rocprim17ROCPRIM_400000_NS6detail17trampoline_kernelINS0_14default_configENS1_22reduce_config_selectorIiEEZNS1_11reduce_implILb1ES3_PiS7_iN6hipcub16HIPCUB_304000_NS6detail34convert_binary_result_type_wrapperINS9_3SumENS9_22TransformInputIteratorIbN2at6native12_GLOBAL__N_19NonZeroOpIfEEPKflEEiEEEE10hipError_tPvRmT1_T2_T3_mT4_P12ihipStream_tbEUlT_E0_NS1_11comp_targetILNS1_3genE0ELNS1_11target_archE4294967295ELNS1_3gpuE0ELNS1_3repE0EEENS1_30default_config_static_selectorELNS0_4arch9wavefront6targetE0EEEvSQ_.uses_vcc, 0
	.set _ZN7rocprim17ROCPRIM_400000_NS6detail17trampoline_kernelINS0_14default_configENS1_22reduce_config_selectorIiEEZNS1_11reduce_implILb1ES3_PiS7_iN6hipcub16HIPCUB_304000_NS6detail34convert_binary_result_type_wrapperINS9_3SumENS9_22TransformInputIteratorIbN2at6native12_GLOBAL__N_19NonZeroOpIfEEPKflEEiEEEE10hipError_tPvRmT1_T2_T3_mT4_P12ihipStream_tbEUlT_E0_NS1_11comp_targetILNS1_3genE0ELNS1_11target_archE4294967295ELNS1_3gpuE0ELNS1_3repE0EEENS1_30default_config_static_selectorELNS0_4arch9wavefront6targetE0EEEvSQ_.uses_flat_scratch, 0
	.set _ZN7rocprim17ROCPRIM_400000_NS6detail17trampoline_kernelINS0_14default_configENS1_22reduce_config_selectorIiEEZNS1_11reduce_implILb1ES3_PiS7_iN6hipcub16HIPCUB_304000_NS6detail34convert_binary_result_type_wrapperINS9_3SumENS9_22TransformInputIteratorIbN2at6native12_GLOBAL__N_19NonZeroOpIfEEPKflEEiEEEE10hipError_tPvRmT1_T2_T3_mT4_P12ihipStream_tbEUlT_E0_NS1_11comp_targetILNS1_3genE0ELNS1_11target_archE4294967295ELNS1_3gpuE0ELNS1_3repE0EEENS1_30default_config_static_selectorELNS0_4arch9wavefront6targetE0EEEvSQ_.has_dyn_sized_stack, 0
	.set _ZN7rocprim17ROCPRIM_400000_NS6detail17trampoline_kernelINS0_14default_configENS1_22reduce_config_selectorIiEEZNS1_11reduce_implILb1ES3_PiS7_iN6hipcub16HIPCUB_304000_NS6detail34convert_binary_result_type_wrapperINS9_3SumENS9_22TransformInputIteratorIbN2at6native12_GLOBAL__N_19NonZeroOpIfEEPKflEEiEEEE10hipError_tPvRmT1_T2_T3_mT4_P12ihipStream_tbEUlT_E0_NS1_11comp_targetILNS1_3genE0ELNS1_11target_archE4294967295ELNS1_3gpuE0ELNS1_3repE0EEENS1_30default_config_static_selectorELNS0_4arch9wavefront6targetE0EEEvSQ_.has_recursion, 0
	.set _ZN7rocprim17ROCPRIM_400000_NS6detail17trampoline_kernelINS0_14default_configENS1_22reduce_config_selectorIiEEZNS1_11reduce_implILb1ES3_PiS7_iN6hipcub16HIPCUB_304000_NS6detail34convert_binary_result_type_wrapperINS9_3SumENS9_22TransformInputIteratorIbN2at6native12_GLOBAL__N_19NonZeroOpIfEEPKflEEiEEEE10hipError_tPvRmT1_T2_T3_mT4_P12ihipStream_tbEUlT_E0_NS1_11comp_targetILNS1_3genE0ELNS1_11target_archE4294967295ELNS1_3gpuE0ELNS1_3repE0EEENS1_30default_config_static_selectorELNS0_4arch9wavefront6targetE0EEEvSQ_.has_indirect_call, 0
	.section	.AMDGPU.csdata,"",@progbits
; Kernel info:
; codeLenInByte = 0
; TotalNumSgprs: 0
; NumVgprs: 0
; ScratchSize: 0
; MemoryBound: 0
; FloatMode: 240
; IeeeMode: 1
; LDSByteSize: 0 bytes/workgroup (compile time only)
; SGPRBlocks: 0
; VGPRBlocks: 0
; NumSGPRsForWavesPerEU: 1
; NumVGPRsForWavesPerEU: 1
; Occupancy: 16
; WaveLimiterHint : 0
; COMPUTE_PGM_RSRC2:SCRATCH_EN: 0
; COMPUTE_PGM_RSRC2:USER_SGPR: 2
; COMPUTE_PGM_RSRC2:TRAP_HANDLER: 0
; COMPUTE_PGM_RSRC2:TGID_X_EN: 1
; COMPUTE_PGM_RSRC2:TGID_Y_EN: 0
; COMPUTE_PGM_RSRC2:TGID_Z_EN: 0
; COMPUTE_PGM_RSRC2:TIDIG_COMP_CNT: 0
	.section	.text._ZN7rocprim17ROCPRIM_400000_NS6detail17trampoline_kernelINS0_14default_configENS1_22reduce_config_selectorIiEEZNS1_11reduce_implILb1ES3_PiS7_iN6hipcub16HIPCUB_304000_NS6detail34convert_binary_result_type_wrapperINS9_3SumENS9_22TransformInputIteratorIbN2at6native12_GLOBAL__N_19NonZeroOpIfEEPKflEEiEEEE10hipError_tPvRmT1_T2_T3_mT4_P12ihipStream_tbEUlT_E0_NS1_11comp_targetILNS1_3genE5ELNS1_11target_archE942ELNS1_3gpuE9ELNS1_3repE0EEENS1_30default_config_static_selectorELNS0_4arch9wavefront6targetE0EEEvSQ_,"axG",@progbits,_ZN7rocprim17ROCPRIM_400000_NS6detail17trampoline_kernelINS0_14default_configENS1_22reduce_config_selectorIiEEZNS1_11reduce_implILb1ES3_PiS7_iN6hipcub16HIPCUB_304000_NS6detail34convert_binary_result_type_wrapperINS9_3SumENS9_22TransformInputIteratorIbN2at6native12_GLOBAL__N_19NonZeroOpIfEEPKflEEiEEEE10hipError_tPvRmT1_T2_T3_mT4_P12ihipStream_tbEUlT_E0_NS1_11comp_targetILNS1_3genE5ELNS1_11target_archE942ELNS1_3gpuE9ELNS1_3repE0EEENS1_30default_config_static_selectorELNS0_4arch9wavefront6targetE0EEEvSQ_,comdat
	.globl	_ZN7rocprim17ROCPRIM_400000_NS6detail17trampoline_kernelINS0_14default_configENS1_22reduce_config_selectorIiEEZNS1_11reduce_implILb1ES3_PiS7_iN6hipcub16HIPCUB_304000_NS6detail34convert_binary_result_type_wrapperINS9_3SumENS9_22TransformInputIteratorIbN2at6native12_GLOBAL__N_19NonZeroOpIfEEPKflEEiEEEE10hipError_tPvRmT1_T2_T3_mT4_P12ihipStream_tbEUlT_E0_NS1_11comp_targetILNS1_3genE5ELNS1_11target_archE942ELNS1_3gpuE9ELNS1_3repE0EEENS1_30default_config_static_selectorELNS0_4arch9wavefront6targetE0EEEvSQ_ ; -- Begin function _ZN7rocprim17ROCPRIM_400000_NS6detail17trampoline_kernelINS0_14default_configENS1_22reduce_config_selectorIiEEZNS1_11reduce_implILb1ES3_PiS7_iN6hipcub16HIPCUB_304000_NS6detail34convert_binary_result_type_wrapperINS9_3SumENS9_22TransformInputIteratorIbN2at6native12_GLOBAL__N_19NonZeroOpIfEEPKflEEiEEEE10hipError_tPvRmT1_T2_T3_mT4_P12ihipStream_tbEUlT_E0_NS1_11comp_targetILNS1_3genE5ELNS1_11target_archE942ELNS1_3gpuE9ELNS1_3repE0EEENS1_30default_config_static_selectorELNS0_4arch9wavefront6targetE0EEEvSQ_
	.p2align	8
	.type	_ZN7rocprim17ROCPRIM_400000_NS6detail17trampoline_kernelINS0_14default_configENS1_22reduce_config_selectorIiEEZNS1_11reduce_implILb1ES3_PiS7_iN6hipcub16HIPCUB_304000_NS6detail34convert_binary_result_type_wrapperINS9_3SumENS9_22TransformInputIteratorIbN2at6native12_GLOBAL__N_19NonZeroOpIfEEPKflEEiEEEE10hipError_tPvRmT1_T2_T3_mT4_P12ihipStream_tbEUlT_E0_NS1_11comp_targetILNS1_3genE5ELNS1_11target_archE942ELNS1_3gpuE9ELNS1_3repE0EEENS1_30default_config_static_selectorELNS0_4arch9wavefront6targetE0EEEvSQ_,@function
_ZN7rocprim17ROCPRIM_400000_NS6detail17trampoline_kernelINS0_14default_configENS1_22reduce_config_selectorIiEEZNS1_11reduce_implILb1ES3_PiS7_iN6hipcub16HIPCUB_304000_NS6detail34convert_binary_result_type_wrapperINS9_3SumENS9_22TransformInputIteratorIbN2at6native12_GLOBAL__N_19NonZeroOpIfEEPKflEEiEEEE10hipError_tPvRmT1_T2_T3_mT4_P12ihipStream_tbEUlT_E0_NS1_11comp_targetILNS1_3genE5ELNS1_11target_archE942ELNS1_3gpuE9ELNS1_3repE0EEENS1_30default_config_static_selectorELNS0_4arch9wavefront6targetE0EEEvSQ_: ; @_ZN7rocprim17ROCPRIM_400000_NS6detail17trampoline_kernelINS0_14default_configENS1_22reduce_config_selectorIiEEZNS1_11reduce_implILb1ES3_PiS7_iN6hipcub16HIPCUB_304000_NS6detail34convert_binary_result_type_wrapperINS9_3SumENS9_22TransformInputIteratorIbN2at6native12_GLOBAL__N_19NonZeroOpIfEEPKflEEiEEEE10hipError_tPvRmT1_T2_T3_mT4_P12ihipStream_tbEUlT_E0_NS1_11comp_targetILNS1_3genE5ELNS1_11target_archE942ELNS1_3gpuE9ELNS1_3repE0EEENS1_30default_config_static_selectorELNS0_4arch9wavefront6targetE0EEEvSQ_
; %bb.0:
	.section	.rodata,"a",@progbits
	.p2align	6, 0x0
	.amdhsa_kernel _ZN7rocprim17ROCPRIM_400000_NS6detail17trampoline_kernelINS0_14default_configENS1_22reduce_config_selectorIiEEZNS1_11reduce_implILb1ES3_PiS7_iN6hipcub16HIPCUB_304000_NS6detail34convert_binary_result_type_wrapperINS9_3SumENS9_22TransformInputIteratorIbN2at6native12_GLOBAL__N_19NonZeroOpIfEEPKflEEiEEEE10hipError_tPvRmT1_T2_T3_mT4_P12ihipStream_tbEUlT_E0_NS1_11comp_targetILNS1_3genE5ELNS1_11target_archE942ELNS1_3gpuE9ELNS1_3repE0EEENS1_30default_config_static_selectorELNS0_4arch9wavefront6targetE0EEEvSQ_
		.amdhsa_group_segment_fixed_size 0
		.amdhsa_private_segment_fixed_size 0
		.amdhsa_kernarg_size 56
		.amdhsa_user_sgpr_count 2
		.amdhsa_user_sgpr_dispatch_ptr 0
		.amdhsa_user_sgpr_queue_ptr 0
		.amdhsa_user_sgpr_kernarg_segment_ptr 1
		.amdhsa_user_sgpr_dispatch_id 0
		.amdhsa_user_sgpr_private_segment_size 0
		.amdhsa_wavefront_size32 1
		.amdhsa_uses_dynamic_stack 0
		.amdhsa_enable_private_segment 0
		.amdhsa_system_sgpr_workgroup_id_x 1
		.amdhsa_system_sgpr_workgroup_id_y 0
		.amdhsa_system_sgpr_workgroup_id_z 0
		.amdhsa_system_sgpr_workgroup_info 0
		.amdhsa_system_vgpr_workitem_id 0
		.amdhsa_next_free_vgpr 1
		.amdhsa_next_free_sgpr 1
		.amdhsa_reserve_vcc 0
		.amdhsa_float_round_mode_32 0
		.amdhsa_float_round_mode_16_64 0
		.amdhsa_float_denorm_mode_32 3
		.amdhsa_float_denorm_mode_16_64 3
		.amdhsa_fp16_overflow 0
		.amdhsa_workgroup_processor_mode 1
		.amdhsa_memory_ordered 1
		.amdhsa_forward_progress 1
		.amdhsa_inst_pref_size 0
		.amdhsa_round_robin_scheduling 0
		.amdhsa_exception_fp_ieee_invalid_op 0
		.amdhsa_exception_fp_denorm_src 0
		.amdhsa_exception_fp_ieee_div_zero 0
		.amdhsa_exception_fp_ieee_overflow 0
		.amdhsa_exception_fp_ieee_underflow 0
		.amdhsa_exception_fp_ieee_inexact 0
		.amdhsa_exception_int_div_zero 0
	.end_amdhsa_kernel
	.section	.text._ZN7rocprim17ROCPRIM_400000_NS6detail17trampoline_kernelINS0_14default_configENS1_22reduce_config_selectorIiEEZNS1_11reduce_implILb1ES3_PiS7_iN6hipcub16HIPCUB_304000_NS6detail34convert_binary_result_type_wrapperINS9_3SumENS9_22TransformInputIteratorIbN2at6native12_GLOBAL__N_19NonZeroOpIfEEPKflEEiEEEE10hipError_tPvRmT1_T2_T3_mT4_P12ihipStream_tbEUlT_E0_NS1_11comp_targetILNS1_3genE5ELNS1_11target_archE942ELNS1_3gpuE9ELNS1_3repE0EEENS1_30default_config_static_selectorELNS0_4arch9wavefront6targetE0EEEvSQ_,"axG",@progbits,_ZN7rocprim17ROCPRIM_400000_NS6detail17trampoline_kernelINS0_14default_configENS1_22reduce_config_selectorIiEEZNS1_11reduce_implILb1ES3_PiS7_iN6hipcub16HIPCUB_304000_NS6detail34convert_binary_result_type_wrapperINS9_3SumENS9_22TransformInputIteratorIbN2at6native12_GLOBAL__N_19NonZeroOpIfEEPKflEEiEEEE10hipError_tPvRmT1_T2_T3_mT4_P12ihipStream_tbEUlT_E0_NS1_11comp_targetILNS1_3genE5ELNS1_11target_archE942ELNS1_3gpuE9ELNS1_3repE0EEENS1_30default_config_static_selectorELNS0_4arch9wavefront6targetE0EEEvSQ_,comdat
.Lfunc_end423:
	.size	_ZN7rocprim17ROCPRIM_400000_NS6detail17trampoline_kernelINS0_14default_configENS1_22reduce_config_selectorIiEEZNS1_11reduce_implILb1ES3_PiS7_iN6hipcub16HIPCUB_304000_NS6detail34convert_binary_result_type_wrapperINS9_3SumENS9_22TransformInputIteratorIbN2at6native12_GLOBAL__N_19NonZeroOpIfEEPKflEEiEEEE10hipError_tPvRmT1_T2_T3_mT4_P12ihipStream_tbEUlT_E0_NS1_11comp_targetILNS1_3genE5ELNS1_11target_archE942ELNS1_3gpuE9ELNS1_3repE0EEENS1_30default_config_static_selectorELNS0_4arch9wavefront6targetE0EEEvSQ_, .Lfunc_end423-_ZN7rocprim17ROCPRIM_400000_NS6detail17trampoline_kernelINS0_14default_configENS1_22reduce_config_selectorIiEEZNS1_11reduce_implILb1ES3_PiS7_iN6hipcub16HIPCUB_304000_NS6detail34convert_binary_result_type_wrapperINS9_3SumENS9_22TransformInputIteratorIbN2at6native12_GLOBAL__N_19NonZeroOpIfEEPKflEEiEEEE10hipError_tPvRmT1_T2_T3_mT4_P12ihipStream_tbEUlT_E0_NS1_11comp_targetILNS1_3genE5ELNS1_11target_archE942ELNS1_3gpuE9ELNS1_3repE0EEENS1_30default_config_static_selectorELNS0_4arch9wavefront6targetE0EEEvSQ_
                                        ; -- End function
	.set _ZN7rocprim17ROCPRIM_400000_NS6detail17trampoline_kernelINS0_14default_configENS1_22reduce_config_selectorIiEEZNS1_11reduce_implILb1ES3_PiS7_iN6hipcub16HIPCUB_304000_NS6detail34convert_binary_result_type_wrapperINS9_3SumENS9_22TransformInputIteratorIbN2at6native12_GLOBAL__N_19NonZeroOpIfEEPKflEEiEEEE10hipError_tPvRmT1_T2_T3_mT4_P12ihipStream_tbEUlT_E0_NS1_11comp_targetILNS1_3genE5ELNS1_11target_archE942ELNS1_3gpuE9ELNS1_3repE0EEENS1_30default_config_static_selectorELNS0_4arch9wavefront6targetE0EEEvSQ_.num_vgpr, 0
	.set _ZN7rocprim17ROCPRIM_400000_NS6detail17trampoline_kernelINS0_14default_configENS1_22reduce_config_selectorIiEEZNS1_11reduce_implILb1ES3_PiS7_iN6hipcub16HIPCUB_304000_NS6detail34convert_binary_result_type_wrapperINS9_3SumENS9_22TransformInputIteratorIbN2at6native12_GLOBAL__N_19NonZeroOpIfEEPKflEEiEEEE10hipError_tPvRmT1_T2_T3_mT4_P12ihipStream_tbEUlT_E0_NS1_11comp_targetILNS1_3genE5ELNS1_11target_archE942ELNS1_3gpuE9ELNS1_3repE0EEENS1_30default_config_static_selectorELNS0_4arch9wavefront6targetE0EEEvSQ_.num_agpr, 0
	.set _ZN7rocprim17ROCPRIM_400000_NS6detail17trampoline_kernelINS0_14default_configENS1_22reduce_config_selectorIiEEZNS1_11reduce_implILb1ES3_PiS7_iN6hipcub16HIPCUB_304000_NS6detail34convert_binary_result_type_wrapperINS9_3SumENS9_22TransformInputIteratorIbN2at6native12_GLOBAL__N_19NonZeroOpIfEEPKflEEiEEEE10hipError_tPvRmT1_T2_T3_mT4_P12ihipStream_tbEUlT_E0_NS1_11comp_targetILNS1_3genE5ELNS1_11target_archE942ELNS1_3gpuE9ELNS1_3repE0EEENS1_30default_config_static_selectorELNS0_4arch9wavefront6targetE0EEEvSQ_.numbered_sgpr, 0
	.set _ZN7rocprim17ROCPRIM_400000_NS6detail17trampoline_kernelINS0_14default_configENS1_22reduce_config_selectorIiEEZNS1_11reduce_implILb1ES3_PiS7_iN6hipcub16HIPCUB_304000_NS6detail34convert_binary_result_type_wrapperINS9_3SumENS9_22TransformInputIteratorIbN2at6native12_GLOBAL__N_19NonZeroOpIfEEPKflEEiEEEE10hipError_tPvRmT1_T2_T3_mT4_P12ihipStream_tbEUlT_E0_NS1_11comp_targetILNS1_3genE5ELNS1_11target_archE942ELNS1_3gpuE9ELNS1_3repE0EEENS1_30default_config_static_selectorELNS0_4arch9wavefront6targetE0EEEvSQ_.num_named_barrier, 0
	.set _ZN7rocprim17ROCPRIM_400000_NS6detail17trampoline_kernelINS0_14default_configENS1_22reduce_config_selectorIiEEZNS1_11reduce_implILb1ES3_PiS7_iN6hipcub16HIPCUB_304000_NS6detail34convert_binary_result_type_wrapperINS9_3SumENS9_22TransformInputIteratorIbN2at6native12_GLOBAL__N_19NonZeroOpIfEEPKflEEiEEEE10hipError_tPvRmT1_T2_T3_mT4_P12ihipStream_tbEUlT_E0_NS1_11comp_targetILNS1_3genE5ELNS1_11target_archE942ELNS1_3gpuE9ELNS1_3repE0EEENS1_30default_config_static_selectorELNS0_4arch9wavefront6targetE0EEEvSQ_.private_seg_size, 0
	.set _ZN7rocprim17ROCPRIM_400000_NS6detail17trampoline_kernelINS0_14default_configENS1_22reduce_config_selectorIiEEZNS1_11reduce_implILb1ES3_PiS7_iN6hipcub16HIPCUB_304000_NS6detail34convert_binary_result_type_wrapperINS9_3SumENS9_22TransformInputIteratorIbN2at6native12_GLOBAL__N_19NonZeroOpIfEEPKflEEiEEEE10hipError_tPvRmT1_T2_T3_mT4_P12ihipStream_tbEUlT_E0_NS1_11comp_targetILNS1_3genE5ELNS1_11target_archE942ELNS1_3gpuE9ELNS1_3repE0EEENS1_30default_config_static_selectorELNS0_4arch9wavefront6targetE0EEEvSQ_.uses_vcc, 0
	.set _ZN7rocprim17ROCPRIM_400000_NS6detail17trampoline_kernelINS0_14default_configENS1_22reduce_config_selectorIiEEZNS1_11reduce_implILb1ES3_PiS7_iN6hipcub16HIPCUB_304000_NS6detail34convert_binary_result_type_wrapperINS9_3SumENS9_22TransformInputIteratorIbN2at6native12_GLOBAL__N_19NonZeroOpIfEEPKflEEiEEEE10hipError_tPvRmT1_T2_T3_mT4_P12ihipStream_tbEUlT_E0_NS1_11comp_targetILNS1_3genE5ELNS1_11target_archE942ELNS1_3gpuE9ELNS1_3repE0EEENS1_30default_config_static_selectorELNS0_4arch9wavefront6targetE0EEEvSQ_.uses_flat_scratch, 0
	.set _ZN7rocprim17ROCPRIM_400000_NS6detail17trampoline_kernelINS0_14default_configENS1_22reduce_config_selectorIiEEZNS1_11reduce_implILb1ES3_PiS7_iN6hipcub16HIPCUB_304000_NS6detail34convert_binary_result_type_wrapperINS9_3SumENS9_22TransformInputIteratorIbN2at6native12_GLOBAL__N_19NonZeroOpIfEEPKflEEiEEEE10hipError_tPvRmT1_T2_T3_mT4_P12ihipStream_tbEUlT_E0_NS1_11comp_targetILNS1_3genE5ELNS1_11target_archE942ELNS1_3gpuE9ELNS1_3repE0EEENS1_30default_config_static_selectorELNS0_4arch9wavefront6targetE0EEEvSQ_.has_dyn_sized_stack, 0
	.set _ZN7rocprim17ROCPRIM_400000_NS6detail17trampoline_kernelINS0_14default_configENS1_22reduce_config_selectorIiEEZNS1_11reduce_implILb1ES3_PiS7_iN6hipcub16HIPCUB_304000_NS6detail34convert_binary_result_type_wrapperINS9_3SumENS9_22TransformInputIteratorIbN2at6native12_GLOBAL__N_19NonZeroOpIfEEPKflEEiEEEE10hipError_tPvRmT1_T2_T3_mT4_P12ihipStream_tbEUlT_E0_NS1_11comp_targetILNS1_3genE5ELNS1_11target_archE942ELNS1_3gpuE9ELNS1_3repE0EEENS1_30default_config_static_selectorELNS0_4arch9wavefront6targetE0EEEvSQ_.has_recursion, 0
	.set _ZN7rocprim17ROCPRIM_400000_NS6detail17trampoline_kernelINS0_14default_configENS1_22reduce_config_selectorIiEEZNS1_11reduce_implILb1ES3_PiS7_iN6hipcub16HIPCUB_304000_NS6detail34convert_binary_result_type_wrapperINS9_3SumENS9_22TransformInputIteratorIbN2at6native12_GLOBAL__N_19NonZeroOpIfEEPKflEEiEEEE10hipError_tPvRmT1_T2_T3_mT4_P12ihipStream_tbEUlT_E0_NS1_11comp_targetILNS1_3genE5ELNS1_11target_archE942ELNS1_3gpuE9ELNS1_3repE0EEENS1_30default_config_static_selectorELNS0_4arch9wavefront6targetE0EEEvSQ_.has_indirect_call, 0
	.section	.AMDGPU.csdata,"",@progbits
; Kernel info:
; codeLenInByte = 0
; TotalNumSgprs: 0
; NumVgprs: 0
; ScratchSize: 0
; MemoryBound: 0
; FloatMode: 240
; IeeeMode: 1
; LDSByteSize: 0 bytes/workgroup (compile time only)
; SGPRBlocks: 0
; VGPRBlocks: 0
; NumSGPRsForWavesPerEU: 1
; NumVGPRsForWavesPerEU: 1
; Occupancy: 16
; WaveLimiterHint : 0
; COMPUTE_PGM_RSRC2:SCRATCH_EN: 0
; COMPUTE_PGM_RSRC2:USER_SGPR: 2
; COMPUTE_PGM_RSRC2:TRAP_HANDLER: 0
; COMPUTE_PGM_RSRC2:TGID_X_EN: 1
; COMPUTE_PGM_RSRC2:TGID_Y_EN: 0
; COMPUTE_PGM_RSRC2:TGID_Z_EN: 0
; COMPUTE_PGM_RSRC2:TIDIG_COMP_CNT: 0
	.section	.text._ZN7rocprim17ROCPRIM_400000_NS6detail17trampoline_kernelINS0_14default_configENS1_22reduce_config_selectorIiEEZNS1_11reduce_implILb1ES3_PiS7_iN6hipcub16HIPCUB_304000_NS6detail34convert_binary_result_type_wrapperINS9_3SumENS9_22TransformInputIteratorIbN2at6native12_GLOBAL__N_19NonZeroOpIfEEPKflEEiEEEE10hipError_tPvRmT1_T2_T3_mT4_P12ihipStream_tbEUlT_E0_NS1_11comp_targetILNS1_3genE4ELNS1_11target_archE910ELNS1_3gpuE8ELNS1_3repE0EEENS1_30default_config_static_selectorELNS0_4arch9wavefront6targetE0EEEvSQ_,"axG",@progbits,_ZN7rocprim17ROCPRIM_400000_NS6detail17trampoline_kernelINS0_14default_configENS1_22reduce_config_selectorIiEEZNS1_11reduce_implILb1ES3_PiS7_iN6hipcub16HIPCUB_304000_NS6detail34convert_binary_result_type_wrapperINS9_3SumENS9_22TransformInputIteratorIbN2at6native12_GLOBAL__N_19NonZeroOpIfEEPKflEEiEEEE10hipError_tPvRmT1_T2_T3_mT4_P12ihipStream_tbEUlT_E0_NS1_11comp_targetILNS1_3genE4ELNS1_11target_archE910ELNS1_3gpuE8ELNS1_3repE0EEENS1_30default_config_static_selectorELNS0_4arch9wavefront6targetE0EEEvSQ_,comdat
	.globl	_ZN7rocprim17ROCPRIM_400000_NS6detail17trampoline_kernelINS0_14default_configENS1_22reduce_config_selectorIiEEZNS1_11reduce_implILb1ES3_PiS7_iN6hipcub16HIPCUB_304000_NS6detail34convert_binary_result_type_wrapperINS9_3SumENS9_22TransformInputIteratorIbN2at6native12_GLOBAL__N_19NonZeroOpIfEEPKflEEiEEEE10hipError_tPvRmT1_T2_T3_mT4_P12ihipStream_tbEUlT_E0_NS1_11comp_targetILNS1_3genE4ELNS1_11target_archE910ELNS1_3gpuE8ELNS1_3repE0EEENS1_30default_config_static_selectorELNS0_4arch9wavefront6targetE0EEEvSQ_ ; -- Begin function _ZN7rocprim17ROCPRIM_400000_NS6detail17trampoline_kernelINS0_14default_configENS1_22reduce_config_selectorIiEEZNS1_11reduce_implILb1ES3_PiS7_iN6hipcub16HIPCUB_304000_NS6detail34convert_binary_result_type_wrapperINS9_3SumENS9_22TransformInputIteratorIbN2at6native12_GLOBAL__N_19NonZeroOpIfEEPKflEEiEEEE10hipError_tPvRmT1_T2_T3_mT4_P12ihipStream_tbEUlT_E0_NS1_11comp_targetILNS1_3genE4ELNS1_11target_archE910ELNS1_3gpuE8ELNS1_3repE0EEENS1_30default_config_static_selectorELNS0_4arch9wavefront6targetE0EEEvSQ_
	.p2align	8
	.type	_ZN7rocprim17ROCPRIM_400000_NS6detail17trampoline_kernelINS0_14default_configENS1_22reduce_config_selectorIiEEZNS1_11reduce_implILb1ES3_PiS7_iN6hipcub16HIPCUB_304000_NS6detail34convert_binary_result_type_wrapperINS9_3SumENS9_22TransformInputIteratorIbN2at6native12_GLOBAL__N_19NonZeroOpIfEEPKflEEiEEEE10hipError_tPvRmT1_T2_T3_mT4_P12ihipStream_tbEUlT_E0_NS1_11comp_targetILNS1_3genE4ELNS1_11target_archE910ELNS1_3gpuE8ELNS1_3repE0EEENS1_30default_config_static_selectorELNS0_4arch9wavefront6targetE0EEEvSQ_,@function
_ZN7rocprim17ROCPRIM_400000_NS6detail17trampoline_kernelINS0_14default_configENS1_22reduce_config_selectorIiEEZNS1_11reduce_implILb1ES3_PiS7_iN6hipcub16HIPCUB_304000_NS6detail34convert_binary_result_type_wrapperINS9_3SumENS9_22TransformInputIteratorIbN2at6native12_GLOBAL__N_19NonZeroOpIfEEPKflEEiEEEE10hipError_tPvRmT1_T2_T3_mT4_P12ihipStream_tbEUlT_E0_NS1_11comp_targetILNS1_3genE4ELNS1_11target_archE910ELNS1_3gpuE8ELNS1_3repE0EEENS1_30default_config_static_selectorELNS0_4arch9wavefront6targetE0EEEvSQ_: ; @_ZN7rocprim17ROCPRIM_400000_NS6detail17trampoline_kernelINS0_14default_configENS1_22reduce_config_selectorIiEEZNS1_11reduce_implILb1ES3_PiS7_iN6hipcub16HIPCUB_304000_NS6detail34convert_binary_result_type_wrapperINS9_3SumENS9_22TransformInputIteratorIbN2at6native12_GLOBAL__N_19NonZeroOpIfEEPKflEEiEEEE10hipError_tPvRmT1_T2_T3_mT4_P12ihipStream_tbEUlT_E0_NS1_11comp_targetILNS1_3genE4ELNS1_11target_archE910ELNS1_3gpuE8ELNS1_3repE0EEENS1_30default_config_static_selectorELNS0_4arch9wavefront6targetE0EEEvSQ_
; %bb.0:
	.section	.rodata,"a",@progbits
	.p2align	6, 0x0
	.amdhsa_kernel _ZN7rocprim17ROCPRIM_400000_NS6detail17trampoline_kernelINS0_14default_configENS1_22reduce_config_selectorIiEEZNS1_11reduce_implILb1ES3_PiS7_iN6hipcub16HIPCUB_304000_NS6detail34convert_binary_result_type_wrapperINS9_3SumENS9_22TransformInputIteratorIbN2at6native12_GLOBAL__N_19NonZeroOpIfEEPKflEEiEEEE10hipError_tPvRmT1_T2_T3_mT4_P12ihipStream_tbEUlT_E0_NS1_11comp_targetILNS1_3genE4ELNS1_11target_archE910ELNS1_3gpuE8ELNS1_3repE0EEENS1_30default_config_static_selectorELNS0_4arch9wavefront6targetE0EEEvSQ_
		.amdhsa_group_segment_fixed_size 0
		.amdhsa_private_segment_fixed_size 0
		.amdhsa_kernarg_size 56
		.amdhsa_user_sgpr_count 2
		.amdhsa_user_sgpr_dispatch_ptr 0
		.amdhsa_user_sgpr_queue_ptr 0
		.amdhsa_user_sgpr_kernarg_segment_ptr 1
		.amdhsa_user_sgpr_dispatch_id 0
		.amdhsa_user_sgpr_private_segment_size 0
		.amdhsa_wavefront_size32 1
		.amdhsa_uses_dynamic_stack 0
		.amdhsa_enable_private_segment 0
		.amdhsa_system_sgpr_workgroup_id_x 1
		.amdhsa_system_sgpr_workgroup_id_y 0
		.amdhsa_system_sgpr_workgroup_id_z 0
		.amdhsa_system_sgpr_workgroup_info 0
		.amdhsa_system_vgpr_workitem_id 0
		.amdhsa_next_free_vgpr 1
		.amdhsa_next_free_sgpr 1
		.amdhsa_reserve_vcc 0
		.amdhsa_float_round_mode_32 0
		.amdhsa_float_round_mode_16_64 0
		.amdhsa_float_denorm_mode_32 3
		.amdhsa_float_denorm_mode_16_64 3
		.amdhsa_fp16_overflow 0
		.amdhsa_workgroup_processor_mode 1
		.amdhsa_memory_ordered 1
		.amdhsa_forward_progress 1
		.amdhsa_inst_pref_size 0
		.amdhsa_round_robin_scheduling 0
		.amdhsa_exception_fp_ieee_invalid_op 0
		.amdhsa_exception_fp_denorm_src 0
		.amdhsa_exception_fp_ieee_div_zero 0
		.amdhsa_exception_fp_ieee_overflow 0
		.amdhsa_exception_fp_ieee_underflow 0
		.amdhsa_exception_fp_ieee_inexact 0
		.amdhsa_exception_int_div_zero 0
	.end_amdhsa_kernel
	.section	.text._ZN7rocprim17ROCPRIM_400000_NS6detail17trampoline_kernelINS0_14default_configENS1_22reduce_config_selectorIiEEZNS1_11reduce_implILb1ES3_PiS7_iN6hipcub16HIPCUB_304000_NS6detail34convert_binary_result_type_wrapperINS9_3SumENS9_22TransformInputIteratorIbN2at6native12_GLOBAL__N_19NonZeroOpIfEEPKflEEiEEEE10hipError_tPvRmT1_T2_T3_mT4_P12ihipStream_tbEUlT_E0_NS1_11comp_targetILNS1_3genE4ELNS1_11target_archE910ELNS1_3gpuE8ELNS1_3repE0EEENS1_30default_config_static_selectorELNS0_4arch9wavefront6targetE0EEEvSQ_,"axG",@progbits,_ZN7rocprim17ROCPRIM_400000_NS6detail17trampoline_kernelINS0_14default_configENS1_22reduce_config_selectorIiEEZNS1_11reduce_implILb1ES3_PiS7_iN6hipcub16HIPCUB_304000_NS6detail34convert_binary_result_type_wrapperINS9_3SumENS9_22TransformInputIteratorIbN2at6native12_GLOBAL__N_19NonZeroOpIfEEPKflEEiEEEE10hipError_tPvRmT1_T2_T3_mT4_P12ihipStream_tbEUlT_E0_NS1_11comp_targetILNS1_3genE4ELNS1_11target_archE910ELNS1_3gpuE8ELNS1_3repE0EEENS1_30default_config_static_selectorELNS0_4arch9wavefront6targetE0EEEvSQ_,comdat
.Lfunc_end424:
	.size	_ZN7rocprim17ROCPRIM_400000_NS6detail17trampoline_kernelINS0_14default_configENS1_22reduce_config_selectorIiEEZNS1_11reduce_implILb1ES3_PiS7_iN6hipcub16HIPCUB_304000_NS6detail34convert_binary_result_type_wrapperINS9_3SumENS9_22TransformInputIteratorIbN2at6native12_GLOBAL__N_19NonZeroOpIfEEPKflEEiEEEE10hipError_tPvRmT1_T2_T3_mT4_P12ihipStream_tbEUlT_E0_NS1_11comp_targetILNS1_3genE4ELNS1_11target_archE910ELNS1_3gpuE8ELNS1_3repE0EEENS1_30default_config_static_selectorELNS0_4arch9wavefront6targetE0EEEvSQ_, .Lfunc_end424-_ZN7rocprim17ROCPRIM_400000_NS6detail17trampoline_kernelINS0_14default_configENS1_22reduce_config_selectorIiEEZNS1_11reduce_implILb1ES3_PiS7_iN6hipcub16HIPCUB_304000_NS6detail34convert_binary_result_type_wrapperINS9_3SumENS9_22TransformInputIteratorIbN2at6native12_GLOBAL__N_19NonZeroOpIfEEPKflEEiEEEE10hipError_tPvRmT1_T2_T3_mT4_P12ihipStream_tbEUlT_E0_NS1_11comp_targetILNS1_3genE4ELNS1_11target_archE910ELNS1_3gpuE8ELNS1_3repE0EEENS1_30default_config_static_selectorELNS0_4arch9wavefront6targetE0EEEvSQ_
                                        ; -- End function
	.set _ZN7rocprim17ROCPRIM_400000_NS6detail17trampoline_kernelINS0_14default_configENS1_22reduce_config_selectorIiEEZNS1_11reduce_implILb1ES3_PiS7_iN6hipcub16HIPCUB_304000_NS6detail34convert_binary_result_type_wrapperINS9_3SumENS9_22TransformInputIteratorIbN2at6native12_GLOBAL__N_19NonZeroOpIfEEPKflEEiEEEE10hipError_tPvRmT1_T2_T3_mT4_P12ihipStream_tbEUlT_E0_NS1_11comp_targetILNS1_3genE4ELNS1_11target_archE910ELNS1_3gpuE8ELNS1_3repE0EEENS1_30default_config_static_selectorELNS0_4arch9wavefront6targetE0EEEvSQ_.num_vgpr, 0
	.set _ZN7rocprim17ROCPRIM_400000_NS6detail17trampoline_kernelINS0_14default_configENS1_22reduce_config_selectorIiEEZNS1_11reduce_implILb1ES3_PiS7_iN6hipcub16HIPCUB_304000_NS6detail34convert_binary_result_type_wrapperINS9_3SumENS9_22TransformInputIteratorIbN2at6native12_GLOBAL__N_19NonZeroOpIfEEPKflEEiEEEE10hipError_tPvRmT1_T2_T3_mT4_P12ihipStream_tbEUlT_E0_NS1_11comp_targetILNS1_3genE4ELNS1_11target_archE910ELNS1_3gpuE8ELNS1_3repE0EEENS1_30default_config_static_selectorELNS0_4arch9wavefront6targetE0EEEvSQ_.num_agpr, 0
	.set _ZN7rocprim17ROCPRIM_400000_NS6detail17trampoline_kernelINS0_14default_configENS1_22reduce_config_selectorIiEEZNS1_11reduce_implILb1ES3_PiS7_iN6hipcub16HIPCUB_304000_NS6detail34convert_binary_result_type_wrapperINS9_3SumENS9_22TransformInputIteratorIbN2at6native12_GLOBAL__N_19NonZeroOpIfEEPKflEEiEEEE10hipError_tPvRmT1_T2_T3_mT4_P12ihipStream_tbEUlT_E0_NS1_11comp_targetILNS1_3genE4ELNS1_11target_archE910ELNS1_3gpuE8ELNS1_3repE0EEENS1_30default_config_static_selectorELNS0_4arch9wavefront6targetE0EEEvSQ_.numbered_sgpr, 0
	.set _ZN7rocprim17ROCPRIM_400000_NS6detail17trampoline_kernelINS0_14default_configENS1_22reduce_config_selectorIiEEZNS1_11reduce_implILb1ES3_PiS7_iN6hipcub16HIPCUB_304000_NS6detail34convert_binary_result_type_wrapperINS9_3SumENS9_22TransformInputIteratorIbN2at6native12_GLOBAL__N_19NonZeroOpIfEEPKflEEiEEEE10hipError_tPvRmT1_T2_T3_mT4_P12ihipStream_tbEUlT_E0_NS1_11comp_targetILNS1_3genE4ELNS1_11target_archE910ELNS1_3gpuE8ELNS1_3repE0EEENS1_30default_config_static_selectorELNS0_4arch9wavefront6targetE0EEEvSQ_.num_named_barrier, 0
	.set _ZN7rocprim17ROCPRIM_400000_NS6detail17trampoline_kernelINS0_14default_configENS1_22reduce_config_selectorIiEEZNS1_11reduce_implILb1ES3_PiS7_iN6hipcub16HIPCUB_304000_NS6detail34convert_binary_result_type_wrapperINS9_3SumENS9_22TransformInputIteratorIbN2at6native12_GLOBAL__N_19NonZeroOpIfEEPKflEEiEEEE10hipError_tPvRmT1_T2_T3_mT4_P12ihipStream_tbEUlT_E0_NS1_11comp_targetILNS1_3genE4ELNS1_11target_archE910ELNS1_3gpuE8ELNS1_3repE0EEENS1_30default_config_static_selectorELNS0_4arch9wavefront6targetE0EEEvSQ_.private_seg_size, 0
	.set _ZN7rocprim17ROCPRIM_400000_NS6detail17trampoline_kernelINS0_14default_configENS1_22reduce_config_selectorIiEEZNS1_11reduce_implILb1ES3_PiS7_iN6hipcub16HIPCUB_304000_NS6detail34convert_binary_result_type_wrapperINS9_3SumENS9_22TransformInputIteratorIbN2at6native12_GLOBAL__N_19NonZeroOpIfEEPKflEEiEEEE10hipError_tPvRmT1_T2_T3_mT4_P12ihipStream_tbEUlT_E0_NS1_11comp_targetILNS1_3genE4ELNS1_11target_archE910ELNS1_3gpuE8ELNS1_3repE0EEENS1_30default_config_static_selectorELNS0_4arch9wavefront6targetE0EEEvSQ_.uses_vcc, 0
	.set _ZN7rocprim17ROCPRIM_400000_NS6detail17trampoline_kernelINS0_14default_configENS1_22reduce_config_selectorIiEEZNS1_11reduce_implILb1ES3_PiS7_iN6hipcub16HIPCUB_304000_NS6detail34convert_binary_result_type_wrapperINS9_3SumENS9_22TransformInputIteratorIbN2at6native12_GLOBAL__N_19NonZeroOpIfEEPKflEEiEEEE10hipError_tPvRmT1_T2_T3_mT4_P12ihipStream_tbEUlT_E0_NS1_11comp_targetILNS1_3genE4ELNS1_11target_archE910ELNS1_3gpuE8ELNS1_3repE0EEENS1_30default_config_static_selectorELNS0_4arch9wavefront6targetE0EEEvSQ_.uses_flat_scratch, 0
	.set _ZN7rocprim17ROCPRIM_400000_NS6detail17trampoline_kernelINS0_14default_configENS1_22reduce_config_selectorIiEEZNS1_11reduce_implILb1ES3_PiS7_iN6hipcub16HIPCUB_304000_NS6detail34convert_binary_result_type_wrapperINS9_3SumENS9_22TransformInputIteratorIbN2at6native12_GLOBAL__N_19NonZeroOpIfEEPKflEEiEEEE10hipError_tPvRmT1_T2_T3_mT4_P12ihipStream_tbEUlT_E0_NS1_11comp_targetILNS1_3genE4ELNS1_11target_archE910ELNS1_3gpuE8ELNS1_3repE0EEENS1_30default_config_static_selectorELNS0_4arch9wavefront6targetE0EEEvSQ_.has_dyn_sized_stack, 0
	.set _ZN7rocprim17ROCPRIM_400000_NS6detail17trampoline_kernelINS0_14default_configENS1_22reduce_config_selectorIiEEZNS1_11reduce_implILb1ES3_PiS7_iN6hipcub16HIPCUB_304000_NS6detail34convert_binary_result_type_wrapperINS9_3SumENS9_22TransformInputIteratorIbN2at6native12_GLOBAL__N_19NonZeroOpIfEEPKflEEiEEEE10hipError_tPvRmT1_T2_T3_mT4_P12ihipStream_tbEUlT_E0_NS1_11comp_targetILNS1_3genE4ELNS1_11target_archE910ELNS1_3gpuE8ELNS1_3repE0EEENS1_30default_config_static_selectorELNS0_4arch9wavefront6targetE0EEEvSQ_.has_recursion, 0
	.set _ZN7rocprim17ROCPRIM_400000_NS6detail17trampoline_kernelINS0_14default_configENS1_22reduce_config_selectorIiEEZNS1_11reduce_implILb1ES3_PiS7_iN6hipcub16HIPCUB_304000_NS6detail34convert_binary_result_type_wrapperINS9_3SumENS9_22TransformInputIteratorIbN2at6native12_GLOBAL__N_19NonZeroOpIfEEPKflEEiEEEE10hipError_tPvRmT1_T2_T3_mT4_P12ihipStream_tbEUlT_E0_NS1_11comp_targetILNS1_3genE4ELNS1_11target_archE910ELNS1_3gpuE8ELNS1_3repE0EEENS1_30default_config_static_selectorELNS0_4arch9wavefront6targetE0EEEvSQ_.has_indirect_call, 0
	.section	.AMDGPU.csdata,"",@progbits
; Kernel info:
; codeLenInByte = 0
; TotalNumSgprs: 0
; NumVgprs: 0
; ScratchSize: 0
; MemoryBound: 0
; FloatMode: 240
; IeeeMode: 1
; LDSByteSize: 0 bytes/workgroup (compile time only)
; SGPRBlocks: 0
; VGPRBlocks: 0
; NumSGPRsForWavesPerEU: 1
; NumVGPRsForWavesPerEU: 1
; Occupancy: 16
; WaveLimiterHint : 0
; COMPUTE_PGM_RSRC2:SCRATCH_EN: 0
; COMPUTE_PGM_RSRC2:USER_SGPR: 2
; COMPUTE_PGM_RSRC2:TRAP_HANDLER: 0
; COMPUTE_PGM_RSRC2:TGID_X_EN: 1
; COMPUTE_PGM_RSRC2:TGID_Y_EN: 0
; COMPUTE_PGM_RSRC2:TGID_Z_EN: 0
; COMPUTE_PGM_RSRC2:TIDIG_COMP_CNT: 0
	.section	.text._ZN7rocprim17ROCPRIM_400000_NS6detail17trampoline_kernelINS0_14default_configENS1_22reduce_config_selectorIiEEZNS1_11reduce_implILb1ES3_PiS7_iN6hipcub16HIPCUB_304000_NS6detail34convert_binary_result_type_wrapperINS9_3SumENS9_22TransformInputIteratorIbN2at6native12_GLOBAL__N_19NonZeroOpIfEEPKflEEiEEEE10hipError_tPvRmT1_T2_T3_mT4_P12ihipStream_tbEUlT_E0_NS1_11comp_targetILNS1_3genE3ELNS1_11target_archE908ELNS1_3gpuE7ELNS1_3repE0EEENS1_30default_config_static_selectorELNS0_4arch9wavefront6targetE0EEEvSQ_,"axG",@progbits,_ZN7rocprim17ROCPRIM_400000_NS6detail17trampoline_kernelINS0_14default_configENS1_22reduce_config_selectorIiEEZNS1_11reduce_implILb1ES3_PiS7_iN6hipcub16HIPCUB_304000_NS6detail34convert_binary_result_type_wrapperINS9_3SumENS9_22TransformInputIteratorIbN2at6native12_GLOBAL__N_19NonZeroOpIfEEPKflEEiEEEE10hipError_tPvRmT1_T2_T3_mT4_P12ihipStream_tbEUlT_E0_NS1_11comp_targetILNS1_3genE3ELNS1_11target_archE908ELNS1_3gpuE7ELNS1_3repE0EEENS1_30default_config_static_selectorELNS0_4arch9wavefront6targetE0EEEvSQ_,comdat
	.globl	_ZN7rocprim17ROCPRIM_400000_NS6detail17trampoline_kernelINS0_14default_configENS1_22reduce_config_selectorIiEEZNS1_11reduce_implILb1ES3_PiS7_iN6hipcub16HIPCUB_304000_NS6detail34convert_binary_result_type_wrapperINS9_3SumENS9_22TransformInputIteratorIbN2at6native12_GLOBAL__N_19NonZeroOpIfEEPKflEEiEEEE10hipError_tPvRmT1_T2_T3_mT4_P12ihipStream_tbEUlT_E0_NS1_11comp_targetILNS1_3genE3ELNS1_11target_archE908ELNS1_3gpuE7ELNS1_3repE0EEENS1_30default_config_static_selectorELNS0_4arch9wavefront6targetE0EEEvSQ_ ; -- Begin function _ZN7rocprim17ROCPRIM_400000_NS6detail17trampoline_kernelINS0_14default_configENS1_22reduce_config_selectorIiEEZNS1_11reduce_implILb1ES3_PiS7_iN6hipcub16HIPCUB_304000_NS6detail34convert_binary_result_type_wrapperINS9_3SumENS9_22TransformInputIteratorIbN2at6native12_GLOBAL__N_19NonZeroOpIfEEPKflEEiEEEE10hipError_tPvRmT1_T2_T3_mT4_P12ihipStream_tbEUlT_E0_NS1_11comp_targetILNS1_3genE3ELNS1_11target_archE908ELNS1_3gpuE7ELNS1_3repE0EEENS1_30default_config_static_selectorELNS0_4arch9wavefront6targetE0EEEvSQ_
	.p2align	8
	.type	_ZN7rocprim17ROCPRIM_400000_NS6detail17trampoline_kernelINS0_14default_configENS1_22reduce_config_selectorIiEEZNS1_11reduce_implILb1ES3_PiS7_iN6hipcub16HIPCUB_304000_NS6detail34convert_binary_result_type_wrapperINS9_3SumENS9_22TransformInputIteratorIbN2at6native12_GLOBAL__N_19NonZeroOpIfEEPKflEEiEEEE10hipError_tPvRmT1_T2_T3_mT4_P12ihipStream_tbEUlT_E0_NS1_11comp_targetILNS1_3genE3ELNS1_11target_archE908ELNS1_3gpuE7ELNS1_3repE0EEENS1_30default_config_static_selectorELNS0_4arch9wavefront6targetE0EEEvSQ_,@function
_ZN7rocprim17ROCPRIM_400000_NS6detail17trampoline_kernelINS0_14default_configENS1_22reduce_config_selectorIiEEZNS1_11reduce_implILb1ES3_PiS7_iN6hipcub16HIPCUB_304000_NS6detail34convert_binary_result_type_wrapperINS9_3SumENS9_22TransformInputIteratorIbN2at6native12_GLOBAL__N_19NonZeroOpIfEEPKflEEiEEEE10hipError_tPvRmT1_T2_T3_mT4_P12ihipStream_tbEUlT_E0_NS1_11comp_targetILNS1_3genE3ELNS1_11target_archE908ELNS1_3gpuE7ELNS1_3repE0EEENS1_30default_config_static_selectorELNS0_4arch9wavefront6targetE0EEEvSQ_: ; @_ZN7rocprim17ROCPRIM_400000_NS6detail17trampoline_kernelINS0_14default_configENS1_22reduce_config_selectorIiEEZNS1_11reduce_implILb1ES3_PiS7_iN6hipcub16HIPCUB_304000_NS6detail34convert_binary_result_type_wrapperINS9_3SumENS9_22TransformInputIteratorIbN2at6native12_GLOBAL__N_19NonZeroOpIfEEPKflEEiEEEE10hipError_tPvRmT1_T2_T3_mT4_P12ihipStream_tbEUlT_E0_NS1_11comp_targetILNS1_3genE3ELNS1_11target_archE908ELNS1_3gpuE7ELNS1_3repE0EEENS1_30default_config_static_selectorELNS0_4arch9wavefront6targetE0EEEvSQ_
; %bb.0:
	.section	.rodata,"a",@progbits
	.p2align	6, 0x0
	.amdhsa_kernel _ZN7rocprim17ROCPRIM_400000_NS6detail17trampoline_kernelINS0_14default_configENS1_22reduce_config_selectorIiEEZNS1_11reduce_implILb1ES3_PiS7_iN6hipcub16HIPCUB_304000_NS6detail34convert_binary_result_type_wrapperINS9_3SumENS9_22TransformInputIteratorIbN2at6native12_GLOBAL__N_19NonZeroOpIfEEPKflEEiEEEE10hipError_tPvRmT1_T2_T3_mT4_P12ihipStream_tbEUlT_E0_NS1_11comp_targetILNS1_3genE3ELNS1_11target_archE908ELNS1_3gpuE7ELNS1_3repE0EEENS1_30default_config_static_selectorELNS0_4arch9wavefront6targetE0EEEvSQ_
		.amdhsa_group_segment_fixed_size 0
		.amdhsa_private_segment_fixed_size 0
		.amdhsa_kernarg_size 56
		.amdhsa_user_sgpr_count 2
		.amdhsa_user_sgpr_dispatch_ptr 0
		.amdhsa_user_sgpr_queue_ptr 0
		.amdhsa_user_sgpr_kernarg_segment_ptr 1
		.amdhsa_user_sgpr_dispatch_id 0
		.amdhsa_user_sgpr_private_segment_size 0
		.amdhsa_wavefront_size32 1
		.amdhsa_uses_dynamic_stack 0
		.amdhsa_enable_private_segment 0
		.amdhsa_system_sgpr_workgroup_id_x 1
		.amdhsa_system_sgpr_workgroup_id_y 0
		.amdhsa_system_sgpr_workgroup_id_z 0
		.amdhsa_system_sgpr_workgroup_info 0
		.amdhsa_system_vgpr_workitem_id 0
		.amdhsa_next_free_vgpr 1
		.amdhsa_next_free_sgpr 1
		.amdhsa_reserve_vcc 0
		.amdhsa_float_round_mode_32 0
		.amdhsa_float_round_mode_16_64 0
		.amdhsa_float_denorm_mode_32 3
		.amdhsa_float_denorm_mode_16_64 3
		.amdhsa_fp16_overflow 0
		.amdhsa_workgroup_processor_mode 1
		.amdhsa_memory_ordered 1
		.amdhsa_forward_progress 1
		.amdhsa_inst_pref_size 0
		.amdhsa_round_robin_scheduling 0
		.amdhsa_exception_fp_ieee_invalid_op 0
		.amdhsa_exception_fp_denorm_src 0
		.amdhsa_exception_fp_ieee_div_zero 0
		.amdhsa_exception_fp_ieee_overflow 0
		.amdhsa_exception_fp_ieee_underflow 0
		.amdhsa_exception_fp_ieee_inexact 0
		.amdhsa_exception_int_div_zero 0
	.end_amdhsa_kernel
	.section	.text._ZN7rocprim17ROCPRIM_400000_NS6detail17trampoline_kernelINS0_14default_configENS1_22reduce_config_selectorIiEEZNS1_11reduce_implILb1ES3_PiS7_iN6hipcub16HIPCUB_304000_NS6detail34convert_binary_result_type_wrapperINS9_3SumENS9_22TransformInputIteratorIbN2at6native12_GLOBAL__N_19NonZeroOpIfEEPKflEEiEEEE10hipError_tPvRmT1_T2_T3_mT4_P12ihipStream_tbEUlT_E0_NS1_11comp_targetILNS1_3genE3ELNS1_11target_archE908ELNS1_3gpuE7ELNS1_3repE0EEENS1_30default_config_static_selectorELNS0_4arch9wavefront6targetE0EEEvSQ_,"axG",@progbits,_ZN7rocprim17ROCPRIM_400000_NS6detail17trampoline_kernelINS0_14default_configENS1_22reduce_config_selectorIiEEZNS1_11reduce_implILb1ES3_PiS7_iN6hipcub16HIPCUB_304000_NS6detail34convert_binary_result_type_wrapperINS9_3SumENS9_22TransformInputIteratorIbN2at6native12_GLOBAL__N_19NonZeroOpIfEEPKflEEiEEEE10hipError_tPvRmT1_T2_T3_mT4_P12ihipStream_tbEUlT_E0_NS1_11comp_targetILNS1_3genE3ELNS1_11target_archE908ELNS1_3gpuE7ELNS1_3repE0EEENS1_30default_config_static_selectorELNS0_4arch9wavefront6targetE0EEEvSQ_,comdat
.Lfunc_end425:
	.size	_ZN7rocprim17ROCPRIM_400000_NS6detail17trampoline_kernelINS0_14default_configENS1_22reduce_config_selectorIiEEZNS1_11reduce_implILb1ES3_PiS7_iN6hipcub16HIPCUB_304000_NS6detail34convert_binary_result_type_wrapperINS9_3SumENS9_22TransformInputIteratorIbN2at6native12_GLOBAL__N_19NonZeroOpIfEEPKflEEiEEEE10hipError_tPvRmT1_T2_T3_mT4_P12ihipStream_tbEUlT_E0_NS1_11comp_targetILNS1_3genE3ELNS1_11target_archE908ELNS1_3gpuE7ELNS1_3repE0EEENS1_30default_config_static_selectorELNS0_4arch9wavefront6targetE0EEEvSQ_, .Lfunc_end425-_ZN7rocprim17ROCPRIM_400000_NS6detail17trampoline_kernelINS0_14default_configENS1_22reduce_config_selectorIiEEZNS1_11reduce_implILb1ES3_PiS7_iN6hipcub16HIPCUB_304000_NS6detail34convert_binary_result_type_wrapperINS9_3SumENS9_22TransformInputIteratorIbN2at6native12_GLOBAL__N_19NonZeroOpIfEEPKflEEiEEEE10hipError_tPvRmT1_T2_T3_mT4_P12ihipStream_tbEUlT_E0_NS1_11comp_targetILNS1_3genE3ELNS1_11target_archE908ELNS1_3gpuE7ELNS1_3repE0EEENS1_30default_config_static_selectorELNS0_4arch9wavefront6targetE0EEEvSQ_
                                        ; -- End function
	.set _ZN7rocprim17ROCPRIM_400000_NS6detail17trampoline_kernelINS0_14default_configENS1_22reduce_config_selectorIiEEZNS1_11reduce_implILb1ES3_PiS7_iN6hipcub16HIPCUB_304000_NS6detail34convert_binary_result_type_wrapperINS9_3SumENS9_22TransformInputIteratorIbN2at6native12_GLOBAL__N_19NonZeroOpIfEEPKflEEiEEEE10hipError_tPvRmT1_T2_T3_mT4_P12ihipStream_tbEUlT_E0_NS1_11comp_targetILNS1_3genE3ELNS1_11target_archE908ELNS1_3gpuE7ELNS1_3repE0EEENS1_30default_config_static_selectorELNS0_4arch9wavefront6targetE0EEEvSQ_.num_vgpr, 0
	.set _ZN7rocprim17ROCPRIM_400000_NS6detail17trampoline_kernelINS0_14default_configENS1_22reduce_config_selectorIiEEZNS1_11reduce_implILb1ES3_PiS7_iN6hipcub16HIPCUB_304000_NS6detail34convert_binary_result_type_wrapperINS9_3SumENS9_22TransformInputIteratorIbN2at6native12_GLOBAL__N_19NonZeroOpIfEEPKflEEiEEEE10hipError_tPvRmT1_T2_T3_mT4_P12ihipStream_tbEUlT_E0_NS1_11comp_targetILNS1_3genE3ELNS1_11target_archE908ELNS1_3gpuE7ELNS1_3repE0EEENS1_30default_config_static_selectorELNS0_4arch9wavefront6targetE0EEEvSQ_.num_agpr, 0
	.set _ZN7rocprim17ROCPRIM_400000_NS6detail17trampoline_kernelINS0_14default_configENS1_22reduce_config_selectorIiEEZNS1_11reduce_implILb1ES3_PiS7_iN6hipcub16HIPCUB_304000_NS6detail34convert_binary_result_type_wrapperINS9_3SumENS9_22TransformInputIteratorIbN2at6native12_GLOBAL__N_19NonZeroOpIfEEPKflEEiEEEE10hipError_tPvRmT1_T2_T3_mT4_P12ihipStream_tbEUlT_E0_NS1_11comp_targetILNS1_3genE3ELNS1_11target_archE908ELNS1_3gpuE7ELNS1_3repE0EEENS1_30default_config_static_selectorELNS0_4arch9wavefront6targetE0EEEvSQ_.numbered_sgpr, 0
	.set _ZN7rocprim17ROCPRIM_400000_NS6detail17trampoline_kernelINS0_14default_configENS1_22reduce_config_selectorIiEEZNS1_11reduce_implILb1ES3_PiS7_iN6hipcub16HIPCUB_304000_NS6detail34convert_binary_result_type_wrapperINS9_3SumENS9_22TransformInputIteratorIbN2at6native12_GLOBAL__N_19NonZeroOpIfEEPKflEEiEEEE10hipError_tPvRmT1_T2_T3_mT4_P12ihipStream_tbEUlT_E0_NS1_11comp_targetILNS1_3genE3ELNS1_11target_archE908ELNS1_3gpuE7ELNS1_3repE0EEENS1_30default_config_static_selectorELNS0_4arch9wavefront6targetE0EEEvSQ_.num_named_barrier, 0
	.set _ZN7rocprim17ROCPRIM_400000_NS6detail17trampoline_kernelINS0_14default_configENS1_22reduce_config_selectorIiEEZNS1_11reduce_implILb1ES3_PiS7_iN6hipcub16HIPCUB_304000_NS6detail34convert_binary_result_type_wrapperINS9_3SumENS9_22TransformInputIteratorIbN2at6native12_GLOBAL__N_19NonZeroOpIfEEPKflEEiEEEE10hipError_tPvRmT1_T2_T3_mT4_P12ihipStream_tbEUlT_E0_NS1_11comp_targetILNS1_3genE3ELNS1_11target_archE908ELNS1_3gpuE7ELNS1_3repE0EEENS1_30default_config_static_selectorELNS0_4arch9wavefront6targetE0EEEvSQ_.private_seg_size, 0
	.set _ZN7rocprim17ROCPRIM_400000_NS6detail17trampoline_kernelINS0_14default_configENS1_22reduce_config_selectorIiEEZNS1_11reduce_implILb1ES3_PiS7_iN6hipcub16HIPCUB_304000_NS6detail34convert_binary_result_type_wrapperINS9_3SumENS9_22TransformInputIteratorIbN2at6native12_GLOBAL__N_19NonZeroOpIfEEPKflEEiEEEE10hipError_tPvRmT1_T2_T3_mT4_P12ihipStream_tbEUlT_E0_NS1_11comp_targetILNS1_3genE3ELNS1_11target_archE908ELNS1_3gpuE7ELNS1_3repE0EEENS1_30default_config_static_selectorELNS0_4arch9wavefront6targetE0EEEvSQ_.uses_vcc, 0
	.set _ZN7rocprim17ROCPRIM_400000_NS6detail17trampoline_kernelINS0_14default_configENS1_22reduce_config_selectorIiEEZNS1_11reduce_implILb1ES3_PiS7_iN6hipcub16HIPCUB_304000_NS6detail34convert_binary_result_type_wrapperINS9_3SumENS9_22TransformInputIteratorIbN2at6native12_GLOBAL__N_19NonZeroOpIfEEPKflEEiEEEE10hipError_tPvRmT1_T2_T3_mT4_P12ihipStream_tbEUlT_E0_NS1_11comp_targetILNS1_3genE3ELNS1_11target_archE908ELNS1_3gpuE7ELNS1_3repE0EEENS1_30default_config_static_selectorELNS0_4arch9wavefront6targetE0EEEvSQ_.uses_flat_scratch, 0
	.set _ZN7rocprim17ROCPRIM_400000_NS6detail17trampoline_kernelINS0_14default_configENS1_22reduce_config_selectorIiEEZNS1_11reduce_implILb1ES3_PiS7_iN6hipcub16HIPCUB_304000_NS6detail34convert_binary_result_type_wrapperINS9_3SumENS9_22TransformInputIteratorIbN2at6native12_GLOBAL__N_19NonZeroOpIfEEPKflEEiEEEE10hipError_tPvRmT1_T2_T3_mT4_P12ihipStream_tbEUlT_E0_NS1_11comp_targetILNS1_3genE3ELNS1_11target_archE908ELNS1_3gpuE7ELNS1_3repE0EEENS1_30default_config_static_selectorELNS0_4arch9wavefront6targetE0EEEvSQ_.has_dyn_sized_stack, 0
	.set _ZN7rocprim17ROCPRIM_400000_NS6detail17trampoline_kernelINS0_14default_configENS1_22reduce_config_selectorIiEEZNS1_11reduce_implILb1ES3_PiS7_iN6hipcub16HIPCUB_304000_NS6detail34convert_binary_result_type_wrapperINS9_3SumENS9_22TransformInputIteratorIbN2at6native12_GLOBAL__N_19NonZeroOpIfEEPKflEEiEEEE10hipError_tPvRmT1_T2_T3_mT4_P12ihipStream_tbEUlT_E0_NS1_11comp_targetILNS1_3genE3ELNS1_11target_archE908ELNS1_3gpuE7ELNS1_3repE0EEENS1_30default_config_static_selectorELNS0_4arch9wavefront6targetE0EEEvSQ_.has_recursion, 0
	.set _ZN7rocprim17ROCPRIM_400000_NS6detail17trampoline_kernelINS0_14default_configENS1_22reduce_config_selectorIiEEZNS1_11reduce_implILb1ES3_PiS7_iN6hipcub16HIPCUB_304000_NS6detail34convert_binary_result_type_wrapperINS9_3SumENS9_22TransformInputIteratorIbN2at6native12_GLOBAL__N_19NonZeroOpIfEEPKflEEiEEEE10hipError_tPvRmT1_T2_T3_mT4_P12ihipStream_tbEUlT_E0_NS1_11comp_targetILNS1_3genE3ELNS1_11target_archE908ELNS1_3gpuE7ELNS1_3repE0EEENS1_30default_config_static_selectorELNS0_4arch9wavefront6targetE0EEEvSQ_.has_indirect_call, 0
	.section	.AMDGPU.csdata,"",@progbits
; Kernel info:
; codeLenInByte = 0
; TotalNumSgprs: 0
; NumVgprs: 0
; ScratchSize: 0
; MemoryBound: 0
; FloatMode: 240
; IeeeMode: 1
; LDSByteSize: 0 bytes/workgroup (compile time only)
; SGPRBlocks: 0
; VGPRBlocks: 0
; NumSGPRsForWavesPerEU: 1
; NumVGPRsForWavesPerEU: 1
; Occupancy: 16
; WaveLimiterHint : 0
; COMPUTE_PGM_RSRC2:SCRATCH_EN: 0
; COMPUTE_PGM_RSRC2:USER_SGPR: 2
; COMPUTE_PGM_RSRC2:TRAP_HANDLER: 0
; COMPUTE_PGM_RSRC2:TGID_X_EN: 1
; COMPUTE_PGM_RSRC2:TGID_Y_EN: 0
; COMPUTE_PGM_RSRC2:TGID_Z_EN: 0
; COMPUTE_PGM_RSRC2:TIDIG_COMP_CNT: 0
	.section	.text._ZN7rocprim17ROCPRIM_400000_NS6detail17trampoline_kernelINS0_14default_configENS1_22reduce_config_selectorIiEEZNS1_11reduce_implILb1ES3_PiS7_iN6hipcub16HIPCUB_304000_NS6detail34convert_binary_result_type_wrapperINS9_3SumENS9_22TransformInputIteratorIbN2at6native12_GLOBAL__N_19NonZeroOpIfEEPKflEEiEEEE10hipError_tPvRmT1_T2_T3_mT4_P12ihipStream_tbEUlT_E0_NS1_11comp_targetILNS1_3genE2ELNS1_11target_archE906ELNS1_3gpuE6ELNS1_3repE0EEENS1_30default_config_static_selectorELNS0_4arch9wavefront6targetE0EEEvSQ_,"axG",@progbits,_ZN7rocprim17ROCPRIM_400000_NS6detail17trampoline_kernelINS0_14default_configENS1_22reduce_config_selectorIiEEZNS1_11reduce_implILb1ES3_PiS7_iN6hipcub16HIPCUB_304000_NS6detail34convert_binary_result_type_wrapperINS9_3SumENS9_22TransformInputIteratorIbN2at6native12_GLOBAL__N_19NonZeroOpIfEEPKflEEiEEEE10hipError_tPvRmT1_T2_T3_mT4_P12ihipStream_tbEUlT_E0_NS1_11comp_targetILNS1_3genE2ELNS1_11target_archE906ELNS1_3gpuE6ELNS1_3repE0EEENS1_30default_config_static_selectorELNS0_4arch9wavefront6targetE0EEEvSQ_,comdat
	.globl	_ZN7rocprim17ROCPRIM_400000_NS6detail17trampoline_kernelINS0_14default_configENS1_22reduce_config_selectorIiEEZNS1_11reduce_implILb1ES3_PiS7_iN6hipcub16HIPCUB_304000_NS6detail34convert_binary_result_type_wrapperINS9_3SumENS9_22TransformInputIteratorIbN2at6native12_GLOBAL__N_19NonZeroOpIfEEPKflEEiEEEE10hipError_tPvRmT1_T2_T3_mT4_P12ihipStream_tbEUlT_E0_NS1_11comp_targetILNS1_3genE2ELNS1_11target_archE906ELNS1_3gpuE6ELNS1_3repE0EEENS1_30default_config_static_selectorELNS0_4arch9wavefront6targetE0EEEvSQ_ ; -- Begin function _ZN7rocprim17ROCPRIM_400000_NS6detail17trampoline_kernelINS0_14default_configENS1_22reduce_config_selectorIiEEZNS1_11reduce_implILb1ES3_PiS7_iN6hipcub16HIPCUB_304000_NS6detail34convert_binary_result_type_wrapperINS9_3SumENS9_22TransformInputIteratorIbN2at6native12_GLOBAL__N_19NonZeroOpIfEEPKflEEiEEEE10hipError_tPvRmT1_T2_T3_mT4_P12ihipStream_tbEUlT_E0_NS1_11comp_targetILNS1_3genE2ELNS1_11target_archE906ELNS1_3gpuE6ELNS1_3repE0EEENS1_30default_config_static_selectorELNS0_4arch9wavefront6targetE0EEEvSQ_
	.p2align	8
	.type	_ZN7rocprim17ROCPRIM_400000_NS6detail17trampoline_kernelINS0_14default_configENS1_22reduce_config_selectorIiEEZNS1_11reduce_implILb1ES3_PiS7_iN6hipcub16HIPCUB_304000_NS6detail34convert_binary_result_type_wrapperINS9_3SumENS9_22TransformInputIteratorIbN2at6native12_GLOBAL__N_19NonZeroOpIfEEPKflEEiEEEE10hipError_tPvRmT1_T2_T3_mT4_P12ihipStream_tbEUlT_E0_NS1_11comp_targetILNS1_3genE2ELNS1_11target_archE906ELNS1_3gpuE6ELNS1_3repE0EEENS1_30default_config_static_selectorELNS0_4arch9wavefront6targetE0EEEvSQ_,@function
_ZN7rocprim17ROCPRIM_400000_NS6detail17trampoline_kernelINS0_14default_configENS1_22reduce_config_selectorIiEEZNS1_11reduce_implILb1ES3_PiS7_iN6hipcub16HIPCUB_304000_NS6detail34convert_binary_result_type_wrapperINS9_3SumENS9_22TransformInputIteratorIbN2at6native12_GLOBAL__N_19NonZeroOpIfEEPKflEEiEEEE10hipError_tPvRmT1_T2_T3_mT4_P12ihipStream_tbEUlT_E0_NS1_11comp_targetILNS1_3genE2ELNS1_11target_archE906ELNS1_3gpuE6ELNS1_3repE0EEENS1_30default_config_static_selectorELNS0_4arch9wavefront6targetE0EEEvSQ_: ; @_ZN7rocprim17ROCPRIM_400000_NS6detail17trampoline_kernelINS0_14default_configENS1_22reduce_config_selectorIiEEZNS1_11reduce_implILb1ES3_PiS7_iN6hipcub16HIPCUB_304000_NS6detail34convert_binary_result_type_wrapperINS9_3SumENS9_22TransformInputIteratorIbN2at6native12_GLOBAL__N_19NonZeroOpIfEEPKflEEiEEEE10hipError_tPvRmT1_T2_T3_mT4_P12ihipStream_tbEUlT_E0_NS1_11comp_targetILNS1_3genE2ELNS1_11target_archE906ELNS1_3gpuE6ELNS1_3repE0EEENS1_30default_config_static_selectorELNS0_4arch9wavefront6targetE0EEEvSQ_
; %bb.0:
	.section	.rodata,"a",@progbits
	.p2align	6, 0x0
	.amdhsa_kernel _ZN7rocprim17ROCPRIM_400000_NS6detail17trampoline_kernelINS0_14default_configENS1_22reduce_config_selectorIiEEZNS1_11reduce_implILb1ES3_PiS7_iN6hipcub16HIPCUB_304000_NS6detail34convert_binary_result_type_wrapperINS9_3SumENS9_22TransformInputIteratorIbN2at6native12_GLOBAL__N_19NonZeroOpIfEEPKflEEiEEEE10hipError_tPvRmT1_T2_T3_mT4_P12ihipStream_tbEUlT_E0_NS1_11comp_targetILNS1_3genE2ELNS1_11target_archE906ELNS1_3gpuE6ELNS1_3repE0EEENS1_30default_config_static_selectorELNS0_4arch9wavefront6targetE0EEEvSQ_
		.amdhsa_group_segment_fixed_size 0
		.amdhsa_private_segment_fixed_size 0
		.amdhsa_kernarg_size 56
		.amdhsa_user_sgpr_count 2
		.amdhsa_user_sgpr_dispatch_ptr 0
		.amdhsa_user_sgpr_queue_ptr 0
		.amdhsa_user_sgpr_kernarg_segment_ptr 1
		.amdhsa_user_sgpr_dispatch_id 0
		.amdhsa_user_sgpr_private_segment_size 0
		.amdhsa_wavefront_size32 1
		.amdhsa_uses_dynamic_stack 0
		.amdhsa_enable_private_segment 0
		.amdhsa_system_sgpr_workgroup_id_x 1
		.amdhsa_system_sgpr_workgroup_id_y 0
		.amdhsa_system_sgpr_workgroup_id_z 0
		.amdhsa_system_sgpr_workgroup_info 0
		.amdhsa_system_vgpr_workitem_id 0
		.amdhsa_next_free_vgpr 1
		.amdhsa_next_free_sgpr 1
		.amdhsa_reserve_vcc 0
		.amdhsa_float_round_mode_32 0
		.amdhsa_float_round_mode_16_64 0
		.amdhsa_float_denorm_mode_32 3
		.amdhsa_float_denorm_mode_16_64 3
		.amdhsa_fp16_overflow 0
		.amdhsa_workgroup_processor_mode 1
		.amdhsa_memory_ordered 1
		.amdhsa_forward_progress 1
		.amdhsa_inst_pref_size 0
		.amdhsa_round_robin_scheduling 0
		.amdhsa_exception_fp_ieee_invalid_op 0
		.amdhsa_exception_fp_denorm_src 0
		.amdhsa_exception_fp_ieee_div_zero 0
		.amdhsa_exception_fp_ieee_overflow 0
		.amdhsa_exception_fp_ieee_underflow 0
		.amdhsa_exception_fp_ieee_inexact 0
		.amdhsa_exception_int_div_zero 0
	.end_amdhsa_kernel
	.section	.text._ZN7rocprim17ROCPRIM_400000_NS6detail17trampoline_kernelINS0_14default_configENS1_22reduce_config_selectorIiEEZNS1_11reduce_implILb1ES3_PiS7_iN6hipcub16HIPCUB_304000_NS6detail34convert_binary_result_type_wrapperINS9_3SumENS9_22TransformInputIteratorIbN2at6native12_GLOBAL__N_19NonZeroOpIfEEPKflEEiEEEE10hipError_tPvRmT1_T2_T3_mT4_P12ihipStream_tbEUlT_E0_NS1_11comp_targetILNS1_3genE2ELNS1_11target_archE906ELNS1_3gpuE6ELNS1_3repE0EEENS1_30default_config_static_selectorELNS0_4arch9wavefront6targetE0EEEvSQ_,"axG",@progbits,_ZN7rocprim17ROCPRIM_400000_NS6detail17trampoline_kernelINS0_14default_configENS1_22reduce_config_selectorIiEEZNS1_11reduce_implILb1ES3_PiS7_iN6hipcub16HIPCUB_304000_NS6detail34convert_binary_result_type_wrapperINS9_3SumENS9_22TransformInputIteratorIbN2at6native12_GLOBAL__N_19NonZeroOpIfEEPKflEEiEEEE10hipError_tPvRmT1_T2_T3_mT4_P12ihipStream_tbEUlT_E0_NS1_11comp_targetILNS1_3genE2ELNS1_11target_archE906ELNS1_3gpuE6ELNS1_3repE0EEENS1_30default_config_static_selectorELNS0_4arch9wavefront6targetE0EEEvSQ_,comdat
.Lfunc_end426:
	.size	_ZN7rocprim17ROCPRIM_400000_NS6detail17trampoline_kernelINS0_14default_configENS1_22reduce_config_selectorIiEEZNS1_11reduce_implILb1ES3_PiS7_iN6hipcub16HIPCUB_304000_NS6detail34convert_binary_result_type_wrapperINS9_3SumENS9_22TransformInputIteratorIbN2at6native12_GLOBAL__N_19NonZeroOpIfEEPKflEEiEEEE10hipError_tPvRmT1_T2_T3_mT4_P12ihipStream_tbEUlT_E0_NS1_11comp_targetILNS1_3genE2ELNS1_11target_archE906ELNS1_3gpuE6ELNS1_3repE0EEENS1_30default_config_static_selectorELNS0_4arch9wavefront6targetE0EEEvSQ_, .Lfunc_end426-_ZN7rocprim17ROCPRIM_400000_NS6detail17trampoline_kernelINS0_14default_configENS1_22reduce_config_selectorIiEEZNS1_11reduce_implILb1ES3_PiS7_iN6hipcub16HIPCUB_304000_NS6detail34convert_binary_result_type_wrapperINS9_3SumENS9_22TransformInputIteratorIbN2at6native12_GLOBAL__N_19NonZeroOpIfEEPKflEEiEEEE10hipError_tPvRmT1_T2_T3_mT4_P12ihipStream_tbEUlT_E0_NS1_11comp_targetILNS1_3genE2ELNS1_11target_archE906ELNS1_3gpuE6ELNS1_3repE0EEENS1_30default_config_static_selectorELNS0_4arch9wavefront6targetE0EEEvSQ_
                                        ; -- End function
	.set _ZN7rocprim17ROCPRIM_400000_NS6detail17trampoline_kernelINS0_14default_configENS1_22reduce_config_selectorIiEEZNS1_11reduce_implILb1ES3_PiS7_iN6hipcub16HIPCUB_304000_NS6detail34convert_binary_result_type_wrapperINS9_3SumENS9_22TransformInputIteratorIbN2at6native12_GLOBAL__N_19NonZeroOpIfEEPKflEEiEEEE10hipError_tPvRmT1_T2_T3_mT4_P12ihipStream_tbEUlT_E0_NS1_11comp_targetILNS1_3genE2ELNS1_11target_archE906ELNS1_3gpuE6ELNS1_3repE0EEENS1_30default_config_static_selectorELNS0_4arch9wavefront6targetE0EEEvSQ_.num_vgpr, 0
	.set _ZN7rocprim17ROCPRIM_400000_NS6detail17trampoline_kernelINS0_14default_configENS1_22reduce_config_selectorIiEEZNS1_11reduce_implILb1ES3_PiS7_iN6hipcub16HIPCUB_304000_NS6detail34convert_binary_result_type_wrapperINS9_3SumENS9_22TransformInputIteratorIbN2at6native12_GLOBAL__N_19NonZeroOpIfEEPKflEEiEEEE10hipError_tPvRmT1_T2_T3_mT4_P12ihipStream_tbEUlT_E0_NS1_11comp_targetILNS1_3genE2ELNS1_11target_archE906ELNS1_3gpuE6ELNS1_3repE0EEENS1_30default_config_static_selectorELNS0_4arch9wavefront6targetE0EEEvSQ_.num_agpr, 0
	.set _ZN7rocprim17ROCPRIM_400000_NS6detail17trampoline_kernelINS0_14default_configENS1_22reduce_config_selectorIiEEZNS1_11reduce_implILb1ES3_PiS7_iN6hipcub16HIPCUB_304000_NS6detail34convert_binary_result_type_wrapperINS9_3SumENS9_22TransformInputIteratorIbN2at6native12_GLOBAL__N_19NonZeroOpIfEEPKflEEiEEEE10hipError_tPvRmT1_T2_T3_mT4_P12ihipStream_tbEUlT_E0_NS1_11comp_targetILNS1_3genE2ELNS1_11target_archE906ELNS1_3gpuE6ELNS1_3repE0EEENS1_30default_config_static_selectorELNS0_4arch9wavefront6targetE0EEEvSQ_.numbered_sgpr, 0
	.set _ZN7rocprim17ROCPRIM_400000_NS6detail17trampoline_kernelINS0_14default_configENS1_22reduce_config_selectorIiEEZNS1_11reduce_implILb1ES3_PiS7_iN6hipcub16HIPCUB_304000_NS6detail34convert_binary_result_type_wrapperINS9_3SumENS9_22TransformInputIteratorIbN2at6native12_GLOBAL__N_19NonZeroOpIfEEPKflEEiEEEE10hipError_tPvRmT1_T2_T3_mT4_P12ihipStream_tbEUlT_E0_NS1_11comp_targetILNS1_3genE2ELNS1_11target_archE906ELNS1_3gpuE6ELNS1_3repE0EEENS1_30default_config_static_selectorELNS0_4arch9wavefront6targetE0EEEvSQ_.num_named_barrier, 0
	.set _ZN7rocprim17ROCPRIM_400000_NS6detail17trampoline_kernelINS0_14default_configENS1_22reduce_config_selectorIiEEZNS1_11reduce_implILb1ES3_PiS7_iN6hipcub16HIPCUB_304000_NS6detail34convert_binary_result_type_wrapperINS9_3SumENS9_22TransformInputIteratorIbN2at6native12_GLOBAL__N_19NonZeroOpIfEEPKflEEiEEEE10hipError_tPvRmT1_T2_T3_mT4_P12ihipStream_tbEUlT_E0_NS1_11comp_targetILNS1_3genE2ELNS1_11target_archE906ELNS1_3gpuE6ELNS1_3repE0EEENS1_30default_config_static_selectorELNS0_4arch9wavefront6targetE0EEEvSQ_.private_seg_size, 0
	.set _ZN7rocprim17ROCPRIM_400000_NS6detail17trampoline_kernelINS0_14default_configENS1_22reduce_config_selectorIiEEZNS1_11reduce_implILb1ES3_PiS7_iN6hipcub16HIPCUB_304000_NS6detail34convert_binary_result_type_wrapperINS9_3SumENS9_22TransformInputIteratorIbN2at6native12_GLOBAL__N_19NonZeroOpIfEEPKflEEiEEEE10hipError_tPvRmT1_T2_T3_mT4_P12ihipStream_tbEUlT_E0_NS1_11comp_targetILNS1_3genE2ELNS1_11target_archE906ELNS1_3gpuE6ELNS1_3repE0EEENS1_30default_config_static_selectorELNS0_4arch9wavefront6targetE0EEEvSQ_.uses_vcc, 0
	.set _ZN7rocprim17ROCPRIM_400000_NS6detail17trampoline_kernelINS0_14default_configENS1_22reduce_config_selectorIiEEZNS1_11reduce_implILb1ES3_PiS7_iN6hipcub16HIPCUB_304000_NS6detail34convert_binary_result_type_wrapperINS9_3SumENS9_22TransformInputIteratorIbN2at6native12_GLOBAL__N_19NonZeroOpIfEEPKflEEiEEEE10hipError_tPvRmT1_T2_T3_mT4_P12ihipStream_tbEUlT_E0_NS1_11comp_targetILNS1_3genE2ELNS1_11target_archE906ELNS1_3gpuE6ELNS1_3repE0EEENS1_30default_config_static_selectorELNS0_4arch9wavefront6targetE0EEEvSQ_.uses_flat_scratch, 0
	.set _ZN7rocprim17ROCPRIM_400000_NS6detail17trampoline_kernelINS0_14default_configENS1_22reduce_config_selectorIiEEZNS1_11reduce_implILb1ES3_PiS7_iN6hipcub16HIPCUB_304000_NS6detail34convert_binary_result_type_wrapperINS9_3SumENS9_22TransformInputIteratorIbN2at6native12_GLOBAL__N_19NonZeroOpIfEEPKflEEiEEEE10hipError_tPvRmT1_T2_T3_mT4_P12ihipStream_tbEUlT_E0_NS1_11comp_targetILNS1_3genE2ELNS1_11target_archE906ELNS1_3gpuE6ELNS1_3repE0EEENS1_30default_config_static_selectorELNS0_4arch9wavefront6targetE0EEEvSQ_.has_dyn_sized_stack, 0
	.set _ZN7rocprim17ROCPRIM_400000_NS6detail17trampoline_kernelINS0_14default_configENS1_22reduce_config_selectorIiEEZNS1_11reduce_implILb1ES3_PiS7_iN6hipcub16HIPCUB_304000_NS6detail34convert_binary_result_type_wrapperINS9_3SumENS9_22TransformInputIteratorIbN2at6native12_GLOBAL__N_19NonZeroOpIfEEPKflEEiEEEE10hipError_tPvRmT1_T2_T3_mT4_P12ihipStream_tbEUlT_E0_NS1_11comp_targetILNS1_3genE2ELNS1_11target_archE906ELNS1_3gpuE6ELNS1_3repE0EEENS1_30default_config_static_selectorELNS0_4arch9wavefront6targetE0EEEvSQ_.has_recursion, 0
	.set _ZN7rocprim17ROCPRIM_400000_NS6detail17trampoline_kernelINS0_14default_configENS1_22reduce_config_selectorIiEEZNS1_11reduce_implILb1ES3_PiS7_iN6hipcub16HIPCUB_304000_NS6detail34convert_binary_result_type_wrapperINS9_3SumENS9_22TransformInputIteratorIbN2at6native12_GLOBAL__N_19NonZeroOpIfEEPKflEEiEEEE10hipError_tPvRmT1_T2_T3_mT4_P12ihipStream_tbEUlT_E0_NS1_11comp_targetILNS1_3genE2ELNS1_11target_archE906ELNS1_3gpuE6ELNS1_3repE0EEENS1_30default_config_static_selectorELNS0_4arch9wavefront6targetE0EEEvSQ_.has_indirect_call, 0
	.section	.AMDGPU.csdata,"",@progbits
; Kernel info:
; codeLenInByte = 0
; TotalNumSgprs: 0
; NumVgprs: 0
; ScratchSize: 0
; MemoryBound: 0
; FloatMode: 240
; IeeeMode: 1
; LDSByteSize: 0 bytes/workgroup (compile time only)
; SGPRBlocks: 0
; VGPRBlocks: 0
; NumSGPRsForWavesPerEU: 1
; NumVGPRsForWavesPerEU: 1
; Occupancy: 16
; WaveLimiterHint : 0
; COMPUTE_PGM_RSRC2:SCRATCH_EN: 0
; COMPUTE_PGM_RSRC2:USER_SGPR: 2
; COMPUTE_PGM_RSRC2:TRAP_HANDLER: 0
; COMPUTE_PGM_RSRC2:TGID_X_EN: 1
; COMPUTE_PGM_RSRC2:TGID_Y_EN: 0
; COMPUTE_PGM_RSRC2:TGID_Z_EN: 0
; COMPUTE_PGM_RSRC2:TIDIG_COMP_CNT: 0
	.section	.text._ZN7rocprim17ROCPRIM_400000_NS6detail17trampoline_kernelINS0_14default_configENS1_22reduce_config_selectorIiEEZNS1_11reduce_implILb1ES3_PiS7_iN6hipcub16HIPCUB_304000_NS6detail34convert_binary_result_type_wrapperINS9_3SumENS9_22TransformInputIteratorIbN2at6native12_GLOBAL__N_19NonZeroOpIfEEPKflEEiEEEE10hipError_tPvRmT1_T2_T3_mT4_P12ihipStream_tbEUlT_E0_NS1_11comp_targetILNS1_3genE10ELNS1_11target_archE1201ELNS1_3gpuE5ELNS1_3repE0EEENS1_30default_config_static_selectorELNS0_4arch9wavefront6targetE0EEEvSQ_,"axG",@progbits,_ZN7rocprim17ROCPRIM_400000_NS6detail17trampoline_kernelINS0_14default_configENS1_22reduce_config_selectorIiEEZNS1_11reduce_implILb1ES3_PiS7_iN6hipcub16HIPCUB_304000_NS6detail34convert_binary_result_type_wrapperINS9_3SumENS9_22TransformInputIteratorIbN2at6native12_GLOBAL__N_19NonZeroOpIfEEPKflEEiEEEE10hipError_tPvRmT1_T2_T3_mT4_P12ihipStream_tbEUlT_E0_NS1_11comp_targetILNS1_3genE10ELNS1_11target_archE1201ELNS1_3gpuE5ELNS1_3repE0EEENS1_30default_config_static_selectorELNS0_4arch9wavefront6targetE0EEEvSQ_,comdat
	.globl	_ZN7rocprim17ROCPRIM_400000_NS6detail17trampoline_kernelINS0_14default_configENS1_22reduce_config_selectorIiEEZNS1_11reduce_implILb1ES3_PiS7_iN6hipcub16HIPCUB_304000_NS6detail34convert_binary_result_type_wrapperINS9_3SumENS9_22TransformInputIteratorIbN2at6native12_GLOBAL__N_19NonZeroOpIfEEPKflEEiEEEE10hipError_tPvRmT1_T2_T3_mT4_P12ihipStream_tbEUlT_E0_NS1_11comp_targetILNS1_3genE10ELNS1_11target_archE1201ELNS1_3gpuE5ELNS1_3repE0EEENS1_30default_config_static_selectorELNS0_4arch9wavefront6targetE0EEEvSQ_ ; -- Begin function _ZN7rocprim17ROCPRIM_400000_NS6detail17trampoline_kernelINS0_14default_configENS1_22reduce_config_selectorIiEEZNS1_11reduce_implILb1ES3_PiS7_iN6hipcub16HIPCUB_304000_NS6detail34convert_binary_result_type_wrapperINS9_3SumENS9_22TransformInputIteratorIbN2at6native12_GLOBAL__N_19NonZeroOpIfEEPKflEEiEEEE10hipError_tPvRmT1_T2_T3_mT4_P12ihipStream_tbEUlT_E0_NS1_11comp_targetILNS1_3genE10ELNS1_11target_archE1201ELNS1_3gpuE5ELNS1_3repE0EEENS1_30default_config_static_selectorELNS0_4arch9wavefront6targetE0EEEvSQ_
	.p2align	8
	.type	_ZN7rocprim17ROCPRIM_400000_NS6detail17trampoline_kernelINS0_14default_configENS1_22reduce_config_selectorIiEEZNS1_11reduce_implILb1ES3_PiS7_iN6hipcub16HIPCUB_304000_NS6detail34convert_binary_result_type_wrapperINS9_3SumENS9_22TransformInputIteratorIbN2at6native12_GLOBAL__N_19NonZeroOpIfEEPKflEEiEEEE10hipError_tPvRmT1_T2_T3_mT4_P12ihipStream_tbEUlT_E0_NS1_11comp_targetILNS1_3genE10ELNS1_11target_archE1201ELNS1_3gpuE5ELNS1_3repE0EEENS1_30default_config_static_selectorELNS0_4arch9wavefront6targetE0EEEvSQ_,@function
_ZN7rocprim17ROCPRIM_400000_NS6detail17trampoline_kernelINS0_14default_configENS1_22reduce_config_selectorIiEEZNS1_11reduce_implILb1ES3_PiS7_iN6hipcub16HIPCUB_304000_NS6detail34convert_binary_result_type_wrapperINS9_3SumENS9_22TransformInputIteratorIbN2at6native12_GLOBAL__N_19NonZeroOpIfEEPKflEEiEEEE10hipError_tPvRmT1_T2_T3_mT4_P12ihipStream_tbEUlT_E0_NS1_11comp_targetILNS1_3genE10ELNS1_11target_archE1201ELNS1_3gpuE5ELNS1_3repE0EEENS1_30default_config_static_selectorELNS0_4arch9wavefront6targetE0EEEvSQ_: ; @_ZN7rocprim17ROCPRIM_400000_NS6detail17trampoline_kernelINS0_14default_configENS1_22reduce_config_selectorIiEEZNS1_11reduce_implILb1ES3_PiS7_iN6hipcub16HIPCUB_304000_NS6detail34convert_binary_result_type_wrapperINS9_3SumENS9_22TransformInputIteratorIbN2at6native12_GLOBAL__N_19NonZeroOpIfEEPKflEEiEEEE10hipError_tPvRmT1_T2_T3_mT4_P12ihipStream_tbEUlT_E0_NS1_11comp_targetILNS1_3genE10ELNS1_11target_archE1201ELNS1_3gpuE5ELNS1_3repE0EEENS1_30default_config_static_selectorELNS0_4arch9wavefront6targetE0EEEvSQ_
; %bb.0:
	s_clause 0x1
	s_load_b256 s[12:19], s[0:1], 0x0
	s_load_b128 s[20:23], s[0:1], 0x20
	s_lshl_b32 s2, ttmp9, 12
	s_mov_b32 s3, 0
	v_mbcnt_lo_u32_b32 v18, -1, 0
	v_lshlrev_b32_e32 v19, 2, v0
	s_mov_b32 s24, ttmp9
	s_mov_b32 s25, s3
	s_lshl_b64 s[8:9], s[2:3], 2
	s_wait_kmcnt 0x0
	s_lshl_b64 s[4:5], s[14:15], 2
	s_lshr_b64 s[6:7], s[16:17], 12
	s_add_nc_u64 s[4:5], s[12:13], s[4:5]
	s_cmp_lg_u64 s[6:7], s[24:25]
	s_add_nc_u64 s[26:27], s[4:5], s[8:9]
	s_cbranch_scc0 .LBB427_6
; %bb.1:
	s_clause 0xf
	global_load_b32 v1, v19, s[26:27]
	global_load_b32 v2, v19, s[26:27] offset:1024
	global_load_b32 v3, v19, s[26:27] offset:2048
	;; [unrolled: 1-line block ×15, first 2 shown]
	s_mov_b32 s3, exec_lo
	s_wait_loadcnt 0xe
	v_add_nc_u32_e32 v1, v2, v1
	s_wait_loadcnt 0xc
	s_delay_alu instid0(VALU_DEP_1) | instskip(SKIP_1) | instid1(VALU_DEP_1)
	v_add3_u32 v1, v1, v3, v4
	s_wait_loadcnt 0xa
	v_add3_u32 v1, v1, v5, v6
	s_wait_loadcnt 0x8
	s_delay_alu instid0(VALU_DEP_1) | instskip(SKIP_1) | instid1(VALU_DEP_1)
	v_add3_u32 v1, v1, v7, v8
	s_wait_loadcnt 0x6
	v_add3_u32 v1, v1, v9, v10
	;; [unrolled: 5-line block ×3, first 2 shown]
	s_wait_loadcnt 0x0
	s_delay_alu instid0(VALU_DEP_1) | instskip(NEXT) | instid1(VALU_DEP_1)
	v_add3_u32 v1, v1, v15, v16
	v_mov_b32_dpp v2, v1 quad_perm:[1,0,3,2] row_mask:0xf bank_mask:0xf
	s_delay_alu instid0(VALU_DEP_1) | instskip(NEXT) | instid1(VALU_DEP_1)
	v_add_nc_u32_e32 v1, v2, v1
	v_mov_b32_dpp v2, v1 quad_perm:[2,3,0,1] row_mask:0xf bank_mask:0xf
	s_delay_alu instid0(VALU_DEP_1) | instskip(NEXT) | instid1(VALU_DEP_1)
	v_add_nc_u32_e32 v1, v1, v2
	v_mov_b32_dpp v2, v1 row_ror:4 row_mask:0xf bank_mask:0xf
	s_delay_alu instid0(VALU_DEP_1) | instskip(NEXT) | instid1(VALU_DEP_1)
	v_add_nc_u32_e32 v1, v1, v2
	v_mov_b32_dpp v2, v1 row_ror:8 row_mask:0xf bank_mask:0xf
	s_delay_alu instid0(VALU_DEP_1)
	v_add_nc_u32_e32 v1, v1, v2
	ds_swizzle_b32 v2, v1 offset:swizzle(BROADCAST,32,15)
	s_wait_dscnt 0x0
	v_dual_mov_b32 v2, 0 :: v_dual_add_nc_u32 v1, v1, v2
	ds_bpermute_b32 v1, v2, v1 offset:124
	v_cmpx_eq_u32_e32 0, v18
	s_cbranch_execz .LBB427_3
; %bb.2:
	v_lshrrev_b32_e32 v2, 3, v0
	s_delay_alu instid0(VALU_DEP_1)
	v_and_b32_e32 v2, 28, v2
	s_wait_dscnt 0x0
	ds_store_b32 v2, v1
.LBB427_3:
	s_or_b32 exec_lo, exec_lo, s3
	s_delay_alu instid0(SALU_CYCLE_1)
	s_mov_b32 s3, exec_lo
	s_wait_dscnt 0x0
	s_barrier_signal -1
	s_barrier_wait -1
	global_inv scope:SCOPE_SE
	v_cmpx_gt_u32_e32 32, v0
	s_cbranch_execz .LBB427_5
; %bb.4:
	v_and_b32_e32 v1, 7, v18
	s_delay_alu instid0(VALU_DEP_1) | instskip(SKIP_4) | instid1(VALU_DEP_2)
	v_lshlrev_b32_e32 v2, 2, v1
	v_cmp_ne_u32_e32 vcc_lo, 7, v1
	ds_load_b32 v2, v2
	v_add_co_ci_u32_e64 v3, null, 0, v18, vcc_lo
	v_cmp_gt_u32_e32 vcc_lo, 6, v1
	v_lshlrev_b32_e32 v3, 2, v3
	s_wait_alu 0xfffd
	v_cndmask_b32_e64 v1, 0, 2, vcc_lo
	s_delay_alu instid0(VALU_DEP_1)
	v_add_lshl_u32 v1, v1, v18, 2
	s_wait_dscnt 0x0
	ds_bpermute_b32 v3, v3, v2
	s_wait_dscnt 0x0
	v_add_nc_u32_e32 v2, v3, v2
	v_lshlrev_b32_e32 v3, 2, v18
	ds_bpermute_b32 v1, v1, v2
	s_wait_dscnt 0x0
	v_add_nc_u32_e32 v1, v1, v2
	v_or_b32_e32 v2, 16, v3
	ds_bpermute_b32 v2, v2, v1
	s_wait_dscnt 0x0
	v_add_nc_u32_e32 v1, v2, v1
.LBB427_5:
	s_or_b32 exec_lo, exec_lo, s3
	s_branch .LBB427_44
.LBB427_6:
                                        ; implicit-def: $vgpr1
	s_cbranch_execz .LBB427_44
; %bb.7:
	v_mov_b32_e32 v1, 0
	s_sub_co_i32 s28, s16, s2
	s_mov_b32 s2, exec_lo
	s_delay_alu instid0(VALU_DEP_1)
	v_dual_mov_b32 v2, v1 :: v_dual_mov_b32 v3, v1
	v_dual_mov_b32 v4, v1 :: v_dual_mov_b32 v5, v1
	;; [unrolled: 1-line block ×7, first 2 shown]
	v_mov_b32_e32 v16, v1
	v_cmpx_gt_u32_e64 s28, v0
	s_cbranch_execz .LBB427_9
; %bb.8:
	global_load_b32 v2, v19, s[26:27]
	v_mov_b32_e32 v17, v1
	v_dual_mov_b32 v3, v1 :: v_dual_mov_b32 v4, v1
	v_dual_mov_b32 v5, v1 :: v_dual_mov_b32 v6, v1
	;; [unrolled: 1-line block ×7, first 2 shown]
	s_wait_loadcnt 0x0
	v_mov_b32_e32 v1, v2
	v_mov_b32_e32 v2, v3
	;; [unrolled: 1-line block ×16, first 2 shown]
.LBB427_9:
	s_or_b32 exec_lo, exec_lo, s2
	v_or_b32_e32 v17, 0x100, v0
	s_delay_alu instid0(VALU_DEP_1)
	v_cmp_gt_u32_e32 vcc_lo, s28, v17
	s_and_saveexec_b32 s2, vcc_lo
	s_cbranch_execz .LBB427_11
; %bb.10:
	global_load_b32 v2, v19, s[26:27] offset:1024
.LBB427_11:
	s_or_b32 exec_lo, exec_lo, s2
	v_or_b32_e32 v17, 0x200, v0
	s_delay_alu instid0(VALU_DEP_1)
	v_cmp_gt_u32_e64 s2, s28, v17
	s_and_saveexec_b32 s3, s2
	s_cbranch_execz .LBB427_13
; %bb.12:
	global_load_b32 v3, v19, s[26:27] offset:2048
.LBB427_13:
	s_or_b32 exec_lo, exec_lo, s3
	v_or_b32_e32 v17, 0x300, v0
	s_delay_alu instid0(VALU_DEP_1)
	v_cmp_gt_u32_e64 s3, s28, v17
	s_and_saveexec_b32 s4, s3
	;; [unrolled: 9-line block ×14, first 2 shown]
	s_cbranch_execz .LBB427_39
; %bb.38:
	global_load_b32 v16, v19, s[26:27] offset:15360
.LBB427_39:
	s_wait_alu 0xfffe
	s_or_b32 exec_lo, exec_lo, s29
	s_wait_loadcnt 0x0
	v_cndmask_b32_e32 v2, 0, v2, vcc_lo
	v_cndmask_b32_e64 v3, 0, v3, s2
	v_cndmask_b32_e64 v4, 0, v4, s3
	v_cmp_ne_u32_e32 vcc_lo, 31, v18
	s_min_u32 s2, s28, 0x100
	v_add_nc_u32_e32 v1, v2, v1
	v_cndmask_b32_e64 v2, 0, v5, s4
	v_cndmask_b32_e64 v5, 0, v6, s5
	;; [unrolled: 1-line block ×3, first 2 shown]
	s_mov_b32 s3, exec_lo
	v_add3_u32 v1, v1, v3, v4
	v_cndmask_b32_e64 v3, 0, v7, s6
	v_cndmask_b32_e64 v4, 0, v8, s7
	s_delay_alu instid0(VALU_DEP_3) | instskip(SKIP_2) | instid1(VALU_DEP_3)
	v_add3_u32 v1, v1, v2, v5
	v_cndmask_b32_e64 v2, 0, v9, s8
	v_cndmask_b32_e64 v5, 0, v10, s9
	v_add3_u32 v1, v1, v3, v4
	v_cndmask_b32_e64 v3, 0, v11, s10
	v_cndmask_b32_e64 v4, 0, v12, s11
	s_delay_alu instid0(VALU_DEP_3) | instskip(SKIP_2) | instid1(VALU_DEP_3)
	v_add3_u32 v1, v1, v2, v5
	v_cndmask_b32_e64 v2, 0, v13, s12
	v_cndmask_b32_e64 v5, 0, v14, s13
	v_add3_u32 v1, v1, v3, v4
	v_cndmask_b32_e64 v3, 0, v16, s15
	s_wait_alu 0xfffd
	v_add_co_ci_u32_e64 v4, null, 0, v18, vcc_lo
	v_cmp_gt_u32_e32 vcc_lo, 30, v18
	v_add3_u32 v1, v1, v2, v5
	s_delay_alu instid0(VALU_DEP_3)
	v_lshlrev_b32_e32 v2, 2, v4
	v_add_nc_u32_e32 v4, 1, v18
	s_wait_alu 0xfffd
	v_cndmask_b32_e64 v5, 0, 2, vcc_lo
	v_add3_u32 v1, v1, v6, v3
	v_and_b32_e32 v3, 0xe0, v0
	ds_bpermute_b32 v2, v2, v1
	s_wait_alu 0xfffe
	v_sub_nc_u32_e64 v3, s2, v3 clamp
	s_delay_alu instid0(VALU_DEP_1)
	v_cmp_lt_u32_e32 vcc_lo, v4, v3
	v_add_lshl_u32 v4, v5, v18, 2
	s_wait_dscnt 0x0
	s_wait_alu 0xfffd
	v_cndmask_b32_e32 v2, 0, v2, vcc_lo
	v_cmp_gt_u32_e32 vcc_lo, 28, v18
	s_delay_alu instid0(VALU_DEP_2) | instskip(SKIP_4) | instid1(VALU_DEP_1)
	v_add_nc_u32_e32 v1, v1, v2
	s_wait_alu 0xfffd
	v_cndmask_b32_e64 v5, 0, 4, vcc_lo
	ds_bpermute_b32 v2, v4, v1
	v_add_nc_u32_e32 v4, 2, v18
	v_cmp_lt_u32_e32 vcc_lo, v4, v3
	v_add_lshl_u32 v4, v5, v18, 2
	s_wait_dscnt 0x0
	s_wait_alu 0xfffd
	v_cndmask_b32_e32 v2, 0, v2, vcc_lo
	v_cmp_gt_u32_e32 vcc_lo, 24, v18
	s_delay_alu instid0(VALU_DEP_2) | instskip(SKIP_4) | instid1(VALU_DEP_1)
	v_add_nc_u32_e32 v1, v1, v2
	s_wait_alu 0xfffd
	v_cndmask_b32_e64 v5, 0, 8, vcc_lo
	ds_bpermute_b32 v2, v4, v1
	v_add_nc_u32_e32 v4, 4, v18
	v_cmp_lt_u32_e32 vcc_lo, v4, v3
	v_add_lshl_u32 v4, v5, v18, 2
	v_add_nc_u32_e32 v5, 8, v18
	s_wait_dscnt 0x0
	s_wait_alu 0xfffd
	v_cndmask_b32_e32 v2, 0, v2, vcc_lo
	s_delay_alu instid0(VALU_DEP_2) | instskip(NEXT) | instid1(VALU_DEP_2)
	v_cmp_lt_u32_e32 vcc_lo, v5, v3
	v_add_nc_u32_e32 v1, v1, v2
	v_lshlrev_b32_e32 v2, 2, v18
	ds_bpermute_b32 v4, v4, v1
	v_or_b32_e32 v5, 64, v2
	s_wait_dscnt 0x0
	s_wait_alu 0xfffd
	v_cndmask_b32_e32 v4, 0, v4, vcc_lo
	s_delay_alu instid0(VALU_DEP_1) | instskip(SKIP_2) | instid1(VALU_DEP_1)
	v_add_nc_u32_e32 v1, v1, v4
	ds_bpermute_b32 v4, v5, v1
	v_add_nc_u32_e32 v5, 16, v18
	v_cmp_lt_u32_e32 vcc_lo, v5, v3
	s_wait_dscnt 0x0
	s_wait_alu 0xfffd
	v_cndmask_b32_e32 v3, 0, v4, vcc_lo
	s_delay_alu instid0(VALU_DEP_1)
	v_add_nc_u32_e32 v1, v1, v3
	v_cmpx_eq_u32_e32 0, v18
; %bb.40:
	v_lshrrev_b32_e32 v3, 3, v0
	s_delay_alu instid0(VALU_DEP_1)
	v_and_b32_e32 v3, 28, v3
	ds_store_b32 v3, v1 offset:32
; %bb.41:
	s_or_b32 exec_lo, exec_lo, s3
	s_delay_alu instid0(SALU_CYCLE_1)
	s_mov_b32 s3, exec_lo
	s_wait_dscnt 0x0
	s_barrier_signal -1
	s_barrier_wait -1
	global_inv scope:SCOPE_SE
	v_cmpx_gt_u32_e32 8, v0
	s_cbranch_execz .LBB427_43
; %bb.42:
	ds_load_b32 v1, v2 offset:32
	v_and_b32_e32 v3, 7, v18
	s_add_co_i32 s2, s2, 31
	v_or_b32_e32 v2, 16, v2
	s_wait_alu 0xfffe
	s_lshr_b32 s2, s2, 5
	v_cmp_ne_u32_e32 vcc_lo, 7, v3
	v_add_nc_u32_e32 v5, 1, v3
	s_wait_alu 0xfffd
	v_add_co_ci_u32_e64 v4, null, 0, v18, vcc_lo
	v_cmp_gt_u32_e32 vcc_lo, 6, v3
	s_delay_alu instid0(VALU_DEP_2)
	v_lshlrev_b32_e32 v4, 2, v4
	s_wait_alu 0xfffd
	v_cndmask_b32_e64 v6, 0, 2, vcc_lo
	s_wait_alu 0xfffe
	v_cmp_gt_u32_e32 vcc_lo, s2, v5
	s_wait_dscnt 0x0
	ds_bpermute_b32 v4, v4, v1
	v_add_lshl_u32 v5, v6, v18, 2
	s_wait_dscnt 0x0
	s_wait_alu 0xfffd
	v_cndmask_b32_e32 v4, 0, v4, vcc_lo
	s_delay_alu instid0(VALU_DEP_1) | instskip(SKIP_3) | instid1(VALU_DEP_2)
	v_add_nc_u32_e32 v1, v4, v1
	ds_bpermute_b32 v4, v5, v1
	v_add_nc_u32_e32 v5, 2, v3
	v_add_nc_u32_e32 v3, 4, v3
	v_cmp_gt_u32_e32 vcc_lo, s2, v5
	s_wait_dscnt 0x0
	s_wait_alu 0xfffd
	v_cndmask_b32_e32 v4, 0, v4, vcc_lo
	v_cmp_gt_u32_e32 vcc_lo, s2, v3
	s_delay_alu instid0(VALU_DEP_2) | instskip(SKIP_4) | instid1(VALU_DEP_1)
	v_add_nc_u32_e32 v1, v1, v4
	ds_bpermute_b32 v2, v2, v1
	s_wait_dscnt 0x0
	s_wait_alu 0xfffd
	v_cndmask_b32_e32 v2, 0, v2, vcc_lo
	v_add_nc_u32_e32 v1, v1, v2
.LBB427_43:
	s_wait_alu 0xfffe
	s_or_b32 exec_lo, exec_lo, s3
.LBB427_44:
	s_load_b32 s0, s[0:1], 0x30
	s_mov_b32 s1, exec_lo
	v_cmpx_eq_u32_e32 0, v0
	s_cbranch_execz .LBB427_46
; %bb.45:
	s_mul_u64 s[2:3], s[22:23], s[20:21]
	s_wait_alu 0xfffe
	s_lshl_b64 s[2:3], s[2:3], 2
	s_cmp_eq_u64 s[16:17], 0
	s_wait_alu 0xfffe
	s_add_nc_u64 s[2:3], s[18:19], s[2:3]
	s_cselect_b32 s1, -1, 0
	s_wait_kmcnt 0x0
	v_cndmask_b32_e64 v0, v1, s0, s1
	v_mov_b32_e32 v1, 0
	s_lshl_b64 s[0:1], s[24:25], 2
	s_wait_alu 0xfffe
	s_add_nc_u64 s[0:1], s[2:3], s[0:1]
	global_store_b32 v1, v0, s[0:1]
.LBB427_46:
	s_endpgm
	.section	.rodata,"a",@progbits
	.p2align	6, 0x0
	.amdhsa_kernel _ZN7rocprim17ROCPRIM_400000_NS6detail17trampoline_kernelINS0_14default_configENS1_22reduce_config_selectorIiEEZNS1_11reduce_implILb1ES3_PiS7_iN6hipcub16HIPCUB_304000_NS6detail34convert_binary_result_type_wrapperINS9_3SumENS9_22TransformInputIteratorIbN2at6native12_GLOBAL__N_19NonZeroOpIfEEPKflEEiEEEE10hipError_tPvRmT1_T2_T3_mT4_P12ihipStream_tbEUlT_E0_NS1_11comp_targetILNS1_3genE10ELNS1_11target_archE1201ELNS1_3gpuE5ELNS1_3repE0EEENS1_30default_config_static_selectorELNS0_4arch9wavefront6targetE0EEEvSQ_
		.amdhsa_group_segment_fixed_size 64
		.amdhsa_private_segment_fixed_size 0
		.amdhsa_kernarg_size 56
		.amdhsa_user_sgpr_count 2
		.amdhsa_user_sgpr_dispatch_ptr 0
		.amdhsa_user_sgpr_queue_ptr 0
		.amdhsa_user_sgpr_kernarg_segment_ptr 1
		.amdhsa_user_sgpr_dispatch_id 0
		.amdhsa_user_sgpr_private_segment_size 0
		.amdhsa_wavefront_size32 1
		.amdhsa_uses_dynamic_stack 0
		.amdhsa_enable_private_segment 0
		.amdhsa_system_sgpr_workgroup_id_x 1
		.amdhsa_system_sgpr_workgroup_id_y 0
		.amdhsa_system_sgpr_workgroup_id_z 0
		.amdhsa_system_sgpr_workgroup_info 0
		.amdhsa_system_vgpr_workitem_id 0
		.amdhsa_next_free_vgpr 20
		.amdhsa_next_free_sgpr 30
		.amdhsa_reserve_vcc 1
		.amdhsa_float_round_mode_32 0
		.amdhsa_float_round_mode_16_64 0
		.amdhsa_float_denorm_mode_32 3
		.amdhsa_float_denorm_mode_16_64 3
		.amdhsa_fp16_overflow 0
		.amdhsa_workgroup_processor_mode 1
		.amdhsa_memory_ordered 1
		.amdhsa_forward_progress 1
		.amdhsa_inst_pref_size 20
		.amdhsa_round_robin_scheduling 0
		.amdhsa_exception_fp_ieee_invalid_op 0
		.amdhsa_exception_fp_denorm_src 0
		.amdhsa_exception_fp_ieee_div_zero 0
		.amdhsa_exception_fp_ieee_overflow 0
		.amdhsa_exception_fp_ieee_underflow 0
		.amdhsa_exception_fp_ieee_inexact 0
		.amdhsa_exception_int_div_zero 0
	.end_amdhsa_kernel
	.section	.text._ZN7rocprim17ROCPRIM_400000_NS6detail17trampoline_kernelINS0_14default_configENS1_22reduce_config_selectorIiEEZNS1_11reduce_implILb1ES3_PiS7_iN6hipcub16HIPCUB_304000_NS6detail34convert_binary_result_type_wrapperINS9_3SumENS9_22TransformInputIteratorIbN2at6native12_GLOBAL__N_19NonZeroOpIfEEPKflEEiEEEE10hipError_tPvRmT1_T2_T3_mT4_P12ihipStream_tbEUlT_E0_NS1_11comp_targetILNS1_3genE10ELNS1_11target_archE1201ELNS1_3gpuE5ELNS1_3repE0EEENS1_30default_config_static_selectorELNS0_4arch9wavefront6targetE0EEEvSQ_,"axG",@progbits,_ZN7rocprim17ROCPRIM_400000_NS6detail17trampoline_kernelINS0_14default_configENS1_22reduce_config_selectorIiEEZNS1_11reduce_implILb1ES3_PiS7_iN6hipcub16HIPCUB_304000_NS6detail34convert_binary_result_type_wrapperINS9_3SumENS9_22TransformInputIteratorIbN2at6native12_GLOBAL__N_19NonZeroOpIfEEPKflEEiEEEE10hipError_tPvRmT1_T2_T3_mT4_P12ihipStream_tbEUlT_E0_NS1_11comp_targetILNS1_3genE10ELNS1_11target_archE1201ELNS1_3gpuE5ELNS1_3repE0EEENS1_30default_config_static_selectorELNS0_4arch9wavefront6targetE0EEEvSQ_,comdat
.Lfunc_end427:
	.size	_ZN7rocprim17ROCPRIM_400000_NS6detail17trampoline_kernelINS0_14default_configENS1_22reduce_config_selectorIiEEZNS1_11reduce_implILb1ES3_PiS7_iN6hipcub16HIPCUB_304000_NS6detail34convert_binary_result_type_wrapperINS9_3SumENS9_22TransformInputIteratorIbN2at6native12_GLOBAL__N_19NonZeroOpIfEEPKflEEiEEEE10hipError_tPvRmT1_T2_T3_mT4_P12ihipStream_tbEUlT_E0_NS1_11comp_targetILNS1_3genE10ELNS1_11target_archE1201ELNS1_3gpuE5ELNS1_3repE0EEENS1_30default_config_static_selectorELNS0_4arch9wavefront6targetE0EEEvSQ_, .Lfunc_end427-_ZN7rocprim17ROCPRIM_400000_NS6detail17trampoline_kernelINS0_14default_configENS1_22reduce_config_selectorIiEEZNS1_11reduce_implILb1ES3_PiS7_iN6hipcub16HIPCUB_304000_NS6detail34convert_binary_result_type_wrapperINS9_3SumENS9_22TransformInputIteratorIbN2at6native12_GLOBAL__N_19NonZeroOpIfEEPKflEEiEEEE10hipError_tPvRmT1_T2_T3_mT4_P12ihipStream_tbEUlT_E0_NS1_11comp_targetILNS1_3genE10ELNS1_11target_archE1201ELNS1_3gpuE5ELNS1_3repE0EEENS1_30default_config_static_selectorELNS0_4arch9wavefront6targetE0EEEvSQ_
                                        ; -- End function
	.set _ZN7rocprim17ROCPRIM_400000_NS6detail17trampoline_kernelINS0_14default_configENS1_22reduce_config_selectorIiEEZNS1_11reduce_implILb1ES3_PiS7_iN6hipcub16HIPCUB_304000_NS6detail34convert_binary_result_type_wrapperINS9_3SumENS9_22TransformInputIteratorIbN2at6native12_GLOBAL__N_19NonZeroOpIfEEPKflEEiEEEE10hipError_tPvRmT1_T2_T3_mT4_P12ihipStream_tbEUlT_E0_NS1_11comp_targetILNS1_3genE10ELNS1_11target_archE1201ELNS1_3gpuE5ELNS1_3repE0EEENS1_30default_config_static_selectorELNS0_4arch9wavefront6targetE0EEEvSQ_.num_vgpr, 20
	.set _ZN7rocprim17ROCPRIM_400000_NS6detail17trampoline_kernelINS0_14default_configENS1_22reduce_config_selectorIiEEZNS1_11reduce_implILb1ES3_PiS7_iN6hipcub16HIPCUB_304000_NS6detail34convert_binary_result_type_wrapperINS9_3SumENS9_22TransformInputIteratorIbN2at6native12_GLOBAL__N_19NonZeroOpIfEEPKflEEiEEEE10hipError_tPvRmT1_T2_T3_mT4_P12ihipStream_tbEUlT_E0_NS1_11comp_targetILNS1_3genE10ELNS1_11target_archE1201ELNS1_3gpuE5ELNS1_3repE0EEENS1_30default_config_static_selectorELNS0_4arch9wavefront6targetE0EEEvSQ_.num_agpr, 0
	.set _ZN7rocprim17ROCPRIM_400000_NS6detail17trampoline_kernelINS0_14default_configENS1_22reduce_config_selectorIiEEZNS1_11reduce_implILb1ES3_PiS7_iN6hipcub16HIPCUB_304000_NS6detail34convert_binary_result_type_wrapperINS9_3SumENS9_22TransformInputIteratorIbN2at6native12_GLOBAL__N_19NonZeroOpIfEEPKflEEiEEEE10hipError_tPvRmT1_T2_T3_mT4_P12ihipStream_tbEUlT_E0_NS1_11comp_targetILNS1_3genE10ELNS1_11target_archE1201ELNS1_3gpuE5ELNS1_3repE0EEENS1_30default_config_static_selectorELNS0_4arch9wavefront6targetE0EEEvSQ_.numbered_sgpr, 30
	.set _ZN7rocprim17ROCPRIM_400000_NS6detail17trampoline_kernelINS0_14default_configENS1_22reduce_config_selectorIiEEZNS1_11reduce_implILb1ES3_PiS7_iN6hipcub16HIPCUB_304000_NS6detail34convert_binary_result_type_wrapperINS9_3SumENS9_22TransformInputIteratorIbN2at6native12_GLOBAL__N_19NonZeroOpIfEEPKflEEiEEEE10hipError_tPvRmT1_T2_T3_mT4_P12ihipStream_tbEUlT_E0_NS1_11comp_targetILNS1_3genE10ELNS1_11target_archE1201ELNS1_3gpuE5ELNS1_3repE0EEENS1_30default_config_static_selectorELNS0_4arch9wavefront6targetE0EEEvSQ_.num_named_barrier, 0
	.set _ZN7rocprim17ROCPRIM_400000_NS6detail17trampoline_kernelINS0_14default_configENS1_22reduce_config_selectorIiEEZNS1_11reduce_implILb1ES3_PiS7_iN6hipcub16HIPCUB_304000_NS6detail34convert_binary_result_type_wrapperINS9_3SumENS9_22TransformInputIteratorIbN2at6native12_GLOBAL__N_19NonZeroOpIfEEPKflEEiEEEE10hipError_tPvRmT1_T2_T3_mT4_P12ihipStream_tbEUlT_E0_NS1_11comp_targetILNS1_3genE10ELNS1_11target_archE1201ELNS1_3gpuE5ELNS1_3repE0EEENS1_30default_config_static_selectorELNS0_4arch9wavefront6targetE0EEEvSQ_.private_seg_size, 0
	.set _ZN7rocprim17ROCPRIM_400000_NS6detail17trampoline_kernelINS0_14default_configENS1_22reduce_config_selectorIiEEZNS1_11reduce_implILb1ES3_PiS7_iN6hipcub16HIPCUB_304000_NS6detail34convert_binary_result_type_wrapperINS9_3SumENS9_22TransformInputIteratorIbN2at6native12_GLOBAL__N_19NonZeroOpIfEEPKflEEiEEEE10hipError_tPvRmT1_T2_T3_mT4_P12ihipStream_tbEUlT_E0_NS1_11comp_targetILNS1_3genE10ELNS1_11target_archE1201ELNS1_3gpuE5ELNS1_3repE0EEENS1_30default_config_static_selectorELNS0_4arch9wavefront6targetE0EEEvSQ_.uses_vcc, 1
	.set _ZN7rocprim17ROCPRIM_400000_NS6detail17trampoline_kernelINS0_14default_configENS1_22reduce_config_selectorIiEEZNS1_11reduce_implILb1ES3_PiS7_iN6hipcub16HIPCUB_304000_NS6detail34convert_binary_result_type_wrapperINS9_3SumENS9_22TransformInputIteratorIbN2at6native12_GLOBAL__N_19NonZeroOpIfEEPKflEEiEEEE10hipError_tPvRmT1_T2_T3_mT4_P12ihipStream_tbEUlT_E0_NS1_11comp_targetILNS1_3genE10ELNS1_11target_archE1201ELNS1_3gpuE5ELNS1_3repE0EEENS1_30default_config_static_selectorELNS0_4arch9wavefront6targetE0EEEvSQ_.uses_flat_scratch, 0
	.set _ZN7rocprim17ROCPRIM_400000_NS6detail17trampoline_kernelINS0_14default_configENS1_22reduce_config_selectorIiEEZNS1_11reduce_implILb1ES3_PiS7_iN6hipcub16HIPCUB_304000_NS6detail34convert_binary_result_type_wrapperINS9_3SumENS9_22TransformInputIteratorIbN2at6native12_GLOBAL__N_19NonZeroOpIfEEPKflEEiEEEE10hipError_tPvRmT1_T2_T3_mT4_P12ihipStream_tbEUlT_E0_NS1_11comp_targetILNS1_3genE10ELNS1_11target_archE1201ELNS1_3gpuE5ELNS1_3repE0EEENS1_30default_config_static_selectorELNS0_4arch9wavefront6targetE0EEEvSQ_.has_dyn_sized_stack, 0
	.set _ZN7rocprim17ROCPRIM_400000_NS6detail17trampoline_kernelINS0_14default_configENS1_22reduce_config_selectorIiEEZNS1_11reduce_implILb1ES3_PiS7_iN6hipcub16HIPCUB_304000_NS6detail34convert_binary_result_type_wrapperINS9_3SumENS9_22TransformInputIteratorIbN2at6native12_GLOBAL__N_19NonZeroOpIfEEPKflEEiEEEE10hipError_tPvRmT1_T2_T3_mT4_P12ihipStream_tbEUlT_E0_NS1_11comp_targetILNS1_3genE10ELNS1_11target_archE1201ELNS1_3gpuE5ELNS1_3repE0EEENS1_30default_config_static_selectorELNS0_4arch9wavefront6targetE0EEEvSQ_.has_recursion, 0
	.set _ZN7rocprim17ROCPRIM_400000_NS6detail17trampoline_kernelINS0_14default_configENS1_22reduce_config_selectorIiEEZNS1_11reduce_implILb1ES3_PiS7_iN6hipcub16HIPCUB_304000_NS6detail34convert_binary_result_type_wrapperINS9_3SumENS9_22TransformInputIteratorIbN2at6native12_GLOBAL__N_19NonZeroOpIfEEPKflEEiEEEE10hipError_tPvRmT1_T2_T3_mT4_P12ihipStream_tbEUlT_E0_NS1_11comp_targetILNS1_3genE10ELNS1_11target_archE1201ELNS1_3gpuE5ELNS1_3repE0EEENS1_30default_config_static_selectorELNS0_4arch9wavefront6targetE0EEEvSQ_.has_indirect_call, 0
	.section	.AMDGPU.csdata,"",@progbits
; Kernel info:
; codeLenInByte = 2448
; TotalNumSgprs: 32
; NumVgprs: 20
; ScratchSize: 0
; MemoryBound: 0
; FloatMode: 240
; IeeeMode: 1
; LDSByteSize: 64 bytes/workgroup (compile time only)
; SGPRBlocks: 0
; VGPRBlocks: 2
; NumSGPRsForWavesPerEU: 32
; NumVGPRsForWavesPerEU: 20
; Occupancy: 16
; WaveLimiterHint : 1
; COMPUTE_PGM_RSRC2:SCRATCH_EN: 0
; COMPUTE_PGM_RSRC2:USER_SGPR: 2
; COMPUTE_PGM_RSRC2:TRAP_HANDLER: 0
; COMPUTE_PGM_RSRC2:TGID_X_EN: 1
; COMPUTE_PGM_RSRC2:TGID_Y_EN: 0
; COMPUTE_PGM_RSRC2:TGID_Z_EN: 0
; COMPUTE_PGM_RSRC2:TIDIG_COMP_CNT: 0
	.section	.text._ZN7rocprim17ROCPRIM_400000_NS6detail17trampoline_kernelINS0_14default_configENS1_22reduce_config_selectorIiEEZNS1_11reduce_implILb1ES3_PiS7_iN6hipcub16HIPCUB_304000_NS6detail34convert_binary_result_type_wrapperINS9_3SumENS9_22TransformInputIteratorIbN2at6native12_GLOBAL__N_19NonZeroOpIfEEPKflEEiEEEE10hipError_tPvRmT1_T2_T3_mT4_P12ihipStream_tbEUlT_E0_NS1_11comp_targetILNS1_3genE10ELNS1_11target_archE1200ELNS1_3gpuE4ELNS1_3repE0EEENS1_30default_config_static_selectorELNS0_4arch9wavefront6targetE0EEEvSQ_,"axG",@progbits,_ZN7rocprim17ROCPRIM_400000_NS6detail17trampoline_kernelINS0_14default_configENS1_22reduce_config_selectorIiEEZNS1_11reduce_implILb1ES3_PiS7_iN6hipcub16HIPCUB_304000_NS6detail34convert_binary_result_type_wrapperINS9_3SumENS9_22TransformInputIteratorIbN2at6native12_GLOBAL__N_19NonZeroOpIfEEPKflEEiEEEE10hipError_tPvRmT1_T2_T3_mT4_P12ihipStream_tbEUlT_E0_NS1_11comp_targetILNS1_3genE10ELNS1_11target_archE1200ELNS1_3gpuE4ELNS1_3repE0EEENS1_30default_config_static_selectorELNS0_4arch9wavefront6targetE0EEEvSQ_,comdat
	.globl	_ZN7rocprim17ROCPRIM_400000_NS6detail17trampoline_kernelINS0_14default_configENS1_22reduce_config_selectorIiEEZNS1_11reduce_implILb1ES3_PiS7_iN6hipcub16HIPCUB_304000_NS6detail34convert_binary_result_type_wrapperINS9_3SumENS9_22TransformInputIteratorIbN2at6native12_GLOBAL__N_19NonZeroOpIfEEPKflEEiEEEE10hipError_tPvRmT1_T2_T3_mT4_P12ihipStream_tbEUlT_E0_NS1_11comp_targetILNS1_3genE10ELNS1_11target_archE1200ELNS1_3gpuE4ELNS1_3repE0EEENS1_30default_config_static_selectorELNS0_4arch9wavefront6targetE0EEEvSQ_ ; -- Begin function _ZN7rocprim17ROCPRIM_400000_NS6detail17trampoline_kernelINS0_14default_configENS1_22reduce_config_selectorIiEEZNS1_11reduce_implILb1ES3_PiS7_iN6hipcub16HIPCUB_304000_NS6detail34convert_binary_result_type_wrapperINS9_3SumENS9_22TransformInputIteratorIbN2at6native12_GLOBAL__N_19NonZeroOpIfEEPKflEEiEEEE10hipError_tPvRmT1_T2_T3_mT4_P12ihipStream_tbEUlT_E0_NS1_11comp_targetILNS1_3genE10ELNS1_11target_archE1200ELNS1_3gpuE4ELNS1_3repE0EEENS1_30default_config_static_selectorELNS0_4arch9wavefront6targetE0EEEvSQ_
	.p2align	8
	.type	_ZN7rocprim17ROCPRIM_400000_NS6detail17trampoline_kernelINS0_14default_configENS1_22reduce_config_selectorIiEEZNS1_11reduce_implILb1ES3_PiS7_iN6hipcub16HIPCUB_304000_NS6detail34convert_binary_result_type_wrapperINS9_3SumENS9_22TransformInputIteratorIbN2at6native12_GLOBAL__N_19NonZeroOpIfEEPKflEEiEEEE10hipError_tPvRmT1_T2_T3_mT4_P12ihipStream_tbEUlT_E0_NS1_11comp_targetILNS1_3genE10ELNS1_11target_archE1200ELNS1_3gpuE4ELNS1_3repE0EEENS1_30default_config_static_selectorELNS0_4arch9wavefront6targetE0EEEvSQ_,@function
_ZN7rocprim17ROCPRIM_400000_NS6detail17trampoline_kernelINS0_14default_configENS1_22reduce_config_selectorIiEEZNS1_11reduce_implILb1ES3_PiS7_iN6hipcub16HIPCUB_304000_NS6detail34convert_binary_result_type_wrapperINS9_3SumENS9_22TransformInputIteratorIbN2at6native12_GLOBAL__N_19NonZeroOpIfEEPKflEEiEEEE10hipError_tPvRmT1_T2_T3_mT4_P12ihipStream_tbEUlT_E0_NS1_11comp_targetILNS1_3genE10ELNS1_11target_archE1200ELNS1_3gpuE4ELNS1_3repE0EEENS1_30default_config_static_selectorELNS0_4arch9wavefront6targetE0EEEvSQ_: ; @_ZN7rocprim17ROCPRIM_400000_NS6detail17trampoline_kernelINS0_14default_configENS1_22reduce_config_selectorIiEEZNS1_11reduce_implILb1ES3_PiS7_iN6hipcub16HIPCUB_304000_NS6detail34convert_binary_result_type_wrapperINS9_3SumENS9_22TransformInputIteratorIbN2at6native12_GLOBAL__N_19NonZeroOpIfEEPKflEEiEEEE10hipError_tPvRmT1_T2_T3_mT4_P12ihipStream_tbEUlT_E0_NS1_11comp_targetILNS1_3genE10ELNS1_11target_archE1200ELNS1_3gpuE4ELNS1_3repE0EEENS1_30default_config_static_selectorELNS0_4arch9wavefront6targetE0EEEvSQ_
; %bb.0:
	.section	.rodata,"a",@progbits
	.p2align	6, 0x0
	.amdhsa_kernel _ZN7rocprim17ROCPRIM_400000_NS6detail17trampoline_kernelINS0_14default_configENS1_22reduce_config_selectorIiEEZNS1_11reduce_implILb1ES3_PiS7_iN6hipcub16HIPCUB_304000_NS6detail34convert_binary_result_type_wrapperINS9_3SumENS9_22TransformInputIteratorIbN2at6native12_GLOBAL__N_19NonZeroOpIfEEPKflEEiEEEE10hipError_tPvRmT1_T2_T3_mT4_P12ihipStream_tbEUlT_E0_NS1_11comp_targetILNS1_3genE10ELNS1_11target_archE1200ELNS1_3gpuE4ELNS1_3repE0EEENS1_30default_config_static_selectorELNS0_4arch9wavefront6targetE0EEEvSQ_
		.amdhsa_group_segment_fixed_size 0
		.amdhsa_private_segment_fixed_size 0
		.amdhsa_kernarg_size 56
		.amdhsa_user_sgpr_count 2
		.amdhsa_user_sgpr_dispatch_ptr 0
		.amdhsa_user_sgpr_queue_ptr 0
		.amdhsa_user_sgpr_kernarg_segment_ptr 1
		.amdhsa_user_sgpr_dispatch_id 0
		.amdhsa_user_sgpr_private_segment_size 0
		.amdhsa_wavefront_size32 1
		.amdhsa_uses_dynamic_stack 0
		.amdhsa_enable_private_segment 0
		.amdhsa_system_sgpr_workgroup_id_x 1
		.amdhsa_system_sgpr_workgroup_id_y 0
		.amdhsa_system_sgpr_workgroup_id_z 0
		.amdhsa_system_sgpr_workgroup_info 0
		.amdhsa_system_vgpr_workitem_id 0
		.amdhsa_next_free_vgpr 1
		.amdhsa_next_free_sgpr 1
		.amdhsa_reserve_vcc 0
		.amdhsa_float_round_mode_32 0
		.amdhsa_float_round_mode_16_64 0
		.amdhsa_float_denorm_mode_32 3
		.amdhsa_float_denorm_mode_16_64 3
		.amdhsa_fp16_overflow 0
		.amdhsa_workgroup_processor_mode 1
		.amdhsa_memory_ordered 1
		.amdhsa_forward_progress 1
		.amdhsa_inst_pref_size 0
		.amdhsa_round_robin_scheduling 0
		.amdhsa_exception_fp_ieee_invalid_op 0
		.amdhsa_exception_fp_denorm_src 0
		.amdhsa_exception_fp_ieee_div_zero 0
		.amdhsa_exception_fp_ieee_overflow 0
		.amdhsa_exception_fp_ieee_underflow 0
		.amdhsa_exception_fp_ieee_inexact 0
		.amdhsa_exception_int_div_zero 0
	.end_amdhsa_kernel
	.section	.text._ZN7rocprim17ROCPRIM_400000_NS6detail17trampoline_kernelINS0_14default_configENS1_22reduce_config_selectorIiEEZNS1_11reduce_implILb1ES3_PiS7_iN6hipcub16HIPCUB_304000_NS6detail34convert_binary_result_type_wrapperINS9_3SumENS9_22TransformInputIteratorIbN2at6native12_GLOBAL__N_19NonZeroOpIfEEPKflEEiEEEE10hipError_tPvRmT1_T2_T3_mT4_P12ihipStream_tbEUlT_E0_NS1_11comp_targetILNS1_3genE10ELNS1_11target_archE1200ELNS1_3gpuE4ELNS1_3repE0EEENS1_30default_config_static_selectorELNS0_4arch9wavefront6targetE0EEEvSQ_,"axG",@progbits,_ZN7rocprim17ROCPRIM_400000_NS6detail17trampoline_kernelINS0_14default_configENS1_22reduce_config_selectorIiEEZNS1_11reduce_implILb1ES3_PiS7_iN6hipcub16HIPCUB_304000_NS6detail34convert_binary_result_type_wrapperINS9_3SumENS9_22TransformInputIteratorIbN2at6native12_GLOBAL__N_19NonZeroOpIfEEPKflEEiEEEE10hipError_tPvRmT1_T2_T3_mT4_P12ihipStream_tbEUlT_E0_NS1_11comp_targetILNS1_3genE10ELNS1_11target_archE1200ELNS1_3gpuE4ELNS1_3repE0EEENS1_30default_config_static_selectorELNS0_4arch9wavefront6targetE0EEEvSQ_,comdat
.Lfunc_end428:
	.size	_ZN7rocprim17ROCPRIM_400000_NS6detail17trampoline_kernelINS0_14default_configENS1_22reduce_config_selectorIiEEZNS1_11reduce_implILb1ES3_PiS7_iN6hipcub16HIPCUB_304000_NS6detail34convert_binary_result_type_wrapperINS9_3SumENS9_22TransformInputIteratorIbN2at6native12_GLOBAL__N_19NonZeroOpIfEEPKflEEiEEEE10hipError_tPvRmT1_T2_T3_mT4_P12ihipStream_tbEUlT_E0_NS1_11comp_targetILNS1_3genE10ELNS1_11target_archE1200ELNS1_3gpuE4ELNS1_3repE0EEENS1_30default_config_static_selectorELNS0_4arch9wavefront6targetE0EEEvSQ_, .Lfunc_end428-_ZN7rocprim17ROCPRIM_400000_NS6detail17trampoline_kernelINS0_14default_configENS1_22reduce_config_selectorIiEEZNS1_11reduce_implILb1ES3_PiS7_iN6hipcub16HIPCUB_304000_NS6detail34convert_binary_result_type_wrapperINS9_3SumENS9_22TransformInputIteratorIbN2at6native12_GLOBAL__N_19NonZeroOpIfEEPKflEEiEEEE10hipError_tPvRmT1_T2_T3_mT4_P12ihipStream_tbEUlT_E0_NS1_11comp_targetILNS1_3genE10ELNS1_11target_archE1200ELNS1_3gpuE4ELNS1_3repE0EEENS1_30default_config_static_selectorELNS0_4arch9wavefront6targetE0EEEvSQ_
                                        ; -- End function
	.set _ZN7rocprim17ROCPRIM_400000_NS6detail17trampoline_kernelINS0_14default_configENS1_22reduce_config_selectorIiEEZNS1_11reduce_implILb1ES3_PiS7_iN6hipcub16HIPCUB_304000_NS6detail34convert_binary_result_type_wrapperINS9_3SumENS9_22TransformInputIteratorIbN2at6native12_GLOBAL__N_19NonZeroOpIfEEPKflEEiEEEE10hipError_tPvRmT1_T2_T3_mT4_P12ihipStream_tbEUlT_E0_NS1_11comp_targetILNS1_3genE10ELNS1_11target_archE1200ELNS1_3gpuE4ELNS1_3repE0EEENS1_30default_config_static_selectorELNS0_4arch9wavefront6targetE0EEEvSQ_.num_vgpr, 0
	.set _ZN7rocprim17ROCPRIM_400000_NS6detail17trampoline_kernelINS0_14default_configENS1_22reduce_config_selectorIiEEZNS1_11reduce_implILb1ES3_PiS7_iN6hipcub16HIPCUB_304000_NS6detail34convert_binary_result_type_wrapperINS9_3SumENS9_22TransformInputIteratorIbN2at6native12_GLOBAL__N_19NonZeroOpIfEEPKflEEiEEEE10hipError_tPvRmT1_T2_T3_mT4_P12ihipStream_tbEUlT_E0_NS1_11comp_targetILNS1_3genE10ELNS1_11target_archE1200ELNS1_3gpuE4ELNS1_3repE0EEENS1_30default_config_static_selectorELNS0_4arch9wavefront6targetE0EEEvSQ_.num_agpr, 0
	.set _ZN7rocprim17ROCPRIM_400000_NS6detail17trampoline_kernelINS0_14default_configENS1_22reduce_config_selectorIiEEZNS1_11reduce_implILb1ES3_PiS7_iN6hipcub16HIPCUB_304000_NS6detail34convert_binary_result_type_wrapperINS9_3SumENS9_22TransformInputIteratorIbN2at6native12_GLOBAL__N_19NonZeroOpIfEEPKflEEiEEEE10hipError_tPvRmT1_T2_T3_mT4_P12ihipStream_tbEUlT_E0_NS1_11comp_targetILNS1_3genE10ELNS1_11target_archE1200ELNS1_3gpuE4ELNS1_3repE0EEENS1_30default_config_static_selectorELNS0_4arch9wavefront6targetE0EEEvSQ_.numbered_sgpr, 0
	.set _ZN7rocprim17ROCPRIM_400000_NS6detail17trampoline_kernelINS0_14default_configENS1_22reduce_config_selectorIiEEZNS1_11reduce_implILb1ES3_PiS7_iN6hipcub16HIPCUB_304000_NS6detail34convert_binary_result_type_wrapperINS9_3SumENS9_22TransformInputIteratorIbN2at6native12_GLOBAL__N_19NonZeroOpIfEEPKflEEiEEEE10hipError_tPvRmT1_T2_T3_mT4_P12ihipStream_tbEUlT_E0_NS1_11comp_targetILNS1_3genE10ELNS1_11target_archE1200ELNS1_3gpuE4ELNS1_3repE0EEENS1_30default_config_static_selectorELNS0_4arch9wavefront6targetE0EEEvSQ_.num_named_barrier, 0
	.set _ZN7rocprim17ROCPRIM_400000_NS6detail17trampoline_kernelINS0_14default_configENS1_22reduce_config_selectorIiEEZNS1_11reduce_implILb1ES3_PiS7_iN6hipcub16HIPCUB_304000_NS6detail34convert_binary_result_type_wrapperINS9_3SumENS9_22TransformInputIteratorIbN2at6native12_GLOBAL__N_19NonZeroOpIfEEPKflEEiEEEE10hipError_tPvRmT1_T2_T3_mT4_P12ihipStream_tbEUlT_E0_NS1_11comp_targetILNS1_3genE10ELNS1_11target_archE1200ELNS1_3gpuE4ELNS1_3repE0EEENS1_30default_config_static_selectorELNS0_4arch9wavefront6targetE0EEEvSQ_.private_seg_size, 0
	.set _ZN7rocprim17ROCPRIM_400000_NS6detail17trampoline_kernelINS0_14default_configENS1_22reduce_config_selectorIiEEZNS1_11reduce_implILb1ES3_PiS7_iN6hipcub16HIPCUB_304000_NS6detail34convert_binary_result_type_wrapperINS9_3SumENS9_22TransformInputIteratorIbN2at6native12_GLOBAL__N_19NonZeroOpIfEEPKflEEiEEEE10hipError_tPvRmT1_T2_T3_mT4_P12ihipStream_tbEUlT_E0_NS1_11comp_targetILNS1_3genE10ELNS1_11target_archE1200ELNS1_3gpuE4ELNS1_3repE0EEENS1_30default_config_static_selectorELNS0_4arch9wavefront6targetE0EEEvSQ_.uses_vcc, 0
	.set _ZN7rocprim17ROCPRIM_400000_NS6detail17trampoline_kernelINS0_14default_configENS1_22reduce_config_selectorIiEEZNS1_11reduce_implILb1ES3_PiS7_iN6hipcub16HIPCUB_304000_NS6detail34convert_binary_result_type_wrapperINS9_3SumENS9_22TransformInputIteratorIbN2at6native12_GLOBAL__N_19NonZeroOpIfEEPKflEEiEEEE10hipError_tPvRmT1_T2_T3_mT4_P12ihipStream_tbEUlT_E0_NS1_11comp_targetILNS1_3genE10ELNS1_11target_archE1200ELNS1_3gpuE4ELNS1_3repE0EEENS1_30default_config_static_selectorELNS0_4arch9wavefront6targetE0EEEvSQ_.uses_flat_scratch, 0
	.set _ZN7rocprim17ROCPRIM_400000_NS6detail17trampoline_kernelINS0_14default_configENS1_22reduce_config_selectorIiEEZNS1_11reduce_implILb1ES3_PiS7_iN6hipcub16HIPCUB_304000_NS6detail34convert_binary_result_type_wrapperINS9_3SumENS9_22TransformInputIteratorIbN2at6native12_GLOBAL__N_19NonZeroOpIfEEPKflEEiEEEE10hipError_tPvRmT1_T2_T3_mT4_P12ihipStream_tbEUlT_E0_NS1_11comp_targetILNS1_3genE10ELNS1_11target_archE1200ELNS1_3gpuE4ELNS1_3repE0EEENS1_30default_config_static_selectorELNS0_4arch9wavefront6targetE0EEEvSQ_.has_dyn_sized_stack, 0
	.set _ZN7rocprim17ROCPRIM_400000_NS6detail17trampoline_kernelINS0_14default_configENS1_22reduce_config_selectorIiEEZNS1_11reduce_implILb1ES3_PiS7_iN6hipcub16HIPCUB_304000_NS6detail34convert_binary_result_type_wrapperINS9_3SumENS9_22TransformInputIteratorIbN2at6native12_GLOBAL__N_19NonZeroOpIfEEPKflEEiEEEE10hipError_tPvRmT1_T2_T3_mT4_P12ihipStream_tbEUlT_E0_NS1_11comp_targetILNS1_3genE10ELNS1_11target_archE1200ELNS1_3gpuE4ELNS1_3repE0EEENS1_30default_config_static_selectorELNS0_4arch9wavefront6targetE0EEEvSQ_.has_recursion, 0
	.set _ZN7rocprim17ROCPRIM_400000_NS6detail17trampoline_kernelINS0_14default_configENS1_22reduce_config_selectorIiEEZNS1_11reduce_implILb1ES3_PiS7_iN6hipcub16HIPCUB_304000_NS6detail34convert_binary_result_type_wrapperINS9_3SumENS9_22TransformInputIteratorIbN2at6native12_GLOBAL__N_19NonZeroOpIfEEPKflEEiEEEE10hipError_tPvRmT1_T2_T3_mT4_P12ihipStream_tbEUlT_E0_NS1_11comp_targetILNS1_3genE10ELNS1_11target_archE1200ELNS1_3gpuE4ELNS1_3repE0EEENS1_30default_config_static_selectorELNS0_4arch9wavefront6targetE0EEEvSQ_.has_indirect_call, 0
	.section	.AMDGPU.csdata,"",@progbits
; Kernel info:
; codeLenInByte = 0
; TotalNumSgprs: 0
; NumVgprs: 0
; ScratchSize: 0
; MemoryBound: 0
; FloatMode: 240
; IeeeMode: 1
; LDSByteSize: 0 bytes/workgroup (compile time only)
; SGPRBlocks: 0
; VGPRBlocks: 0
; NumSGPRsForWavesPerEU: 1
; NumVGPRsForWavesPerEU: 1
; Occupancy: 16
; WaveLimiterHint : 0
; COMPUTE_PGM_RSRC2:SCRATCH_EN: 0
; COMPUTE_PGM_RSRC2:USER_SGPR: 2
; COMPUTE_PGM_RSRC2:TRAP_HANDLER: 0
; COMPUTE_PGM_RSRC2:TGID_X_EN: 1
; COMPUTE_PGM_RSRC2:TGID_Y_EN: 0
; COMPUTE_PGM_RSRC2:TGID_Z_EN: 0
; COMPUTE_PGM_RSRC2:TIDIG_COMP_CNT: 0
	.section	.text._ZN7rocprim17ROCPRIM_400000_NS6detail17trampoline_kernelINS0_14default_configENS1_22reduce_config_selectorIiEEZNS1_11reduce_implILb1ES3_PiS7_iN6hipcub16HIPCUB_304000_NS6detail34convert_binary_result_type_wrapperINS9_3SumENS9_22TransformInputIteratorIbN2at6native12_GLOBAL__N_19NonZeroOpIfEEPKflEEiEEEE10hipError_tPvRmT1_T2_T3_mT4_P12ihipStream_tbEUlT_E0_NS1_11comp_targetILNS1_3genE9ELNS1_11target_archE1100ELNS1_3gpuE3ELNS1_3repE0EEENS1_30default_config_static_selectorELNS0_4arch9wavefront6targetE0EEEvSQ_,"axG",@progbits,_ZN7rocprim17ROCPRIM_400000_NS6detail17trampoline_kernelINS0_14default_configENS1_22reduce_config_selectorIiEEZNS1_11reduce_implILb1ES3_PiS7_iN6hipcub16HIPCUB_304000_NS6detail34convert_binary_result_type_wrapperINS9_3SumENS9_22TransformInputIteratorIbN2at6native12_GLOBAL__N_19NonZeroOpIfEEPKflEEiEEEE10hipError_tPvRmT1_T2_T3_mT4_P12ihipStream_tbEUlT_E0_NS1_11comp_targetILNS1_3genE9ELNS1_11target_archE1100ELNS1_3gpuE3ELNS1_3repE0EEENS1_30default_config_static_selectorELNS0_4arch9wavefront6targetE0EEEvSQ_,comdat
	.globl	_ZN7rocprim17ROCPRIM_400000_NS6detail17trampoline_kernelINS0_14default_configENS1_22reduce_config_selectorIiEEZNS1_11reduce_implILb1ES3_PiS7_iN6hipcub16HIPCUB_304000_NS6detail34convert_binary_result_type_wrapperINS9_3SumENS9_22TransformInputIteratorIbN2at6native12_GLOBAL__N_19NonZeroOpIfEEPKflEEiEEEE10hipError_tPvRmT1_T2_T3_mT4_P12ihipStream_tbEUlT_E0_NS1_11comp_targetILNS1_3genE9ELNS1_11target_archE1100ELNS1_3gpuE3ELNS1_3repE0EEENS1_30default_config_static_selectorELNS0_4arch9wavefront6targetE0EEEvSQ_ ; -- Begin function _ZN7rocprim17ROCPRIM_400000_NS6detail17trampoline_kernelINS0_14default_configENS1_22reduce_config_selectorIiEEZNS1_11reduce_implILb1ES3_PiS7_iN6hipcub16HIPCUB_304000_NS6detail34convert_binary_result_type_wrapperINS9_3SumENS9_22TransformInputIteratorIbN2at6native12_GLOBAL__N_19NonZeroOpIfEEPKflEEiEEEE10hipError_tPvRmT1_T2_T3_mT4_P12ihipStream_tbEUlT_E0_NS1_11comp_targetILNS1_3genE9ELNS1_11target_archE1100ELNS1_3gpuE3ELNS1_3repE0EEENS1_30default_config_static_selectorELNS0_4arch9wavefront6targetE0EEEvSQ_
	.p2align	8
	.type	_ZN7rocprim17ROCPRIM_400000_NS6detail17trampoline_kernelINS0_14default_configENS1_22reduce_config_selectorIiEEZNS1_11reduce_implILb1ES3_PiS7_iN6hipcub16HIPCUB_304000_NS6detail34convert_binary_result_type_wrapperINS9_3SumENS9_22TransformInputIteratorIbN2at6native12_GLOBAL__N_19NonZeroOpIfEEPKflEEiEEEE10hipError_tPvRmT1_T2_T3_mT4_P12ihipStream_tbEUlT_E0_NS1_11comp_targetILNS1_3genE9ELNS1_11target_archE1100ELNS1_3gpuE3ELNS1_3repE0EEENS1_30default_config_static_selectorELNS0_4arch9wavefront6targetE0EEEvSQ_,@function
_ZN7rocprim17ROCPRIM_400000_NS6detail17trampoline_kernelINS0_14default_configENS1_22reduce_config_selectorIiEEZNS1_11reduce_implILb1ES3_PiS7_iN6hipcub16HIPCUB_304000_NS6detail34convert_binary_result_type_wrapperINS9_3SumENS9_22TransformInputIteratorIbN2at6native12_GLOBAL__N_19NonZeroOpIfEEPKflEEiEEEE10hipError_tPvRmT1_T2_T3_mT4_P12ihipStream_tbEUlT_E0_NS1_11comp_targetILNS1_3genE9ELNS1_11target_archE1100ELNS1_3gpuE3ELNS1_3repE0EEENS1_30default_config_static_selectorELNS0_4arch9wavefront6targetE0EEEvSQ_: ; @_ZN7rocprim17ROCPRIM_400000_NS6detail17trampoline_kernelINS0_14default_configENS1_22reduce_config_selectorIiEEZNS1_11reduce_implILb1ES3_PiS7_iN6hipcub16HIPCUB_304000_NS6detail34convert_binary_result_type_wrapperINS9_3SumENS9_22TransformInputIteratorIbN2at6native12_GLOBAL__N_19NonZeroOpIfEEPKflEEiEEEE10hipError_tPvRmT1_T2_T3_mT4_P12ihipStream_tbEUlT_E0_NS1_11comp_targetILNS1_3genE9ELNS1_11target_archE1100ELNS1_3gpuE3ELNS1_3repE0EEENS1_30default_config_static_selectorELNS0_4arch9wavefront6targetE0EEEvSQ_
; %bb.0:
	.section	.rodata,"a",@progbits
	.p2align	6, 0x0
	.amdhsa_kernel _ZN7rocprim17ROCPRIM_400000_NS6detail17trampoline_kernelINS0_14default_configENS1_22reduce_config_selectorIiEEZNS1_11reduce_implILb1ES3_PiS7_iN6hipcub16HIPCUB_304000_NS6detail34convert_binary_result_type_wrapperINS9_3SumENS9_22TransformInputIteratorIbN2at6native12_GLOBAL__N_19NonZeroOpIfEEPKflEEiEEEE10hipError_tPvRmT1_T2_T3_mT4_P12ihipStream_tbEUlT_E0_NS1_11comp_targetILNS1_3genE9ELNS1_11target_archE1100ELNS1_3gpuE3ELNS1_3repE0EEENS1_30default_config_static_selectorELNS0_4arch9wavefront6targetE0EEEvSQ_
		.amdhsa_group_segment_fixed_size 0
		.amdhsa_private_segment_fixed_size 0
		.amdhsa_kernarg_size 56
		.amdhsa_user_sgpr_count 2
		.amdhsa_user_sgpr_dispatch_ptr 0
		.amdhsa_user_sgpr_queue_ptr 0
		.amdhsa_user_sgpr_kernarg_segment_ptr 1
		.amdhsa_user_sgpr_dispatch_id 0
		.amdhsa_user_sgpr_private_segment_size 0
		.amdhsa_wavefront_size32 1
		.amdhsa_uses_dynamic_stack 0
		.amdhsa_enable_private_segment 0
		.amdhsa_system_sgpr_workgroup_id_x 1
		.amdhsa_system_sgpr_workgroup_id_y 0
		.amdhsa_system_sgpr_workgroup_id_z 0
		.amdhsa_system_sgpr_workgroup_info 0
		.amdhsa_system_vgpr_workitem_id 0
		.amdhsa_next_free_vgpr 1
		.amdhsa_next_free_sgpr 1
		.amdhsa_reserve_vcc 0
		.amdhsa_float_round_mode_32 0
		.amdhsa_float_round_mode_16_64 0
		.amdhsa_float_denorm_mode_32 3
		.amdhsa_float_denorm_mode_16_64 3
		.amdhsa_fp16_overflow 0
		.amdhsa_workgroup_processor_mode 1
		.amdhsa_memory_ordered 1
		.amdhsa_forward_progress 1
		.amdhsa_inst_pref_size 0
		.amdhsa_round_robin_scheduling 0
		.amdhsa_exception_fp_ieee_invalid_op 0
		.amdhsa_exception_fp_denorm_src 0
		.amdhsa_exception_fp_ieee_div_zero 0
		.amdhsa_exception_fp_ieee_overflow 0
		.amdhsa_exception_fp_ieee_underflow 0
		.amdhsa_exception_fp_ieee_inexact 0
		.amdhsa_exception_int_div_zero 0
	.end_amdhsa_kernel
	.section	.text._ZN7rocprim17ROCPRIM_400000_NS6detail17trampoline_kernelINS0_14default_configENS1_22reduce_config_selectorIiEEZNS1_11reduce_implILb1ES3_PiS7_iN6hipcub16HIPCUB_304000_NS6detail34convert_binary_result_type_wrapperINS9_3SumENS9_22TransformInputIteratorIbN2at6native12_GLOBAL__N_19NonZeroOpIfEEPKflEEiEEEE10hipError_tPvRmT1_T2_T3_mT4_P12ihipStream_tbEUlT_E0_NS1_11comp_targetILNS1_3genE9ELNS1_11target_archE1100ELNS1_3gpuE3ELNS1_3repE0EEENS1_30default_config_static_selectorELNS0_4arch9wavefront6targetE0EEEvSQ_,"axG",@progbits,_ZN7rocprim17ROCPRIM_400000_NS6detail17trampoline_kernelINS0_14default_configENS1_22reduce_config_selectorIiEEZNS1_11reduce_implILb1ES3_PiS7_iN6hipcub16HIPCUB_304000_NS6detail34convert_binary_result_type_wrapperINS9_3SumENS9_22TransformInputIteratorIbN2at6native12_GLOBAL__N_19NonZeroOpIfEEPKflEEiEEEE10hipError_tPvRmT1_T2_T3_mT4_P12ihipStream_tbEUlT_E0_NS1_11comp_targetILNS1_3genE9ELNS1_11target_archE1100ELNS1_3gpuE3ELNS1_3repE0EEENS1_30default_config_static_selectorELNS0_4arch9wavefront6targetE0EEEvSQ_,comdat
.Lfunc_end429:
	.size	_ZN7rocprim17ROCPRIM_400000_NS6detail17trampoline_kernelINS0_14default_configENS1_22reduce_config_selectorIiEEZNS1_11reduce_implILb1ES3_PiS7_iN6hipcub16HIPCUB_304000_NS6detail34convert_binary_result_type_wrapperINS9_3SumENS9_22TransformInputIteratorIbN2at6native12_GLOBAL__N_19NonZeroOpIfEEPKflEEiEEEE10hipError_tPvRmT1_T2_T3_mT4_P12ihipStream_tbEUlT_E0_NS1_11comp_targetILNS1_3genE9ELNS1_11target_archE1100ELNS1_3gpuE3ELNS1_3repE0EEENS1_30default_config_static_selectorELNS0_4arch9wavefront6targetE0EEEvSQ_, .Lfunc_end429-_ZN7rocprim17ROCPRIM_400000_NS6detail17trampoline_kernelINS0_14default_configENS1_22reduce_config_selectorIiEEZNS1_11reduce_implILb1ES3_PiS7_iN6hipcub16HIPCUB_304000_NS6detail34convert_binary_result_type_wrapperINS9_3SumENS9_22TransformInputIteratorIbN2at6native12_GLOBAL__N_19NonZeroOpIfEEPKflEEiEEEE10hipError_tPvRmT1_T2_T3_mT4_P12ihipStream_tbEUlT_E0_NS1_11comp_targetILNS1_3genE9ELNS1_11target_archE1100ELNS1_3gpuE3ELNS1_3repE0EEENS1_30default_config_static_selectorELNS0_4arch9wavefront6targetE0EEEvSQ_
                                        ; -- End function
	.set _ZN7rocprim17ROCPRIM_400000_NS6detail17trampoline_kernelINS0_14default_configENS1_22reduce_config_selectorIiEEZNS1_11reduce_implILb1ES3_PiS7_iN6hipcub16HIPCUB_304000_NS6detail34convert_binary_result_type_wrapperINS9_3SumENS9_22TransformInputIteratorIbN2at6native12_GLOBAL__N_19NonZeroOpIfEEPKflEEiEEEE10hipError_tPvRmT1_T2_T3_mT4_P12ihipStream_tbEUlT_E0_NS1_11comp_targetILNS1_3genE9ELNS1_11target_archE1100ELNS1_3gpuE3ELNS1_3repE0EEENS1_30default_config_static_selectorELNS0_4arch9wavefront6targetE0EEEvSQ_.num_vgpr, 0
	.set _ZN7rocprim17ROCPRIM_400000_NS6detail17trampoline_kernelINS0_14default_configENS1_22reduce_config_selectorIiEEZNS1_11reduce_implILb1ES3_PiS7_iN6hipcub16HIPCUB_304000_NS6detail34convert_binary_result_type_wrapperINS9_3SumENS9_22TransformInputIteratorIbN2at6native12_GLOBAL__N_19NonZeroOpIfEEPKflEEiEEEE10hipError_tPvRmT1_T2_T3_mT4_P12ihipStream_tbEUlT_E0_NS1_11comp_targetILNS1_3genE9ELNS1_11target_archE1100ELNS1_3gpuE3ELNS1_3repE0EEENS1_30default_config_static_selectorELNS0_4arch9wavefront6targetE0EEEvSQ_.num_agpr, 0
	.set _ZN7rocprim17ROCPRIM_400000_NS6detail17trampoline_kernelINS0_14default_configENS1_22reduce_config_selectorIiEEZNS1_11reduce_implILb1ES3_PiS7_iN6hipcub16HIPCUB_304000_NS6detail34convert_binary_result_type_wrapperINS9_3SumENS9_22TransformInputIteratorIbN2at6native12_GLOBAL__N_19NonZeroOpIfEEPKflEEiEEEE10hipError_tPvRmT1_T2_T3_mT4_P12ihipStream_tbEUlT_E0_NS1_11comp_targetILNS1_3genE9ELNS1_11target_archE1100ELNS1_3gpuE3ELNS1_3repE0EEENS1_30default_config_static_selectorELNS0_4arch9wavefront6targetE0EEEvSQ_.numbered_sgpr, 0
	.set _ZN7rocprim17ROCPRIM_400000_NS6detail17trampoline_kernelINS0_14default_configENS1_22reduce_config_selectorIiEEZNS1_11reduce_implILb1ES3_PiS7_iN6hipcub16HIPCUB_304000_NS6detail34convert_binary_result_type_wrapperINS9_3SumENS9_22TransformInputIteratorIbN2at6native12_GLOBAL__N_19NonZeroOpIfEEPKflEEiEEEE10hipError_tPvRmT1_T2_T3_mT4_P12ihipStream_tbEUlT_E0_NS1_11comp_targetILNS1_3genE9ELNS1_11target_archE1100ELNS1_3gpuE3ELNS1_3repE0EEENS1_30default_config_static_selectorELNS0_4arch9wavefront6targetE0EEEvSQ_.num_named_barrier, 0
	.set _ZN7rocprim17ROCPRIM_400000_NS6detail17trampoline_kernelINS0_14default_configENS1_22reduce_config_selectorIiEEZNS1_11reduce_implILb1ES3_PiS7_iN6hipcub16HIPCUB_304000_NS6detail34convert_binary_result_type_wrapperINS9_3SumENS9_22TransformInputIteratorIbN2at6native12_GLOBAL__N_19NonZeroOpIfEEPKflEEiEEEE10hipError_tPvRmT1_T2_T3_mT4_P12ihipStream_tbEUlT_E0_NS1_11comp_targetILNS1_3genE9ELNS1_11target_archE1100ELNS1_3gpuE3ELNS1_3repE0EEENS1_30default_config_static_selectorELNS0_4arch9wavefront6targetE0EEEvSQ_.private_seg_size, 0
	.set _ZN7rocprim17ROCPRIM_400000_NS6detail17trampoline_kernelINS0_14default_configENS1_22reduce_config_selectorIiEEZNS1_11reduce_implILb1ES3_PiS7_iN6hipcub16HIPCUB_304000_NS6detail34convert_binary_result_type_wrapperINS9_3SumENS9_22TransformInputIteratorIbN2at6native12_GLOBAL__N_19NonZeroOpIfEEPKflEEiEEEE10hipError_tPvRmT1_T2_T3_mT4_P12ihipStream_tbEUlT_E0_NS1_11comp_targetILNS1_3genE9ELNS1_11target_archE1100ELNS1_3gpuE3ELNS1_3repE0EEENS1_30default_config_static_selectorELNS0_4arch9wavefront6targetE0EEEvSQ_.uses_vcc, 0
	.set _ZN7rocprim17ROCPRIM_400000_NS6detail17trampoline_kernelINS0_14default_configENS1_22reduce_config_selectorIiEEZNS1_11reduce_implILb1ES3_PiS7_iN6hipcub16HIPCUB_304000_NS6detail34convert_binary_result_type_wrapperINS9_3SumENS9_22TransformInputIteratorIbN2at6native12_GLOBAL__N_19NonZeroOpIfEEPKflEEiEEEE10hipError_tPvRmT1_T2_T3_mT4_P12ihipStream_tbEUlT_E0_NS1_11comp_targetILNS1_3genE9ELNS1_11target_archE1100ELNS1_3gpuE3ELNS1_3repE0EEENS1_30default_config_static_selectorELNS0_4arch9wavefront6targetE0EEEvSQ_.uses_flat_scratch, 0
	.set _ZN7rocprim17ROCPRIM_400000_NS6detail17trampoline_kernelINS0_14default_configENS1_22reduce_config_selectorIiEEZNS1_11reduce_implILb1ES3_PiS7_iN6hipcub16HIPCUB_304000_NS6detail34convert_binary_result_type_wrapperINS9_3SumENS9_22TransformInputIteratorIbN2at6native12_GLOBAL__N_19NonZeroOpIfEEPKflEEiEEEE10hipError_tPvRmT1_T2_T3_mT4_P12ihipStream_tbEUlT_E0_NS1_11comp_targetILNS1_3genE9ELNS1_11target_archE1100ELNS1_3gpuE3ELNS1_3repE0EEENS1_30default_config_static_selectorELNS0_4arch9wavefront6targetE0EEEvSQ_.has_dyn_sized_stack, 0
	.set _ZN7rocprim17ROCPRIM_400000_NS6detail17trampoline_kernelINS0_14default_configENS1_22reduce_config_selectorIiEEZNS1_11reduce_implILb1ES3_PiS7_iN6hipcub16HIPCUB_304000_NS6detail34convert_binary_result_type_wrapperINS9_3SumENS9_22TransformInputIteratorIbN2at6native12_GLOBAL__N_19NonZeroOpIfEEPKflEEiEEEE10hipError_tPvRmT1_T2_T3_mT4_P12ihipStream_tbEUlT_E0_NS1_11comp_targetILNS1_3genE9ELNS1_11target_archE1100ELNS1_3gpuE3ELNS1_3repE0EEENS1_30default_config_static_selectorELNS0_4arch9wavefront6targetE0EEEvSQ_.has_recursion, 0
	.set _ZN7rocprim17ROCPRIM_400000_NS6detail17trampoline_kernelINS0_14default_configENS1_22reduce_config_selectorIiEEZNS1_11reduce_implILb1ES3_PiS7_iN6hipcub16HIPCUB_304000_NS6detail34convert_binary_result_type_wrapperINS9_3SumENS9_22TransformInputIteratorIbN2at6native12_GLOBAL__N_19NonZeroOpIfEEPKflEEiEEEE10hipError_tPvRmT1_T2_T3_mT4_P12ihipStream_tbEUlT_E0_NS1_11comp_targetILNS1_3genE9ELNS1_11target_archE1100ELNS1_3gpuE3ELNS1_3repE0EEENS1_30default_config_static_selectorELNS0_4arch9wavefront6targetE0EEEvSQ_.has_indirect_call, 0
	.section	.AMDGPU.csdata,"",@progbits
; Kernel info:
; codeLenInByte = 0
; TotalNumSgprs: 0
; NumVgprs: 0
; ScratchSize: 0
; MemoryBound: 0
; FloatMode: 240
; IeeeMode: 1
; LDSByteSize: 0 bytes/workgroup (compile time only)
; SGPRBlocks: 0
; VGPRBlocks: 0
; NumSGPRsForWavesPerEU: 1
; NumVGPRsForWavesPerEU: 1
; Occupancy: 16
; WaveLimiterHint : 0
; COMPUTE_PGM_RSRC2:SCRATCH_EN: 0
; COMPUTE_PGM_RSRC2:USER_SGPR: 2
; COMPUTE_PGM_RSRC2:TRAP_HANDLER: 0
; COMPUTE_PGM_RSRC2:TGID_X_EN: 1
; COMPUTE_PGM_RSRC2:TGID_Y_EN: 0
; COMPUTE_PGM_RSRC2:TGID_Z_EN: 0
; COMPUTE_PGM_RSRC2:TIDIG_COMP_CNT: 0
	.section	.text._ZN7rocprim17ROCPRIM_400000_NS6detail17trampoline_kernelINS0_14default_configENS1_22reduce_config_selectorIiEEZNS1_11reduce_implILb1ES3_PiS7_iN6hipcub16HIPCUB_304000_NS6detail34convert_binary_result_type_wrapperINS9_3SumENS9_22TransformInputIteratorIbN2at6native12_GLOBAL__N_19NonZeroOpIfEEPKflEEiEEEE10hipError_tPvRmT1_T2_T3_mT4_P12ihipStream_tbEUlT_E0_NS1_11comp_targetILNS1_3genE8ELNS1_11target_archE1030ELNS1_3gpuE2ELNS1_3repE0EEENS1_30default_config_static_selectorELNS0_4arch9wavefront6targetE0EEEvSQ_,"axG",@progbits,_ZN7rocprim17ROCPRIM_400000_NS6detail17trampoline_kernelINS0_14default_configENS1_22reduce_config_selectorIiEEZNS1_11reduce_implILb1ES3_PiS7_iN6hipcub16HIPCUB_304000_NS6detail34convert_binary_result_type_wrapperINS9_3SumENS9_22TransformInputIteratorIbN2at6native12_GLOBAL__N_19NonZeroOpIfEEPKflEEiEEEE10hipError_tPvRmT1_T2_T3_mT4_P12ihipStream_tbEUlT_E0_NS1_11comp_targetILNS1_3genE8ELNS1_11target_archE1030ELNS1_3gpuE2ELNS1_3repE0EEENS1_30default_config_static_selectorELNS0_4arch9wavefront6targetE0EEEvSQ_,comdat
	.globl	_ZN7rocprim17ROCPRIM_400000_NS6detail17trampoline_kernelINS0_14default_configENS1_22reduce_config_selectorIiEEZNS1_11reduce_implILb1ES3_PiS7_iN6hipcub16HIPCUB_304000_NS6detail34convert_binary_result_type_wrapperINS9_3SumENS9_22TransformInputIteratorIbN2at6native12_GLOBAL__N_19NonZeroOpIfEEPKflEEiEEEE10hipError_tPvRmT1_T2_T3_mT4_P12ihipStream_tbEUlT_E0_NS1_11comp_targetILNS1_3genE8ELNS1_11target_archE1030ELNS1_3gpuE2ELNS1_3repE0EEENS1_30default_config_static_selectorELNS0_4arch9wavefront6targetE0EEEvSQ_ ; -- Begin function _ZN7rocprim17ROCPRIM_400000_NS6detail17trampoline_kernelINS0_14default_configENS1_22reduce_config_selectorIiEEZNS1_11reduce_implILb1ES3_PiS7_iN6hipcub16HIPCUB_304000_NS6detail34convert_binary_result_type_wrapperINS9_3SumENS9_22TransformInputIteratorIbN2at6native12_GLOBAL__N_19NonZeroOpIfEEPKflEEiEEEE10hipError_tPvRmT1_T2_T3_mT4_P12ihipStream_tbEUlT_E0_NS1_11comp_targetILNS1_3genE8ELNS1_11target_archE1030ELNS1_3gpuE2ELNS1_3repE0EEENS1_30default_config_static_selectorELNS0_4arch9wavefront6targetE0EEEvSQ_
	.p2align	8
	.type	_ZN7rocprim17ROCPRIM_400000_NS6detail17trampoline_kernelINS0_14default_configENS1_22reduce_config_selectorIiEEZNS1_11reduce_implILb1ES3_PiS7_iN6hipcub16HIPCUB_304000_NS6detail34convert_binary_result_type_wrapperINS9_3SumENS9_22TransformInputIteratorIbN2at6native12_GLOBAL__N_19NonZeroOpIfEEPKflEEiEEEE10hipError_tPvRmT1_T2_T3_mT4_P12ihipStream_tbEUlT_E0_NS1_11comp_targetILNS1_3genE8ELNS1_11target_archE1030ELNS1_3gpuE2ELNS1_3repE0EEENS1_30default_config_static_selectorELNS0_4arch9wavefront6targetE0EEEvSQ_,@function
_ZN7rocprim17ROCPRIM_400000_NS6detail17trampoline_kernelINS0_14default_configENS1_22reduce_config_selectorIiEEZNS1_11reduce_implILb1ES3_PiS7_iN6hipcub16HIPCUB_304000_NS6detail34convert_binary_result_type_wrapperINS9_3SumENS9_22TransformInputIteratorIbN2at6native12_GLOBAL__N_19NonZeroOpIfEEPKflEEiEEEE10hipError_tPvRmT1_T2_T3_mT4_P12ihipStream_tbEUlT_E0_NS1_11comp_targetILNS1_3genE8ELNS1_11target_archE1030ELNS1_3gpuE2ELNS1_3repE0EEENS1_30default_config_static_selectorELNS0_4arch9wavefront6targetE0EEEvSQ_: ; @_ZN7rocprim17ROCPRIM_400000_NS6detail17trampoline_kernelINS0_14default_configENS1_22reduce_config_selectorIiEEZNS1_11reduce_implILb1ES3_PiS7_iN6hipcub16HIPCUB_304000_NS6detail34convert_binary_result_type_wrapperINS9_3SumENS9_22TransformInputIteratorIbN2at6native12_GLOBAL__N_19NonZeroOpIfEEPKflEEiEEEE10hipError_tPvRmT1_T2_T3_mT4_P12ihipStream_tbEUlT_E0_NS1_11comp_targetILNS1_3genE8ELNS1_11target_archE1030ELNS1_3gpuE2ELNS1_3repE0EEENS1_30default_config_static_selectorELNS0_4arch9wavefront6targetE0EEEvSQ_
; %bb.0:
	.section	.rodata,"a",@progbits
	.p2align	6, 0x0
	.amdhsa_kernel _ZN7rocprim17ROCPRIM_400000_NS6detail17trampoline_kernelINS0_14default_configENS1_22reduce_config_selectorIiEEZNS1_11reduce_implILb1ES3_PiS7_iN6hipcub16HIPCUB_304000_NS6detail34convert_binary_result_type_wrapperINS9_3SumENS9_22TransformInputIteratorIbN2at6native12_GLOBAL__N_19NonZeroOpIfEEPKflEEiEEEE10hipError_tPvRmT1_T2_T3_mT4_P12ihipStream_tbEUlT_E0_NS1_11comp_targetILNS1_3genE8ELNS1_11target_archE1030ELNS1_3gpuE2ELNS1_3repE0EEENS1_30default_config_static_selectorELNS0_4arch9wavefront6targetE0EEEvSQ_
		.amdhsa_group_segment_fixed_size 0
		.amdhsa_private_segment_fixed_size 0
		.amdhsa_kernarg_size 56
		.amdhsa_user_sgpr_count 2
		.amdhsa_user_sgpr_dispatch_ptr 0
		.amdhsa_user_sgpr_queue_ptr 0
		.amdhsa_user_sgpr_kernarg_segment_ptr 1
		.amdhsa_user_sgpr_dispatch_id 0
		.amdhsa_user_sgpr_private_segment_size 0
		.amdhsa_wavefront_size32 1
		.amdhsa_uses_dynamic_stack 0
		.amdhsa_enable_private_segment 0
		.amdhsa_system_sgpr_workgroup_id_x 1
		.amdhsa_system_sgpr_workgroup_id_y 0
		.amdhsa_system_sgpr_workgroup_id_z 0
		.amdhsa_system_sgpr_workgroup_info 0
		.amdhsa_system_vgpr_workitem_id 0
		.amdhsa_next_free_vgpr 1
		.amdhsa_next_free_sgpr 1
		.amdhsa_reserve_vcc 0
		.amdhsa_float_round_mode_32 0
		.amdhsa_float_round_mode_16_64 0
		.amdhsa_float_denorm_mode_32 3
		.amdhsa_float_denorm_mode_16_64 3
		.amdhsa_fp16_overflow 0
		.amdhsa_workgroup_processor_mode 1
		.amdhsa_memory_ordered 1
		.amdhsa_forward_progress 1
		.amdhsa_inst_pref_size 0
		.amdhsa_round_robin_scheduling 0
		.amdhsa_exception_fp_ieee_invalid_op 0
		.amdhsa_exception_fp_denorm_src 0
		.amdhsa_exception_fp_ieee_div_zero 0
		.amdhsa_exception_fp_ieee_overflow 0
		.amdhsa_exception_fp_ieee_underflow 0
		.amdhsa_exception_fp_ieee_inexact 0
		.amdhsa_exception_int_div_zero 0
	.end_amdhsa_kernel
	.section	.text._ZN7rocprim17ROCPRIM_400000_NS6detail17trampoline_kernelINS0_14default_configENS1_22reduce_config_selectorIiEEZNS1_11reduce_implILb1ES3_PiS7_iN6hipcub16HIPCUB_304000_NS6detail34convert_binary_result_type_wrapperINS9_3SumENS9_22TransformInputIteratorIbN2at6native12_GLOBAL__N_19NonZeroOpIfEEPKflEEiEEEE10hipError_tPvRmT1_T2_T3_mT4_P12ihipStream_tbEUlT_E0_NS1_11comp_targetILNS1_3genE8ELNS1_11target_archE1030ELNS1_3gpuE2ELNS1_3repE0EEENS1_30default_config_static_selectorELNS0_4arch9wavefront6targetE0EEEvSQ_,"axG",@progbits,_ZN7rocprim17ROCPRIM_400000_NS6detail17trampoline_kernelINS0_14default_configENS1_22reduce_config_selectorIiEEZNS1_11reduce_implILb1ES3_PiS7_iN6hipcub16HIPCUB_304000_NS6detail34convert_binary_result_type_wrapperINS9_3SumENS9_22TransformInputIteratorIbN2at6native12_GLOBAL__N_19NonZeroOpIfEEPKflEEiEEEE10hipError_tPvRmT1_T2_T3_mT4_P12ihipStream_tbEUlT_E0_NS1_11comp_targetILNS1_3genE8ELNS1_11target_archE1030ELNS1_3gpuE2ELNS1_3repE0EEENS1_30default_config_static_selectorELNS0_4arch9wavefront6targetE0EEEvSQ_,comdat
.Lfunc_end430:
	.size	_ZN7rocprim17ROCPRIM_400000_NS6detail17trampoline_kernelINS0_14default_configENS1_22reduce_config_selectorIiEEZNS1_11reduce_implILb1ES3_PiS7_iN6hipcub16HIPCUB_304000_NS6detail34convert_binary_result_type_wrapperINS9_3SumENS9_22TransformInputIteratorIbN2at6native12_GLOBAL__N_19NonZeroOpIfEEPKflEEiEEEE10hipError_tPvRmT1_T2_T3_mT4_P12ihipStream_tbEUlT_E0_NS1_11comp_targetILNS1_3genE8ELNS1_11target_archE1030ELNS1_3gpuE2ELNS1_3repE0EEENS1_30default_config_static_selectorELNS0_4arch9wavefront6targetE0EEEvSQ_, .Lfunc_end430-_ZN7rocprim17ROCPRIM_400000_NS6detail17trampoline_kernelINS0_14default_configENS1_22reduce_config_selectorIiEEZNS1_11reduce_implILb1ES3_PiS7_iN6hipcub16HIPCUB_304000_NS6detail34convert_binary_result_type_wrapperINS9_3SumENS9_22TransformInputIteratorIbN2at6native12_GLOBAL__N_19NonZeroOpIfEEPKflEEiEEEE10hipError_tPvRmT1_T2_T3_mT4_P12ihipStream_tbEUlT_E0_NS1_11comp_targetILNS1_3genE8ELNS1_11target_archE1030ELNS1_3gpuE2ELNS1_3repE0EEENS1_30default_config_static_selectorELNS0_4arch9wavefront6targetE0EEEvSQ_
                                        ; -- End function
	.set _ZN7rocprim17ROCPRIM_400000_NS6detail17trampoline_kernelINS0_14default_configENS1_22reduce_config_selectorIiEEZNS1_11reduce_implILb1ES3_PiS7_iN6hipcub16HIPCUB_304000_NS6detail34convert_binary_result_type_wrapperINS9_3SumENS9_22TransformInputIteratorIbN2at6native12_GLOBAL__N_19NonZeroOpIfEEPKflEEiEEEE10hipError_tPvRmT1_T2_T3_mT4_P12ihipStream_tbEUlT_E0_NS1_11comp_targetILNS1_3genE8ELNS1_11target_archE1030ELNS1_3gpuE2ELNS1_3repE0EEENS1_30default_config_static_selectorELNS0_4arch9wavefront6targetE0EEEvSQ_.num_vgpr, 0
	.set _ZN7rocprim17ROCPRIM_400000_NS6detail17trampoline_kernelINS0_14default_configENS1_22reduce_config_selectorIiEEZNS1_11reduce_implILb1ES3_PiS7_iN6hipcub16HIPCUB_304000_NS6detail34convert_binary_result_type_wrapperINS9_3SumENS9_22TransformInputIteratorIbN2at6native12_GLOBAL__N_19NonZeroOpIfEEPKflEEiEEEE10hipError_tPvRmT1_T2_T3_mT4_P12ihipStream_tbEUlT_E0_NS1_11comp_targetILNS1_3genE8ELNS1_11target_archE1030ELNS1_3gpuE2ELNS1_3repE0EEENS1_30default_config_static_selectorELNS0_4arch9wavefront6targetE0EEEvSQ_.num_agpr, 0
	.set _ZN7rocprim17ROCPRIM_400000_NS6detail17trampoline_kernelINS0_14default_configENS1_22reduce_config_selectorIiEEZNS1_11reduce_implILb1ES3_PiS7_iN6hipcub16HIPCUB_304000_NS6detail34convert_binary_result_type_wrapperINS9_3SumENS9_22TransformInputIteratorIbN2at6native12_GLOBAL__N_19NonZeroOpIfEEPKflEEiEEEE10hipError_tPvRmT1_T2_T3_mT4_P12ihipStream_tbEUlT_E0_NS1_11comp_targetILNS1_3genE8ELNS1_11target_archE1030ELNS1_3gpuE2ELNS1_3repE0EEENS1_30default_config_static_selectorELNS0_4arch9wavefront6targetE0EEEvSQ_.numbered_sgpr, 0
	.set _ZN7rocprim17ROCPRIM_400000_NS6detail17trampoline_kernelINS0_14default_configENS1_22reduce_config_selectorIiEEZNS1_11reduce_implILb1ES3_PiS7_iN6hipcub16HIPCUB_304000_NS6detail34convert_binary_result_type_wrapperINS9_3SumENS9_22TransformInputIteratorIbN2at6native12_GLOBAL__N_19NonZeroOpIfEEPKflEEiEEEE10hipError_tPvRmT1_T2_T3_mT4_P12ihipStream_tbEUlT_E0_NS1_11comp_targetILNS1_3genE8ELNS1_11target_archE1030ELNS1_3gpuE2ELNS1_3repE0EEENS1_30default_config_static_selectorELNS0_4arch9wavefront6targetE0EEEvSQ_.num_named_barrier, 0
	.set _ZN7rocprim17ROCPRIM_400000_NS6detail17trampoline_kernelINS0_14default_configENS1_22reduce_config_selectorIiEEZNS1_11reduce_implILb1ES3_PiS7_iN6hipcub16HIPCUB_304000_NS6detail34convert_binary_result_type_wrapperINS9_3SumENS9_22TransformInputIteratorIbN2at6native12_GLOBAL__N_19NonZeroOpIfEEPKflEEiEEEE10hipError_tPvRmT1_T2_T3_mT4_P12ihipStream_tbEUlT_E0_NS1_11comp_targetILNS1_3genE8ELNS1_11target_archE1030ELNS1_3gpuE2ELNS1_3repE0EEENS1_30default_config_static_selectorELNS0_4arch9wavefront6targetE0EEEvSQ_.private_seg_size, 0
	.set _ZN7rocprim17ROCPRIM_400000_NS6detail17trampoline_kernelINS0_14default_configENS1_22reduce_config_selectorIiEEZNS1_11reduce_implILb1ES3_PiS7_iN6hipcub16HIPCUB_304000_NS6detail34convert_binary_result_type_wrapperINS9_3SumENS9_22TransformInputIteratorIbN2at6native12_GLOBAL__N_19NonZeroOpIfEEPKflEEiEEEE10hipError_tPvRmT1_T2_T3_mT4_P12ihipStream_tbEUlT_E0_NS1_11comp_targetILNS1_3genE8ELNS1_11target_archE1030ELNS1_3gpuE2ELNS1_3repE0EEENS1_30default_config_static_selectorELNS0_4arch9wavefront6targetE0EEEvSQ_.uses_vcc, 0
	.set _ZN7rocprim17ROCPRIM_400000_NS6detail17trampoline_kernelINS0_14default_configENS1_22reduce_config_selectorIiEEZNS1_11reduce_implILb1ES3_PiS7_iN6hipcub16HIPCUB_304000_NS6detail34convert_binary_result_type_wrapperINS9_3SumENS9_22TransformInputIteratorIbN2at6native12_GLOBAL__N_19NonZeroOpIfEEPKflEEiEEEE10hipError_tPvRmT1_T2_T3_mT4_P12ihipStream_tbEUlT_E0_NS1_11comp_targetILNS1_3genE8ELNS1_11target_archE1030ELNS1_3gpuE2ELNS1_3repE0EEENS1_30default_config_static_selectorELNS0_4arch9wavefront6targetE0EEEvSQ_.uses_flat_scratch, 0
	.set _ZN7rocprim17ROCPRIM_400000_NS6detail17trampoline_kernelINS0_14default_configENS1_22reduce_config_selectorIiEEZNS1_11reduce_implILb1ES3_PiS7_iN6hipcub16HIPCUB_304000_NS6detail34convert_binary_result_type_wrapperINS9_3SumENS9_22TransformInputIteratorIbN2at6native12_GLOBAL__N_19NonZeroOpIfEEPKflEEiEEEE10hipError_tPvRmT1_T2_T3_mT4_P12ihipStream_tbEUlT_E0_NS1_11comp_targetILNS1_3genE8ELNS1_11target_archE1030ELNS1_3gpuE2ELNS1_3repE0EEENS1_30default_config_static_selectorELNS0_4arch9wavefront6targetE0EEEvSQ_.has_dyn_sized_stack, 0
	.set _ZN7rocprim17ROCPRIM_400000_NS6detail17trampoline_kernelINS0_14default_configENS1_22reduce_config_selectorIiEEZNS1_11reduce_implILb1ES3_PiS7_iN6hipcub16HIPCUB_304000_NS6detail34convert_binary_result_type_wrapperINS9_3SumENS9_22TransformInputIteratorIbN2at6native12_GLOBAL__N_19NonZeroOpIfEEPKflEEiEEEE10hipError_tPvRmT1_T2_T3_mT4_P12ihipStream_tbEUlT_E0_NS1_11comp_targetILNS1_3genE8ELNS1_11target_archE1030ELNS1_3gpuE2ELNS1_3repE0EEENS1_30default_config_static_selectorELNS0_4arch9wavefront6targetE0EEEvSQ_.has_recursion, 0
	.set _ZN7rocprim17ROCPRIM_400000_NS6detail17trampoline_kernelINS0_14default_configENS1_22reduce_config_selectorIiEEZNS1_11reduce_implILb1ES3_PiS7_iN6hipcub16HIPCUB_304000_NS6detail34convert_binary_result_type_wrapperINS9_3SumENS9_22TransformInputIteratorIbN2at6native12_GLOBAL__N_19NonZeroOpIfEEPKflEEiEEEE10hipError_tPvRmT1_T2_T3_mT4_P12ihipStream_tbEUlT_E0_NS1_11comp_targetILNS1_3genE8ELNS1_11target_archE1030ELNS1_3gpuE2ELNS1_3repE0EEENS1_30default_config_static_selectorELNS0_4arch9wavefront6targetE0EEEvSQ_.has_indirect_call, 0
	.section	.AMDGPU.csdata,"",@progbits
; Kernel info:
; codeLenInByte = 0
; TotalNumSgprs: 0
; NumVgprs: 0
; ScratchSize: 0
; MemoryBound: 0
; FloatMode: 240
; IeeeMode: 1
; LDSByteSize: 0 bytes/workgroup (compile time only)
; SGPRBlocks: 0
; VGPRBlocks: 0
; NumSGPRsForWavesPerEU: 1
; NumVGPRsForWavesPerEU: 1
; Occupancy: 16
; WaveLimiterHint : 0
; COMPUTE_PGM_RSRC2:SCRATCH_EN: 0
; COMPUTE_PGM_RSRC2:USER_SGPR: 2
; COMPUTE_PGM_RSRC2:TRAP_HANDLER: 0
; COMPUTE_PGM_RSRC2:TGID_X_EN: 1
; COMPUTE_PGM_RSRC2:TGID_Y_EN: 0
; COMPUTE_PGM_RSRC2:TGID_Z_EN: 0
; COMPUTE_PGM_RSRC2:TIDIG_COMP_CNT: 0
	.section	.text._ZN7rocprim17ROCPRIM_400000_NS6detail17trampoline_kernelINS0_14default_configENS1_22reduce_config_selectorIiEEZNS1_11reduce_implILb1ES3_PiS7_iN6hipcub16HIPCUB_304000_NS6detail34convert_binary_result_type_wrapperINS9_3SumENS9_22TransformInputIteratorIbN2at6native12_GLOBAL__N_19NonZeroOpIfEEPKflEEiEEEE10hipError_tPvRmT1_T2_T3_mT4_P12ihipStream_tbEUlT_E1_NS1_11comp_targetILNS1_3genE0ELNS1_11target_archE4294967295ELNS1_3gpuE0ELNS1_3repE0EEENS1_30default_config_static_selectorELNS0_4arch9wavefront6targetE0EEEvSQ_,"axG",@progbits,_ZN7rocprim17ROCPRIM_400000_NS6detail17trampoline_kernelINS0_14default_configENS1_22reduce_config_selectorIiEEZNS1_11reduce_implILb1ES3_PiS7_iN6hipcub16HIPCUB_304000_NS6detail34convert_binary_result_type_wrapperINS9_3SumENS9_22TransformInputIteratorIbN2at6native12_GLOBAL__N_19NonZeroOpIfEEPKflEEiEEEE10hipError_tPvRmT1_T2_T3_mT4_P12ihipStream_tbEUlT_E1_NS1_11comp_targetILNS1_3genE0ELNS1_11target_archE4294967295ELNS1_3gpuE0ELNS1_3repE0EEENS1_30default_config_static_selectorELNS0_4arch9wavefront6targetE0EEEvSQ_,comdat
	.globl	_ZN7rocprim17ROCPRIM_400000_NS6detail17trampoline_kernelINS0_14default_configENS1_22reduce_config_selectorIiEEZNS1_11reduce_implILb1ES3_PiS7_iN6hipcub16HIPCUB_304000_NS6detail34convert_binary_result_type_wrapperINS9_3SumENS9_22TransformInputIteratorIbN2at6native12_GLOBAL__N_19NonZeroOpIfEEPKflEEiEEEE10hipError_tPvRmT1_T2_T3_mT4_P12ihipStream_tbEUlT_E1_NS1_11comp_targetILNS1_3genE0ELNS1_11target_archE4294967295ELNS1_3gpuE0ELNS1_3repE0EEENS1_30default_config_static_selectorELNS0_4arch9wavefront6targetE0EEEvSQ_ ; -- Begin function _ZN7rocprim17ROCPRIM_400000_NS6detail17trampoline_kernelINS0_14default_configENS1_22reduce_config_selectorIiEEZNS1_11reduce_implILb1ES3_PiS7_iN6hipcub16HIPCUB_304000_NS6detail34convert_binary_result_type_wrapperINS9_3SumENS9_22TransformInputIteratorIbN2at6native12_GLOBAL__N_19NonZeroOpIfEEPKflEEiEEEE10hipError_tPvRmT1_T2_T3_mT4_P12ihipStream_tbEUlT_E1_NS1_11comp_targetILNS1_3genE0ELNS1_11target_archE4294967295ELNS1_3gpuE0ELNS1_3repE0EEENS1_30default_config_static_selectorELNS0_4arch9wavefront6targetE0EEEvSQ_
	.p2align	8
	.type	_ZN7rocprim17ROCPRIM_400000_NS6detail17trampoline_kernelINS0_14default_configENS1_22reduce_config_selectorIiEEZNS1_11reduce_implILb1ES3_PiS7_iN6hipcub16HIPCUB_304000_NS6detail34convert_binary_result_type_wrapperINS9_3SumENS9_22TransformInputIteratorIbN2at6native12_GLOBAL__N_19NonZeroOpIfEEPKflEEiEEEE10hipError_tPvRmT1_T2_T3_mT4_P12ihipStream_tbEUlT_E1_NS1_11comp_targetILNS1_3genE0ELNS1_11target_archE4294967295ELNS1_3gpuE0ELNS1_3repE0EEENS1_30default_config_static_selectorELNS0_4arch9wavefront6targetE0EEEvSQ_,@function
_ZN7rocprim17ROCPRIM_400000_NS6detail17trampoline_kernelINS0_14default_configENS1_22reduce_config_selectorIiEEZNS1_11reduce_implILb1ES3_PiS7_iN6hipcub16HIPCUB_304000_NS6detail34convert_binary_result_type_wrapperINS9_3SumENS9_22TransformInputIteratorIbN2at6native12_GLOBAL__N_19NonZeroOpIfEEPKflEEiEEEE10hipError_tPvRmT1_T2_T3_mT4_P12ihipStream_tbEUlT_E1_NS1_11comp_targetILNS1_3genE0ELNS1_11target_archE4294967295ELNS1_3gpuE0ELNS1_3repE0EEENS1_30default_config_static_selectorELNS0_4arch9wavefront6targetE0EEEvSQ_: ; @_ZN7rocprim17ROCPRIM_400000_NS6detail17trampoline_kernelINS0_14default_configENS1_22reduce_config_selectorIiEEZNS1_11reduce_implILb1ES3_PiS7_iN6hipcub16HIPCUB_304000_NS6detail34convert_binary_result_type_wrapperINS9_3SumENS9_22TransformInputIteratorIbN2at6native12_GLOBAL__N_19NonZeroOpIfEEPKflEEiEEEE10hipError_tPvRmT1_T2_T3_mT4_P12ihipStream_tbEUlT_E1_NS1_11comp_targetILNS1_3genE0ELNS1_11target_archE4294967295ELNS1_3gpuE0ELNS1_3repE0EEENS1_30default_config_static_selectorELNS0_4arch9wavefront6targetE0EEEvSQ_
; %bb.0:
	.section	.rodata,"a",@progbits
	.p2align	6, 0x0
	.amdhsa_kernel _ZN7rocprim17ROCPRIM_400000_NS6detail17trampoline_kernelINS0_14default_configENS1_22reduce_config_selectorIiEEZNS1_11reduce_implILb1ES3_PiS7_iN6hipcub16HIPCUB_304000_NS6detail34convert_binary_result_type_wrapperINS9_3SumENS9_22TransformInputIteratorIbN2at6native12_GLOBAL__N_19NonZeroOpIfEEPKflEEiEEEE10hipError_tPvRmT1_T2_T3_mT4_P12ihipStream_tbEUlT_E1_NS1_11comp_targetILNS1_3genE0ELNS1_11target_archE4294967295ELNS1_3gpuE0ELNS1_3repE0EEENS1_30default_config_static_selectorELNS0_4arch9wavefront6targetE0EEEvSQ_
		.amdhsa_group_segment_fixed_size 0
		.amdhsa_private_segment_fixed_size 0
		.amdhsa_kernarg_size 40
		.amdhsa_user_sgpr_count 2
		.amdhsa_user_sgpr_dispatch_ptr 0
		.amdhsa_user_sgpr_queue_ptr 0
		.amdhsa_user_sgpr_kernarg_segment_ptr 1
		.amdhsa_user_sgpr_dispatch_id 0
		.amdhsa_user_sgpr_private_segment_size 0
		.amdhsa_wavefront_size32 1
		.amdhsa_uses_dynamic_stack 0
		.amdhsa_enable_private_segment 0
		.amdhsa_system_sgpr_workgroup_id_x 1
		.amdhsa_system_sgpr_workgroup_id_y 0
		.amdhsa_system_sgpr_workgroup_id_z 0
		.amdhsa_system_sgpr_workgroup_info 0
		.amdhsa_system_vgpr_workitem_id 0
		.amdhsa_next_free_vgpr 1
		.amdhsa_next_free_sgpr 1
		.amdhsa_reserve_vcc 0
		.amdhsa_float_round_mode_32 0
		.amdhsa_float_round_mode_16_64 0
		.amdhsa_float_denorm_mode_32 3
		.amdhsa_float_denorm_mode_16_64 3
		.amdhsa_fp16_overflow 0
		.amdhsa_workgroup_processor_mode 1
		.amdhsa_memory_ordered 1
		.amdhsa_forward_progress 1
		.amdhsa_inst_pref_size 0
		.amdhsa_round_robin_scheduling 0
		.amdhsa_exception_fp_ieee_invalid_op 0
		.amdhsa_exception_fp_denorm_src 0
		.amdhsa_exception_fp_ieee_div_zero 0
		.amdhsa_exception_fp_ieee_overflow 0
		.amdhsa_exception_fp_ieee_underflow 0
		.amdhsa_exception_fp_ieee_inexact 0
		.amdhsa_exception_int_div_zero 0
	.end_amdhsa_kernel
	.section	.text._ZN7rocprim17ROCPRIM_400000_NS6detail17trampoline_kernelINS0_14default_configENS1_22reduce_config_selectorIiEEZNS1_11reduce_implILb1ES3_PiS7_iN6hipcub16HIPCUB_304000_NS6detail34convert_binary_result_type_wrapperINS9_3SumENS9_22TransformInputIteratorIbN2at6native12_GLOBAL__N_19NonZeroOpIfEEPKflEEiEEEE10hipError_tPvRmT1_T2_T3_mT4_P12ihipStream_tbEUlT_E1_NS1_11comp_targetILNS1_3genE0ELNS1_11target_archE4294967295ELNS1_3gpuE0ELNS1_3repE0EEENS1_30default_config_static_selectorELNS0_4arch9wavefront6targetE0EEEvSQ_,"axG",@progbits,_ZN7rocprim17ROCPRIM_400000_NS6detail17trampoline_kernelINS0_14default_configENS1_22reduce_config_selectorIiEEZNS1_11reduce_implILb1ES3_PiS7_iN6hipcub16HIPCUB_304000_NS6detail34convert_binary_result_type_wrapperINS9_3SumENS9_22TransformInputIteratorIbN2at6native12_GLOBAL__N_19NonZeroOpIfEEPKflEEiEEEE10hipError_tPvRmT1_T2_T3_mT4_P12ihipStream_tbEUlT_E1_NS1_11comp_targetILNS1_3genE0ELNS1_11target_archE4294967295ELNS1_3gpuE0ELNS1_3repE0EEENS1_30default_config_static_selectorELNS0_4arch9wavefront6targetE0EEEvSQ_,comdat
.Lfunc_end431:
	.size	_ZN7rocprim17ROCPRIM_400000_NS6detail17trampoline_kernelINS0_14default_configENS1_22reduce_config_selectorIiEEZNS1_11reduce_implILb1ES3_PiS7_iN6hipcub16HIPCUB_304000_NS6detail34convert_binary_result_type_wrapperINS9_3SumENS9_22TransformInputIteratorIbN2at6native12_GLOBAL__N_19NonZeroOpIfEEPKflEEiEEEE10hipError_tPvRmT1_T2_T3_mT4_P12ihipStream_tbEUlT_E1_NS1_11comp_targetILNS1_3genE0ELNS1_11target_archE4294967295ELNS1_3gpuE0ELNS1_3repE0EEENS1_30default_config_static_selectorELNS0_4arch9wavefront6targetE0EEEvSQ_, .Lfunc_end431-_ZN7rocprim17ROCPRIM_400000_NS6detail17trampoline_kernelINS0_14default_configENS1_22reduce_config_selectorIiEEZNS1_11reduce_implILb1ES3_PiS7_iN6hipcub16HIPCUB_304000_NS6detail34convert_binary_result_type_wrapperINS9_3SumENS9_22TransformInputIteratorIbN2at6native12_GLOBAL__N_19NonZeroOpIfEEPKflEEiEEEE10hipError_tPvRmT1_T2_T3_mT4_P12ihipStream_tbEUlT_E1_NS1_11comp_targetILNS1_3genE0ELNS1_11target_archE4294967295ELNS1_3gpuE0ELNS1_3repE0EEENS1_30default_config_static_selectorELNS0_4arch9wavefront6targetE0EEEvSQ_
                                        ; -- End function
	.set _ZN7rocprim17ROCPRIM_400000_NS6detail17trampoline_kernelINS0_14default_configENS1_22reduce_config_selectorIiEEZNS1_11reduce_implILb1ES3_PiS7_iN6hipcub16HIPCUB_304000_NS6detail34convert_binary_result_type_wrapperINS9_3SumENS9_22TransformInputIteratorIbN2at6native12_GLOBAL__N_19NonZeroOpIfEEPKflEEiEEEE10hipError_tPvRmT1_T2_T3_mT4_P12ihipStream_tbEUlT_E1_NS1_11comp_targetILNS1_3genE0ELNS1_11target_archE4294967295ELNS1_3gpuE0ELNS1_3repE0EEENS1_30default_config_static_selectorELNS0_4arch9wavefront6targetE0EEEvSQ_.num_vgpr, 0
	.set _ZN7rocprim17ROCPRIM_400000_NS6detail17trampoline_kernelINS0_14default_configENS1_22reduce_config_selectorIiEEZNS1_11reduce_implILb1ES3_PiS7_iN6hipcub16HIPCUB_304000_NS6detail34convert_binary_result_type_wrapperINS9_3SumENS9_22TransformInputIteratorIbN2at6native12_GLOBAL__N_19NonZeroOpIfEEPKflEEiEEEE10hipError_tPvRmT1_T2_T3_mT4_P12ihipStream_tbEUlT_E1_NS1_11comp_targetILNS1_3genE0ELNS1_11target_archE4294967295ELNS1_3gpuE0ELNS1_3repE0EEENS1_30default_config_static_selectorELNS0_4arch9wavefront6targetE0EEEvSQ_.num_agpr, 0
	.set _ZN7rocprim17ROCPRIM_400000_NS6detail17trampoline_kernelINS0_14default_configENS1_22reduce_config_selectorIiEEZNS1_11reduce_implILb1ES3_PiS7_iN6hipcub16HIPCUB_304000_NS6detail34convert_binary_result_type_wrapperINS9_3SumENS9_22TransformInputIteratorIbN2at6native12_GLOBAL__N_19NonZeroOpIfEEPKflEEiEEEE10hipError_tPvRmT1_T2_T3_mT4_P12ihipStream_tbEUlT_E1_NS1_11comp_targetILNS1_3genE0ELNS1_11target_archE4294967295ELNS1_3gpuE0ELNS1_3repE0EEENS1_30default_config_static_selectorELNS0_4arch9wavefront6targetE0EEEvSQ_.numbered_sgpr, 0
	.set _ZN7rocprim17ROCPRIM_400000_NS6detail17trampoline_kernelINS0_14default_configENS1_22reduce_config_selectorIiEEZNS1_11reduce_implILb1ES3_PiS7_iN6hipcub16HIPCUB_304000_NS6detail34convert_binary_result_type_wrapperINS9_3SumENS9_22TransformInputIteratorIbN2at6native12_GLOBAL__N_19NonZeroOpIfEEPKflEEiEEEE10hipError_tPvRmT1_T2_T3_mT4_P12ihipStream_tbEUlT_E1_NS1_11comp_targetILNS1_3genE0ELNS1_11target_archE4294967295ELNS1_3gpuE0ELNS1_3repE0EEENS1_30default_config_static_selectorELNS0_4arch9wavefront6targetE0EEEvSQ_.num_named_barrier, 0
	.set _ZN7rocprim17ROCPRIM_400000_NS6detail17trampoline_kernelINS0_14default_configENS1_22reduce_config_selectorIiEEZNS1_11reduce_implILb1ES3_PiS7_iN6hipcub16HIPCUB_304000_NS6detail34convert_binary_result_type_wrapperINS9_3SumENS9_22TransformInputIteratorIbN2at6native12_GLOBAL__N_19NonZeroOpIfEEPKflEEiEEEE10hipError_tPvRmT1_T2_T3_mT4_P12ihipStream_tbEUlT_E1_NS1_11comp_targetILNS1_3genE0ELNS1_11target_archE4294967295ELNS1_3gpuE0ELNS1_3repE0EEENS1_30default_config_static_selectorELNS0_4arch9wavefront6targetE0EEEvSQ_.private_seg_size, 0
	.set _ZN7rocprim17ROCPRIM_400000_NS6detail17trampoline_kernelINS0_14default_configENS1_22reduce_config_selectorIiEEZNS1_11reduce_implILb1ES3_PiS7_iN6hipcub16HIPCUB_304000_NS6detail34convert_binary_result_type_wrapperINS9_3SumENS9_22TransformInputIteratorIbN2at6native12_GLOBAL__N_19NonZeroOpIfEEPKflEEiEEEE10hipError_tPvRmT1_T2_T3_mT4_P12ihipStream_tbEUlT_E1_NS1_11comp_targetILNS1_3genE0ELNS1_11target_archE4294967295ELNS1_3gpuE0ELNS1_3repE0EEENS1_30default_config_static_selectorELNS0_4arch9wavefront6targetE0EEEvSQ_.uses_vcc, 0
	.set _ZN7rocprim17ROCPRIM_400000_NS6detail17trampoline_kernelINS0_14default_configENS1_22reduce_config_selectorIiEEZNS1_11reduce_implILb1ES3_PiS7_iN6hipcub16HIPCUB_304000_NS6detail34convert_binary_result_type_wrapperINS9_3SumENS9_22TransformInputIteratorIbN2at6native12_GLOBAL__N_19NonZeroOpIfEEPKflEEiEEEE10hipError_tPvRmT1_T2_T3_mT4_P12ihipStream_tbEUlT_E1_NS1_11comp_targetILNS1_3genE0ELNS1_11target_archE4294967295ELNS1_3gpuE0ELNS1_3repE0EEENS1_30default_config_static_selectorELNS0_4arch9wavefront6targetE0EEEvSQ_.uses_flat_scratch, 0
	.set _ZN7rocprim17ROCPRIM_400000_NS6detail17trampoline_kernelINS0_14default_configENS1_22reduce_config_selectorIiEEZNS1_11reduce_implILb1ES3_PiS7_iN6hipcub16HIPCUB_304000_NS6detail34convert_binary_result_type_wrapperINS9_3SumENS9_22TransformInputIteratorIbN2at6native12_GLOBAL__N_19NonZeroOpIfEEPKflEEiEEEE10hipError_tPvRmT1_T2_T3_mT4_P12ihipStream_tbEUlT_E1_NS1_11comp_targetILNS1_3genE0ELNS1_11target_archE4294967295ELNS1_3gpuE0ELNS1_3repE0EEENS1_30default_config_static_selectorELNS0_4arch9wavefront6targetE0EEEvSQ_.has_dyn_sized_stack, 0
	.set _ZN7rocprim17ROCPRIM_400000_NS6detail17trampoline_kernelINS0_14default_configENS1_22reduce_config_selectorIiEEZNS1_11reduce_implILb1ES3_PiS7_iN6hipcub16HIPCUB_304000_NS6detail34convert_binary_result_type_wrapperINS9_3SumENS9_22TransformInputIteratorIbN2at6native12_GLOBAL__N_19NonZeroOpIfEEPKflEEiEEEE10hipError_tPvRmT1_T2_T3_mT4_P12ihipStream_tbEUlT_E1_NS1_11comp_targetILNS1_3genE0ELNS1_11target_archE4294967295ELNS1_3gpuE0ELNS1_3repE0EEENS1_30default_config_static_selectorELNS0_4arch9wavefront6targetE0EEEvSQ_.has_recursion, 0
	.set _ZN7rocprim17ROCPRIM_400000_NS6detail17trampoline_kernelINS0_14default_configENS1_22reduce_config_selectorIiEEZNS1_11reduce_implILb1ES3_PiS7_iN6hipcub16HIPCUB_304000_NS6detail34convert_binary_result_type_wrapperINS9_3SumENS9_22TransformInputIteratorIbN2at6native12_GLOBAL__N_19NonZeroOpIfEEPKflEEiEEEE10hipError_tPvRmT1_T2_T3_mT4_P12ihipStream_tbEUlT_E1_NS1_11comp_targetILNS1_3genE0ELNS1_11target_archE4294967295ELNS1_3gpuE0ELNS1_3repE0EEENS1_30default_config_static_selectorELNS0_4arch9wavefront6targetE0EEEvSQ_.has_indirect_call, 0
	.section	.AMDGPU.csdata,"",@progbits
; Kernel info:
; codeLenInByte = 0
; TotalNumSgprs: 0
; NumVgprs: 0
; ScratchSize: 0
; MemoryBound: 0
; FloatMode: 240
; IeeeMode: 1
; LDSByteSize: 0 bytes/workgroup (compile time only)
; SGPRBlocks: 0
; VGPRBlocks: 0
; NumSGPRsForWavesPerEU: 1
; NumVGPRsForWavesPerEU: 1
; Occupancy: 16
; WaveLimiterHint : 0
; COMPUTE_PGM_RSRC2:SCRATCH_EN: 0
; COMPUTE_PGM_RSRC2:USER_SGPR: 2
; COMPUTE_PGM_RSRC2:TRAP_HANDLER: 0
; COMPUTE_PGM_RSRC2:TGID_X_EN: 1
; COMPUTE_PGM_RSRC2:TGID_Y_EN: 0
; COMPUTE_PGM_RSRC2:TGID_Z_EN: 0
; COMPUTE_PGM_RSRC2:TIDIG_COMP_CNT: 0
	.section	.text._ZN7rocprim17ROCPRIM_400000_NS6detail17trampoline_kernelINS0_14default_configENS1_22reduce_config_selectorIiEEZNS1_11reduce_implILb1ES3_PiS7_iN6hipcub16HIPCUB_304000_NS6detail34convert_binary_result_type_wrapperINS9_3SumENS9_22TransformInputIteratorIbN2at6native12_GLOBAL__N_19NonZeroOpIfEEPKflEEiEEEE10hipError_tPvRmT1_T2_T3_mT4_P12ihipStream_tbEUlT_E1_NS1_11comp_targetILNS1_3genE5ELNS1_11target_archE942ELNS1_3gpuE9ELNS1_3repE0EEENS1_30default_config_static_selectorELNS0_4arch9wavefront6targetE0EEEvSQ_,"axG",@progbits,_ZN7rocprim17ROCPRIM_400000_NS6detail17trampoline_kernelINS0_14default_configENS1_22reduce_config_selectorIiEEZNS1_11reduce_implILb1ES3_PiS7_iN6hipcub16HIPCUB_304000_NS6detail34convert_binary_result_type_wrapperINS9_3SumENS9_22TransformInputIteratorIbN2at6native12_GLOBAL__N_19NonZeroOpIfEEPKflEEiEEEE10hipError_tPvRmT1_T2_T3_mT4_P12ihipStream_tbEUlT_E1_NS1_11comp_targetILNS1_3genE5ELNS1_11target_archE942ELNS1_3gpuE9ELNS1_3repE0EEENS1_30default_config_static_selectorELNS0_4arch9wavefront6targetE0EEEvSQ_,comdat
	.globl	_ZN7rocprim17ROCPRIM_400000_NS6detail17trampoline_kernelINS0_14default_configENS1_22reduce_config_selectorIiEEZNS1_11reduce_implILb1ES3_PiS7_iN6hipcub16HIPCUB_304000_NS6detail34convert_binary_result_type_wrapperINS9_3SumENS9_22TransformInputIteratorIbN2at6native12_GLOBAL__N_19NonZeroOpIfEEPKflEEiEEEE10hipError_tPvRmT1_T2_T3_mT4_P12ihipStream_tbEUlT_E1_NS1_11comp_targetILNS1_3genE5ELNS1_11target_archE942ELNS1_3gpuE9ELNS1_3repE0EEENS1_30default_config_static_selectorELNS0_4arch9wavefront6targetE0EEEvSQ_ ; -- Begin function _ZN7rocprim17ROCPRIM_400000_NS6detail17trampoline_kernelINS0_14default_configENS1_22reduce_config_selectorIiEEZNS1_11reduce_implILb1ES3_PiS7_iN6hipcub16HIPCUB_304000_NS6detail34convert_binary_result_type_wrapperINS9_3SumENS9_22TransformInputIteratorIbN2at6native12_GLOBAL__N_19NonZeroOpIfEEPKflEEiEEEE10hipError_tPvRmT1_T2_T3_mT4_P12ihipStream_tbEUlT_E1_NS1_11comp_targetILNS1_3genE5ELNS1_11target_archE942ELNS1_3gpuE9ELNS1_3repE0EEENS1_30default_config_static_selectorELNS0_4arch9wavefront6targetE0EEEvSQ_
	.p2align	8
	.type	_ZN7rocprim17ROCPRIM_400000_NS6detail17trampoline_kernelINS0_14default_configENS1_22reduce_config_selectorIiEEZNS1_11reduce_implILb1ES3_PiS7_iN6hipcub16HIPCUB_304000_NS6detail34convert_binary_result_type_wrapperINS9_3SumENS9_22TransformInputIteratorIbN2at6native12_GLOBAL__N_19NonZeroOpIfEEPKflEEiEEEE10hipError_tPvRmT1_T2_T3_mT4_P12ihipStream_tbEUlT_E1_NS1_11comp_targetILNS1_3genE5ELNS1_11target_archE942ELNS1_3gpuE9ELNS1_3repE0EEENS1_30default_config_static_selectorELNS0_4arch9wavefront6targetE0EEEvSQ_,@function
_ZN7rocprim17ROCPRIM_400000_NS6detail17trampoline_kernelINS0_14default_configENS1_22reduce_config_selectorIiEEZNS1_11reduce_implILb1ES3_PiS7_iN6hipcub16HIPCUB_304000_NS6detail34convert_binary_result_type_wrapperINS9_3SumENS9_22TransformInputIteratorIbN2at6native12_GLOBAL__N_19NonZeroOpIfEEPKflEEiEEEE10hipError_tPvRmT1_T2_T3_mT4_P12ihipStream_tbEUlT_E1_NS1_11comp_targetILNS1_3genE5ELNS1_11target_archE942ELNS1_3gpuE9ELNS1_3repE0EEENS1_30default_config_static_selectorELNS0_4arch9wavefront6targetE0EEEvSQ_: ; @_ZN7rocprim17ROCPRIM_400000_NS6detail17trampoline_kernelINS0_14default_configENS1_22reduce_config_selectorIiEEZNS1_11reduce_implILb1ES3_PiS7_iN6hipcub16HIPCUB_304000_NS6detail34convert_binary_result_type_wrapperINS9_3SumENS9_22TransformInputIteratorIbN2at6native12_GLOBAL__N_19NonZeroOpIfEEPKflEEiEEEE10hipError_tPvRmT1_T2_T3_mT4_P12ihipStream_tbEUlT_E1_NS1_11comp_targetILNS1_3genE5ELNS1_11target_archE942ELNS1_3gpuE9ELNS1_3repE0EEENS1_30default_config_static_selectorELNS0_4arch9wavefront6targetE0EEEvSQ_
; %bb.0:
	.section	.rodata,"a",@progbits
	.p2align	6, 0x0
	.amdhsa_kernel _ZN7rocprim17ROCPRIM_400000_NS6detail17trampoline_kernelINS0_14default_configENS1_22reduce_config_selectorIiEEZNS1_11reduce_implILb1ES3_PiS7_iN6hipcub16HIPCUB_304000_NS6detail34convert_binary_result_type_wrapperINS9_3SumENS9_22TransformInputIteratorIbN2at6native12_GLOBAL__N_19NonZeroOpIfEEPKflEEiEEEE10hipError_tPvRmT1_T2_T3_mT4_P12ihipStream_tbEUlT_E1_NS1_11comp_targetILNS1_3genE5ELNS1_11target_archE942ELNS1_3gpuE9ELNS1_3repE0EEENS1_30default_config_static_selectorELNS0_4arch9wavefront6targetE0EEEvSQ_
		.amdhsa_group_segment_fixed_size 0
		.amdhsa_private_segment_fixed_size 0
		.amdhsa_kernarg_size 40
		.amdhsa_user_sgpr_count 2
		.amdhsa_user_sgpr_dispatch_ptr 0
		.amdhsa_user_sgpr_queue_ptr 0
		.amdhsa_user_sgpr_kernarg_segment_ptr 1
		.amdhsa_user_sgpr_dispatch_id 0
		.amdhsa_user_sgpr_private_segment_size 0
		.amdhsa_wavefront_size32 1
		.amdhsa_uses_dynamic_stack 0
		.amdhsa_enable_private_segment 0
		.amdhsa_system_sgpr_workgroup_id_x 1
		.amdhsa_system_sgpr_workgroup_id_y 0
		.amdhsa_system_sgpr_workgroup_id_z 0
		.amdhsa_system_sgpr_workgroup_info 0
		.amdhsa_system_vgpr_workitem_id 0
		.amdhsa_next_free_vgpr 1
		.amdhsa_next_free_sgpr 1
		.amdhsa_reserve_vcc 0
		.amdhsa_float_round_mode_32 0
		.amdhsa_float_round_mode_16_64 0
		.amdhsa_float_denorm_mode_32 3
		.amdhsa_float_denorm_mode_16_64 3
		.amdhsa_fp16_overflow 0
		.amdhsa_workgroup_processor_mode 1
		.amdhsa_memory_ordered 1
		.amdhsa_forward_progress 1
		.amdhsa_inst_pref_size 0
		.amdhsa_round_robin_scheduling 0
		.amdhsa_exception_fp_ieee_invalid_op 0
		.amdhsa_exception_fp_denorm_src 0
		.amdhsa_exception_fp_ieee_div_zero 0
		.amdhsa_exception_fp_ieee_overflow 0
		.amdhsa_exception_fp_ieee_underflow 0
		.amdhsa_exception_fp_ieee_inexact 0
		.amdhsa_exception_int_div_zero 0
	.end_amdhsa_kernel
	.section	.text._ZN7rocprim17ROCPRIM_400000_NS6detail17trampoline_kernelINS0_14default_configENS1_22reduce_config_selectorIiEEZNS1_11reduce_implILb1ES3_PiS7_iN6hipcub16HIPCUB_304000_NS6detail34convert_binary_result_type_wrapperINS9_3SumENS9_22TransformInputIteratorIbN2at6native12_GLOBAL__N_19NonZeroOpIfEEPKflEEiEEEE10hipError_tPvRmT1_T2_T3_mT4_P12ihipStream_tbEUlT_E1_NS1_11comp_targetILNS1_3genE5ELNS1_11target_archE942ELNS1_3gpuE9ELNS1_3repE0EEENS1_30default_config_static_selectorELNS0_4arch9wavefront6targetE0EEEvSQ_,"axG",@progbits,_ZN7rocprim17ROCPRIM_400000_NS6detail17trampoline_kernelINS0_14default_configENS1_22reduce_config_selectorIiEEZNS1_11reduce_implILb1ES3_PiS7_iN6hipcub16HIPCUB_304000_NS6detail34convert_binary_result_type_wrapperINS9_3SumENS9_22TransformInputIteratorIbN2at6native12_GLOBAL__N_19NonZeroOpIfEEPKflEEiEEEE10hipError_tPvRmT1_T2_T3_mT4_P12ihipStream_tbEUlT_E1_NS1_11comp_targetILNS1_3genE5ELNS1_11target_archE942ELNS1_3gpuE9ELNS1_3repE0EEENS1_30default_config_static_selectorELNS0_4arch9wavefront6targetE0EEEvSQ_,comdat
.Lfunc_end432:
	.size	_ZN7rocprim17ROCPRIM_400000_NS6detail17trampoline_kernelINS0_14default_configENS1_22reduce_config_selectorIiEEZNS1_11reduce_implILb1ES3_PiS7_iN6hipcub16HIPCUB_304000_NS6detail34convert_binary_result_type_wrapperINS9_3SumENS9_22TransformInputIteratorIbN2at6native12_GLOBAL__N_19NonZeroOpIfEEPKflEEiEEEE10hipError_tPvRmT1_T2_T3_mT4_P12ihipStream_tbEUlT_E1_NS1_11comp_targetILNS1_3genE5ELNS1_11target_archE942ELNS1_3gpuE9ELNS1_3repE0EEENS1_30default_config_static_selectorELNS0_4arch9wavefront6targetE0EEEvSQ_, .Lfunc_end432-_ZN7rocprim17ROCPRIM_400000_NS6detail17trampoline_kernelINS0_14default_configENS1_22reduce_config_selectorIiEEZNS1_11reduce_implILb1ES3_PiS7_iN6hipcub16HIPCUB_304000_NS6detail34convert_binary_result_type_wrapperINS9_3SumENS9_22TransformInputIteratorIbN2at6native12_GLOBAL__N_19NonZeroOpIfEEPKflEEiEEEE10hipError_tPvRmT1_T2_T3_mT4_P12ihipStream_tbEUlT_E1_NS1_11comp_targetILNS1_3genE5ELNS1_11target_archE942ELNS1_3gpuE9ELNS1_3repE0EEENS1_30default_config_static_selectorELNS0_4arch9wavefront6targetE0EEEvSQ_
                                        ; -- End function
	.set _ZN7rocprim17ROCPRIM_400000_NS6detail17trampoline_kernelINS0_14default_configENS1_22reduce_config_selectorIiEEZNS1_11reduce_implILb1ES3_PiS7_iN6hipcub16HIPCUB_304000_NS6detail34convert_binary_result_type_wrapperINS9_3SumENS9_22TransformInputIteratorIbN2at6native12_GLOBAL__N_19NonZeroOpIfEEPKflEEiEEEE10hipError_tPvRmT1_T2_T3_mT4_P12ihipStream_tbEUlT_E1_NS1_11comp_targetILNS1_3genE5ELNS1_11target_archE942ELNS1_3gpuE9ELNS1_3repE0EEENS1_30default_config_static_selectorELNS0_4arch9wavefront6targetE0EEEvSQ_.num_vgpr, 0
	.set _ZN7rocprim17ROCPRIM_400000_NS6detail17trampoline_kernelINS0_14default_configENS1_22reduce_config_selectorIiEEZNS1_11reduce_implILb1ES3_PiS7_iN6hipcub16HIPCUB_304000_NS6detail34convert_binary_result_type_wrapperINS9_3SumENS9_22TransformInputIteratorIbN2at6native12_GLOBAL__N_19NonZeroOpIfEEPKflEEiEEEE10hipError_tPvRmT1_T2_T3_mT4_P12ihipStream_tbEUlT_E1_NS1_11comp_targetILNS1_3genE5ELNS1_11target_archE942ELNS1_3gpuE9ELNS1_3repE0EEENS1_30default_config_static_selectorELNS0_4arch9wavefront6targetE0EEEvSQ_.num_agpr, 0
	.set _ZN7rocprim17ROCPRIM_400000_NS6detail17trampoline_kernelINS0_14default_configENS1_22reduce_config_selectorIiEEZNS1_11reduce_implILb1ES3_PiS7_iN6hipcub16HIPCUB_304000_NS6detail34convert_binary_result_type_wrapperINS9_3SumENS9_22TransformInputIteratorIbN2at6native12_GLOBAL__N_19NonZeroOpIfEEPKflEEiEEEE10hipError_tPvRmT1_T2_T3_mT4_P12ihipStream_tbEUlT_E1_NS1_11comp_targetILNS1_3genE5ELNS1_11target_archE942ELNS1_3gpuE9ELNS1_3repE0EEENS1_30default_config_static_selectorELNS0_4arch9wavefront6targetE0EEEvSQ_.numbered_sgpr, 0
	.set _ZN7rocprim17ROCPRIM_400000_NS6detail17trampoline_kernelINS0_14default_configENS1_22reduce_config_selectorIiEEZNS1_11reduce_implILb1ES3_PiS7_iN6hipcub16HIPCUB_304000_NS6detail34convert_binary_result_type_wrapperINS9_3SumENS9_22TransformInputIteratorIbN2at6native12_GLOBAL__N_19NonZeroOpIfEEPKflEEiEEEE10hipError_tPvRmT1_T2_T3_mT4_P12ihipStream_tbEUlT_E1_NS1_11comp_targetILNS1_3genE5ELNS1_11target_archE942ELNS1_3gpuE9ELNS1_3repE0EEENS1_30default_config_static_selectorELNS0_4arch9wavefront6targetE0EEEvSQ_.num_named_barrier, 0
	.set _ZN7rocprim17ROCPRIM_400000_NS6detail17trampoline_kernelINS0_14default_configENS1_22reduce_config_selectorIiEEZNS1_11reduce_implILb1ES3_PiS7_iN6hipcub16HIPCUB_304000_NS6detail34convert_binary_result_type_wrapperINS9_3SumENS9_22TransformInputIteratorIbN2at6native12_GLOBAL__N_19NonZeroOpIfEEPKflEEiEEEE10hipError_tPvRmT1_T2_T3_mT4_P12ihipStream_tbEUlT_E1_NS1_11comp_targetILNS1_3genE5ELNS1_11target_archE942ELNS1_3gpuE9ELNS1_3repE0EEENS1_30default_config_static_selectorELNS0_4arch9wavefront6targetE0EEEvSQ_.private_seg_size, 0
	.set _ZN7rocprim17ROCPRIM_400000_NS6detail17trampoline_kernelINS0_14default_configENS1_22reduce_config_selectorIiEEZNS1_11reduce_implILb1ES3_PiS7_iN6hipcub16HIPCUB_304000_NS6detail34convert_binary_result_type_wrapperINS9_3SumENS9_22TransformInputIteratorIbN2at6native12_GLOBAL__N_19NonZeroOpIfEEPKflEEiEEEE10hipError_tPvRmT1_T2_T3_mT4_P12ihipStream_tbEUlT_E1_NS1_11comp_targetILNS1_3genE5ELNS1_11target_archE942ELNS1_3gpuE9ELNS1_3repE0EEENS1_30default_config_static_selectorELNS0_4arch9wavefront6targetE0EEEvSQ_.uses_vcc, 0
	.set _ZN7rocprim17ROCPRIM_400000_NS6detail17trampoline_kernelINS0_14default_configENS1_22reduce_config_selectorIiEEZNS1_11reduce_implILb1ES3_PiS7_iN6hipcub16HIPCUB_304000_NS6detail34convert_binary_result_type_wrapperINS9_3SumENS9_22TransformInputIteratorIbN2at6native12_GLOBAL__N_19NonZeroOpIfEEPKflEEiEEEE10hipError_tPvRmT1_T2_T3_mT4_P12ihipStream_tbEUlT_E1_NS1_11comp_targetILNS1_3genE5ELNS1_11target_archE942ELNS1_3gpuE9ELNS1_3repE0EEENS1_30default_config_static_selectorELNS0_4arch9wavefront6targetE0EEEvSQ_.uses_flat_scratch, 0
	.set _ZN7rocprim17ROCPRIM_400000_NS6detail17trampoline_kernelINS0_14default_configENS1_22reduce_config_selectorIiEEZNS1_11reduce_implILb1ES3_PiS7_iN6hipcub16HIPCUB_304000_NS6detail34convert_binary_result_type_wrapperINS9_3SumENS9_22TransformInputIteratorIbN2at6native12_GLOBAL__N_19NonZeroOpIfEEPKflEEiEEEE10hipError_tPvRmT1_T2_T3_mT4_P12ihipStream_tbEUlT_E1_NS1_11comp_targetILNS1_3genE5ELNS1_11target_archE942ELNS1_3gpuE9ELNS1_3repE0EEENS1_30default_config_static_selectorELNS0_4arch9wavefront6targetE0EEEvSQ_.has_dyn_sized_stack, 0
	.set _ZN7rocprim17ROCPRIM_400000_NS6detail17trampoline_kernelINS0_14default_configENS1_22reduce_config_selectorIiEEZNS1_11reduce_implILb1ES3_PiS7_iN6hipcub16HIPCUB_304000_NS6detail34convert_binary_result_type_wrapperINS9_3SumENS9_22TransformInputIteratorIbN2at6native12_GLOBAL__N_19NonZeroOpIfEEPKflEEiEEEE10hipError_tPvRmT1_T2_T3_mT4_P12ihipStream_tbEUlT_E1_NS1_11comp_targetILNS1_3genE5ELNS1_11target_archE942ELNS1_3gpuE9ELNS1_3repE0EEENS1_30default_config_static_selectorELNS0_4arch9wavefront6targetE0EEEvSQ_.has_recursion, 0
	.set _ZN7rocprim17ROCPRIM_400000_NS6detail17trampoline_kernelINS0_14default_configENS1_22reduce_config_selectorIiEEZNS1_11reduce_implILb1ES3_PiS7_iN6hipcub16HIPCUB_304000_NS6detail34convert_binary_result_type_wrapperINS9_3SumENS9_22TransformInputIteratorIbN2at6native12_GLOBAL__N_19NonZeroOpIfEEPKflEEiEEEE10hipError_tPvRmT1_T2_T3_mT4_P12ihipStream_tbEUlT_E1_NS1_11comp_targetILNS1_3genE5ELNS1_11target_archE942ELNS1_3gpuE9ELNS1_3repE0EEENS1_30default_config_static_selectorELNS0_4arch9wavefront6targetE0EEEvSQ_.has_indirect_call, 0
	.section	.AMDGPU.csdata,"",@progbits
; Kernel info:
; codeLenInByte = 0
; TotalNumSgprs: 0
; NumVgprs: 0
; ScratchSize: 0
; MemoryBound: 0
; FloatMode: 240
; IeeeMode: 1
; LDSByteSize: 0 bytes/workgroup (compile time only)
; SGPRBlocks: 0
; VGPRBlocks: 0
; NumSGPRsForWavesPerEU: 1
; NumVGPRsForWavesPerEU: 1
; Occupancy: 16
; WaveLimiterHint : 0
; COMPUTE_PGM_RSRC2:SCRATCH_EN: 0
; COMPUTE_PGM_RSRC2:USER_SGPR: 2
; COMPUTE_PGM_RSRC2:TRAP_HANDLER: 0
; COMPUTE_PGM_RSRC2:TGID_X_EN: 1
; COMPUTE_PGM_RSRC2:TGID_Y_EN: 0
; COMPUTE_PGM_RSRC2:TGID_Z_EN: 0
; COMPUTE_PGM_RSRC2:TIDIG_COMP_CNT: 0
	.section	.text._ZN7rocprim17ROCPRIM_400000_NS6detail17trampoline_kernelINS0_14default_configENS1_22reduce_config_selectorIiEEZNS1_11reduce_implILb1ES3_PiS7_iN6hipcub16HIPCUB_304000_NS6detail34convert_binary_result_type_wrapperINS9_3SumENS9_22TransformInputIteratorIbN2at6native12_GLOBAL__N_19NonZeroOpIfEEPKflEEiEEEE10hipError_tPvRmT1_T2_T3_mT4_P12ihipStream_tbEUlT_E1_NS1_11comp_targetILNS1_3genE4ELNS1_11target_archE910ELNS1_3gpuE8ELNS1_3repE0EEENS1_30default_config_static_selectorELNS0_4arch9wavefront6targetE0EEEvSQ_,"axG",@progbits,_ZN7rocprim17ROCPRIM_400000_NS6detail17trampoline_kernelINS0_14default_configENS1_22reduce_config_selectorIiEEZNS1_11reduce_implILb1ES3_PiS7_iN6hipcub16HIPCUB_304000_NS6detail34convert_binary_result_type_wrapperINS9_3SumENS9_22TransformInputIteratorIbN2at6native12_GLOBAL__N_19NonZeroOpIfEEPKflEEiEEEE10hipError_tPvRmT1_T2_T3_mT4_P12ihipStream_tbEUlT_E1_NS1_11comp_targetILNS1_3genE4ELNS1_11target_archE910ELNS1_3gpuE8ELNS1_3repE0EEENS1_30default_config_static_selectorELNS0_4arch9wavefront6targetE0EEEvSQ_,comdat
	.globl	_ZN7rocprim17ROCPRIM_400000_NS6detail17trampoline_kernelINS0_14default_configENS1_22reduce_config_selectorIiEEZNS1_11reduce_implILb1ES3_PiS7_iN6hipcub16HIPCUB_304000_NS6detail34convert_binary_result_type_wrapperINS9_3SumENS9_22TransformInputIteratorIbN2at6native12_GLOBAL__N_19NonZeroOpIfEEPKflEEiEEEE10hipError_tPvRmT1_T2_T3_mT4_P12ihipStream_tbEUlT_E1_NS1_11comp_targetILNS1_3genE4ELNS1_11target_archE910ELNS1_3gpuE8ELNS1_3repE0EEENS1_30default_config_static_selectorELNS0_4arch9wavefront6targetE0EEEvSQ_ ; -- Begin function _ZN7rocprim17ROCPRIM_400000_NS6detail17trampoline_kernelINS0_14default_configENS1_22reduce_config_selectorIiEEZNS1_11reduce_implILb1ES3_PiS7_iN6hipcub16HIPCUB_304000_NS6detail34convert_binary_result_type_wrapperINS9_3SumENS9_22TransformInputIteratorIbN2at6native12_GLOBAL__N_19NonZeroOpIfEEPKflEEiEEEE10hipError_tPvRmT1_T2_T3_mT4_P12ihipStream_tbEUlT_E1_NS1_11comp_targetILNS1_3genE4ELNS1_11target_archE910ELNS1_3gpuE8ELNS1_3repE0EEENS1_30default_config_static_selectorELNS0_4arch9wavefront6targetE0EEEvSQ_
	.p2align	8
	.type	_ZN7rocprim17ROCPRIM_400000_NS6detail17trampoline_kernelINS0_14default_configENS1_22reduce_config_selectorIiEEZNS1_11reduce_implILb1ES3_PiS7_iN6hipcub16HIPCUB_304000_NS6detail34convert_binary_result_type_wrapperINS9_3SumENS9_22TransformInputIteratorIbN2at6native12_GLOBAL__N_19NonZeroOpIfEEPKflEEiEEEE10hipError_tPvRmT1_T2_T3_mT4_P12ihipStream_tbEUlT_E1_NS1_11comp_targetILNS1_3genE4ELNS1_11target_archE910ELNS1_3gpuE8ELNS1_3repE0EEENS1_30default_config_static_selectorELNS0_4arch9wavefront6targetE0EEEvSQ_,@function
_ZN7rocprim17ROCPRIM_400000_NS6detail17trampoline_kernelINS0_14default_configENS1_22reduce_config_selectorIiEEZNS1_11reduce_implILb1ES3_PiS7_iN6hipcub16HIPCUB_304000_NS6detail34convert_binary_result_type_wrapperINS9_3SumENS9_22TransformInputIteratorIbN2at6native12_GLOBAL__N_19NonZeroOpIfEEPKflEEiEEEE10hipError_tPvRmT1_T2_T3_mT4_P12ihipStream_tbEUlT_E1_NS1_11comp_targetILNS1_3genE4ELNS1_11target_archE910ELNS1_3gpuE8ELNS1_3repE0EEENS1_30default_config_static_selectorELNS0_4arch9wavefront6targetE0EEEvSQ_: ; @_ZN7rocprim17ROCPRIM_400000_NS6detail17trampoline_kernelINS0_14default_configENS1_22reduce_config_selectorIiEEZNS1_11reduce_implILb1ES3_PiS7_iN6hipcub16HIPCUB_304000_NS6detail34convert_binary_result_type_wrapperINS9_3SumENS9_22TransformInputIteratorIbN2at6native12_GLOBAL__N_19NonZeroOpIfEEPKflEEiEEEE10hipError_tPvRmT1_T2_T3_mT4_P12ihipStream_tbEUlT_E1_NS1_11comp_targetILNS1_3genE4ELNS1_11target_archE910ELNS1_3gpuE8ELNS1_3repE0EEENS1_30default_config_static_selectorELNS0_4arch9wavefront6targetE0EEEvSQ_
; %bb.0:
	.section	.rodata,"a",@progbits
	.p2align	6, 0x0
	.amdhsa_kernel _ZN7rocprim17ROCPRIM_400000_NS6detail17trampoline_kernelINS0_14default_configENS1_22reduce_config_selectorIiEEZNS1_11reduce_implILb1ES3_PiS7_iN6hipcub16HIPCUB_304000_NS6detail34convert_binary_result_type_wrapperINS9_3SumENS9_22TransformInputIteratorIbN2at6native12_GLOBAL__N_19NonZeroOpIfEEPKflEEiEEEE10hipError_tPvRmT1_T2_T3_mT4_P12ihipStream_tbEUlT_E1_NS1_11comp_targetILNS1_3genE4ELNS1_11target_archE910ELNS1_3gpuE8ELNS1_3repE0EEENS1_30default_config_static_selectorELNS0_4arch9wavefront6targetE0EEEvSQ_
		.amdhsa_group_segment_fixed_size 0
		.amdhsa_private_segment_fixed_size 0
		.amdhsa_kernarg_size 40
		.amdhsa_user_sgpr_count 2
		.amdhsa_user_sgpr_dispatch_ptr 0
		.amdhsa_user_sgpr_queue_ptr 0
		.amdhsa_user_sgpr_kernarg_segment_ptr 1
		.amdhsa_user_sgpr_dispatch_id 0
		.amdhsa_user_sgpr_private_segment_size 0
		.amdhsa_wavefront_size32 1
		.amdhsa_uses_dynamic_stack 0
		.amdhsa_enable_private_segment 0
		.amdhsa_system_sgpr_workgroup_id_x 1
		.amdhsa_system_sgpr_workgroup_id_y 0
		.amdhsa_system_sgpr_workgroup_id_z 0
		.amdhsa_system_sgpr_workgroup_info 0
		.amdhsa_system_vgpr_workitem_id 0
		.amdhsa_next_free_vgpr 1
		.amdhsa_next_free_sgpr 1
		.amdhsa_reserve_vcc 0
		.amdhsa_float_round_mode_32 0
		.amdhsa_float_round_mode_16_64 0
		.amdhsa_float_denorm_mode_32 3
		.amdhsa_float_denorm_mode_16_64 3
		.amdhsa_fp16_overflow 0
		.amdhsa_workgroup_processor_mode 1
		.amdhsa_memory_ordered 1
		.amdhsa_forward_progress 1
		.amdhsa_inst_pref_size 0
		.amdhsa_round_robin_scheduling 0
		.amdhsa_exception_fp_ieee_invalid_op 0
		.amdhsa_exception_fp_denorm_src 0
		.amdhsa_exception_fp_ieee_div_zero 0
		.amdhsa_exception_fp_ieee_overflow 0
		.amdhsa_exception_fp_ieee_underflow 0
		.amdhsa_exception_fp_ieee_inexact 0
		.amdhsa_exception_int_div_zero 0
	.end_amdhsa_kernel
	.section	.text._ZN7rocprim17ROCPRIM_400000_NS6detail17trampoline_kernelINS0_14default_configENS1_22reduce_config_selectorIiEEZNS1_11reduce_implILb1ES3_PiS7_iN6hipcub16HIPCUB_304000_NS6detail34convert_binary_result_type_wrapperINS9_3SumENS9_22TransformInputIteratorIbN2at6native12_GLOBAL__N_19NonZeroOpIfEEPKflEEiEEEE10hipError_tPvRmT1_T2_T3_mT4_P12ihipStream_tbEUlT_E1_NS1_11comp_targetILNS1_3genE4ELNS1_11target_archE910ELNS1_3gpuE8ELNS1_3repE0EEENS1_30default_config_static_selectorELNS0_4arch9wavefront6targetE0EEEvSQ_,"axG",@progbits,_ZN7rocprim17ROCPRIM_400000_NS6detail17trampoline_kernelINS0_14default_configENS1_22reduce_config_selectorIiEEZNS1_11reduce_implILb1ES3_PiS7_iN6hipcub16HIPCUB_304000_NS6detail34convert_binary_result_type_wrapperINS9_3SumENS9_22TransformInputIteratorIbN2at6native12_GLOBAL__N_19NonZeroOpIfEEPKflEEiEEEE10hipError_tPvRmT1_T2_T3_mT4_P12ihipStream_tbEUlT_E1_NS1_11comp_targetILNS1_3genE4ELNS1_11target_archE910ELNS1_3gpuE8ELNS1_3repE0EEENS1_30default_config_static_selectorELNS0_4arch9wavefront6targetE0EEEvSQ_,comdat
.Lfunc_end433:
	.size	_ZN7rocprim17ROCPRIM_400000_NS6detail17trampoline_kernelINS0_14default_configENS1_22reduce_config_selectorIiEEZNS1_11reduce_implILb1ES3_PiS7_iN6hipcub16HIPCUB_304000_NS6detail34convert_binary_result_type_wrapperINS9_3SumENS9_22TransformInputIteratorIbN2at6native12_GLOBAL__N_19NonZeroOpIfEEPKflEEiEEEE10hipError_tPvRmT1_T2_T3_mT4_P12ihipStream_tbEUlT_E1_NS1_11comp_targetILNS1_3genE4ELNS1_11target_archE910ELNS1_3gpuE8ELNS1_3repE0EEENS1_30default_config_static_selectorELNS0_4arch9wavefront6targetE0EEEvSQ_, .Lfunc_end433-_ZN7rocprim17ROCPRIM_400000_NS6detail17trampoline_kernelINS0_14default_configENS1_22reduce_config_selectorIiEEZNS1_11reduce_implILb1ES3_PiS7_iN6hipcub16HIPCUB_304000_NS6detail34convert_binary_result_type_wrapperINS9_3SumENS9_22TransformInputIteratorIbN2at6native12_GLOBAL__N_19NonZeroOpIfEEPKflEEiEEEE10hipError_tPvRmT1_T2_T3_mT4_P12ihipStream_tbEUlT_E1_NS1_11comp_targetILNS1_3genE4ELNS1_11target_archE910ELNS1_3gpuE8ELNS1_3repE0EEENS1_30default_config_static_selectorELNS0_4arch9wavefront6targetE0EEEvSQ_
                                        ; -- End function
	.set _ZN7rocprim17ROCPRIM_400000_NS6detail17trampoline_kernelINS0_14default_configENS1_22reduce_config_selectorIiEEZNS1_11reduce_implILb1ES3_PiS7_iN6hipcub16HIPCUB_304000_NS6detail34convert_binary_result_type_wrapperINS9_3SumENS9_22TransformInputIteratorIbN2at6native12_GLOBAL__N_19NonZeroOpIfEEPKflEEiEEEE10hipError_tPvRmT1_T2_T3_mT4_P12ihipStream_tbEUlT_E1_NS1_11comp_targetILNS1_3genE4ELNS1_11target_archE910ELNS1_3gpuE8ELNS1_3repE0EEENS1_30default_config_static_selectorELNS0_4arch9wavefront6targetE0EEEvSQ_.num_vgpr, 0
	.set _ZN7rocprim17ROCPRIM_400000_NS6detail17trampoline_kernelINS0_14default_configENS1_22reduce_config_selectorIiEEZNS1_11reduce_implILb1ES3_PiS7_iN6hipcub16HIPCUB_304000_NS6detail34convert_binary_result_type_wrapperINS9_3SumENS9_22TransformInputIteratorIbN2at6native12_GLOBAL__N_19NonZeroOpIfEEPKflEEiEEEE10hipError_tPvRmT1_T2_T3_mT4_P12ihipStream_tbEUlT_E1_NS1_11comp_targetILNS1_3genE4ELNS1_11target_archE910ELNS1_3gpuE8ELNS1_3repE0EEENS1_30default_config_static_selectorELNS0_4arch9wavefront6targetE0EEEvSQ_.num_agpr, 0
	.set _ZN7rocprim17ROCPRIM_400000_NS6detail17trampoline_kernelINS0_14default_configENS1_22reduce_config_selectorIiEEZNS1_11reduce_implILb1ES3_PiS7_iN6hipcub16HIPCUB_304000_NS6detail34convert_binary_result_type_wrapperINS9_3SumENS9_22TransformInputIteratorIbN2at6native12_GLOBAL__N_19NonZeroOpIfEEPKflEEiEEEE10hipError_tPvRmT1_T2_T3_mT4_P12ihipStream_tbEUlT_E1_NS1_11comp_targetILNS1_3genE4ELNS1_11target_archE910ELNS1_3gpuE8ELNS1_3repE0EEENS1_30default_config_static_selectorELNS0_4arch9wavefront6targetE0EEEvSQ_.numbered_sgpr, 0
	.set _ZN7rocprim17ROCPRIM_400000_NS6detail17trampoline_kernelINS0_14default_configENS1_22reduce_config_selectorIiEEZNS1_11reduce_implILb1ES3_PiS7_iN6hipcub16HIPCUB_304000_NS6detail34convert_binary_result_type_wrapperINS9_3SumENS9_22TransformInputIteratorIbN2at6native12_GLOBAL__N_19NonZeroOpIfEEPKflEEiEEEE10hipError_tPvRmT1_T2_T3_mT4_P12ihipStream_tbEUlT_E1_NS1_11comp_targetILNS1_3genE4ELNS1_11target_archE910ELNS1_3gpuE8ELNS1_3repE0EEENS1_30default_config_static_selectorELNS0_4arch9wavefront6targetE0EEEvSQ_.num_named_barrier, 0
	.set _ZN7rocprim17ROCPRIM_400000_NS6detail17trampoline_kernelINS0_14default_configENS1_22reduce_config_selectorIiEEZNS1_11reduce_implILb1ES3_PiS7_iN6hipcub16HIPCUB_304000_NS6detail34convert_binary_result_type_wrapperINS9_3SumENS9_22TransformInputIteratorIbN2at6native12_GLOBAL__N_19NonZeroOpIfEEPKflEEiEEEE10hipError_tPvRmT1_T2_T3_mT4_P12ihipStream_tbEUlT_E1_NS1_11comp_targetILNS1_3genE4ELNS1_11target_archE910ELNS1_3gpuE8ELNS1_3repE0EEENS1_30default_config_static_selectorELNS0_4arch9wavefront6targetE0EEEvSQ_.private_seg_size, 0
	.set _ZN7rocprim17ROCPRIM_400000_NS6detail17trampoline_kernelINS0_14default_configENS1_22reduce_config_selectorIiEEZNS1_11reduce_implILb1ES3_PiS7_iN6hipcub16HIPCUB_304000_NS6detail34convert_binary_result_type_wrapperINS9_3SumENS9_22TransformInputIteratorIbN2at6native12_GLOBAL__N_19NonZeroOpIfEEPKflEEiEEEE10hipError_tPvRmT1_T2_T3_mT4_P12ihipStream_tbEUlT_E1_NS1_11comp_targetILNS1_3genE4ELNS1_11target_archE910ELNS1_3gpuE8ELNS1_3repE0EEENS1_30default_config_static_selectorELNS0_4arch9wavefront6targetE0EEEvSQ_.uses_vcc, 0
	.set _ZN7rocprim17ROCPRIM_400000_NS6detail17trampoline_kernelINS0_14default_configENS1_22reduce_config_selectorIiEEZNS1_11reduce_implILb1ES3_PiS7_iN6hipcub16HIPCUB_304000_NS6detail34convert_binary_result_type_wrapperINS9_3SumENS9_22TransformInputIteratorIbN2at6native12_GLOBAL__N_19NonZeroOpIfEEPKflEEiEEEE10hipError_tPvRmT1_T2_T3_mT4_P12ihipStream_tbEUlT_E1_NS1_11comp_targetILNS1_3genE4ELNS1_11target_archE910ELNS1_3gpuE8ELNS1_3repE0EEENS1_30default_config_static_selectorELNS0_4arch9wavefront6targetE0EEEvSQ_.uses_flat_scratch, 0
	.set _ZN7rocprim17ROCPRIM_400000_NS6detail17trampoline_kernelINS0_14default_configENS1_22reduce_config_selectorIiEEZNS1_11reduce_implILb1ES3_PiS7_iN6hipcub16HIPCUB_304000_NS6detail34convert_binary_result_type_wrapperINS9_3SumENS9_22TransformInputIteratorIbN2at6native12_GLOBAL__N_19NonZeroOpIfEEPKflEEiEEEE10hipError_tPvRmT1_T2_T3_mT4_P12ihipStream_tbEUlT_E1_NS1_11comp_targetILNS1_3genE4ELNS1_11target_archE910ELNS1_3gpuE8ELNS1_3repE0EEENS1_30default_config_static_selectorELNS0_4arch9wavefront6targetE0EEEvSQ_.has_dyn_sized_stack, 0
	.set _ZN7rocprim17ROCPRIM_400000_NS6detail17trampoline_kernelINS0_14default_configENS1_22reduce_config_selectorIiEEZNS1_11reduce_implILb1ES3_PiS7_iN6hipcub16HIPCUB_304000_NS6detail34convert_binary_result_type_wrapperINS9_3SumENS9_22TransformInputIteratorIbN2at6native12_GLOBAL__N_19NonZeroOpIfEEPKflEEiEEEE10hipError_tPvRmT1_T2_T3_mT4_P12ihipStream_tbEUlT_E1_NS1_11comp_targetILNS1_3genE4ELNS1_11target_archE910ELNS1_3gpuE8ELNS1_3repE0EEENS1_30default_config_static_selectorELNS0_4arch9wavefront6targetE0EEEvSQ_.has_recursion, 0
	.set _ZN7rocprim17ROCPRIM_400000_NS6detail17trampoline_kernelINS0_14default_configENS1_22reduce_config_selectorIiEEZNS1_11reduce_implILb1ES3_PiS7_iN6hipcub16HIPCUB_304000_NS6detail34convert_binary_result_type_wrapperINS9_3SumENS9_22TransformInputIteratorIbN2at6native12_GLOBAL__N_19NonZeroOpIfEEPKflEEiEEEE10hipError_tPvRmT1_T2_T3_mT4_P12ihipStream_tbEUlT_E1_NS1_11comp_targetILNS1_3genE4ELNS1_11target_archE910ELNS1_3gpuE8ELNS1_3repE0EEENS1_30default_config_static_selectorELNS0_4arch9wavefront6targetE0EEEvSQ_.has_indirect_call, 0
	.section	.AMDGPU.csdata,"",@progbits
; Kernel info:
; codeLenInByte = 0
; TotalNumSgprs: 0
; NumVgprs: 0
; ScratchSize: 0
; MemoryBound: 0
; FloatMode: 240
; IeeeMode: 1
; LDSByteSize: 0 bytes/workgroup (compile time only)
; SGPRBlocks: 0
; VGPRBlocks: 0
; NumSGPRsForWavesPerEU: 1
; NumVGPRsForWavesPerEU: 1
; Occupancy: 16
; WaveLimiterHint : 0
; COMPUTE_PGM_RSRC2:SCRATCH_EN: 0
; COMPUTE_PGM_RSRC2:USER_SGPR: 2
; COMPUTE_PGM_RSRC2:TRAP_HANDLER: 0
; COMPUTE_PGM_RSRC2:TGID_X_EN: 1
; COMPUTE_PGM_RSRC2:TGID_Y_EN: 0
; COMPUTE_PGM_RSRC2:TGID_Z_EN: 0
; COMPUTE_PGM_RSRC2:TIDIG_COMP_CNT: 0
	.section	.text._ZN7rocprim17ROCPRIM_400000_NS6detail17trampoline_kernelINS0_14default_configENS1_22reduce_config_selectorIiEEZNS1_11reduce_implILb1ES3_PiS7_iN6hipcub16HIPCUB_304000_NS6detail34convert_binary_result_type_wrapperINS9_3SumENS9_22TransformInputIteratorIbN2at6native12_GLOBAL__N_19NonZeroOpIfEEPKflEEiEEEE10hipError_tPvRmT1_T2_T3_mT4_P12ihipStream_tbEUlT_E1_NS1_11comp_targetILNS1_3genE3ELNS1_11target_archE908ELNS1_3gpuE7ELNS1_3repE0EEENS1_30default_config_static_selectorELNS0_4arch9wavefront6targetE0EEEvSQ_,"axG",@progbits,_ZN7rocprim17ROCPRIM_400000_NS6detail17trampoline_kernelINS0_14default_configENS1_22reduce_config_selectorIiEEZNS1_11reduce_implILb1ES3_PiS7_iN6hipcub16HIPCUB_304000_NS6detail34convert_binary_result_type_wrapperINS9_3SumENS9_22TransformInputIteratorIbN2at6native12_GLOBAL__N_19NonZeroOpIfEEPKflEEiEEEE10hipError_tPvRmT1_T2_T3_mT4_P12ihipStream_tbEUlT_E1_NS1_11comp_targetILNS1_3genE3ELNS1_11target_archE908ELNS1_3gpuE7ELNS1_3repE0EEENS1_30default_config_static_selectorELNS0_4arch9wavefront6targetE0EEEvSQ_,comdat
	.globl	_ZN7rocprim17ROCPRIM_400000_NS6detail17trampoline_kernelINS0_14default_configENS1_22reduce_config_selectorIiEEZNS1_11reduce_implILb1ES3_PiS7_iN6hipcub16HIPCUB_304000_NS6detail34convert_binary_result_type_wrapperINS9_3SumENS9_22TransformInputIteratorIbN2at6native12_GLOBAL__N_19NonZeroOpIfEEPKflEEiEEEE10hipError_tPvRmT1_T2_T3_mT4_P12ihipStream_tbEUlT_E1_NS1_11comp_targetILNS1_3genE3ELNS1_11target_archE908ELNS1_3gpuE7ELNS1_3repE0EEENS1_30default_config_static_selectorELNS0_4arch9wavefront6targetE0EEEvSQ_ ; -- Begin function _ZN7rocprim17ROCPRIM_400000_NS6detail17trampoline_kernelINS0_14default_configENS1_22reduce_config_selectorIiEEZNS1_11reduce_implILb1ES3_PiS7_iN6hipcub16HIPCUB_304000_NS6detail34convert_binary_result_type_wrapperINS9_3SumENS9_22TransformInputIteratorIbN2at6native12_GLOBAL__N_19NonZeroOpIfEEPKflEEiEEEE10hipError_tPvRmT1_T2_T3_mT4_P12ihipStream_tbEUlT_E1_NS1_11comp_targetILNS1_3genE3ELNS1_11target_archE908ELNS1_3gpuE7ELNS1_3repE0EEENS1_30default_config_static_selectorELNS0_4arch9wavefront6targetE0EEEvSQ_
	.p2align	8
	.type	_ZN7rocprim17ROCPRIM_400000_NS6detail17trampoline_kernelINS0_14default_configENS1_22reduce_config_selectorIiEEZNS1_11reduce_implILb1ES3_PiS7_iN6hipcub16HIPCUB_304000_NS6detail34convert_binary_result_type_wrapperINS9_3SumENS9_22TransformInputIteratorIbN2at6native12_GLOBAL__N_19NonZeroOpIfEEPKflEEiEEEE10hipError_tPvRmT1_T2_T3_mT4_P12ihipStream_tbEUlT_E1_NS1_11comp_targetILNS1_3genE3ELNS1_11target_archE908ELNS1_3gpuE7ELNS1_3repE0EEENS1_30default_config_static_selectorELNS0_4arch9wavefront6targetE0EEEvSQ_,@function
_ZN7rocprim17ROCPRIM_400000_NS6detail17trampoline_kernelINS0_14default_configENS1_22reduce_config_selectorIiEEZNS1_11reduce_implILb1ES3_PiS7_iN6hipcub16HIPCUB_304000_NS6detail34convert_binary_result_type_wrapperINS9_3SumENS9_22TransformInputIteratorIbN2at6native12_GLOBAL__N_19NonZeroOpIfEEPKflEEiEEEE10hipError_tPvRmT1_T2_T3_mT4_P12ihipStream_tbEUlT_E1_NS1_11comp_targetILNS1_3genE3ELNS1_11target_archE908ELNS1_3gpuE7ELNS1_3repE0EEENS1_30default_config_static_selectorELNS0_4arch9wavefront6targetE0EEEvSQ_: ; @_ZN7rocprim17ROCPRIM_400000_NS6detail17trampoline_kernelINS0_14default_configENS1_22reduce_config_selectorIiEEZNS1_11reduce_implILb1ES3_PiS7_iN6hipcub16HIPCUB_304000_NS6detail34convert_binary_result_type_wrapperINS9_3SumENS9_22TransformInputIteratorIbN2at6native12_GLOBAL__N_19NonZeroOpIfEEPKflEEiEEEE10hipError_tPvRmT1_T2_T3_mT4_P12ihipStream_tbEUlT_E1_NS1_11comp_targetILNS1_3genE3ELNS1_11target_archE908ELNS1_3gpuE7ELNS1_3repE0EEENS1_30default_config_static_selectorELNS0_4arch9wavefront6targetE0EEEvSQ_
; %bb.0:
	.section	.rodata,"a",@progbits
	.p2align	6, 0x0
	.amdhsa_kernel _ZN7rocprim17ROCPRIM_400000_NS6detail17trampoline_kernelINS0_14default_configENS1_22reduce_config_selectorIiEEZNS1_11reduce_implILb1ES3_PiS7_iN6hipcub16HIPCUB_304000_NS6detail34convert_binary_result_type_wrapperINS9_3SumENS9_22TransformInputIteratorIbN2at6native12_GLOBAL__N_19NonZeroOpIfEEPKflEEiEEEE10hipError_tPvRmT1_T2_T3_mT4_P12ihipStream_tbEUlT_E1_NS1_11comp_targetILNS1_3genE3ELNS1_11target_archE908ELNS1_3gpuE7ELNS1_3repE0EEENS1_30default_config_static_selectorELNS0_4arch9wavefront6targetE0EEEvSQ_
		.amdhsa_group_segment_fixed_size 0
		.amdhsa_private_segment_fixed_size 0
		.amdhsa_kernarg_size 40
		.amdhsa_user_sgpr_count 2
		.amdhsa_user_sgpr_dispatch_ptr 0
		.amdhsa_user_sgpr_queue_ptr 0
		.amdhsa_user_sgpr_kernarg_segment_ptr 1
		.amdhsa_user_sgpr_dispatch_id 0
		.amdhsa_user_sgpr_private_segment_size 0
		.amdhsa_wavefront_size32 1
		.amdhsa_uses_dynamic_stack 0
		.amdhsa_enable_private_segment 0
		.amdhsa_system_sgpr_workgroup_id_x 1
		.amdhsa_system_sgpr_workgroup_id_y 0
		.amdhsa_system_sgpr_workgroup_id_z 0
		.amdhsa_system_sgpr_workgroup_info 0
		.amdhsa_system_vgpr_workitem_id 0
		.amdhsa_next_free_vgpr 1
		.amdhsa_next_free_sgpr 1
		.amdhsa_reserve_vcc 0
		.amdhsa_float_round_mode_32 0
		.amdhsa_float_round_mode_16_64 0
		.amdhsa_float_denorm_mode_32 3
		.amdhsa_float_denorm_mode_16_64 3
		.amdhsa_fp16_overflow 0
		.amdhsa_workgroup_processor_mode 1
		.amdhsa_memory_ordered 1
		.amdhsa_forward_progress 1
		.amdhsa_inst_pref_size 0
		.amdhsa_round_robin_scheduling 0
		.amdhsa_exception_fp_ieee_invalid_op 0
		.amdhsa_exception_fp_denorm_src 0
		.amdhsa_exception_fp_ieee_div_zero 0
		.amdhsa_exception_fp_ieee_overflow 0
		.amdhsa_exception_fp_ieee_underflow 0
		.amdhsa_exception_fp_ieee_inexact 0
		.amdhsa_exception_int_div_zero 0
	.end_amdhsa_kernel
	.section	.text._ZN7rocprim17ROCPRIM_400000_NS6detail17trampoline_kernelINS0_14default_configENS1_22reduce_config_selectorIiEEZNS1_11reduce_implILb1ES3_PiS7_iN6hipcub16HIPCUB_304000_NS6detail34convert_binary_result_type_wrapperINS9_3SumENS9_22TransformInputIteratorIbN2at6native12_GLOBAL__N_19NonZeroOpIfEEPKflEEiEEEE10hipError_tPvRmT1_T2_T3_mT4_P12ihipStream_tbEUlT_E1_NS1_11comp_targetILNS1_3genE3ELNS1_11target_archE908ELNS1_3gpuE7ELNS1_3repE0EEENS1_30default_config_static_selectorELNS0_4arch9wavefront6targetE0EEEvSQ_,"axG",@progbits,_ZN7rocprim17ROCPRIM_400000_NS6detail17trampoline_kernelINS0_14default_configENS1_22reduce_config_selectorIiEEZNS1_11reduce_implILb1ES3_PiS7_iN6hipcub16HIPCUB_304000_NS6detail34convert_binary_result_type_wrapperINS9_3SumENS9_22TransformInputIteratorIbN2at6native12_GLOBAL__N_19NonZeroOpIfEEPKflEEiEEEE10hipError_tPvRmT1_T2_T3_mT4_P12ihipStream_tbEUlT_E1_NS1_11comp_targetILNS1_3genE3ELNS1_11target_archE908ELNS1_3gpuE7ELNS1_3repE0EEENS1_30default_config_static_selectorELNS0_4arch9wavefront6targetE0EEEvSQ_,comdat
.Lfunc_end434:
	.size	_ZN7rocprim17ROCPRIM_400000_NS6detail17trampoline_kernelINS0_14default_configENS1_22reduce_config_selectorIiEEZNS1_11reduce_implILb1ES3_PiS7_iN6hipcub16HIPCUB_304000_NS6detail34convert_binary_result_type_wrapperINS9_3SumENS9_22TransformInputIteratorIbN2at6native12_GLOBAL__N_19NonZeroOpIfEEPKflEEiEEEE10hipError_tPvRmT1_T2_T3_mT4_P12ihipStream_tbEUlT_E1_NS1_11comp_targetILNS1_3genE3ELNS1_11target_archE908ELNS1_3gpuE7ELNS1_3repE0EEENS1_30default_config_static_selectorELNS0_4arch9wavefront6targetE0EEEvSQ_, .Lfunc_end434-_ZN7rocprim17ROCPRIM_400000_NS6detail17trampoline_kernelINS0_14default_configENS1_22reduce_config_selectorIiEEZNS1_11reduce_implILb1ES3_PiS7_iN6hipcub16HIPCUB_304000_NS6detail34convert_binary_result_type_wrapperINS9_3SumENS9_22TransformInputIteratorIbN2at6native12_GLOBAL__N_19NonZeroOpIfEEPKflEEiEEEE10hipError_tPvRmT1_T2_T3_mT4_P12ihipStream_tbEUlT_E1_NS1_11comp_targetILNS1_3genE3ELNS1_11target_archE908ELNS1_3gpuE7ELNS1_3repE0EEENS1_30default_config_static_selectorELNS0_4arch9wavefront6targetE0EEEvSQ_
                                        ; -- End function
	.set _ZN7rocprim17ROCPRIM_400000_NS6detail17trampoline_kernelINS0_14default_configENS1_22reduce_config_selectorIiEEZNS1_11reduce_implILb1ES3_PiS7_iN6hipcub16HIPCUB_304000_NS6detail34convert_binary_result_type_wrapperINS9_3SumENS9_22TransformInputIteratorIbN2at6native12_GLOBAL__N_19NonZeroOpIfEEPKflEEiEEEE10hipError_tPvRmT1_T2_T3_mT4_P12ihipStream_tbEUlT_E1_NS1_11comp_targetILNS1_3genE3ELNS1_11target_archE908ELNS1_3gpuE7ELNS1_3repE0EEENS1_30default_config_static_selectorELNS0_4arch9wavefront6targetE0EEEvSQ_.num_vgpr, 0
	.set _ZN7rocprim17ROCPRIM_400000_NS6detail17trampoline_kernelINS0_14default_configENS1_22reduce_config_selectorIiEEZNS1_11reduce_implILb1ES3_PiS7_iN6hipcub16HIPCUB_304000_NS6detail34convert_binary_result_type_wrapperINS9_3SumENS9_22TransformInputIteratorIbN2at6native12_GLOBAL__N_19NonZeroOpIfEEPKflEEiEEEE10hipError_tPvRmT1_T2_T3_mT4_P12ihipStream_tbEUlT_E1_NS1_11comp_targetILNS1_3genE3ELNS1_11target_archE908ELNS1_3gpuE7ELNS1_3repE0EEENS1_30default_config_static_selectorELNS0_4arch9wavefront6targetE0EEEvSQ_.num_agpr, 0
	.set _ZN7rocprim17ROCPRIM_400000_NS6detail17trampoline_kernelINS0_14default_configENS1_22reduce_config_selectorIiEEZNS1_11reduce_implILb1ES3_PiS7_iN6hipcub16HIPCUB_304000_NS6detail34convert_binary_result_type_wrapperINS9_3SumENS9_22TransformInputIteratorIbN2at6native12_GLOBAL__N_19NonZeroOpIfEEPKflEEiEEEE10hipError_tPvRmT1_T2_T3_mT4_P12ihipStream_tbEUlT_E1_NS1_11comp_targetILNS1_3genE3ELNS1_11target_archE908ELNS1_3gpuE7ELNS1_3repE0EEENS1_30default_config_static_selectorELNS0_4arch9wavefront6targetE0EEEvSQ_.numbered_sgpr, 0
	.set _ZN7rocprim17ROCPRIM_400000_NS6detail17trampoline_kernelINS0_14default_configENS1_22reduce_config_selectorIiEEZNS1_11reduce_implILb1ES3_PiS7_iN6hipcub16HIPCUB_304000_NS6detail34convert_binary_result_type_wrapperINS9_3SumENS9_22TransformInputIteratorIbN2at6native12_GLOBAL__N_19NonZeroOpIfEEPKflEEiEEEE10hipError_tPvRmT1_T2_T3_mT4_P12ihipStream_tbEUlT_E1_NS1_11comp_targetILNS1_3genE3ELNS1_11target_archE908ELNS1_3gpuE7ELNS1_3repE0EEENS1_30default_config_static_selectorELNS0_4arch9wavefront6targetE0EEEvSQ_.num_named_barrier, 0
	.set _ZN7rocprim17ROCPRIM_400000_NS6detail17trampoline_kernelINS0_14default_configENS1_22reduce_config_selectorIiEEZNS1_11reduce_implILb1ES3_PiS7_iN6hipcub16HIPCUB_304000_NS6detail34convert_binary_result_type_wrapperINS9_3SumENS9_22TransformInputIteratorIbN2at6native12_GLOBAL__N_19NonZeroOpIfEEPKflEEiEEEE10hipError_tPvRmT1_T2_T3_mT4_P12ihipStream_tbEUlT_E1_NS1_11comp_targetILNS1_3genE3ELNS1_11target_archE908ELNS1_3gpuE7ELNS1_3repE0EEENS1_30default_config_static_selectorELNS0_4arch9wavefront6targetE0EEEvSQ_.private_seg_size, 0
	.set _ZN7rocprim17ROCPRIM_400000_NS6detail17trampoline_kernelINS0_14default_configENS1_22reduce_config_selectorIiEEZNS1_11reduce_implILb1ES3_PiS7_iN6hipcub16HIPCUB_304000_NS6detail34convert_binary_result_type_wrapperINS9_3SumENS9_22TransformInputIteratorIbN2at6native12_GLOBAL__N_19NonZeroOpIfEEPKflEEiEEEE10hipError_tPvRmT1_T2_T3_mT4_P12ihipStream_tbEUlT_E1_NS1_11comp_targetILNS1_3genE3ELNS1_11target_archE908ELNS1_3gpuE7ELNS1_3repE0EEENS1_30default_config_static_selectorELNS0_4arch9wavefront6targetE0EEEvSQ_.uses_vcc, 0
	.set _ZN7rocprim17ROCPRIM_400000_NS6detail17trampoline_kernelINS0_14default_configENS1_22reduce_config_selectorIiEEZNS1_11reduce_implILb1ES3_PiS7_iN6hipcub16HIPCUB_304000_NS6detail34convert_binary_result_type_wrapperINS9_3SumENS9_22TransformInputIteratorIbN2at6native12_GLOBAL__N_19NonZeroOpIfEEPKflEEiEEEE10hipError_tPvRmT1_T2_T3_mT4_P12ihipStream_tbEUlT_E1_NS1_11comp_targetILNS1_3genE3ELNS1_11target_archE908ELNS1_3gpuE7ELNS1_3repE0EEENS1_30default_config_static_selectorELNS0_4arch9wavefront6targetE0EEEvSQ_.uses_flat_scratch, 0
	.set _ZN7rocprim17ROCPRIM_400000_NS6detail17trampoline_kernelINS0_14default_configENS1_22reduce_config_selectorIiEEZNS1_11reduce_implILb1ES3_PiS7_iN6hipcub16HIPCUB_304000_NS6detail34convert_binary_result_type_wrapperINS9_3SumENS9_22TransformInputIteratorIbN2at6native12_GLOBAL__N_19NonZeroOpIfEEPKflEEiEEEE10hipError_tPvRmT1_T2_T3_mT4_P12ihipStream_tbEUlT_E1_NS1_11comp_targetILNS1_3genE3ELNS1_11target_archE908ELNS1_3gpuE7ELNS1_3repE0EEENS1_30default_config_static_selectorELNS0_4arch9wavefront6targetE0EEEvSQ_.has_dyn_sized_stack, 0
	.set _ZN7rocprim17ROCPRIM_400000_NS6detail17trampoline_kernelINS0_14default_configENS1_22reduce_config_selectorIiEEZNS1_11reduce_implILb1ES3_PiS7_iN6hipcub16HIPCUB_304000_NS6detail34convert_binary_result_type_wrapperINS9_3SumENS9_22TransformInputIteratorIbN2at6native12_GLOBAL__N_19NonZeroOpIfEEPKflEEiEEEE10hipError_tPvRmT1_T2_T3_mT4_P12ihipStream_tbEUlT_E1_NS1_11comp_targetILNS1_3genE3ELNS1_11target_archE908ELNS1_3gpuE7ELNS1_3repE0EEENS1_30default_config_static_selectorELNS0_4arch9wavefront6targetE0EEEvSQ_.has_recursion, 0
	.set _ZN7rocprim17ROCPRIM_400000_NS6detail17trampoline_kernelINS0_14default_configENS1_22reduce_config_selectorIiEEZNS1_11reduce_implILb1ES3_PiS7_iN6hipcub16HIPCUB_304000_NS6detail34convert_binary_result_type_wrapperINS9_3SumENS9_22TransformInputIteratorIbN2at6native12_GLOBAL__N_19NonZeroOpIfEEPKflEEiEEEE10hipError_tPvRmT1_T2_T3_mT4_P12ihipStream_tbEUlT_E1_NS1_11comp_targetILNS1_3genE3ELNS1_11target_archE908ELNS1_3gpuE7ELNS1_3repE0EEENS1_30default_config_static_selectorELNS0_4arch9wavefront6targetE0EEEvSQ_.has_indirect_call, 0
	.section	.AMDGPU.csdata,"",@progbits
; Kernel info:
; codeLenInByte = 0
; TotalNumSgprs: 0
; NumVgprs: 0
; ScratchSize: 0
; MemoryBound: 0
; FloatMode: 240
; IeeeMode: 1
; LDSByteSize: 0 bytes/workgroup (compile time only)
; SGPRBlocks: 0
; VGPRBlocks: 0
; NumSGPRsForWavesPerEU: 1
; NumVGPRsForWavesPerEU: 1
; Occupancy: 16
; WaveLimiterHint : 0
; COMPUTE_PGM_RSRC2:SCRATCH_EN: 0
; COMPUTE_PGM_RSRC2:USER_SGPR: 2
; COMPUTE_PGM_RSRC2:TRAP_HANDLER: 0
; COMPUTE_PGM_RSRC2:TGID_X_EN: 1
; COMPUTE_PGM_RSRC2:TGID_Y_EN: 0
; COMPUTE_PGM_RSRC2:TGID_Z_EN: 0
; COMPUTE_PGM_RSRC2:TIDIG_COMP_CNT: 0
	.section	.text._ZN7rocprim17ROCPRIM_400000_NS6detail17trampoline_kernelINS0_14default_configENS1_22reduce_config_selectorIiEEZNS1_11reduce_implILb1ES3_PiS7_iN6hipcub16HIPCUB_304000_NS6detail34convert_binary_result_type_wrapperINS9_3SumENS9_22TransformInputIteratorIbN2at6native12_GLOBAL__N_19NonZeroOpIfEEPKflEEiEEEE10hipError_tPvRmT1_T2_T3_mT4_P12ihipStream_tbEUlT_E1_NS1_11comp_targetILNS1_3genE2ELNS1_11target_archE906ELNS1_3gpuE6ELNS1_3repE0EEENS1_30default_config_static_selectorELNS0_4arch9wavefront6targetE0EEEvSQ_,"axG",@progbits,_ZN7rocprim17ROCPRIM_400000_NS6detail17trampoline_kernelINS0_14default_configENS1_22reduce_config_selectorIiEEZNS1_11reduce_implILb1ES3_PiS7_iN6hipcub16HIPCUB_304000_NS6detail34convert_binary_result_type_wrapperINS9_3SumENS9_22TransformInputIteratorIbN2at6native12_GLOBAL__N_19NonZeroOpIfEEPKflEEiEEEE10hipError_tPvRmT1_T2_T3_mT4_P12ihipStream_tbEUlT_E1_NS1_11comp_targetILNS1_3genE2ELNS1_11target_archE906ELNS1_3gpuE6ELNS1_3repE0EEENS1_30default_config_static_selectorELNS0_4arch9wavefront6targetE0EEEvSQ_,comdat
	.globl	_ZN7rocprim17ROCPRIM_400000_NS6detail17trampoline_kernelINS0_14default_configENS1_22reduce_config_selectorIiEEZNS1_11reduce_implILb1ES3_PiS7_iN6hipcub16HIPCUB_304000_NS6detail34convert_binary_result_type_wrapperINS9_3SumENS9_22TransformInputIteratorIbN2at6native12_GLOBAL__N_19NonZeroOpIfEEPKflEEiEEEE10hipError_tPvRmT1_T2_T3_mT4_P12ihipStream_tbEUlT_E1_NS1_11comp_targetILNS1_3genE2ELNS1_11target_archE906ELNS1_3gpuE6ELNS1_3repE0EEENS1_30default_config_static_selectorELNS0_4arch9wavefront6targetE0EEEvSQ_ ; -- Begin function _ZN7rocprim17ROCPRIM_400000_NS6detail17trampoline_kernelINS0_14default_configENS1_22reduce_config_selectorIiEEZNS1_11reduce_implILb1ES3_PiS7_iN6hipcub16HIPCUB_304000_NS6detail34convert_binary_result_type_wrapperINS9_3SumENS9_22TransformInputIteratorIbN2at6native12_GLOBAL__N_19NonZeroOpIfEEPKflEEiEEEE10hipError_tPvRmT1_T2_T3_mT4_P12ihipStream_tbEUlT_E1_NS1_11comp_targetILNS1_3genE2ELNS1_11target_archE906ELNS1_3gpuE6ELNS1_3repE0EEENS1_30default_config_static_selectorELNS0_4arch9wavefront6targetE0EEEvSQ_
	.p2align	8
	.type	_ZN7rocprim17ROCPRIM_400000_NS6detail17trampoline_kernelINS0_14default_configENS1_22reduce_config_selectorIiEEZNS1_11reduce_implILb1ES3_PiS7_iN6hipcub16HIPCUB_304000_NS6detail34convert_binary_result_type_wrapperINS9_3SumENS9_22TransformInputIteratorIbN2at6native12_GLOBAL__N_19NonZeroOpIfEEPKflEEiEEEE10hipError_tPvRmT1_T2_T3_mT4_P12ihipStream_tbEUlT_E1_NS1_11comp_targetILNS1_3genE2ELNS1_11target_archE906ELNS1_3gpuE6ELNS1_3repE0EEENS1_30default_config_static_selectorELNS0_4arch9wavefront6targetE0EEEvSQ_,@function
_ZN7rocprim17ROCPRIM_400000_NS6detail17trampoline_kernelINS0_14default_configENS1_22reduce_config_selectorIiEEZNS1_11reduce_implILb1ES3_PiS7_iN6hipcub16HIPCUB_304000_NS6detail34convert_binary_result_type_wrapperINS9_3SumENS9_22TransformInputIteratorIbN2at6native12_GLOBAL__N_19NonZeroOpIfEEPKflEEiEEEE10hipError_tPvRmT1_T2_T3_mT4_P12ihipStream_tbEUlT_E1_NS1_11comp_targetILNS1_3genE2ELNS1_11target_archE906ELNS1_3gpuE6ELNS1_3repE0EEENS1_30default_config_static_selectorELNS0_4arch9wavefront6targetE0EEEvSQ_: ; @_ZN7rocprim17ROCPRIM_400000_NS6detail17trampoline_kernelINS0_14default_configENS1_22reduce_config_selectorIiEEZNS1_11reduce_implILb1ES3_PiS7_iN6hipcub16HIPCUB_304000_NS6detail34convert_binary_result_type_wrapperINS9_3SumENS9_22TransformInputIteratorIbN2at6native12_GLOBAL__N_19NonZeroOpIfEEPKflEEiEEEE10hipError_tPvRmT1_T2_T3_mT4_P12ihipStream_tbEUlT_E1_NS1_11comp_targetILNS1_3genE2ELNS1_11target_archE906ELNS1_3gpuE6ELNS1_3repE0EEENS1_30default_config_static_selectorELNS0_4arch9wavefront6targetE0EEEvSQ_
; %bb.0:
	.section	.rodata,"a",@progbits
	.p2align	6, 0x0
	.amdhsa_kernel _ZN7rocprim17ROCPRIM_400000_NS6detail17trampoline_kernelINS0_14default_configENS1_22reduce_config_selectorIiEEZNS1_11reduce_implILb1ES3_PiS7_iN6hipcub16HIPCUB_304000_NS6detail34convert_binary_result_type_wrapperINS9_3SumENS9_22TransformInputIteratorIbN2at6native12_GLOBAL__N_19NonZeroOpIfEEPKflEEiEEEE10hipError_tPvRmT1_T2_T3_mT4_P12ihipStream_tbEUlT_E1_NS1_11comp_targetILNS1_3genE2ELNS1_11target_archE906ELNS1_3gpuE6ELNS1_3repE0EEENS1_30default_config_static_selectorELNS0_4arch9wavefront6targetE0EEEvSQ_
		.amdhsa_group_segment_fixed_size 0
		.amdhsa_private_segment_fixed_size 0
		.amdhsa_kernarg_size 40
		.amdhsa_user_sgpr_count 2
		.amdhsa_user_sgpr_dispatch_ptr 0
		.amdhsa_user_sgpr_queue_ptr 0
		.amdhsa_user_sgpr_kernarg_segment_ptr 1
		.amdhsa_user_sgpr_dispatch_id 0
		.amdhsa_user_sgpr_private_segment_size 0
		.amdhsa_wavefront_size32 1
		.amdhsa_uses_dynamic_stack 0
		.amdhsa_enable_private_segment 0
		.amdhsa_system_sgpr_workgroup_id_x 1
		.amdhsa_system_sgpr_workgroup_id_y 0
		.amdhsa_system_sgpr_workgroup_id_z 0
		.amdhsa_system_sgpr_workgroup_info 0
		.amdhsa_system_vgpr_workitem_id 0
		.amdhsa_next_free_vgpr 1
		.amdhsa_next_free_sgpr 1
		.amdhsa_reserve_vcc 0
		.amdhsa_float_round_mode_32 0
		.amdhsa_float_round_mode_16_64 0
		.amdhsa_float_denorm_mode_32 3
		.amdhsa_float_denorm_mode_16_64 3
		.amdhsa_fp16_overflow 0
		.amdhsa_workgroup_processor_mode 1
		.amdhsa_memory_ordered 1
		.amdhsa_forward_progress 1
		.amdhsa_inst_pref_size 0
		.amdhsa_round_robin_scheduling 0
		.amdhsa_exception_fp_ieee_invalid_op 0
		.amdhsa_exception_fp_denorm_src 0
		.amdhsa_exception_fp_ieee_div_zero 0
		.amdhsa_exception_fp_ieee_overflow 0
		.amdhsa_exception_fp_ieee_underflow 0
		.amdhsa_exception_fp_ieee_inexact 0
		.amdhsa_exception_int_div_zero 0
	.end_amdhsa_kernel
	.section	.text._ZN7rocprim17ROCPRIM_400000_NS6detail17trampoline_kernelINS0_14default_configENS1_22reduce_config_selectorIiEEZNS1_11reduce_implILb1ES3_PiS7_iN6hipcub16HIPCUB_304000_NS6detail34convert_binary_result_type_wrapperINS9_3SumENS9_22TransformInputIteratorIbN2at6native12_GLOBAL__N_19NonZeroOpIfEEPKflEEiEEEE10hipError_tPvRmT1_T2_T3_mT4_P12ihipStream_tbEUlT_E1_NS1_11comp_targetILNS1_3genE2ELNS1_11target_archE906ELNS1_3gpuE6ELNS1_3repE0EEENS1_30default_config_static_selectorELNS0_4arch9wavefront6targetE0EEEvSQ_,"axG",@progbits,_ZN7rocprim17ROCPRIM_400000_NS6detail17trampoline_kernelINS0_14default_configENS1_22reduce_config_selectorIiEEZNS1_11reduce_implILb1ES3_PiS7_iN6hipcub16HIPCUB_304000_NS6detail34convert_binary_result_type_wrapperINS9_3SumENS9_22TransformInputIteratorIbN2at6native12_GLOBAL__N_19NonZeroOpIfEEPKflEEiEEEE10hipError_tPvRmT1_T2_T3_mT4_P12ihipStream_tbEUlT_E1_NS1_11comp_targetILNS1_3genE2ELNS1_11target_archE906ELNS1_3gpuE6ELNS1_3repE0EEENS1_30default_config_static_selectorELNS0_4arch9wavefront6targetE0EEEvSQ_,comdat
.Lfunc_end435:
	.size	_ZN7rocprim17ROCPRIM_400000_NS6detail17trampoline_kernelINS0_14default_configENS1_22reduce_config_selectorIiEEZNS1_11reduce_implILb1ES3_PiS7_iN6hipcub16HIPCUB_304000_NS6detail34convert_binary_result_type_wrapperINS9_3SumENS9_22TransformInputIteratorIbN2at6native12_GLOBAL__N_19NonZeroOpIfEEPKflEEiEEEE10hipError_tPvRmT1_T2_T3_mT4_P12ihipStream_tbEUlT_E1_NS1_11comp_targetILNS1_3genE2ELNS1_11target_archE906ELNS1_3gpuE6ELNS1_3repE0EEENS1_30default_config_static_selectorELNS0_4arch9wavefront6targetE0EEEvSQ_, .Lfunc_end435-_ZN7rocprim17ROCPRIM_400000_NS6detail17trampoline_kernelINS0_14default_configENS1_22reduce_config_selectorIiEEZNS1_11reduce_implILb1ES3_PiS7_iN6hipcub16HIPCUB_304000_NS6detail34convert_binary_result_type_wrapperINS9_3SumENS9_22TransformInputIteratorIbN2at6native12_GLOBAL__N_19NonZeroOpIfEEPKflEEiEEEE10hipError_tPvRmT1_T2_T3_mT4_P12ihipStream_tbEUlT_E1_NS1_11comp_targetILNS1_3genE2ELNS1_11target_archE906ELNS1_3gpuE6ELNS1_3repE0EEENS1_30default_config_static_selectorELNS0_4arch9wavefront6targetE0EEEvSQ_
                                        ; -- End function
	.set _ZN7rocprim17ROCPRIM_400000_NS6detail17trampoline_kernelINS0_14default_configENS1_22reduce_config_selectorIiEEZNS1_11reduce_implILb1ES3_PiS7_iN6hipcub16HIPCUB_304000_NS6detail34convert_binary_result_type_wrapperINS9_3SumENS9_22TransformInputIteratorIbN2at6native12_GLOBAL__N_19NonZeroOpIfEEPKflEEiEEEE10hipError_tPvRmT1_T2_T3_mT4_P12ihipStream_tbEUlT_E1_NS1_11comp_targetILNS1_3genE2ELNS1_11target_archE906ELNS1_3gpuE6ELNS1_3repE0EEENS1_30default_config_static_selectorELNS0_4arch9wavefront6targetE0EEEvSQ_.num_vgpr, 0
	.set _ZN7rocprim17ROCPRIM_400000_NS6detail17trampoline_kernelINS0_14default_configENS1_22reduce_config_selectorIiEEZNS1_11reduce_implILb1ES3_PiS7_iN6hipcub16HIPCUB_304000_NS6detail34convert_binary_result_type_wrapperINS9_3SumENS9_22TransformInputIteratorIbN2at6native12_GLOBAL__N_19NonZeroOpIfEEPKflEEiEEEE10hipError_tPvRmT1_T2_T3_mT4_P12ihipStream_tbEUlT_E1_NS1_11comp_targetILNS1_3genE2ELNS1_11target_archE906ELNS1_3gpuE6ELNS1_3repE0EEENS1_30default_config_static_selectorELNS0_4arch9wavefront6targetE0EEEvSQ_.num_agpr, 0
	.set _ZN7rocprim17ROCPRIM_400000_NS6detail17trampoline_kernelINS0_14default_configENS1_22reduce_config_selectorIiEEZNS1_11reduce_implILb1ES3_PiS7_iN6hipcub16HIPCUB_304000_NS6detail34convert_binary_result_type_wrapperINS9_3SumENS9_22TransformInputIteratorIbN2at6native12_GLOBAL__N_19NonZeroOpIfEEPKflEEiEEEE10hipError_tPvRmT1_T2_T3_mT4_P12ihipStream_tbEUlT_E1_NS1_11comp_targetILNS1_3genE2ELNS1_11target_archE906ELNS1_3gpuE6ELNS1_3repE0EEENS1_30default_config_static_selectorELNS0_4arch9wavefront6targetE0EEEvSQ_.numbered_sgpr, 0
	.set _ZN7rocprim17ROCPRIM_400000_NS6detail17trampoline_kernelINS0_14default_configENS1_22reduce_config_selectorIiEEZNS1_11reduce_implILb1ES3_PiS7_iN6hipcub16HIPCUB_304000_NS6detail34convert_binary_result_type_wrapperINS9_3SumENS9_22TransformInputIteratorIbN2at6native12_GLOBAL__N_19NonZeroOpIfEEPKflEEiEEEE10hipError_tPvRmT1_T2_T3_mT4_P12ihipStream_tbEUlT_E1_NS1_11comp_targetILNS1_3genE2ELNS1_11target_archE906ELNS1_3gpuE6ELNS1_3repE0EEENS1_30default_config_static_selectorELNS0_4arch9wavefront6targetE0EEEvSQ_.num_named_barrier, 0
	.set _ZN7rocprim17ROCPRIM_400000_NS6detail17trampoline_kernelINS0_14default_configENS1_22reduce_config_selectorIiEEZNS1_11reduce_implILb1ES3_PiS7_iN6hipcub16HIPCUB_304000_NS6detail34convert_binary_result_type_wrapperINS9_3SumENS9_22TransformInputIteratorIbN2at6native12_GLOBAL__N_19NonZeroOpIfEEPKflEEiEEEE10hipError_tPvRmT1_T2_T3_mT4_P12ihipStream_tbEUlT_E1_NS1_11comp_targetILNS1_3genE2ELNS1_11target_archE906ELNS1_3gpuE6ELNS1_3repE0EEENS1_30default_config_static_selectorELNS0_4arch9wavefront6targetE0EEEvSQ_.private_seg_size, 0
	.set _ZN7rocprim17ROCPRIM_400000_NS6detail17trampoline_kernelINS0_14default_configENS1_22reduce_config_selectorIiEEZNS1_11reduce_implILb1ES3_PiS7_iN6hipcub16HIPCUB_304000_NS6detail34convert_binary_result_type_wrapperINS9_3SumENS9_22TransformInputIteratorIbN2at6native12_GLOBAL__N_19NonZeroOpIfEEPKflEEiEEEE10hipError_tPvRmT1_T2_T3_mT4_P12ihipStream_tbEUlT_E1_NS1_11comp_targetILNS1_3genE2ELNS1_11target_archE906ELNS1_3gpuE6ELNS1_3repE0EEENS1_30default_config_static_selectorELNS0_4arch9wavefront6targetE0EEEvSQ_.uses_vcc, 0
	.set _ZN7rocprim17ROCPRIM_400000_NS6detail17trampoline_kernelINS0_14default_configENS1_22reduce_config_selectorIiEEZNS1_11reduce_implILb1ES3_PiS7_iN6hipcub16HIPCUB_304000_NS6detail34convert_binary_result_type_wrapperINS9_3SumENS9_22TransformInputIteratorIbN2at6native12_GLOBAL__N_19NonZeroOpIfEEPKflEEiEEEE10hipError_tPvRmT1_T2_T3_mT4_P12ihipStream_tbEUlT_E1_NS1_11comp_targetILNS1_3genE2ELNS1_11target_archE906ELNS1_3gpuE6ELNS1_3repE0EEENS1_30default_config_static_selectorELNS0_4arch9wavefront6targetE0EEEvSQ_.uses_flat_scratch, 0
	.set _ZN7rocprim17ROCPRIM_400000_NS6detail17trampoline_kernelINS0_14default_configENS1_22reduce_config_selectorIiEEZNS1_11reduce_implILb1ES3_PiS7_iN6hipcub16HIPCUB_304000_NS6detail34convert_binary_result_type_wrapperINS9_3SumENS9_22TransformInputIteratorIbN2at6native12_GLOBAL__N_19NonZeroOpIfEEPKflEEiEEEE10hipError_tPvRmT1_T2_T3_mT4_P12ihipStream_tbEUlT_E1_NS1_11comp_targetILNS1_3genE2ELNS1_11target_archE906ELNS1_3gpuE6ELNS1_3repE0EEENS1_30default_config_static_selectorELNS0_4arch9wavefront6targetE0EEEvSQ_.has_dyn_sized_stack, 0
	.set _ZN7rocprim17ROCPRIM_400000_NS6detail17trampoline_kernelINS0_14default_configENS1_22reduce_config_selectorIiEEZNS1_11reduce_implILb1ES3_PiS7_iN6hipcub16HIPCUB_304000_NS6detail34convert_binary_result_type_wrapperINS9_3SumENS9_22TransformInputIteratorIbN2at6native12_GLOBAL__N_19NonZeroOpIfEEPKflEEiEEEE10hipError_tPvRmT1_T2_T3_mT4_P12ihipStream_tbEUlT_E1_NS1_11comp_targetILNS1_3genE2ELNS1_11target_archE906ELNS1_3gpuE6ELNS1_3repE0EEENS1_30default_config_static_selectorELNS0_4arch9wavefront6targetE0EEEvSQ_.has_recursion, 0
	.set _ZN7rocprim17ROCPRIM_400000_NS6detail17trampoline_kernelINS0_14default_configENS1_22reduce_config_selectorIiEEZNS1_11reduce_implILb1ES3_PiS7_iN6hipcub16HIPCUB_304000_NS6detail34convert_binary_result_type_wrapperINS9_3SumENS9_22TransformInputIteratorIbN2at6native12_GLOBAL__N_19NonZeroOpIfEEPKflEEiEEEE10hipError_tPvRmT1_T2_T3_mT4_P12ihipStream_tbEUlT_E1_NS1_11comp_targetILNS1_3genE2ELNS1_11target_archE906ELNS1_3gpuE6ELNS1_3repE0EEENS1_30default_config_static_selectorELNS0_4arch9wavefront6targetE0EEEvSQ_.has_indirect_call, 0
	.section	.AMDGPU.csdata,"",@progbits
; Kernel info:
; codeLenInByte = 0
; TotalNumSgprs: 0
; NumVgprs: 0
; ScratchSize: 0
; MemoryBound: 0
; FloatMode: 240
; IeeeMode: 1
; LDSByteSize: 0 bytes/workgroup (compile time only)
; SGPRBlocks: 0
; VGPRBlocks: 0
; NumSGPRsForWavesPerEU: 1
; NumVGPRsForWavesPerEU: 1
; Occupancy: 16
; WaveLimiterHint : 0
; COMPUTE_PGM_RSRC2:SCRATCH_EN: 0
; COMPUTE_PGM_RSRC2:USER_SGPR: 2
; COMPUTE_PGM_RSRC2:TRAP_HANDLER: 0
; COMPUTE_PGM_RSRC2:TGID_X_EN: 1
; COMPUTE_PGM_RSRC2:TGID_Y_EN: 0
; COMPUTE_PGM_RSRC2:TGID_Z_EN: 0
; COMPUTE_PGM_RSRC2:TIDIG_COMP_CNT: 0
	.section	.text._ZN7rocprim17ROCPRIM_400000_NS6detail17trampoline_kernelINS0_14default_configENS1_22reduce_config_selectorIiEEZNS1_11reduce_implILb1ES3_PiS7_iN6hipcub16HIPCUB_304000_NS6detail34convert_binary_result_type_wrapperINS9_3SumENS9_22TransformInputIteratorIbN2at6native12_GLOBAL__N_19NonZeroOpIfEEPKflEEiEEEE10hipError_tPvRmT1_T2_T3_mT4_P12ihipStream_tbEUlT_E1_NS1_11comp_targetILNS1_3genE10ELNS1_11target_archE1201ELNS1_3gpuE5ELNS1_3repE0EEENS1_30default_config_static_selectorELNS0_4arch9wavefront6targetE0EEEvSQ_,"axG",@progbits,_ZN7rocprim17ROCPRIM_400000_NS6detail17trampoline_kernelINS0_14default_configENS1_22reduce_config_selectorIiEEZNS1_11reduce_implILb1ES3_PiS7_iN6hipcub16HIPCUB_304000_NS6detail34convert_binary_result_type_wrapperINS9_3SumENS9_22TransformInputIteratorIbN2at6native12_GLOBAL__N_19NonZeroOpIfEEPKflEEiEEEE10hipError_tPvRmT1_T2_T3_mT4_P12ihipStream_tbEUlT_E1_NS1_11comp_targetILNS1_3genE10ELNS1_11target_archE1201ELNS1_3gpuE5ELNS1_3repE0EEENS1_30default_config_static_selectorELNS0_4arch9wavefront6targetE0EEEvSQ_,comdat
	.globl	_ZN7rocprim17ROCPRIM_400000_NS6detail17trampoline_kernelINS0_14default_configENS1_22reduce_config_selectorIiEEZNS1_11reduce_implILb1ES3_PiS7_iN6hipcub16HIPCUB_304000_NS6detail34convert_binary_result_type_wrapperINS9_3SumENS9_22TransformInputIteratorIbN2at6native12_GLOBAL__N_19NonZeroOpIfEEPKflEEiEEEE10hipError_tPvRmT1_T2_T3_mT4_P12ihipStream_tbEUlT_E1_NS1_11comp_targetILNS1_3genE10ELNS1_11target_archE1201ELNS1_3gpuE5ELNS1_3repE0EEENS1_30default_config_static_selectorELNS0_4arch9wavefront6targetE0EEEvSQ_ ; -- Begin function _ZN7rocprim17ROCPRIM_400000_NS6detail17trampoline_kernelINS0_14default_configENS1_22reduce_config_selectorIiEEZNS1_11reduce_implILb1ES3_PiS7_iN6hipcub16HIPCUB_304000_NS6detail34convert_binary_result_type_wrapperINS9_3SumENS9_22TransformInputIteratorIbN2at6native12_GLOBAL__N_19NonZeroOpIfEEPKflEEiEEEE10hipError_tPvRmT1_T2_T3_mT4_P12ihipStream_tbEUlT_E1_NS1_11comp_targetILNS1_3genE10ELNS1_11target_archE1201ELNS1_3gpuE5ELNS1_3repE0EEENS1_30default_config_static_selectorELNS0_4arch9wavefront6targetE0EEEvSQ_
	.p2align	8
	.type	_ZN7rocprim17ROCPRIM_400000_NS6detail17trampoline_kernelINS0_14default_configENS1_22reduce_config_selectorIiEEZNS1_11reduce_implILb1ES3_PiS7_iN6hipcub16HIPCUB_304000_NS6detail34convert_binary_result_type_wrapperINS9_3SumENS9_22TransformInputIteratorIbN2at6native12_GLOBAL__N_19NonZeroOpIfEEPKflEEiEEEE10hipError_tPvRmT1_T2_T3_mT4_P12ihipStream_tbEUlT_E1_NS1_11comp_targetILNS1_3genE10ELNS1_11target_archE1201ELNS1_3gpuE5ELNS1_3repE0EEENS1_30default_config_static_selectorELNS0_4arch9wavefront6targetE0EEEvSQ_,@function
_ZN7rocprim17ROCPRIM_400000_NS6detail17trampoline_kernelINS0_14default_configENS1_22reduce_config_selectorIiEEZNS1_11reduce_implILb1ES3_PiS7_iN6hipcub16HIPCUB_304000_NS6detail34convert_binary_result_type_wrapperINS9_3SumENS9_22TransformInputIteratorIbN2at6native12_GLOBAL__N_19NonZeroOpIfEEPKflEEiEEEE10hipError_tPvRmT1_T2_T3_mT4_P12ihipStream_tbEUlT_E1_NS1_11comp_targetILNS1_3genE10ELNS1_11target_archE1201ELNS1_3gpuE5ELNS1_3repE0EEENS1_30default_config_static_selectorELNS0_4arch9wavefront6targetE0EEEvSQ_: ; @_ZN7rocprim17ROCPRIM_400000_NS6detail17trampoline_kernelINS0_14default_configENS1_22reduce_config_selectorIiEEZNS1_11reduce_implILb1ES3_PiS7_iN6hipcub16HIPCUB_304000_NS6detail34convert_binary_result_type_wrapperINS9_3SumENS9_22TransformInputIteratorIbN2at6native12_GLOBAL__N_19NonZeroOpIfEEPKflEEiEEEE10hipError_tPvRmT1_T2_T3_mT4_P12ihipStream_tbEUlT_E1_NS1_11comp_targetILNS1_3genE10ELNS1_11target_archE1201ELNS1_3gpuE5ELNS1_3repE0EEENS1_30default_config_static_selectorELNS0_4arch9wavefront6targetE0EEEvSQ_
; %bb.0:
	s_clause 0x1
	s_load_b32 s33, s[0:1], 0x4
	s_load_b128 s[36:39], s[0:1], 0x8
	s_mov_b32 s34, ttmp9
	s_wait_kmcnt 0x0
	s_cmp_lt_i32 s33, 8
	s_cbranch_scc1 .LBB436_11
; %bb.1:
	s_cmp_gt_i32 s33, 15
	s_cbranch_scc0 .LBB436_12
; %bb.2:
	s_cmp_gt_i32 s33, 31
	s_cbranch_scc0 .LBB436_13
; %bb.3:
	s_cmp_eq_u32 s33, 32
	s_mov_b32 s42, 0
	s_cbranch_scc0 .LBB436_14
; %bb.4:
	s_mov_b32 s35, 0
	s_lshl_b32 s2, s34, 13
	s_mov_b32 s3, s35
	s_lshr_b64 s[4:5], s[38:39], 13
	s_lshl_b64 s[6:7], s[2:3], 2
	s_cmp_lg_u64 s[4:5], s[34:35]
	s_add_nc_u64 s[40:41], s[36:37], s[6:7]
	s_cbranch_scc0 .LBB436_23
; %bb.5:
	v_lshlrev_b32_e32 v1, 2, v0
	s_mov_b32 s3, exec_lo
	s_clause 0x1f
	global_load_b32 v2, v1, s[40:41]
	global_load_b32 v3, v1, s[40:41] offset:1024
	global_load_b32 v4, v1, s[40:41] offset:2048
	;; [unrolled: 1-line block ×31, first 2 shown]
	s_wait_loadcnt 0x1e
	v_add_nc_u32_e32 v2, v3, v2
	s_wait_loadcnt 0x1c
	s_delay_alu instid0(VALU_DEP_1) | instskip(SKIP_1) | instid1(VALU_DEP_1)
	v_add3_u32 v2, v2, v4, v5
	s_wait_loadcnt 0x1a
	v_add3_u32 v2, v2, v6, v7
	s_wait_loadcnt 0x18
	s_delay_alu instid0(VALU_DEP_1) | instskip(SKIP_1) | instid1(VALU_DEP_1)
	v_add3_u32 v2, v2, v8, v9
	s_wait_loadcnt 0x16
	v_add3_u32 v2, v2, v10, v11
	;; [unrolled: 5-line block ×7, first 2 shown]
	s_wait_loadcnt 0x0
	s_delay_alu instid0(VALU_DEP_1) | instskip(NEXT) | instid1(VALU_DEP_1)
	v_add3_u32 v1, v2, v32, v1
	v_mov_b32_dpp v2, v1 quad_perm:[1,0,3,2] row_mask:0xf bank_mask:0xf
	s_delay_alu instid0(VALU_DEP_1) | instskip(NEXT) | instid1(VALU_DEP_1)
	v_add_nc_u32_e32 v1, v2, v1
	v_mov_b32_dpp v2, v1 quad_perm:[2,3,0,1] row_mask:0xf bank_mask:0xf
	s_delay_alu instid0(VALU_DEP_1) | instskip(NEXT) | instid1(VALU_DEP_1)
	v_add_nc_u32_e32 v1, v1, v2
	v_mov_b32_dpp v2, v1 row_ror:4 row_mask:0xf bank_mask:0xf
	s_delay_alu instid0(VALU_DEP_1) | instskip(NEXT) | instid1(VALU_DEP_1)
	v_add_nc_u32_e32 v1, v1, v2
	v_mov_b32_dpp v2, v1 row_ror:8 row_mask:0xf bank_mask:0xf
	s_delay_alu instid0(VALU_DEP_1)
	v_add_nc_u32_e32 v1, v1, v2
	ds_swizzle_b32 v2, v1 offset:swizzle(BROADCAST,32,15)
	s_wait_dscnt 0x0
	v_dual_mov_b32 v2, 0 :: v_dual_add_nc_u32 v1, v1, v2
	ds_bpermute_b32 v1, v2, v1 offset:124
	v_mbcnt_lo_u32_b32 v2, -1, 0
	s_delay_alu instid0(VALU_DEP_1)
	v_cmpx_eq_u32_e32 0, v2
	s_cbranch_execz .LBB436_7
; %bb.6:
	v_lshrrev_b32_e32 v3, 3, v0
	s_delay_alu instid0(VALU_DEP_1)
	v_and_b32_e32 v3, 28, v3
	s_wait_dscnt 0x0
	ds_store_b32 v3, v1 offset:96
.LBB436_7:
	s_or_b32 exec_lo, exec_lo, s3
	s_delay_alu instid0(SALU_CYCLE_1)
	s_mov_b32 s3, exec_lo
	s_wait_dscnt 0x0
	s_barrier_signal -1
	s_barrier_wait -1
	global_inv scope:SCOPE_SE
	v_cmpx_gt_u32_e32 32, v0
	s_cbranch_execz .LBB436_9
; %bb.8:
	v_lshl_or_b32 v1, v2, 2, 0x60
	v_and_b32_e32 v3, 7, v2
	ds_load_b32 v1, v1
	v_cmp_ne_u32_e32 vcc_lo, 7, v3
	v_add_co_ci_u32_e64 v4, null, 0, v2, vcc_lo
	v_cmp_gt_u32_e32 vcc_lo, 6, v3
	s_delay_alu instid0(VALU_DEP_2) | instskip(SKIP_2) | instid1(VALU_DEP_1)
	v_lshlrev_b32_e32 v4, 2, v4
	s_wait_alu 0xfffd
	v_cndmask_b32_e64 v3, 0, 2, vcc_lo
	v_add_lshl_u32 v3, v3, v2, 2
	v_lshlrev_b32_e32 v2, 2, v2
	s_wait_dscnt 0x0
	ds_bpermute_b32 v4, v4, v1
	v_or_b32_e32 v2, 16, v2
	s_wait_dscnt 0x0
	v_add_nc_u32_e32 v1, v4, v1
	ds_bpermute_b32 v3, v3, v1
	s_wait_dscnt 0x0
	v_add_nc_u32_e32 v1, v3, v1
	ds_bpermute_b32 v2, v2, v1
	s_wait_dscnt 0x0
	v_add_nc_u32_e32 v1, v2, v1
.LBB436_9:
	s_or_b32 exec_lo, exec_lo, s3
.LBB436_10:
	v_cmp_eq_u32_e64 s2, 0, v0
	s_and_b32 vcc_lo, exec_lo, s42
	s_wait_alu 0xfffe
	s_cbranch_vccnz .LBB436_15
	s_branch .LBB436_93
.LBB436_11:
	s_mov_b32 s2, 0
                                        ; implicit-def: $vgpr1
	s_cbranch_execnz .LBB436_166
	s_branch .LBB436_224
.LBB436_12:
	s_mov_b32 s2, 0
                                        ; implicit-def: $vgpr1
	s_cbranch_execnz .LBB436_134
	s_branch .LBB436_142
.LBB436_13:
	s_mov_b32 s42, -1
.LBB436_14:
	s_mov_b32 s2, 0
                                        ; implicit-def: $vgpr1
	s_and_b32 vcc_lo, exec_lo, s42
	s_cbranch_vccz .LBB436_93
.LBB436_15:
	s_cmp_eq_u32 s33, 16
	s_cbranch_scc0 .LBB436_22
; %bb.16:
	s_mov_b32 s35, 0
	s_lshl_b32 s2, s34, 12
	s_mov_b32 s3, s35
	s_lshr_b64 s[4:5], s[38:39], 12
	s_wait_alu 0xfffe
	s_lshl_b64 s[6:7], s[2:3], 2
	s_cmp_lg_u64 s[4:5], s[34:35]
	s_wait_alu 0xfffe
	s_add_nc_u64 s[16:17], s[36:37], s[6:7]
	s_cbranch_scc0 .LBB436_94
; %bb.17:
	v_lshlrev_b32_e32 v1, 2, v0
	s_mov_b32 s3, exec_lo
	s_clause 0xf
	global_load_b32 v2, v1, s[16:17]
	global_load_b32 v3, v1, s[16:17] offset:1024
	global_load_b32 v4, v1, s[16:17] offset:2048
	;; [unrolled: 1-line block ×15, first 2 shown]
	s_wait_loadcnt 0xe
	v_add_nc_u32_e32 v2, v3, v2
	s_wait_loadcnt 0xc
	s_delay_alu instid0(VALU_DEP_1) | instskip(SKIP_1) | instid1(VALU_DEP_1)
	v_add3_u32 v2, v2, v4, v5
	s_wait_loadcnt 0xa
	v_add3_u32 v2, v2, v6, v7
	s_wait_loadcnt 0x8
	s_delay_alu instid0(VALU_DEP_1) | instskip(SKIP_1) | instid1(VALU_DEP_1)
	v_add3_u32 v2, v2, v8, v9
	s_wait_loadcnt 0x6
	v_add3_u32 v2, v2, v10, v11
	;; [unrolled: 5-line block ×3, first 2 shown]
	s_wait_loadcnt 0x0
	s_delay_alu instid0(VALU_DEP_1) | instskip(NEXT) | instid1(VALU_DEP_1)
	v_add3_u32 v1, v2, v16, v1
	v_mov_b32_dpp v2, v1 quad_perm:[1,0,3,2] row_mask:0xf bank_mask:0xf
	s_delay_alu instid0(VALU_DEP_1) | instskip(NEXT) | instid1(VALU_DEP_1)
	v_add_nc_u32_e32 v1, v2, v1
	v_mov_b32_dpp v2, v1 quad_perm:[2,3,0,1] row_mask:0xf bank_mask:0xf
	s_delay_alu instid0(VALU_DEP_1) | instskip(NEXT) | instid1(VALU_DEP_1)
	v_add_nc_u32_e32 v1, v1, v2
	v_mov_b32_dpp v2, v1 row_ror:4 row_mask:0xf bank_mask:0xf
	s_delay_alu instid0(VALU_DEP_1) | instskip(NEXT) | instid1(VALU_DEP_1)
	v_add_nc_u32_e32 v1, v1, v2
	v_mov_b32_dpp v2, v1 row_ror:8 row_mask:0xf bank_mask:0xf
	s_delay_alu instid0(VALU_DEP_1)
	v_add_nc_u32_e32 v1, v1, v2
	ds_swizzle_b32 v2, v1 offset:swizzle(BROADCAST,32,15)
	s_wait_dscnt 0x0
	v_dual_mov_b32 v2, 0 :: v_dual_add_nc_u32 v1, v1, v2
	ds_bpermute_b32 v1, v2, v1 offset:124
	v_mbcnt_lo_u32_b32 v2, -1, 0
	s_delay_alu instid0(VALU_DEP_1)
	v_cmpx_eq_u32_e32 0, v2
	s_cbranch_execz .LBB436_19
; %bb.18:
	v_lshrrev_b32_e32 v3, 3, v0
	s_delay_alu instid0(VALU_DEP_1)
	v_and_b32_e32 v3, 28, v3
	s_wait_dscnt 0x0
	ds_store_b32 v3, v1
.LBB436_19:
	s_wait_alu 0xfffe
	s_or_b32 exec_lo, exec_lo, s3
	s_delay_alu instid0(SALU_CYCLE_1)
	s_mov_b32 s3, exec_lo
	s_wait_dscnt 0x0
	s_barrier_signal -1
	s_barrier_wait -1
	global_inv scope:SCOPE_SE
	v_cmpx_gt_u32_e32 32, v0
	s_cbranch_execz .LBB436_21
; %bb.20:
	v_and_b32_e32 v1, 7, v2
	s_delay_alu instid0(VALU_DEP_1)
	v_lshlrev_b32_e32 v3, 2, v1
	v_cmp_ne_u32_e32 vcc_lo, 7, v1
	ds_load_b32 v3, v3
	s_wait_alu 0xfffd
	v_add_co_ci_u32_e64 v4, null, 0, v2, vcc_lo
	v_cmp_gt_u32_e32 vcc_lo, 6, v1
	s_delay_alu instid0(VALU_DEP_2) | instskip(SKIP_2) | instid1(VALU_DEP_1)
	v_lshlrev_b32_e32 v4, 2, v4
	s_wait_alu 0xfffd
	v_cndmask_b32_e64 v1, 0, 2, vcc_lo
	v_add_lshl_u32 v1, v1, v2, 2
	v_lshlrev_b32_e32 v2, 2, v2
	s_delay_alu instid0(VALU_DEP_1)
	v_or_b32_e32 v2, 16, v2
	s_wait_dscnt 0x0
	ds_bpermute_b32 v4, v4, v3
	s_wait_dscnt 0x0
	v_add_nc_u32_e32 v3, v4, v3
	ds_bpermute_b32 v1, v1, v3
	s_wait_dscnt 0x0
	v_add_nc_u32_e32 v1, v1, v3
	;; [unrolled: 3-line block ×3, first 2 shown]
.LBB436_21:
	s_wait_alu 0xfffe
	s_or_b32 exec_lo, exec_lo, s3
	s_mov_b32 s3, 0
	s_branch .LBB436_95
.LBB436_22:
                                        ; implicit-def: $vgpr1
	s_branch .LBB436_142
.LBB436_23:
                                        ; implicit-def: $vgpr1
	s_cbranch_execz .LBB436_10
; %bb.24:
	v_mov_b32_e32 v1, 0
	s_sub_co_i32 s43, s38, s2
	s_delay_alu instid0(SALU_CYCLE_1) | instskip(NEXT) | instid1(VALU_DEP_2)
	v_cmp_gt_u32_e32 vcc_lo, s43, v0
	v_dual_mov_b32 v2, v1 :: v_dual_mov_b32 v3, v1
	v_dual_mov_b32 v4, v1 :: v_dual_mov_b32 v5, v1
	;; [unrolled: 1-line block ×15, first 2 shown]
	v_mov_b32_e32 v32, v1
	s_and_saveexec_b32 s2, vcc_lo
	s_cbranch_execz .LBB436_26
; %bb.25:
	v_dual_mov_b32 v3, v1 :: v_dual_lshlrev_b32 v2, 2, v0
	v_dual_mov_b32 v32, v1 :: v_dual_mov_b32 v33, v1
	v_dual_mov_b32 v4, v1 :: v_dual_mov_b32 v5, v1
	global_load_b32 v2, v2, s[40:41]
	v_dual_mov_b32 v6, v1 :: v_dual_mov_b32 v7, v1
	v_dual_mov_b32 v8, v1 :: v_dual_mov_b32 v9, v1
	;; [unrolled: 1-line block ×13, first 2 shown]
	s_wait_loadcnt 0x0
	v_mov_b32_e32 v1, v2
	v_mov_b32_e32 v2, v3
	;; [unrolled: 1-line block ×32, first 2 shown]
.LBB436_26:
	s_or_b32 exec_lo, exec_lo, s2
	v_or_b32_e32 v33, 0x100, v0
	s_delay_alu instid0(VALU_DEP_1)
	v_cmp_gt_u32_e32 vcc_lo, s43, v33
	s_and_saveexec_b32 s2, vcc_lo
	s_cbranch_execz .LBB436_28
; %bb.27:
	v_lshlrev_b32_e32 v2, 2, v0
	global_load_b32 v2, v2, s[40:41] offset:1024
.LBB436_28:
	s_or_b32 exec_lo, exec_lo, s2
	v_or_b32_e32 v33, 0x200, v0
	s_delay_alu instid0(VALU_DEP_1)
	v_cmp_gt_u32_e64 s2, s43, v33
	s_and_saveexec_b32 s3, s2
	s_cbranch_execz .LBB436_30
; %bb.29:
	v_lshlrev_b32_e32 v3, 2, v0
	global_load_b32 v3, v3, s[40:41] offset:2048
.LBB436_30:
	s_or_b32 exec_lo, exec_lo, s3
	v_or_b32_e32 v33, 0x300, v0
	s_delay_alu instid0(VALU_DEP_1)
	v_cmp_gt_u32_e64 s3, s43, v33
	s_and_saveexec_b32 s4, s3
	;; [unrolled: 10-line block ×30, first 2 shown]
	s_cbranch_execz .LBB436_88
; %bb.87:
	v_lshlrev_b32_e32 v32, 2, v0
	global_load_b32 v32, v32, s[40:41] offset:31744
.LBB436_88:
	s_or_b32 exec_lo, exec_lo, s44
	s_wait_loadcnt 0x0
	v_cndmask_b32_e32 v2, 0, v2, vcc_lo
	v_cndmask_b32_e64 v3, 0, v3, s2
	v_cndmask_b32_e64 v4, 0, v4, s3
	s_min_u32 s2, s43, 0x100
	s_mov_b32 s3, exec_lo
	v_add_nc_u32_e32 v1, v2, v1
	v_cndmask_b32_e64 v2, 0, v5, s4
	v_cndmask_b32_e64 v5, 0, v6, s5
	;; [unrolled: 1-line block ×3, first 2 shown]
	s_delay_alu instid0(VALU_DEP_4) | instskip(SKIP_3) | instid1(VALU_DEP_4)
	v_add3_u32 v1, v1, v3, v4
	v_cndmask_b32_e64 v3, 0, v7, s6
	v_cndmask_b32_e64 v4, 0, v8, s7
	;; [unrolled: 1-line block ×3, first 2 shown]
	v_add3_u32 v1, v1, v2, v5
	v_cndmask_b32_e64 v2, 0, v9, s8
	v_cndmask_b32_e64 v5, 0, v10, s9
	s_delay_alu instid0(VALU_DEP_3) | instskip(SKIP_2) | instid1(VALU_DEP_3)
	v_add3_u32 v1, v1, v3, v4
	v_cndmask_b32_e64 v3, 0, v11, s10
	v_cndmask_b32_e64 v4, 0, v12, s11
	v_add3_u32 v1, v1, v2, v5
	v_cndmask_b32_e64 v2, 0, v13, s12
	v_cndmask_b32_e64 v5, 0, v14, s13
	s_delay_alu instid0(VALU_DEP_3) | instskip(SKIP_2) | instid1(VALU_DEP_3)
	v_add3_u32 v1, v1, v3, v4
	v_cndmask_b32_e64 v3, 0, v15, s14
	v_cndmask_b32_e64 v4, 0, v16, s15
	;; [unrolled: 7-line block ×5, first 2 shown]
	v_add3_u32 v1, v1, v2, v5
	v_mbcnt_lo_u32_b32 v2, -1, 0
	v_cndmask_b32_e64 v5, 0, v29, s28
	s_delay_alu instid0(VALU_DEP_3) | instskip(NEXT) | instid1(VALU_DEP_3)
	v_add3_u32 v1, v1, v3, v4
	v_cmp_ne_u32_e32 vcc_lo, 31, v2
	v_cndmask_b32_e64 v3, 0, v32, s31
	s_delay_alu instid0(VALU_DEP_3)
	v_add3_u32 v1, v1, v5, v6
	s_wait_alu 0xfffd
	v_add_co_ci_u32_e64 v4, null, 0, v2, vcc_lo
	v_add_nc_u32_e32 v5, 1, v2
	v_cmp_gt_u32_e32 vcc_lo, 30, v2
	v_add3_u32 v1, v1, v7, v3
	s_delay_alu instid0(VALU_DEP_4)
	v_lshlrev_b32_e32 v4, 2, v4
	s_wait_alu 0xfffd
	v_cndmask_b32_e64 v6, 0, 2, vcc_lo
	ds_bpermute_b32 v3, v4, v1
	v_and_b32_e32 v4, 0xe0, v0
	s_wait_alu 0xfffe
	s_delay_alu instid0(VALU_DEP_1) | instskip(NEXT) | instid1(VALU_DEP_1)
	v_sub_nc_u32_e64 v4, s2, v4 clamp
	v_cmp_lt_u32_e32 vcc_lo, v5, v4
	v_add_lshl_u32 v5, v6, v2, 2
	s_wait_dscnt 0x0
	s_wait_alu 0xfffd
	v_cndmask_b32_e32 v3, 0, v3, vcc_lo
	v_cmp_gt_u32_e32 vcc_lo, 28, v2
	s_delay_alu instid0(VALU_DEP_2) | instskip(SKIP_4) | instid1(VALU_DEP_1)
	v_add_nc_u32_e32 v1, v1, v3
	s_wait_alu 0xfffd
	v_cndmask_b32_e64 v6, 0, 4, vcc_lo
	ds_bpermute_b32 v3, v5, v1
	v_add_nc_u32_e32 v5, 2, v2
	v_cmp_lt_u32_e32 vcc_lo, v5, v4
	v_add_lshl_u32 v5, v6, v2, 2
	s_wait_dscnt 0x0
	s_wait_alu 0xfffd
	v_cndmask_b32_e32 v3, 0, v3, vcc_lo
	v_cmp_gt_u32_e32 vcc_lo, 24, v2
	s_delay_alu instid0(VALU_DEP_2) | instskip(SKIP_4) | instid1(VALU_DEP_1)
	v_add_nc_u32_e32 v1, v1, v3
	s_wait_alu 0xfffd
	v_cndmask_b32_e64 v6, 0, 8, vcc_lo
	ds_bpermute_b32 v3, v5, v1
	v_add_nc_u32_e32 v5, 4, v2
	v_cmp_lt_u32_e32 vcc_lo, v5, v4
	v_add_lshl_u32 v5, v6, v2, 2
	s_wait_dscnt 0x0
	s_wait_alu 0xfffd
	v_cndmask_b32_e32 v3, 0, v3, vcc_lo
	s_delay_alu instid0(VALU_DEP_1) | instskip(SKIP_3) | instid1(VALU_DEP_1)
	v_add_nc_u32_e32 v1, v1, v3
	v_lshlrev_b32_e32 v3, 2, v2
	ds_bpermute_b32 v5, v5, v1
	v_add_nc_u32_e32 v6, 8, v2
	v_cmp_lt_u32_e32 vcc_lo, v6, v4
	v_or_b32_e32 v6, 64, v3
	s_wait_dscnt 0x0
	s_wait_alu 0xfffd
	v_cndmask_b32_e32 v5, 0, v5, vcc_lo
	s_delay_alu instid0(VALU_DEP_1) | instskip(SKIP_2) | instid1(VALU_DEP_1)
	v_add_nc_u32_e32 v1, v1, v5
	ds_bpermute_b32 v5, v6, v1
	v_add_nc_u32_e32 v6, 16, v2
	v_cmp_lt_u32_e32 vcc_lo, v6, v4
	s_wait_dscnt 0x0
	s_wait_alu 0xfffd
	v_cndmask_b32_e32 v4, 0, v5, vcc_lo
	s_delay_alu instid0(VALU_DEP_1)
	v_add_nc_u32_e32 v1, v1, v4
	v_cmpx_eq_u32_e32 0, v2
; %bb.89:
	v_lshrrev_b32_e32 v4, 3, v0
	s_delay_alu instid0(VALU_DEP_1)
	v_and_b32_e32 v4, 28, v4
	ds_store_b32 v4, v1 offset:192
; %bb.90:
	s_or_b32 exec_lo, exec_lo, s3
	s_delay_alu instid0(SALU_CYCLE_1)
	s_mov_b32 s3, exec_lo
	s_wait_dscnt 0x0
	s_barrier_signal -1
	s_barrier_wait -1
	global_inv scope:SCOPE_SE
	v_cmpx_gt_u32_e32 8, v0
	s_cbranch_execz .LBB436_92
; %bb.91:
	ds_load_b32 v1, v3 offset:192
	v_and_b32_e32 v4, 7, v2
	s_add_co_i32 s2, s2, 31
	s_wait_alu 0xfffe
	s_lshr_b32 s2, s2, 5
	s_delay_alu instid0(VALU_DEP_1) | instskip(SKIP_4) | instid1(VALU_DEP_2)
	v_cmp_ne_u32_e32 vcc_lo, 7, v4
	v_add_nc_u32_e32 v6, 1, v4
	s_wait_alu 0xfffd
	v_add_co_ci_u32_e64 v5, null, 0, v2, vcc_lo
	v_cmp_gt_u32_e32 vcc_lo, 6, v4
	v_lshlrev_b32_e32 v5, 2, v5
	s_wait_alu 0xfffd
	v_cndmask_b32_e64 v7, 0, 2, vcc_lo
	s_wait_alu 0xfffe
	v_cmp_gt_u32_e32 vcc_lo, s2, v6
	s_wait_dscnt 0x0
	ds_bpermute_b32 v5, v5, v1
	v_add_lshl_u32 v2, v7, v2, 2
	s_wait_dscnt 0x0
	s_wait_alu 0xfffd
	v_cndmask_b32_e32 v5, 0, v5, vcc_lo
	s_delay_alu instid0(VALU_DEP_1)
	v_add_nc_u32_e32 v1, v5, v1
	v_add_nc_u32_e32 v5, 2, v4
	ds_bpermute_b32 v2, v2, v1
	v_cmp_gt_u32_e32 vcc_lo, s2, v5
	s_wait_dscnt 0x0
	s_wait_alu 0xfffd
	v_cndmask_b32_e32 v2, 0, v2, vcc_lo
	s_delay_alu instid0(VALU_DEP_1)
	v_add_nc_u32_e32 v1, v1, v2
	v_or_b32_e32 v2, 16, v3
	v_add_nc_u32_e32 v3, 4, v4
	ds_bpermute_b32 v2, v2, v1
	v_cmp_gt_u32_e32 vcc_lo, s2, v3
	s_wait_dscnt 0x0
	s_wait_alu 0xfffd
	v_cndmask_b32_e32 v2, 0, v2, vcc_lo
	s_delay_alu instid0(VALU_DEP_1)
	v_add_nc_u32_e32 v1, v1, v2
.LBB436_92:
	s_wait_alu 0xfffe
	s_or_b32 exec_lo, exec_lo, s3
	v_cmp_eq_u32_e64 s2, 0, v0
	s_and_b32 vcc_lo, exec_lo, s42
	s_wait_alu 0xfffe
	s_cbranch_vccnz .LBB436_15
.LBB436_93:
	s_branch .LBB436_142
.LBB436_94:
	s_mov_b32 s3, -1
                                        ; implicit-def: $vgpr1
.LBB436_95:
	s_wait_alu 0xfffe
	s_and_b32 vcc_lo, exec_lo, s3
	s_wait_alu 0xfffe
	s_cbranch_vccz .LBB436_133
; %bb.96:
	v_mov_b32_e32 v1, 0
	s_sub_co_i32 s18, s38, s2
	s_mov_b32 s2, exec_lo
	s_delay_alu instid0(VALU_DEP_1)
	v_dual_mov_b32 v2, v1 :: v_dual_mov_b32 v3, v1
	v_dual_mov_b32 v4, v1 :: v_dual_mov_b32 v5, v1
	;; [unrolled: 1-line block ×7, first 2 shown]
	v_mov_b32_e32 v16, v1
	s_wait_alu 0xfffe
	v_cmpx_gt_u32_e64 s18, v0
	s_cbranch_execz .LBB436_98
; %bb.97:
	v_dual_mov_b32 v3, v1 :: v_dual_lshlrev_b32 v2, 2, v0
	v_dual_mov_b32 v16, v1 :: v_dual_mov_b32 v17, v1
	v_dual_mov_b32 v4, v1 :: v_dual_mov_b32 v5, v1
	global_load_b32 v2, v2, s[16:17]
	v_dual_mov_b32 v6, v1 :: v_dual_mov_b32 v7, v1
	v_dual_mov_b32 v8, v1 :: v_dual_mov_b32 v9, v1
	;; [unrolled: 1-line block ×5, first 2 shown]
	s_wait_loadcnt 0x0
	v_mov_b32_e32 v1, v2
	v_mov_b32_e32 v2, v3
	v_mov_b32_e32 v3, v4
	v_mov_b32_e32 v4, v5
	v_mov_b32_e32 v5, v6
	v_mov_b32_e32 v6, v7
	v_mov_b32_e32 v7, v8
	v_mov_b32_e32 v8, v9
	v_mov_b32_e32 v9, v10
	v_mov_b32_e32 v10, v11
	v_mov_b32_e32 v11, v12
	v_mov_b32_e32 v12, v13
	v_mov_b32_e32 v13, v14
	v_mov_b32_e32 v14, v15
	v_mov_b32_e32 v15, v16
	v_mov_b32_e32 v16, v17
.LBB436_98:
	s_or_b32 exec_lo, exec_lo, s2
	v_or_b32_e32 v17, 0x100, v0
	s_delay_alu instid0(VALU_DEP_1)
	v_cmp_gt_u32_e32 vcc_lo, s18, v17
	s_and_saveexec_b32 s2, vcc_lo
	s_cbranch_execz .LBB436_100
; %bb.99:
	v_lshlrev_b32_e32 v2, 2, v0
	global_load_b32 v2, v2, s[16:17] offset:1024
.LBB436_100:
	s_wait_alu 0xfffe
	s_or_b32 exec_lo, exec_lo, s2
	v_or_b32_e32 v17, 0x200, v0
	s_delay_alu instid0(VALU_DEP_1)
	v_cmp_gt_u32_e64 s2, s18, v17
	s_and_saveexec_b32 s3, s2
	s_cbranch_execz .LBB436_102
; %bb.101:
	v_lshlrev_b32_e32 v3, 2, v0
	global_load_b32 v3, v3, s[16:17] offset:2048
.LBB436_102:
	s_wait_alu 0xfffe
	s_or_b32 exec_lo, exec_lo, s3
	v_or_b32_e32 v17, 0x300, v0
	s_delay_alu instid0(VALU_DEP_1)
	v_cmp_gt_u32_e64 s3, s18, v17
	s_and_saveexec_b32 s4, s3
	;; [unrolled: 11-line block ×14, first 2 shown]
	s_cbranch_execz .LBB436_128
; %bb.127:
	v_lshlrev_b32_e32 v16, 2, v0
	global_load_b32 v16, v16, s[16:17] offset:15360
.LBB436_128:
	s_wait_alu 0xfffe
	s_or_b32 exec_lo, exec_lo, s19
	s_wait_loadcnt 0x0
	v_cndmask_b32_e32 v2, 0, v2, vcc_lo
	v_cndmask_b32_e64 v3, 0, v3, s2
	v_cndmask_b32_e64 v4, 0, v4, s3
	s_min_u32 s2, s18, 0x100
	s_mov_b32 s3, exec_lo
	v_add_nc_u32_e32 v1, v2, v1
	v_cndmask_b32_e64 v2, 0, v5, s4
	v_cndmask_b32_e64 v5, 0, v6, s5
	;; [unrolled: 1-line block ×3, first 2 shown]
	s_delay_alu instid0(VALU_DEP_4) | instskip(SKIP_3) | instid1(VALU_DEP_4)
	v_add3_u32 v1, v1, v3, v4
	v_cndmask_b32_e64 v3, 0, v7, s6
	v_cndmask_b32_e64 v4, 0, v8, s7
	v_cndmask_b32_e64 v7, 0, v15, s14
	v_add3_u32 v1, v1, v2, v5
	v_cndmask_b32_e64 v2, 0, v9, s8
	v_cndmask_b32_e64 v5, 0, v10, s9
	s_delay_alu instid0(VALU_DEP_3) | instskip(SKIP_2) | instid1(VALU_DEP_3)
	v_add3_u32 v1, v1, v3, v4
	v_cndmask_b32_e64 v3, 0, v11, s10
	v_cndmask_b32_e64 v4, 0, v12, s11
	v_add3_u32 v1, v1, v2, v5
	v_mbcnt_lo_u32_b32 v2, -1, 0
	v_cndmask_b32_e64 v5, 0, v13, s12
	s_delay_alu instid0(VALU_DEP_3) | instskip(NEXT) | instid1(VALU_DEP_3)
	v_add3_u32 v1, v1, v3, v4
	v_cmp_ne_u32_e32 vcc_lo, 31, v2
	v_cndmask_b32_e64 v3, 0, v16, s15
	s_delay_alu instid0(VALU_DEP_3)
	v_add3_u32 v1, v1, v5, v6
	s_wait_alu 0xfffd
	v_add_co_ci_u32_e64 v4, null, 0, v2, vcc_lo
	v_add_nc_u32_e32 v5, 1, v2
	v_cmp_gt_u32_e32 vcc_lo, 30, v2
	v_add3_u32 v1, v1, v7, v3
	s_delay_alu instid0(VALU_DEP_4)
	v_lshlrev_b32_e32 v4, 2, v4
	s_wait_alu 0xfffd
	v_cndmask_b32_e64 v6, 0, 2, vcc_lo
	ds_bpermute_b32 v3, v4, v1
	v_and_b32_e32 v4, 0xe0, v0
	s_wait_alu 0xfffe
	s_delay_alu instid0(VALU_DEP_1) | instskip(NEXT) | instid1(VALU_DEP_1)
	v_sub_nc_u32_e64 v4, s2, v4 clamp
	v_cmp_lt_u32_e32 vcc_lo, v5, v4
	v_add_lshl_u32 v5, v6, v2, 2
	s_wait_dscnt 0x0
	s_wait_alu 0xfffd
	v_cndmask_b32_e32 v3, 0, v3, vcc_lo
	v_cmp_gt_u32_e32 vcc_lo, 28, v2
	s_delay_alu instid0(VALU_DEP_2) | instskip(SKIP_4) | instid1(VALU_DEP_1)
	v_add_nc_u32_e32 v1, v1, v3
	s_wait_alu 0xfffd
	v_cndmask_b32_e64 v6, 0, 4, vcc_lo
	ds_bpermute_b32 v3, v5, v1
	v_add_nc_u32_e32 v5, 2, v2
	v_cmp_lt_u32_e32 vcc_lo, v5, v4
	v_add_lshl_u32 v5, v6, v2, 2
	s_wait_dscnt 0x0
	s_wait_alu 0xfffd
	v_cndmask_b32_e32 v3, 0, v3, vcc_lo
	v_cmp_gt_u32_e32 vcc_lo, 24, v2
	s_delay_alu instid0(VALU_DEP_2) | instskip(SKIP_4) | instid1(VALU_DEP_1)
	v_add_nc_u32_e32 v1, v1, v3
	s_wait_alu 0xfffd
	v_cndmask_b32_e64 v6, 0, 8, vcc_lo
	ds_bpermute_b32 v3, v5, v1
	v_add_nc_u32_e32 v5, 4, v2
	v_cmp_lt_u32_e32 vcc_lo, v5, v4
	v_add_lshl_u32 v5, v6, v2, 2
	s_wait_dscnt 0x0
	s_wait_alu 0xfffd
	v_cndmask_b32_e32 v3, 0, v3, vcc_lo
	s_delay_alu instid0(VALU_DEP_1) | instskip(SKIP_3) | instid1(VALU_DEP_1)
	v_add_nc_u32_e32 v1, v1, v3
	v_lshlrev_b32_e32 v3, 2, v2
	ds_bpermute_b32 v5, v5, v1
	v_add_nc_u32_e32 v6, 8, v2
	v_cmp_lt_u32_e32 vcc_lo, v6, v4
	v_or_b32_e32 v6, 64, v3
	s_wait_dscnt 0x0
	s_wait_alu 0xfffd
	v_cndmask_b32_e32 v5, 0, v5, vcc_lo
	s_delay_alu instid0(VALU_DEP_1) | instskip(SKIP_2) | instid1(VALU_DEP_1)
	v_add_nc_u32_e32 v1, v1, v5
	ds_bpermute_b32 v5, v6, v1
	v_add_nc_u32_e32 v6, 16, v2
	v_cmp_lt_u32_e32 vcc_lo, v6, v4
	s_wait_dscnt 0x0
	s_wait_alu 0xfffd
	v_cndmask_b32_e32 v4, 0, v5, vcc_lo
	s_delay_alu instid0(VALU_DEP_1)
	v_add_nc_u32_e32 v1, v1, v4
	v_cmpx_eq_u32_e32 0, v2
; %bb.129:
	v_lshrrev_b32_e32 v4, 3, v0
	s_delay_alu instid0(VALU_DEP_1)
	v_and_b32_e32 v4, 28, v4
	ds_store_b32 v4, v1 offset:192
; %bb.130:
	s_or_b32 exec_lo, exec_lo, s3
	s_delay_alu instid0(SALU_CYCLE_1)
	s_mov_b32 s3, exec_lo
	s_wait_dscnt 0x0
	s_barrier_signal -1
	s_barrier_wait -1
	global_inv scope:SCOPE_SE
	v_cmpx_gt_u32_e32 8, v0
	s_cbranch_execz .LBB436_132
; %bb.131:
	ds_load_b32 v1, v3 offset:192
	v_and_b32_e32 v4, 7, v2
	s_add_co_i32 s2, s2, 31
	s_wait_alu 0xfffe
	s_lshr_b32 s2, s2, 5
	s_delay_alu instid0(VALU_DEP_1) | instskip(SKIP_4) | instid1(VALU_DEP_2)
	v_cmp_ne_u32_e32 vcc_lo, 7, v4
	v_add_nc_u32_e32 v6, 1, v4
	s_wait_alu 0xfffd
	v_add_co_ci_u32_e64 v5, null, 0, v2, vcc_lo
	v_cmp_gt_u32_e32 vcc_lo, 6, v4
	v_lshlrev_b32_e32 v5, 2, v5
	s_wait_alu 0xfffd
	v_cndmask_b32_e64 v7, 0, 2, vcc_lo
	s_wait_alu 0xfffe
	v_cmp_gt_u32_e32 vcc_lo, s2, v6
	s_wait_dscnt 0x0
	ds_bpermute_b32 v5, v5, v1
	v_add_lshl_u32 v2, v7, v2, 2
	s_wait_dscnt 0x0
	s_wait_alu 0xfffd
	v_cndmask_b32_e32 v5, 0, v5, vcc_lo
	s_delay_alu instid0(VALU_DEP_1)
	v_add_nc_u32_e32 v1, v5, v1
	v_add_nc_u32_e32 v5, 2, v4
	ds_bpermute_b32 v2, v2, v1
	v_cmp_gt_u32_e32 vcc_lo, s2, v5
	s_wait_dscnt 0x0
	s_wait_alu 0xfffd
	v_cndmask_b32_e32 v2, 0, v2, vcc_lo
	s_delay_alu instid0(VALU_DEP_1)
	v_add_nc_u32_e32 v1, v1, v2
	v_or_b32_e32 v2, 16, v3
	v_add_nc_u32_e32 v3, 4, v4
	ds_bpermute_b32 v2, v2, v1
	v_cmp_gt_u32_e32 vcc_lo, s2, v3
	s_wait_dscnt 0x0
	s_wait_alu 0xfffd
	v_cndmask_b32_e32 v2, 0, v2, vcc_lo
	s_delay_alu instid0(VALU_DEP_1)
	v_add_nc_u32_e32 v1, v1, v2
.LBB436_132:
	s_wait_alu 0xfffe
	s_or_b32 exec_lo, exec_lo, s3
.LBB436_133:
	v_cmp_eq_u32_e64 s2, 0, v0
	s_branch .LBB436_142
.LBB436_134:
	s_cmp_eq_u32 s33, 8
	s_cbranch_scc0 .LBB436_141
; %bb.135:
	s_mov_b32 s35, 0
	s_lshl_b32 s2, s34, 11
	s_mov_b32 s3, s35
	s_lshr_b64 s[4:5], s[38:39], 11
	s_lshl_b64 s[6:7], s[2:3], 2
	s_cmp_lg_u64 s[4:5], s[34:35]
	s_add_nc_u64 s[8:9], s[36:37], s[6:7]
	s_cbranch_scc0 .LBB436_143
; %bb.136:
	v_lshlrev_b32_e32 v1, 2, v0
	s_mov_b32 s3, exec_lo
	s_clause 0x7
	global_load_b32 v2, v1, s[8:9]
	global_load_b32 v3, v1, s[8:9] offset:1024
	global_load_b32 v4, v1, s[8:9] offset:2048
	;; [unrolled: 1-line block ×7, first 2 shown]
	s_wait_loadcnt 0x6
	v_add_nc_u32_e32 v2, v3, v2
	s_wait_loadcnt 0x4
	s_delay_alu instid0(VALU_DEP_1) | instskip(SKIP_1) | instid1(VALU_DEP_1)
	v_add3_u32 v2, v2, v4, v5
	s_wait_loadcnt 0x2
	v_add3_u32 v2, v2, v6, v7
	s_wait_loadcnt 0x0
	s_delay_alu instid0(VALU_DEP_1) | instskip(NEXT) | instid1(VALU_DEP_1)
	v_add3_u32 v1, v2, v8, v1
	v_mov_b32_dpp v2, v1 quad_perm:[1,0,3,2] row_mask:0xf bank_mask:0xf
	s_delay_alu instid0(VALU_DEP_1) | instskip(NEXT) | instid1(VALU_DEP_1)
	v_add_nc_u32_e32 v1, v2, v1
	v_mov_b32_dpp v2, v1 quad_perm:[2,3,0,1] row_mask:0xf bank_mask:0xf
	s_delay_alu instid0(VALU_DEP_1) | instskip(NEXT) | instid1(VALU_DEP_1)
	v_add_nc_u32_e32 v1, v1, v2
	v_mov_b32_dpp v2, v1 row_ror:4 row_mask:0xf bank_mask:0xf
	s_delay_alu instid0(VALU_DEP_1) | instskip(NEXT) | instid1(VALU_DEP_1)
	v_add_nc_u32_e32 v1, v1, v2
	v_mov_b32_dpp v2, v1 row_ror:8 row_mask:0xf bank_mask:0xf
	s_delay_alu instid0(VALU_DEP_1)
	v_add_nc_u32_e32 v1, v1, v2
	ds_swizzle_b32 v2, v1 offset:swizzle(BROADCAST,32,15)
	s_wait_dscnt 0x0
	v_dual_mov_b32 v2, 0 :: v_dual_add_nc_u32 v1, v1, v2
	ds_bpermute_b32 v1, v2, v1 offset:124
	v_mbcnt_lo_u32_b32 v2, -1, 0
	s_delay_alu instid0(VALU_DEP_1)
	v_cmpx_eq_u32_e32 0, v2
	s_cbranch_execz .LBB436_138
; %bb.137:
	v_lshrrev_b32_e32 v3, 3, v0
	s_delay_alu instid0(VALU_DEP_1)
	v_and_b32_e32 v3, 28, v3
	s_wait_dscnt 0x0
	ds_store_b32 v3, v1 offset:160
.LBB436_138:
	s_or_b32 exec_lo, exec_lo, s3
	s_delay_alu instid0(SALU_CYCLE_1)
	s_mov_b32 s3, exec_lo
	s_wait_dscnt 0x0
	s_barrier_signal -1
	s_barrier_wait -1
	global_inv scope:SCOPE_SE
	v_cmpx_gt_u32_e32 32, v0
	s_cbranch_execz .LBB436_140
; %bb.139:
	v_and_b32_e32 v1, 7, v2
	s_delay_alu instid0(VALU_DEP_1) | instskip(SKIP_4) | instid1(VALU_DEP_2)
	v_lshlrev_b32_e32 v3, 2, v1
	v_cmp_ne_u32_e32 vcc_lo, 7, v1
	ds_load_b32 v3, v3 offset:160
	v_add_co_ci_u32_e64 v4, null, 0, v2, vcc_lo
	v_cmp_gt_u32_e32 vcc_lo, 6, v1
	v_lshlrev_b32_e32 v4, 2, v4
	s_wait_alu 0xfffd
	v_cndmask_b32_e64 v1, 0, 2, vcc_lo
	s_delay_alu instid0(VALU_DEP_1) | instskip(SKIP_1) | instid1(VALU_DEP_1)
	v_add_lshl_u32 v1, v1, v2, 2
	v_lshlrev_b32_e32 v2, 2, v2
	v_or_b32_e32 v2, 16, v2
	s_wait_dscnt 0x0
	ds_bpermute_b32 v4, v4, v3
	s_wait_dscnt 0x0
	v_add_nc_u32_e32 v3, v4, v3
	ds_bpermute_b32 v1, v1, v3
	s_wait_dscnt 0x0
	v_add_nc_u32_e32 v1, v1, v3
	;; [unrolled: 3-line block ×3, first 2 shown]
.LBB436_140:
	s_or_b32 exec_lo, exec_lo, s3
	s_branch .LBB436_165
.LBB436_141:
                                        ; implicit-def: $vgpr1
.LBB436_142:
	s_branch .LBB436_224
.LBB436_143:
                                        ; implicit-def: $vgpr1
	s_cbranch_execz .LBB436_165
; %bb.144:
	v_mov_b32_e32 v1, 0
	s_sub_co_i32 s10, s38, s2
	s_mov_b32 s2, exec_lo
	s_delay_alu instid0(VALU_DEP_1)
	v_dual_mov_b32 v2, v1 :: v_dual_mov_b32 v3, v1
	v_dual_mov_b32 v4, v1 :: v_dual_mov_b32 v5, v1
	;; [unrolled: 1-line block ×3, first 2 shown]
	v_mov_b32_e32 v8, v1
	v_cmpx_gt_u32_e64 s10, v0
	s_cbranch_execz .LBB436_146
; %bb.145:
	v_dual_mov_b32 v3, v1 :: v_dual_lshlrev_b32 v2, 2, v0
	v_dual_mov_b32 v8, v1 :: v_dual_mov_b32 v9, v1
	v_dual_mov_b32 v4, v1 :: v_dual_mov_b32 v5, v1
	global_load_b32 v2, v2, s[8:9]
	v_dual_mov_b32 v6, v1 :: v_dual_mov_b32 v7, v1
	s_wait_loadcnt 0x0
	v_mov_b32_e32 v1, v2
	v_mov_b32_e32 v2, v3
	v_mov_b32_e32 v3, v4
	v_mov_b32_e32 v4, v5
	v_mov_b32_e32 v5, v6
	v_mov_b32_e32 v6, v7
	v_mov_b32_e32 v7, v8
	v_mov_b32_e32 v8, v9
.LBB436_146:
	s_or_b32 exec_lo, exec_lo, s2
	v_or_b32_e32 v9, 0x100, v0
	s_delay_alu instid0(VALU_DEP_1)
	v_cmp_gt_u32_e32 vcc_lo, s10, v9
	s_and_saveexec_b32 s2, vcc_lo
	s_cbranch_execz .LBB436_148
; %bb.147:
	v_lshlrev_b32_e32 v2, 2, v0
	global_load_b32 v2, v2, s[8:9] offset:1024
.LBB436_148:
	s_or_b32 exec_lo, exec_lo, s2
	v_or_b32_e32 v9, 0x200, v0
	s_delay_alu instid0(VALU_DEP_1)
	v_cmp_gt_u32_e64 s2, s10, v9
	s_and_saveexec_b32 s3, s2
	s_cbranch_execz .LBB436_150
; %bb.149:
	v_lshlrev_b32_e32 v3, 2, v0
	global_load_b32 v3, v3, s[8:9] offset:2048
.LBB436_150:
	s_or_b32 exec_lo, exec_lo, s3
	v_or_b32_e32 v9, 0x300, v0
	s_delay_alu instid0(VALU_DEP_1)
	v_cmp_gt_u32_e64 s3, s10, v9
	s_and_saveexec_b32 s4, s3
	;; [unrolled: 10-line block ×6, first 2 shown]
	s_cbranch_execz .LBB436_160
; %bb.159:
	v_lshlrev_b32_e32 v8, 2, v0
	global_load_b32 v8, v8, s[8:9] offset:7168
.LBB436_160:
	s_wait_alu 0xfffe
	s_or_b32 exec_lo, exec_lo, s11
	s_wait_loadcnt 0x0
	v_cndmask_b32_e32 v2, 0, v2, vcc_lo
	v_cndmask_b32_e64 v3, 0, v3, s2
	v_cndmask_b32_e64 v4, 0, v4, s3
	;; [unrolled: 1-line block ×4, first 2 shown]
	v_add_nc_u32_e32 v1, v2, v1
	v_mbcnt_lo_u32_b32 v2, -1, 0
	v_cndmask_b32_e64 v7, 0, v7, s6
	s_min_u32 s2, s10, 0x100
	s_mov_b32 s3, exec_lo
	v_add3_u32 v1, v1, v3, v4
	v_cmp_ne_u32_e32 vcc_lo, 31, v2
	v_cndmask_b32_e64 v3, 0, v8, s7
	s_delay_alu instid0(VALU_DEP_3)
	v_add3_u32 v1, v1, v5, v6
	s_wait_alu 0xfffd
	v_add_co_ci_u32_e64 v4, null, 0, v2, vcc_lo
	v_add_nc_u32_e32 v5, 1, v2
	v_cmp_gt_u32_e32 vcc_lo, 30, v2
	v_add3_u32 v1, v1, v7, v3
	s_delay_alu instid0(VALU_DEP_4)
	v_lshlrev_b32_e32 v4, 2, v4
	s_wait_alu 0xfffd
	v_cndmask_b32_e64 v6, 0, 2, vcc_lo
	ds_bpermute_b32 v3, v4, v1
	v_and_b32_e32 v4, 0xe0, v0
	s_wait_alu 0xfffe
	s_delay_alu instid0(VALU_DEP_1) | instskip(NEXT) | instid1(VALU_DEP_1)
	v_sub_nc_u32_e64 v4, s2, v4 clamp
	v_cmp_lt_u32_e32 vcc_lo, v5, v4
	v_add_lshl_u32 v5, v6, v2, 2
	s_wait_dscnt 0x0
	s_wait_alu 0xfffd
	v_cndmask_b32_e32 v3, 0, v3, vcc_lo
	v_cmp_gt_u32_e32 vcc_lo, 28, v2
	s_delay_alu instid0(VALU_DEP_2) | instskip(SKIP_4) | instid1(VALU_DEP_1)
	v_add_nc_u32_e32 v1, v1, v3
	s_wait_alu 0xfffd
	v_cndmask_b32_e64 v6, 0, 4, vcc_lo
	ds_bpermute_b32 v3, v5, v1
	v_add_nc_u32_e32 v5, 2, v2
	v_cmp_lt_u32_e32 vcc_lo, v5, v4
	v_add_lshl_u32 v5, v6, v2, 2
	s_wait_dscnt 0x0
	s_wait_alu 0xfffd
	v_cndmask_b32_e32 v3, 0, v3, vcc_lo
	v_cmp_gt_u32_e32 vcc_lo, 24, v2
	s_delay_alu instid0(VALU_DEP_2) | instskip(SKIP_4) | instid1(VALU_DEP_1)
	v_add_nc_u32_e32 v1, v1, v3
	s_wait_alu 0xfffd
	v_cndmask_b32_e64 v6, 0, 8, vcc_lo
	ds_bpermute_b32 v3, v5, v1
	v_add_nc_u32_e32 v5, 4, v2
	v_cmp_lt_u32_e32 vcc_lo, v5, v4
	v_add_lshl_u32 v5, v6, v2, 2
	s_wait_dscnt 0x0
	s_wait_alu 0xfffd
	v_cndmask_b32_e32 v3, 0, v3, vcc_lo
	s_delay_alu instid0(VALU_DEP_1) | instskip(SKIP_3) | instid1(VALU_DEP_1)
	v_add_nc_u32_e32 v1, v1, v3
	v_lshlrev_b32_e32 v3, 2, v2
	ds_bpermute_b32 v5, v5, v1
	v_add_nc_u32_e32 v6, 8, v2
	v_cmp_lt_u32_e32 vcc_lo, v6, v4
	v_or_b32_e32 v6, 64, v3
	s_wait_dscnt 0x0
	s_wait_alu 0xfffd
	v_cndmask_b32_e32 v5, 0, v5, vcc_lo
	s_delay_alu instid0(VALU_DEP_1) | instskip(SKIP_2) | instid1(VALU_DEP_1)
	v_add_nc_u32_e32 v1, v1, v5
	ds_bpermute_b32 v5, v6, v1
	v_add_nc_u32_e32 v6, 16, v2
	v_cmp_lt_u32_e32 vcc_lo, v6, v4
	s_wait_dscnt 0x0
	s_wait_alu 0xfffd
	v_cndmask_b32_e32 v4, 0, v5, vcc_lo
	s_delay_alu instid0(VALU_DEP_1)
	v_add_nc_u32_e32 v1, v1, v4
	v_cmpx_eq_u32_e32 0, v2
; %bb.161:
	v_lshrrev_b32_e32 v4, 3, v0
	s_delay_alu instid0(VALU_DEP_1)
	v_and_b32_e32 v4, 28, v4
	ds_store_b32 v4, v1 offset:192
; %bb.162:
	s_or_b32 exec_lo, exec_lo, s3
	s_delay_alu instid0(SALU_CYCLE_1)
	s_mov_b32 s3, exec_lo
	s_wait_dscnt 0x0
	s_barrier_signal -1
	s_barrier_wait -1
	global_inv scope:SCOPE_SE
	v_cmpx_gt_u32_e32 8, v0
	s_cbranch_execz .LBB436_164
; %bb.163:
	ds_load_b32 v1, v3 offset:192
	v_and_b32_e32 v4, 7, v2
	s_add_co_i32 s2, s2, 31
	s_wait_alu 0xfffe
	s_lshr_b32 s2, s2, 5
	s_delay_alu instid0(VALU_DEP_1) | instskip(SKIP_4) | instid1(VALU_DEP_2)
	v_cmp_ne_u32_e32 vcc_lo, 7, v4
	v_add_nc_u32_e32 v6, 1, v4
	s_wait_alu 0xfffd
	v_add_co_ci_u32_e64 v5, null, 0, v2, vcc_lo
	v_cmp_gt_u32_e32 vcc_lo, 6, v4
	v_lshlrev_b32_e32 v5, 2, v5
	s_wait_alu 0xfffd
	v_cndmask_b32_e64 v7, 0, 2, vcc_lo
	s_wait_alu 0xfffe
	v_cmp_gt_u32_e32 vcc_lo, s2, v6
	s_wait_dscnt 0x0
	ds_bpermute_b32 v5, v5, v1
	v_add_lshl_u32 v2, v7, v2, 2
	s_wait_dscnt 0x0
	s_wait_alu 0xfffd
	v_cndmask_b32_e32 v5, 0, v5, vcc_lo
	s_delay_alu instid0(VALU_DEP_1)
	v_add_nc_u32_e32 v1, v5, v1
	v_add_nc_u32_e32 v5, 2, v4
	ds_bpermute_b32 v2, v2, v1
	v_cmp_gt_u32_e32 vcc_lo, s2, v5
	s_wait_dscnt 0x0
	s_wait_alu 0xfffd
	v_cndmask_b32_e32 v2, 0, v2, vcc_lo
	s_delay_alu instid0(VALU_DEP_1)
	v_add_nc_u32_e32 v1, v1, v2
	v_or_b32_e32 v2, 16, v3
	v_add_nc_u32_e32 v3, 4, v4
	ds_bpermute_b32 v2, v2, v1
	v_cmp_gt_u32_e32 vcc_lo, s2, v3
	s_wait_dscnt 0x0
	s_wait_alu 0xfffd
	v_cndmask_b32_e32 v2, 0, v2, vcc_lo
	s_delay_alu instid0(VALU_DEP_1)
	v_add_nc_u32_e32 v1, v1, v2
.LBB436_164:
	s_wait_alu 0xfffe
	s_or_b32 exec_lo, exec_lo, s3
.LBB436_165:
	v_cmp_eq_u32_e64 s2, 0, v0
	s_branch .LBB436_224
.LBB436_166:
	s_cmp_gt_i32 s33, 1
	s_cbranch_scc0 .LBB436_175
; %bb.167:
	s_cmp_gt_i32 s33, 3
	s_cbranch_scc0 .LBB436_176
; %bb.168:
	s_cmp_eq_u32 s33, 4
	s_cbranch_scc0 .LBB436_177
; %bb.169:
	s_mov_b32 s35, 0
	s_lshl_b32 s2, s34, 10
	s_mov_b32 s3, s35
	s_lshr_b64 s[4:5], s[38:39], 10
	s_lshl_b64 s[6:7], s[2:3], 2
	s_cmp_lg_u64 s[4:5], s[34:35]
	s_add_nc_u64 s[4:5], s[36:37], s[6:7]
	s_cbranch_scc0 .LBB436_179
; %bb.170:
	v_lshlrev_b32_e32 v1, 2, v0
	s_mov_b32 s3, exec_lo
	s_clause 0x3
	global_load_b32 v2, v1, s[4:5]
	global_load_b32 v3, v1, s[4:5] offset:1024
	global_load_b32 v4, v1, s[4:5] offset:2048
	;; [unrolled: 1-line block ×3, first 2 shown]
	s_wait_loadcnt 0x2
	v_add_nc_u32_e32 v2, v3, v2
	s_wait_loadcnt 0x0
	s_delay_alu instid0(VALU_DEP_1) | instskip(NEXT) | instid1(VALU_DEP_1)
	v_add3_u32 v1, v2, v4, v1
	v_mov_b32_dpp v2, v1 quad_perm:[1,0,3,2] row_mask:0xf bank_mask:0xf
	s_delay_alu instid0(VALU_DEP_1) | instskip(NEXT) | instid1(VALU_DEP_1)
	v_add_nc_u32_e32 v1, v2, v1
	v_mov_b32_dpp v2, v1 quad_perm:[2,3,0,1] row_mask:0xf bank_mask:0xf
	s_delay_alu instid0(VALU_DEP_1) | instskip(NEXT) | instid1(VALU_DEP_1)
	v_add_nc_u32_e32 v1, v1, v2
	v_mov_b32_dpp v2, v1 row_ror:4 row_mask:0xf bank_mask:0xf
	s_delay_alu instid0(VALU_DEP_1) | instskip(NEXT) | instid1(VALU_DEP_1)
	v_add_nc_u32_e32 v1, v1, v2
	v_mov_b32_dpp v2, v1 row_ror:8 row_mask:0xf bank_mask:0xf
	s_delay_alu instid0(VALU_DEP_1)
	v_add_nc_u32_e32 v1, v1, v2
	ds_swizzle_b32 v2, v1 offset:swizzle(BROADCAST,32,15)
	s_wait_dscnt 0x0
	v_dual_mov_b32 v2, 0 :: v_dual_add_nc_u32 v1, v1, v2
	ds_bpermute_b32 v1, v2, v1 offset:124
	v_mbcnt_lo_u32_b32 v2, -1, 0
	s_delay_alu instid0(VALU_DEP_1)
	v_cmpx_eq_u32_e32 0, v2
	s_cbranch_execz .LBB436_172
; %bb.171:
	v_lshrrev_b32_e32 v3, 3, v0
	s_delay_alu instid0(VALU_DEP_1)
	v_and_b32_e32 v3, 28, v3
	s_wait_dscnt 0x0
	ds_store_b32 v3, v1 offset:128
.LBB436_172:
	s_or_b32 exec_lo, exec_lo, s3
	s_delay_alu instid0(SALU_CYCLE_1)
	s_mov_b32 s3, exec_lo
	s_wait_dscnt 0x0
	s_barrier_signal -1
	s_barrier_wait -1
	global_inv scope:SCOPE_SE
	v_cmpx_gt_u32_e32 32, v0
	s_cbranch_execz .LBB436_174
; %bb.173:
	v_and_b32_e32 v1, 7, v2
	s_delay_alu instid0(VALU_DEP_1) | instskip(SKIP_4) | instid1(VALU_DEP_2)
	v_lshlrev_b32_e32 v3, 2, v1
	v_cmp_ne_u32_e32 vcc_lo, 7, v1
	ds_load_b32 v3, v3 offset:128
	v_add_co_ci_u32_e64 v4, null, 0, v2, vcc_lo
	v_cmp_gt_u32_e32 vcc_lo, 6, v1
	v_lshlrev_b32_e32 v4, 2, v4
	s_wait_alu 0xfffd
	v_cndmask_b32_e64 v1, 0, 2, vcc_lo
	s_delay_alu instid0(VALU_DEP_1) | instskip(SKIP_1) | instid1(VALU_DEP_1)
	v_add_lshl_u32 v1, v1, v2, 2
	v_lshlrev_b32_e32 v2, 2, v2
	v_or_b32_e32 v2, 16, v2
	s_wait_dscnt 0x0
	ds_bpermute_b32 v4, v4, v3
	s_wait_dscnt 0x0
	v_add_nc_u32_e32 v3, v4, v3
	ds_bpermute_b32 v1, v1, v3
	s_wait_dscnt 0x0
	v_add_nc_u32_e32 v1, v1, v3
	;; [unrolled: 3-line block ×3, first 2 shown]
.LBB436_174:
	s_or_b32 exec_lo, exec_lo, s3
	s_mov_b32 s3, 0
	s_branch .LBB436_180
.LBB436_175:
                                        ; implicit-def: $vgpr1
	s_cbranch_execnz .LBB436_215
	s_branch .LBB436_224
.LBB436_176:
                                        ; implicit-def: $vgpr1
	s_cbranch_execz .LBB436_178
	s_branch .LBB436_195
.LBB436_177:
                                        ; implicit-def: $vgpr1
.LBB436_178:
	s_branch .LBB436_224
.LBB436_179:
	s_mov_b32 s3, -1
                                        ; implicit-def: $vgpr1
.LBB436_180:
	s_delay_alu instid0(SALU_CYCLE_1)
	s_and_b32 vcc_lo, exec_lo, s3
	s_wait_alu 0xfffe
	s_cbranch_vccz .LBB436_194
; %bb.181:
	v_mov_b32_e32 v1, 0
	s_sub_co_i32 s6, s38, s2
	s_mov_b32 s2, exec_lo
	s_delay_alu instid0(VALU_DEP_1)
	v_dual_mov_b32 v2, v1 :: v_dual_mov_b32 v3, v1
	v_mov_b32_e32 v4, v1
	v_cmpx_gt_u32_e64 s6, v0
	s_cbranch_execz .LBB436_183
; %bb.182:
	v_dual_mov_b32 v3, v1 :: v_dual_lshlrev_b32 v2, 2, v0
	v_dual_mov_b32 v4, v1 :: v_dual_mov_b32 v5, v1
	global_load_b32 v2, v2, s[4:5]
	s_wait_loadcnt 0x0
	v_mov_b32_e32 v1, v2
	v_mov_b32_e32 v2, v3
	;; [unrolled: 1-line block ×4, first 2 shown]
.LBB436_183:
	s_or_b32 exec_lo, exec_lo, s2
	v_or_b32_e32 v5, 0x100, v0
	s_delay_alu instid0(VALU_DEP_1)
	v_cmp_gt_u32_e32 vcc_lo, s6, v5
	s_and_saveexec_b32 s2, vcc_lo
	s_cbranch_execz .LBB436_185
; %bb.184:
	v_lshlrev_b32_e32 v2, 2, v0
	global_load_b32 v2, v2, s[4:5] offset:1024
.LBB436_185:
	s_or_b32 exec_lo, exec_lo, s2
	v_or_b32_e32 v5, 0x200, v0
	s_delay_alu instid0(VALU_DEP_1)
	v_cmp_gt_u32_e64 s2, s6, v5
	s_and_saveexec_b32 s3, s2
	s_cbranch_execz .LBB436_187
; %bb.186:
	v_lshlrev_b32_e32 v3, 2, v0
	global_load_b32 v3, v3, s[4:5] offset:2048
.LBB436_187:
	s_or_b32 exec_lo, exec_lo, s3
	v_or_b32_e32 v5, 0x300, v0
	s_delay_alu instid0(VALU_DEP_1)
	v_cmp_gt_u32_e64 s3, s6, v5
	s_and_saveexec_b32 s7, s3
	s_cbranch_execz .LBB436_189
; %bb.188:
	v_lshlrev_b32_e32 v4, 2, v0
	global_load_b32 v4, v4, s[4:5] offset:3072
.LBB436_189:
	s_wait_alu 0xfffe
	s_or_b32 exec_lo, exec_lo, s7
	s_wait_loadcnt 0x0
	v_cndmask_b32_e32 v5, 0, v2, vcc_lo
	v_mbcnt_lo_u32_b32 v2, -1, 0
	v_cndmask_b32_e64 v3, 0, v3, s2
	v_cndmask_b32_e64 v4, 0, v4, s3
	s_min_u32 s2, s6, 0x100
	v_add_nc_u32_e32 v1, v5, v1
	v_cmp_ne_u32_e32 vcc_lo, 31, v2
	s_mov_b32 s3, exec_lo
	s_delay_alu instid0(VALU_DEP_2) | instskip(SKIP_4) | instid1(VALU_DEP_3)
	v_add3_u32 v1, v1, v3, v4
	s_wait_alu 0xfffd
	v_add_co_ci_u32_e64 v5, null, 0, v2, vcc_lo
	v_and_b32_e32 v4, 0xe0, v0
	v_cmp_gt_u32_e32 vcc_lo, 30, v2
	v_lshlrev_b32_e32 v3, 2, v5
	v_add_nc_u32_e32 v5, 1, v2
	s_wait_alu 0xfffe
	v_sub_nc_u32_e64 v4, s2, v4 clamp
	s_wait_alu 0xfffd
	v_cndmask_b32_e64 v6, 0, 2, vcc_lo
	ds_bpermute_b32 v3, v3, v1
	v_cmp_lt_u32_e32 vcc_lo, v5, v4
	v_add_lshl_u32 v5, v6, v2, 2
	s_wait_dscnt 0x0
	s_wait_alu 0xfffd
	v_cndmask_b32_e32 v3, 0, v3, vcc_lo
	v_cmp_gt_u32_e32 vcc_lo, 28, v2
	s_delay_alu instid0(VALU_DEP_2) | instskip(SKIP_4) | instid1(VALU_DEP_1)
	v_add_nc_u32_e32 v1, v3, v1
	s_wait_alu 0xfffd
	v_cndmask_b32_e64 v6, 0, 4, vcc_lo
	ds_bpermute_b32 v3, v5, v1
	v_add_nc_u32_e32 v5, 2, v2
	v_cmp_lt_u32_e32 vcc_lo, v5, v4
	v_add_lshl_u32 v5, v6, v2, 2
	s_wait_dscnt 0x0
	s_wait_alu 0xfffd
	v_cndmask_b32_e32 v3, 0, v3, vcc_lo
	v_cmp_gt_u32_e32 vcc_lo, 24, v2
	s_delay_alu instid0(VALU_DEP_2) | instskip(SKIP_4) | instid1(VALU_DEP_1)
	v_add_nc_u32_e32 v1, v1, v3
	s_wait_alu 0xfffd
	v_cndmask_b32_e64 v6, 0, 8, vcc_lo
	ds_bpermute_b32 v3, v5, v1
	v_add_nc_u32_e32 v5, 4, v2
	v_cmp_lt_u32_e32 vcc_lo, v5, v4
	v_add_lshl_u32 v5, v6, v2, 2
	s_wait_dscnt 0x0
	s_wait_alu 0xfffd
	v_dual_cndmask_b32 v3, 0, v3 :: v_dual_add_nc_u32 v6, 8, v2
	s_delay_alu instid0(VALU_DEP_1) | instskip(NEXT) | instid1(VALU_DEP_2)
	v_cmp_lt_u32_e32 vcc_lo, v6, v4
	v_add_nc_u32_e32 v1, v1, v3
	v_lshlrev_b32_e32 v3, 2, v2
	ds_bpermute_b32 v5, v5, v1
	v_or_b32_e32 v6, 64, v3
	s_wait_dscnt 0x0
	s_wait_alu 0xfffd
	v_cndmask_b32_e32 v5, 0, v5, vcc_lo
	s_delay_alu instid0(VALU_DEP_1) | instskip(SKIP_2) | instid1(VALU_DEP_1)
	v_add_nc_u32_e32 v1, v1, v5
	ds_bpermute_b32 v5, v6, v1
	v_add_nc_u32_e32 v6, 16, v2
	v_cmp_lt_u32_e32 vcc_lo, v6, v4
	s_wait_dscnt 0x0
	s_wait_alu 0xfffd
	v_cndmask_b32_e32 v4, 0, v5, vcc_lo
	s_delay_alu instid0(VALU_DEP_1)
	v_add_nc_u32_e32 v1, v1, v4
	v_cmpx_eq_u32_e32 0, v2
; %bb.190:
	v_lshrrev_b32_e32 v4, 3, v0
	s_delay_alu instid0(VALU_DEP_1)
	v_and_b32_e32 v4, 28, v4
	ds_store_b32 v4, v1 offset:192
; %bb.191:
	s_or_b32 exec_lo, exec_lo, s3
	s_delay_alu instid0(SALU_CYCLE_1)
	s_mov_b32 s3, exec_lo
	s_wait_dscnt 0x0
	s_barrier_signal -1
	s_barrier_wait -1
	global_inv scope:SCOPE_SE
	v_cmpx_gt_u32_e32 8, v0
	s_cbranch_execz .LBB436_193
; %bb.192:
	ds_load_b32 v1, v3 offset:192
	v_and_b32_e32 v4, 7, v2
	s_add_co_i32 s2, s2, 31
	s_wait_alu 0xfffe
	s_lshr_b32 s2, s2, 5
	s_delay_alu instid0(VALU_DEP_1) | instskip(SKIP_4) | instid1(VALU_DEP_2)
	v_cmp_ne_u32_e32 vcc_lo, 7, v4
	v_add_nc_u32_e32 v6, 1, v4
	s_wait_alu 0xfffd
	v_add_co_ci_u32_e64 v5, null, 0, v2, vcc_lo
	v_cmp_gt_u32_e32 vcc_lo, 6, v4
	v_lshlrev_b32_e32 v5, 2, v5
	s_wait_alu 0xfffd
	v_cndmask_b32_e64 v7, 0, 2, vcc_lo
	s_wait_alu 0xfffe
	v_cmp_gt_u32_e32 vcc_lo, s2, v6
	s_wait_dscnt 0x0
	ds_bpermute_b32 v5, v5, v1
	v_add_lshl_u32 v2, v7, v2, 2
	s_wait_dscnt 0x0
	s_wait_alu 0xfffd
	v_cndmask_b32_e32 v5, 0, v5, vcc_lo
	s_delay_alu instid0(VALU_DEP_1)
	v_add_nc_u32_e32 v1, v5, v1
	v_add_nc_u32_e32 v5, 2, v4
	ds_bpermute_b32 v2, v2, v1
	v_cmp_gt_u32_e32 vcc_lo, s2, v5
	s_wait_dscnt 0x0
	s_wait_alu 0xfffd
	v_cndmask_b32_e32 v2, 0, v2, vcc_lo
	s_delay_alu instid0(VALU_DEP_1)
	v_add_nc_u32_e32 v1, v1, v2
	v_or_b32_e32 v2, 16, v3
	v_add_nc_u32_e32 v3, 4, v4
	ds_bpermute_b32 v2, v2, v1
	v_cmp_gt_u32_e32 vcc_lo, s2, v3
	s_wait_dscnt 0x0
	s_wait_alu 0xfffd
	v_cndmask_b32_e32 v2, 0, v2, vcc_lo
	s_delay_alu instid0(VALU_DEP_1)
	v_add_nc_u32_e32 v1, v1, v2
.LBB436_193:
	s_wait_alu 0xfffe
	s_or_b32 exec_lo, exec_lo, s3
.LBB436_194:
	v_cmp_eq_u32_e64 s2, 0, v0
	s_branch .LBB436_178
.LBB436_195:
	s_cmp_eq_u32 s33, 2
	s_cbranch_scc0 .LBB436_202
; %bb.196:
	s_mov_b32 s35, 0
	s_lshl_b32 s4, s34, 9
	s_mov_b32 s5, s35
	s_lshr_b64 s[2:3], s[38:39], 9
	s_lshl_b64 s[6:7], s[4:5], 2
	s_cmp_lg_u64 s[2:3], s[34:35]
	s_add_nc_u64 s[2:3], s[36:37], s[6:7]
	s_cbranch_scc0 .LBB436_203
; %bb.197:
	v_lshlrev_b32_e32 v1, 2, v0
	s_mov_b32 s5, exec_lo
	s_clause 0x1
	global_load_b32 v2, v1, s[2:3]
	global_load_b32 v1, v1, s[2:3] offset:1024
	s_wait_loadcnt 0x0
	v_add_nc_u32_e32 v1, v1, v2
	s_delay_alu instid0(VALU_DEP_1) | instskip(NEXT) | instid1(VALU_DEP_1)
	v_mov_b32_dpp v2, v1 quad_perm:[1,0,3,2] row_mask:0xf bank_mask:0xf
	v_add_nc_u32_e32 v1, v2, v1
	s_delay_alu instid0(VALU_DEP_1) | instskip(NEXT) | instid1(VALU_DEP_1)
	v_mov_b32_dpp v2, v1 quad_perm:[2,3,0,1] row_mask:0xf bank_mask:0xf
	v_add_nc_u32_e32 v1, v1, v2
	s_delay_alu instid0(VALU_DEP_1) | instskip(NEXT) | instid1(VALU_DEP_1)
	v_mov_b32_dpp v2, v1 row_ror:4 row_mask:0xf bank_mask:0xf
	v_add_nc_u32_e32 v1, v1, v2
	s_delay_alu instid0(VALU_DEP_1) | instskip(NEXT) | instid1(VALU_DEP_1)
	v_mov_b32_dpp v2, v1 row_ror:8 row_mask:0xf bank_mask:0xf
	v_add_nc_u32_e32 v1, v1, v2
	ds_swizzle_b32 v2, v1 offset:swizzle(BROADCAST,32,15)
	s_wait_dscnt 0x0
	v_dual_mov_b32 v2, 0 :: v_dual_add_nc_u32 v1, v1, v2
	ds_bpermute_b32 v1, v2, v1 offset:124
	v_mbcnt_lo_u32_b32 v2, -1, 0
	s_delay_alu instid0(VALU_DEP_1)
	v_cmpx_eq_u32_e32 0, v2
	s_cbranch_execz .LBB436_199
; %bb.198:
	v_lshrrev_b32_e32 v3, 3, v0
	s_delay_alu instid0(VALU_DEP_1)
	v_and_b32_e32 v3, 28, v3
	s_wait_dscnt 0x0
	ds_store_b32 v3, v1 offset:64
.LBB436_199:
	s_or_b32 exec_lo, exec_lo, s5
	s_delay_alu instid0(SALU_CYCLE_1)
	s_mov_b32 s5, exec_lo
	s_wait_dscnt 0x0
	s_barrier_signal -1
	s_barrier_wait -1
	global_inv scope:SCOPE_SE
	v_cmpx_gt_u32_e32 32, v0
	s_cbranch_execz .LBB436_201
; %bb.200:
	v_and_b32_e32 v1, 7, v2
	s_delay_alu instid0(VALU_DEP_1) | instskip(SKIP_4) | instid1(VALU_DEP_2)
	v_lshlrev_b32_e32 v3, 2, v1
	v_cmp_ne_u32_e32 vcc_lo, 7, v1
	ds_load_b32 v3, v3 offset:64
	v_add_co_ci_u32_e64 v4, null, 0, v2, vcc_lo
	v_cmp_gt_u32_e32 vcc_lo, 6, v1
	v_lshlrev_b32_e32 v4, 2, v4
	s_wait_alu 0xfffd
	v_cndmask_b32_e64 v1, 0, 2, vcc_lo
	s_delay_alu instid0(VALU_DEP_1) | instskip(SKIP_1) | instid1(VALU_DEP_1)
	v_add_lshl_u32 v1, v1, v2, 2
	v_lshlrev_b32_e32 v2, 2, v2
	v_or_b32_e32 v2, 16, v2
	s_wait_dscnt 0x0
	ds_bpermute_b32 v4, v4, v3
	s_wait_dscnt 0x0
	v_add_nc_u32_e32 v3, v4, v3
	ds_bpermute_b32 v1, v1, v3
	s_wait_dscnt 0x0
	v_add_nc_u32_e32 v1, v1, v3
	;; [unrolled: 3-line block ×3, first 2 shown]
.LBB436_201:
	s_or_b32 exec_lo, exec_lo, s5
	s_mov_b32 s5, 0
	s_branch .LBB436_204
.LBB436_202:
                                        ; implicit-def: $vgpr1
	s_branch .LBB436_224
.LBB436_203:
	s_mov_b32 s5, -1
                                        ; implicit-def: $vgpr1
.LBB436_204:
	s_delay_alu instid0(SALU_CYCLE_1)
	s_and_b32 vcc_lo, exec_lo, s5
	s_wait_alu 0xfffe
	s_cbranch_vccz .LBB436_214
; %bb.205:
	v_mov_b32_e32 v1, 0
	s_sub_co_i32 s4, s38, s4
	s_mov_b32 s5, exec_lo
	s_delay_alu instid0(VALU_DEP_1)
	v_mov_b32_e32 v2, v1
	v_cmpx_gt_u32_e64 s4, v0
	s_cbranch_execz .LBB436_207
; %bb.206:
	v_dual_mov_b32 v3, v1 :: v_dual_lshlrev_b32 v2, 2, v0
	global_load_b32 v2, v2, s[2:3]
	s_wait_loadcnt 0x0
	v_mov_b32_e32 v1, v2
	v_mov_b32_e32 v2, v3
.LBB436_207:
	s_or_b32 exec_lo, exec_lo, s5
	v_or_b32_e32 v3, 0x100, v0
	s_delay_alu instid0(VALU_DEP_1)
	v_cmp_gt_u32_e32 vcc_lo, s4, v3
	s_and_saveexec_b32 s5, vcc_lo
	s_cbranch_execz .LBB436_209
; %bb.208:
	v_lshlrev_b32_e32 v2, 2, v0
	global_load_b32 v2, v2, s[2:3] offset:1024
.LBB436_209:
	s_wait_alu 0xfffe
	s_or_b32 exec_lo, exec_lo, s5
	v_mbcnt_lo_u32_b32 v3, -1, 0
	s_wait_loadcnt 0x0
	v_cndmask_b32_e32 v2, 0, v2, vcc_lo
	s_min_u32 s2, s4, 0x100
	s_mov_b32 s3, exec_lo
	v_cmp_ne_u32_e32 vcc_lo, 31, v3
	v_add_nc_u32_e32 v5, 1, v3
	v_add_nc_u32_e32 v1, v2, v1
	s_wait_alu 0xfffd
	v_add_co_ci_u32_e64 v4, null, 0, v3, vcc_lo
	v_cmp_gt_u32_e32 vcc_lo, 30, v3
	s_delay_alu instid0(VALU_DEP_2)
	v_lshlrev_b32_e32 v2, 2, v4
	v_and_b32_e32 v4, 0xe0, v0
	s_wait_alu 0xfffd
	v_cndmask_b32_e64 v6, 0, 2, vcc_lo
	ds_bpermute_b32 v2, v2, v1
	v_sub_nc_u32_e64 v4, s2, v4 clamp
	s_delay_alu instid0(VALU_DEP_1)
	v_cmp_lt_u32_e32 vcc_lo, v5, v4
	v_add_lshl_u32 v5, v6, v3, 2
	s_wait_dscnt 0x0
	s_wait_alu 0xfffd
	v_cndmask_b32_e32 v2, 0, v2, vcc_lo
	v_cmp_gt_u32_e32 vcc_lo, 28, v3
	s_delay_alu instid0(VALU_DEP_2) | instskip(SKIP_4) | instid1(VALU_DEP_1)
	v_add_nc_u32_e32 v1, v2, v1
	s_wait_alu 0xfffd
	v_cndmask_b32_e64 v6, 0, 4, vcc_lo
	ds_bpermute_b32 v2, v5, v1
	v_add_nc_u32_e32 v5, 2, v3
	v_cmp_lt_u32_e32 vcc_lo, v5, v4
	v_add_lshl_u32 v5, v6, v3, 2
	s_wait_dscnt 0x0
	s_wait_alu 0xfffd
	v_cndmask_b32_e32 v2, 0, v2, vcc_lo
	v_cmp_gt_u32_e32 vcc_lo, 24, v3
	s_delay_alu instid0(VALU_DEP_2) | instskip(SKIP_4) | instid1(VALU_DEP_1)
	v_add_nc_u32_e32 v1, v1, v2
	s_wait_alu 0xfffd
	v_cndmask_b32_e64 v6, 0, 8, vcc_lo
	ds_bpermute_b32 v2, v5, v1
	v_add_nc_u32_e32 v5, 4, v3
	v_cmp_lt_u32_e32 vcc_lo, v5, v4
	v_add_lshl_u32 v5, v6, v3, 2
	v_add_nc_u32_e32 v6, 8, v3
	s_wait_dscnt 0x0
	s_wait_alu 0xfffd
	v_cndmask_b32_e32 v2, 0, v2, vcc_lo
	s_delay_alu instid0(VALU_DEP_2) | instskip(NEXT) | instid1(VALU_DEP_2)
	v_cmp_lt_u32_e32 vcc_lo, v6, v4
	v_add_nc_u32_e32 v1, v1, v2
	v_lshlrev_b32_e32 v2, 2, v3
	ds_bpermute_b32 v5, v5, v1
	v_or_b32_e32 v6, 64, v2
	s_wait_dscnt 0x0
	s_wait_alu 0xfffd
	v_cndmask_b32_e32 v5, 0, v5, vcc_lo
	s_delay_alu instid0(VALU_DEP_1) | instskip(SKIP_2) | instid1(VALU_DEP_1)
	v_add_nc_u32_e32 v1, v1, v5
	ds_bpermute_b32 v5, v6, v1
	v_add_nc_u32_e32 v6, 16, v3
	v_cmp_lt_u32_e32 vcc_lo, v6, v4
	s_wait_dscnt 0x0
	s_wait_alu 0xfffd
	v_cndmask_b32_e32 v4, 0, v5, vcc_lo
	s_delay_alu instid0(VALU_DEP_1)
	v_add_nc_u32_e32 v1, v1, v4
	v_cmpx_eq_u32_e32 0, v3
; %bb.210:
	v_lshrrev_b32_e32 v4, 3, v0
	s_delay_alu instid0(VALU_DEP_1)
	v_and_b32_e32 v4, 28, v4
	ds_store_b32 v4, v1 offset:192
; %bb.211:
	s_or_b32 exec_lo, exec_lo, s3
	s_delay_alu instid0(SALU_CYCLE_1)
	s_mov_b32 s3, exec_lo
	s_wait_dscnt 0x0
	s_barrier_signal -1
	s_barrier_wait -1
	global_inv scope:SCOPE_SE
	v_cmpx_gt_u32_e32 8, v0
	s_cbranch_execz .LBB436_213
; %bb.212:
	ds_load_b32 v1, v2 offset:192
	v_and_b32_e32 v4, 7, v3
	s_add_co_i32 s2, s2, 31
	v_or_b32_e32 v2, 16, v2
	s_wait_alu 0xfffe
	s_lshr_b32 s2, s2, 5
	v_cmp_ne_u32_e32 vcc_lo, 7, v4
	v_add_nc_u32_e32 v6, 1, v4
	s_wait_alu 0xfffd
	v_add_co_ci_u32_e64 v5, null, 0, v3, vcc_lo
	v_cmp_gt_u32_e32 vcc_lo, 6, v4
	s_delay_alu instid0(VALU_DEP_2)
	v_lshlrev_b32_e32 v5, 2, v5
	s_wait_alu 0xfffd
	v_cndmask_b32_e64 v7, 0, 2, vcc_lo
	s_wait_alu 0xfffe
	v_cmp_gt_u32_e32 vcc_lo, s2, v6
	s_wait_dscnt 0x0
	ds_bpermute_b32 v5, v5, v1
	v_add_lshl_u32 v3, v7, v3, 2
	s_wait_dscnt 0x0
	s_wait_alu 0xfffd
	v_cndmask_b32_e32 v5, 0, v5, vcc_lo
	s_delay_alu instid0(VALU_DEP_1)
	v_add_nc_u32_e32 v1, v5, v1
	v_add_nc_u32_e32 v5, 2, v4
	ds_bpermute_b32 v3, v3, v1
	v_cmp_gt_u32_e32 vcc_lo, s2, v5
	s_wait_dscnt 0x0
	s_wait_alu 0xfffd
	v_cndmask_b32_e32 v3, 0, v3, vcc_lo
	s_delay_alu instid0(VALU_DEP_1)
	v_add_nc_u32_e32 v1, v1, v3
	v_add_nc_u32_e32 v3, 4, v4
	ds_bpermute_b32 v2, v2, v1
	v_cmp_gt_u32_e32 vcc_lo, s2, v3
	s_wait_dscnt 0x0
	s_wait_alu 0xfffd
	v_cndmask_b32_e32 v2, 0, v2, vcc_lo
	s_delay_alu instid0(VALU_DEP_1)
	v_add_nc_u32_e32 v1, v1, v2
.LBB436_213:
	s_wait_alu 0xfffe
	s_or_b32 exec_lo, exec_lo, s3
.LBB436_214:
	v_cmp_eq_u32_e64 s2, 0, v0
	s_branch .LBB436_224
.LBB436_215:
	s_cmp_eq_u32 s33, 1
	s_cbranch_scc0 .LBB436_223
; %bb.216:
	s_mov_b32 s3, 0
	v_mbcnt_lo_u32_b32 v2, -1, 0
	s_lshr_b64 s[4:5], s[38:39], 8
	s_mov_b32 s35, s3
	s_lshl_b32 s2, s34, 8
	s_cmp_lg_u64 s[4:5], s[34:35]
	s_cbranch_scc0 .LBB436_227
; %bb.217:
	v_lshlrev_b32_e32 v1, 2, v0
	s_lshl_b64 s[4:5], s[2:3], 2
	s_delay_alu instid0(SALU_CYCLE_1) | instskip(SKIP_4) | instid1(VALU_DEP_1)
	s_add_nc_u64 s[4:5], s[36:37], s[4:5]
	global_load_b32 v1, v1, s[4:5]
	s_mov_b32 s4, exec_lo
	s_wait_loadcnt 0x0
	v_mov_b32_dpp v3, v1 quad_perm:[1,0,3,2] row_mask:0xf bank_mask:0xf
	v_add_nc_u32_e32 v1, v3, v1
	s_delay_alu instid0(VALU_DEP_1) | instskip(NEXT) | instid1(VALU_DEP_1)
	v_mov_b32_dpp v3, v1 quad_perm:[2,3,0,1] row_mask:0xf bank_mask:0xf
	v_add_nc_u32_e32 v1, v1, v3
	s_delay_alu instid0(VALU_DEP_1) | instskip(NEXT) | instid1(VALU_DEP_1)
	v_mov_b32_dpp v3, v1 row_ror:4 row_mask:0xf bank_mask:0xf
	v_add_nc_u32_e32 v1, v1, v3
	s_delay_alu instid0(VALU_DEP_1) | instskip(NEXT) | instid1(VALU_DEP_1)
	v_mov_b32_dpp v3, v1 row_ror:8 row_mask:0xf bank_mask:0xf
	v_add_nc_u32_e32 v1, v1, v3
	ds_swizzle_b32 v3, v1 offset:swizzle(BROADCAST,32,15)
	s_wait_dscnt 0x0
	v_add_nc_u32_e32 v1, v1, v3
	v_mov_b32_e32 v3, 0
	ds_bpermute_b32 v1, v3, v1 offset:124
	v_cmpx_eq_u32_e32 0, v2
	s_cbranch_execz .LBB436_219
; %bb.218:
	v_lshrrev_b32_e32 v3, 3, v0
	s_delay_alu instid0(VALU_DEP_1)
	v_and_b32_e32 v3, 28, v3
	s_wait_dscnt 0x0
	ds_store_b32 v3, v1 offset:32
.LBB436_219:
	s_or_b32 exec_lo, exec_lo, s4
	s_delay_alu instid0(SALU_CYCLE_1)
	s_mov_b32 s4, exec_lo
	s_wait_dscnt 0x0
	s_barrier_signal -1
	s_barrier_wait -1
	global_inv scope:SCOPE_SE
	v_cmpx_gt_u32_e32 32, v0
	s_cbranch_execz .LBB436_221
; %bb.220:
	v_and_b32_e32 v1, 7, v2
	s_delay_alu instid0(VALU_DEP_1) | instskip(SKIP_4) | instid1(VALU_DEP_2)
	v_lshlrev_b32_e32 v3, 2, v1
	v_cmp_ne_u32_e32 vcc_lo, 7, v1
	ds_load_b32 v3, v3 offset:32
	v_add_co_ci_u32_e64 v4, null, 0, v2, vcc_lo
	v_cmp_gt_u32_e32 vcc_lo, 6, v1
	v_lshlrev_b32_e32 v4, 2, v4
	s_wait_alu 0xfffd
	v_cndmask_b32_e64 v1, 0, 2, vcc_lo
	s_delay_alu instid0(VALU_DEP_1)
	v_add_lshl_u32 v1, v1, v2, 2
	s_wait_dscnt 0x0
	ds_bpermute_b32 v4, v4, v3
	s_wait_dscnt 0x0
	v_add_nc_u32_e32 v3, v4, v3
	v_lshlrev_b32_e32 v4, 2, v2
	ds_bpermute_b32 v1, v1, v3
	s_wait_dscnt 0x0
	v_add_nc_u32_e32 v1, v1, v3
	v_or_b32_e32 v3, 16, v4
	ds_bpermute_b32 v3, v3, v1
	s_wait_dscnt 0x0
	v_add_nc_u32_e32 v1, v3, v1
.LBB436_221:
	s_or_b32 exec_lo, exec_lo, s4
.LBB436_222:
	v_cmp_eq_u32_e64 s2, 0, v0
	s_and_saveexec_b32 s3, s2
	s_cbranch_execnz .LBB436_225
	s_branch .LBB436_226
.LBB436_223:
                                        ; implicit-def: $vgpr1
                                        ; implicit-def: $sgpr34_sgpr35
.LBB436_224:
	s_delay_alu instid0(VALU_DEP_1)
	s_and_saveexec_b32 s3, s2
	s_cbranch_execz .LBB436_226
.LBB436_225:
	s_load_b96 s[0:2], s[0:1], 0x18
	s_lshl_b64 s[4:5], s[34:35], 2
	s_cmp_lg_u64 s[38:39], 0
	s_cselect_b32 vcc_lo, -1, 0
	s_wait_alu 0xfffe
	v_dual_cndmask_b32 v0, 0, v1 :: v_dual_mov_b32 v1, 0
	s_wait_kmcnt 0x0
	s_delay_alu instid0(VALU_DEP_1)
	v_add_nc_u32_e32 v0, s2, v0
	s_add_nc_u64 s[0:1], s[0:1], s[4:5]
	global_store_b32 v1, v0, s[0:1]
.LBB436_226:
	s_endpgm
.LBB436_227:
                                        ; implicit-def: $vgpr1
	s_cbranch_execz .LBB436_222
; %bb.228:
	s_sub_co_i32 s4, s38, s2
	s_mov_b32 s5, exec_lo
                                        ; implicit-def: $vgpr1
	v_cmpx_gt_u32_e64 s4, v0
	s_cbranch_execz .LBB436_230
; %bb.229:
	v_lshlrev_b32_e32 v1, 2, v0
	s_lshl_b64 s[2:3], s[2:3], 2
	s_delay_alu instid0(SALU_CYCLE_1)
	s_add_nc_u64 s[2:3], s[36:37], s[2:3]
	global_load_b32 v1, v1, s[2:3]
.LBB436_230:
	s_or_b32 exec_lo, exec_lo, s5
	v_cmp_ne_u32_e32 vcc_lo, 31, v2
	s_min_u32 s2, s4, 0x100
	v_add_nc_u32_e32 v5, 1, v2
	s_mov_b32 s3, exec_lo
	v_add_co_ci_u32_e64 v3, null, 0, v2, vcc_lo
	v_cmp_gt_u32_e32 vcc_lo, 30, v2
	s_delay_alu instid0(VALU_DEP_2)
	v_lshlrev_b32_e32 v3, 2, v3
	s_wait_alu 0xfffd
	v_cndmask_b32_e64 v6, 0, 2, vcc_lo
	s_wait_loadcnt 0x0
	ds_bpermute_b32 v3, v3, v1
	v_and_b32_e32 v4, 0xe0, v0
	s_delay_alu instid0(VALU_DEP_1) | instskip(NEXT) | instid1(VALU_DEP_1)
	v_sub_nc_u32_e64 v4, s2, v4 clamp
	v_cmp_lt_u32_e32 vcc_lo, v5, v4
	v_add_lshl_u32 v5, v6, v2, 2
	s_wait_dscnt 0x0
	s_wait_alu 0xfffd
	v_cndmask_b32_e32 v3, 0, v3, vcc_lo
	v_cmp_gt_u32_e32 vcc_lo, 28, v2
	s_delay_alu instid0(VALU_DEP_2) | instskip(SKIP_4) | instid1(VALU_DEP_1)
	v_add_nc_u32_e32 v1, v3, v1
	s_wait_alu 0xfffd
	v_cndmask_b32_e64 v6, 0, 4, vcc_lo
	ds_bpermute_b32 v3, v5, v1
	v_add_nc_u32_e32 v5, 2, v2
	v_cmp_lt_u32_e32 vcc_lo, v5, v4
	v_add_lshl_u32 v5, v6, v2, 2
	s_wait_dscnt 0x0
	s_wait_alu 0xfffd
	v_cndmask_b32_e32 v3, 0, v3, vcc_lo
	v_cmp_gt_u32_e32 vcc_lo, 24, v2
	s_delay_alu instid0(VALU_DEP_2) | instskip(SKIP_4) | instid1(VALU_DEP_1)
	v_add_nc_u32_e32 v1, v1, v3
	s_wait_alu 0xfffd
	v_cndmask_b32_e64 v6, 0, 8, vcc_lo
	ds_bpermute_b32 v3, v5, v1
	v_add_nc_u32_e32 v5, 4, v2
	v_cmp_lt_u32_e32 vcc_lo, v5, v4
	v_add_lshl_u32 v5, v6, v2, 2
	s_wait_dscnt 0x0
	s_wait_alu 0xfffd
	v_dual_cndmask_b32 v3, 0, v3 :: v_dual_add_nc_u32 v6, 8, v2
	s_delay_alu instid0(VALU_DEP_1) | instskip(NEXT) | instid1(VALU_DEP_2)
	v_cmp_lt_u32_e32 vcc_lo, v6, v4
	v_add_nc_u32_e32 v1, v1, v3
	v_lshlrev_b32_e32 v3, 2, v2
	ds_bpermute_b32 v5, v5, v1
	v_or_b32_e32 v6, 64, v3
	s_wait_dscnt 0x0
	s_wait_alu 0xfffd
	v_cndmask_b32_e32 v5, 0, v5, vcc_lo
	s_delay_alu instid0(VALU_DEP_1) | instskip(SKIP_2) | instid1(VALU_DEP_1)
	v_add_nc_u32_e32 v1, v1, v5
	ds_bpermute_b32 v5, v6, v1
	v_add_nc_u32_e32 v6, 16, v2
	v_cmp_lt_u32_e32 vcc_lo, v6, v4
	s_wait_dscnt 0x0
	s_wait_alu 0xfffd
	v_cndmask_b32_e32 v4, 0, v5, vcc_lo
	s_delay_alu instid0(VALU_DEP_1)
	v_add_nc_u32_e32 v1, v1, v4
	v_cmpx_eq_u32_e32 0, v2
; %bb.231:
	v_lshrrev_b32_e32 v4, 3, v0
	s_delay_alu instid0(VALU_DEP_1)
	v_and_b32_e32 v4, 28, v4
	ds_store_b32 v4, v1 offset:192
; %bb.232:
	s_or_b32 exec_lo, exec_lo, s3
	s_delay_alu instid0(SALU_CYCLE_1)
	s_mov_b32 s3, exec_lo
	s_wait_dscnt 0x0
	s_barrier_signal -1
	s_barrier_wait -1
	global_inv scope:SCOPE_SE
	v_cmpx_gt_u32_e32 8, v0
	s_cbranch_execz .LBB436_234
; %bb.233:
	ds_load_b32 v1, v3 offset:192
	v_and_b32_e32 v4, 7, v2
	s_add_co_i32 s2, s2, 31
	s_wait_alu 0xfffe
	s_lshr_b32 s2, s2, 5
	s_delay_alu instid0(VALU_DEP_1) | instskip(SKIP_4) | instid1(VALU_DEP_2)
	v_cmp_ne_u32_e32 vcc_lo, 7, v4
	v_add_nc_u32_e32 v6, 1, v4
	s_wait_alu 0xfffd
	v_add_co_ci_u32_e64 v5, null, 0, v2, vcc_lo
	v_cmp_gt_u32_e32 vcc_lo, 6, v4
	v_lshlrev_b32_e32 v5, 2, v5
	s_wait_alu 0xfffd
	v_cndmask_b32_e64 v7, 0, 2, vcc_lo
	s_wait_alu 0xfffe
	v_cmp_gt_u32_e32 vcc_lo, s2, v6
	s_wait_dscnt 0x0
	ds_bpermute_b32 v5, v5, v1
	v_add_lshl_u32 v2, v7, v2, 2
	s_wait_dscnt 0x0
	s_wait_alu 0xfffd
	v_cndmask_b32_e32 v5, 0, v5, vcc_lo
	s_delay_alu instid0(VALU_DEP_1)
	v_add_nc_u32_e32 v1, v5, v1
	v_add_nc_u32_e32 v5, 2, v4
	ds_bpermute_b32 v2, v2, v1
	v_cmp_gt_u32_e32 vcc_lo, s2, v5
	s_wait_dscnt 0x0
	s_wait_alu 0xfffd
	v_cndmask_b32_e32 v2, 0, v2, vcc_lo
	s_delay_alu instid0(VALU_DEP_1)
	v_add_nc_u32_e32 v1, v1, v2
	v_or_b32_e32 v2, 16, v3
	v_add_nc_u32_e32 v3, 4, v4
	ds_bpermute_b32 v2, v2, v1
	v_cmp_gt_u32_e32 vcc_lo, s2, v3
	s_wait_dscnt 0x0
	s_wait_alu 0xfffd
	v_cndmask_b32_e32 v2, 0, v2, vcc_lo
	s_delay_alu instid0(VALU_DEP_1)
	v_add_nc_u32_e32 v1, v1, v2
.LBB436_234:
	s_wait_alu 0xfffe
	s_or_b32 exec_lo, exec_lo, s3
	v_cmp_eq_u32_e64 s2, 0, v0
	s_and_saveexec_b32 s3, s2
	s_cbranch_execnz .LBB436_225
	s_branch .LBB436_226
	.section	.rodata,"a",@progbits
	.p2align	6, 0x0
	.amdhsa_kernel _ZN7rocprim17ROCPRIM_400000_NS6detail17trampoline_kernelINS0_14default_configENS1_22reduce_config_selectorIiEEZNS1_11reduce_implILb1ES3_PiS7_iN6hipcub16HIPCUB_304000_NS6detail34convert_binary_result_type_wrapperINS9_3SumENS9_22TransformInputIteratorIbN2at6native12_GLOBAL__N_19NonZeroOpIfEEPKflEEiEEEE10hipError_tPvRmT1_T2_T3_mT4_P12ihipStream_tbEUlT_E1_NS1_11comp_targetILNS1_3genE10ELNS1_11target_archE1201ELNS1_3gpuE5ELNS1_3repE0EEENS1_30default_config_static_selectorELNS0_4arch9wavefront6targetE0EEEvSQ_
		.amdhsa_group_segment_fixed_size 224
		.amdhsa_private_segment_fixed_size 0
		.amdhsa_kernarg_size 40
		.amdhsa_user_sgpr_count 2
		.amdhsa_user_sgpr_dispatch_ptr 0
		.amdhsa_user_sgpr_queue_ptr 0
		.amdhsa_user_sgpr_kernarg_segment_ptr 1
		.amdhsa_user_sgpr_dispatch_id 0
		.amdhsa_user_sgpr_private_segment_size 0
		.amdhsa_wavefront_size32 1
		.amdhsa_uses_dynamic_stack 0
		.amdhsa_enable_private_segment 0
		.amdhsa_system_sgpr_workgroup_id_x 1
		.amdhsa_system_sgpr_workgroup_id_y 0
		.amdhsa_system_sgpr_workgroup_id_z 0
		.amdhsa_system_sgpr_workgroup_info 0
		.amdhsa_system_vgpr_workitem_id 0
		.amdhsa_next_free_vgpr 34
		.amdhsa_next_free_sgpr 45
		.amdhsa_reserve_vcc 1
		.amdhsa_float_round_mode_32 0
		.amdhsa_float_round_mode_16_64 0
		.amdhsa_float_denorm_mode_32 3
		.amdhsa_float_denorm_mode_16_64 3
		.amdhsa_fp16_overflow 0
		.amdhsa_workgroup_processor_mode 1
		.amdhsa_memory_ordered 1
		.amdhsa_forward_progress 1
		.amdhsa_inst_pref_size 93
		.amdhsa_round_robin_scheduling 0
		.amdhsa_exception_fp_ieee_invalid_op 0
		.amdhsa_exception_fp_denorm_src 0
		.amdhsa_exception_fp_ieee_div_zero 0
		.amdhsa_exception_fp_ieee_overflow 0
		.amdhsa_exception_fp_ieee_underflow 0
		.amdhsa_exception_fp_ieee_inexact 0
		.amdhsa_exception_int_div_zero 0
	.end_amdhsa_kernel
	.section	.text._ZN7rocprim17ROCPRIM_400000_NS6detail17trampoline_kernelINS0_14default_configENS1_22reduce_config_selectorIiEEZNS1_11reduce_implILb1ES3_PiS7_iN6hipcub16HIPCUB_304000_NS6detail34convert_binary_result_type_wrapperINS9_3SumENS9_22TransformInputIteratorIbN2at6native12_GLOBAL__N_19NonZeroOpIfEEPKflEEiEEEE10hipError_tPvRmT1_T2_T3_mT4_P12ihipStream_tbEUlT_E1_NS1_11comp_targetILNS1_3genE10ELNS1_11target_archE1201ELNS1_3gpuE5ELNS1_3repE0EEENS1_30default_config_static_selectorELNS0_4arch9wavefront6targetE0EEEvSQ_,"axG",@progbits,_ZN7rocprim17ROCPRIM_400000_NS6detail17trampoline_kernelINS0_14default_configENS1_22reduce_config_selectorIiEEZNS1_11reduce_implILb1ES3_PiS7_iN6hipcub16HIPCUB_304000_NS6detail34convert_binary_result_type_wrapperINS9_3SumENS9_22TransformInputIteratorIbN2at6native12_GLOBAL__N_19NonZeroOpIfEEPKflEEiEEEE10hipError_tPvRmT1_T2_T3_mT4_P12ihipStream_tbEUlT_E1_NS1_11comp_targetILNS1_3genE10ELNS1_11target_archE1201ELNS1_3gpuE5ELNS1_3repE0EEENS1_30default_config_static_selectorELNS0_4arch9wavefront6targetE0EEEvSQ_,comdat
.Lfunc_end436:
	.size	_ZN7rocprim17ROCPRIM_400000_NS6detail17trampoline_kernelINS0_14default_configENS1_22reduce_config_selectorIiEEZNS1_11reduce_implILb1ES3_PiS7_iN6hipcub16HIPCUB_304000_NS6detail34convert_binary_result_type_wrapperINS9_3SumENS9_22TransformInputIteratorIbN2at6native12_GLOBAL__N_19NonZeroOpIfEEPKflEEiEEEE10hipError_tPvRmT1_T2_T3_mT4_P12ihipStream_tbEUlT_E1_NS1_11comp_targetILNS1_3genE10ELNS1_11target_archE1201ELNS1_3gpuE5ELNS1_3repE0EEENS1_30default_config_static_selectorELNS0_4arch9wavefront6targetE0EEEvSQ_, .Lfunc_end436-_ZN7rocprim17ROCPRIM_400000_NS6detail17trampoline_kernelINS0_14default_configENS1_22reduce_config_selectorIiEEZNS1_11reduce_implILb1ES3_PiS7_iN6hipcub16HIPCUB_304000_NS6detail34convert_binary_result_type_wrapperINS9_3SumENS9_22TransformInputIteratorIbN2at6native12_GLOBAL__N_19NonZeroOpIfEEPKflEEiEEEE10hipError_tPvRmT1_T2_T3_mT4_P12ihipStream_tbEUlT_E1_NS1_11comp_targetILNS1_3genE10ELNS1_11target_archE1201ELNS1_3gpuE5ELNS1_3repE0EEENS1_30default_config_static_selectorELNS0_4arch9wavefront6targetE0EEEvSQ_
                                        ; -- End function
	.set _ZN7rocprim17ROCPRIM_400000_NS6detail17trampoline_kernelINS0_14default_configENS1_22reduce_config_selectorIiEEZNS1_11reduce_implILb1ES3_PiS7_iN6hipcub16HIPCUB_304000_NS6detail34convert_binary_result_type_wrapperINS9_3SumENS9_22TransformInputIteratorIbN2at6native12_GLOBAL__N_19NonZeroOpIfEEPKflEEiEEEE10hipError_tPvRmT1_T2_T3_mT4_P12ihipStream_tbEUlT_E1_NS1_11comp_targetILNS1_3genE10ELNS1_11target_archE1201ELNS1_3gpuE5ELNS1_3repE0EEENS1_30default_config_static_selectorELNS0_4arch9wavefront6targetE0EEEvSQ_.num_vgpr, 34
	.set _ZN7rocprim17ROCPRIM_400000_NS6detail17trampoline_kernelINS0_14default_configENS1_22reduce_config_selectorIiEEZNS1_11reduce_implILb1ES3_PiS7_iN6hipcub16HIPCUB_304000_NS6detail34convert_binary_result_type_wrapperINS9_3SumENS9_22TransformInputIteratorIbN2at6native12_GLOBAL__N_19NonZeroOpIfEEPKflEEiEEEE10hipError_tPvRmT1_T2_T3_mT4_P12ihipStream_tbEUlT_E1_NS1_11comp_targetILNS1_3genE10ELNS1_11target_archE1201ELNS1_3gpuE5ELNS1_3repE0EEENS1_30default_config_static_selectorELNS0_4arch9wavefront6targetE0EEEvSQ_.num_agpr, 0
	.set _ZN7rocprim17ROCPRIM_400000_NS6detail17trampoline_kernelINS0_14default_configENS1_22reduce_config_selectorIiEEZNS1_11reduce_implILb1ES3_PiS7_iN6hipcub16HIPCUB_304000_NS6detail34convert_binary_result_type_wrapperINS9_3SumENS9_22TransformInputIteratorIbN2at6native12_GLOBAL__N_19NonZeroOpIfEEPKflEEiEEEE10hipError_tPvRmT1_T2_T3_mT4_P12ihipStream_tbEUlT_E1_NS1_11comp_targetILNS1_3genE10ELNS1_11target_archE1201ELNS1_3gpuE5ELNS1_3repE0EEENS1_30default_config_static_selectorELNS0_4arch9wavefront6targetE0EEEvSQ_.numbered_sgpr, 45
	.set _ZN7rocprim17ROCPRIM_400000_NS6detail17trampoline_kernelINS0_14default_configENS1_22reduce_config_selectorIiEEZNS1_11reduce_implILb1ES3_PiS7_iN6hipcub16HIPCUB_304000_NS6detail34convert_binary_result_type_wrapperINS9_3SumENS9_22TransformInputIteratorIbN2at6native12_GLOBAL__N_19NonZeroOpIfEEPKflEEiEEEE10hipError_tPvRmT1_T2_T3_mT4_P12ihipStream_tbEUlT_E1_NS1_11comp_targetILNS1_3genE10ELNS1_11target_archE1201ELNS1_3gpuE5ELNS1_3repE0EEENS1_30default_config_static_selectorELNS0_4arch9wavefront6targetE0EEEvSQ_.num_named_barrier, 0
	.set _ZN7rocprim17ROCPRIM_400000_NS6detail17trampoline_kernelINS0_14default_configENS1_22reduce_config_selectorIiEEZNS1_11reduce_implILb1ES3_PiS7_iN6hipcub16HIPCUB_304000_NS6detail34convert_binary_result_type_wrapperINS9_3SumENS9_22TransformInputIteratorIbN2at6native12_GLOBAL__N_19NonZeroOpIfEEPKflEEiEEEE10hipError_tPvRmT1_T2_T3_mT4_P12ihipStream_tbEUlT_E1_NS1_11comp_targetILNS1_3genE10ELNS1_11target_archE1201ELNS1_3gpuE5ELNS1_3repE0EEENS1_30default_config_static_selectorELNS0_4arch9wavefront6targetE0EEEvSQ_.private_seg_size, 0
	.set _ZN7rocprim17ROCPRIM_400000_NS6detail17trampoline_kernelINS0_14default_configENS1_22reduce_config_selectorIiEEZNS1_11reduce_implILb1ES3_PiS7_iN6hipcub16HIPCUB_304000_NS6detail34convert_binary_result_type_wrapperINS9_3SumENS9_22TransformInputIteratorIbN2at6native12_GLOBAL__N_19NonZeroOpIfEEPKflEEiEEEE10hipError_tPvRmT1_T2_T3_mT4_P12ihipStream_tbEUlT_E1_NS1_11comp_targetILNS1_3genE10ELNS1_11target_archE1201ELNS1_3gpuE5ELNS1_3repE0EEENS1_30default_config_static_selectorELNS0_4arch9wavefront6targetE0EEEvSQ_.uses_vcc, 1
	.set _ZN7rocprim17ROCPRIM_400000_NS6detail17trampoline_kernelINS0_14default_configENS1_22reduce_config_selectorIiEEZNS1_11reduce_implILb1ES3_PiS7_iN6hipcub16HIPCUB_304000_NS6detail34convert_binary_result_type_wrapperINS9_3SumENS9_22TransformInputIteratorIbN2at6native12_GLOBAL__N_19NonZeroOpIfEEPKflEEiEEEE10hipError_tPvRmT1_T2_T3_mT4_P12ihipStream_tbEUlT_E1_NS1_11comp_targetILNS1_3genE10ELNS1_11target_archE1201ELNS1_3gpuE5ELNS1_3repE0EEENS1_30default_config_static_selectorELNS0_4arch9wavefront6targetE0EEEvSQ_.uses_flat_scratch, 0
	.set _ZN7rocprim17ROCPRIM_400000_NS6detail17trampoline_kernelINS0_14default_configENS1_22reduce_config_selectorIiEEZNS1_11reduce_implILb1ES3_PiS7_iN6hipcub16HIPCUB_304000_NS6detail34convert_binary_result_type_wrapperINS9_3SumENS9_22TransformInputIteratorIbN2at6native12_GLOBAL__N_19NonZeroOpIfEEPKflEEiEEEE10hipError_tPvRmT1_T2_T3_mT4_P12ihipStream_tbEUlT_E1_NS1_11comp_targetILNS1_3genE10ELNS1_11target_archE1201ELNS1_3gpuE5ELNS1_3repE0EEENS1_30default_config_static_selectorELNS0_4arch9wavefront6targetE0EEEvSQ_.has_dyn_sized_stack, 0
	.set _ZN7rocprim17ROCPRIM_400000_NS6detail17trampoline_kernelINS0_14default_configENS1_22reduce_config_selectorIiEEZNS1_11reduce_implILb1ES3_PiS7_iN6hipcub16HIPCUB_304000_NS6detail34convert_binary_result_type_wrapperINS9_3SumENS9_22TransformInputIteratorIbN2at6native12_GLOBAL__N_19NonZeroOpIfEEPKflEEiEEEE10hipError_tPvRmT1_T2_T3_mT4_P12ihipStream_tbEUlT_E1_NS1_11comp_targetILNS1_3genE10ELNS1_11target_archE1201ELNS1_3gpuE5ELNS1_3repE0EEENS1_30default_config_static_selectorELNS0_4arch9wavefront6targetE0EEEvSQ_.has_recursion, 0
	.set _ZN7rocprim17ROCPRIM_400000_NS6detail17trampoline_kernelINS0_14default_configENS1_22reduce_config_selectorIiEEZNS1_11reduce_implILb1ES3_PiS7_iN6hipcub16HIPCUB_304000_NS6detail34convert_binary_result_type_wrapperINS9_3SumENS9_22TransformInputIteratorIbN2at6native12_GLOBAL__N_19NonZeroOpIfEEPKflEEiEEEE10hipError_tPvRmT1_T2_T3_mT4_P12ihipStream_tbEUlT_E1_NS1_11comp_targetILNS1_3genE10ELNS1_11target_archE1201ELNS1_3gpuE5ELNS1_3repE0EEENS1_30default_config_static_selectorELNS0_4arch9wavefront6targetE0EEEvSQ_.has_indirect_call, 0
	.section	.AMDGPU.csdata,"",@progbits
; Kernel info:
; codeLenInByte = 11904
; TotalNumSgprs: 47
; NumVgprs: 34
; ScratchSize: 0
; MemoryBound: 0
; FloatMode: 240
; IeeeMode: 1
; LDSByteSize: 224 bytes/workgroup (compile time only)
; SGPRBlocks: 0
; VGPRBlocks: 4
; NumSGPRsForWavesPerEU: 47
; NumVGPRsForWavesPerEU: 34
; Occupancy: 16
; WaveLimiterHint : 1
; COMPUTE_PGM_RSRC2:SCRATCH_EN: 0
; COMPUTE_PGM_RSRC2:USER_SGPR: 2
; COMPUTE_PGM_RSRC2:TRAP_HANDLER: 0
; COMPUTE_PGM_RSRC2:TGID_X_EN: 1
; COMPUTE_PGM_RSRC2:TGID_Y_EN: 0
; COMPUTE_PGM_RSRC2:TGID_Z_EN: 0
; COMPUTE_PGM_RSRC2:TIDIG_COMP_CNT: 0
	.section	.text._ZN7rocprim17ROCPRIM_400000_NS6detail17trampoline_kernelINS0_14default_configENS1_22reduce_config_selectorIiEEZNS1_11reduce_implILb1ES3_PiS7_iN6hipcub16HIPCUB_304000_NS6detail34convert_binary_result_type_wrapperINS9_3SumENS9_22TransformInputIteratorIbN2at6native12_GLOBAL__N_19NonZeroOpIfEEPKflEEiEEEE10hipError_tPvRmT1_T2_T3_mT4_P12ihipStream_tbEUlT_E1_NS1_11comp_targetILNS1_3genE10ELNS1_11target_archE1200ELNS1_3gpuE4ELNS1_3repE0EEENS1_30default_config_static_selectorELNS0_4arch9wavefront6targetE0EEEvSQ_,"axG",@progbits,_ZN7rocprim17ROCPRIM_400000_NS6detail17trampoline_kernelINS0_14default_configENS1_22reduce_config_selectorIiEEZNS1_11reduce_implILb1ES3_PiS7_iN6hipcub16HIPCUB_304000_NS6detail34convert_binary_result_type_wrapperINS9_3SumENS9_22TransformInputIteratorIbN2at6native12_GLOBAL__N_19NonZeroOpIfEEPKflEEiEEEE10hipError_tPvRmT1_T2_T3_mT4_P12ihipStream_tbEUlT_E1_NS1_11comp_targetILNS1_3genE10ELNS1_11target_archE1200ELNS1_3gpuE4ELNS1_3repE0EEENS1_30default_config_static_selectorELNS0_4arch9wavefront6targetE0EEEvSQ_,comdat
	.globl	_ZN7rocprim17ROCPRIM_400000_NS6detail17trampoline_kernelINS0_14default_configENS1_22reduce_config_selectorIiEEZNS1_11reduce_implILb1ES3_PiS7_iN6hipcub16HIPCUB_304000_NS6detail34convert_binary_result_type_wrapperINS9_3SumENS9_22TransformInputIteratorIbN2at6native12_GLOBAL__N_19NonZeroOpIfEEPKflEEiEEEE10hipError_tPvRmT1_T2_T3_mT4_P12ihipStream_tbEUlT_E1_NS1_11comp_targetILNS1_3genE10ELNS1_11target_archE1200ELNS1_3gpuE4ELNS1_3repE0EEENS1_30default_config_static_selectorELNS0_4arch9wavefront6targetE0EEEvSQ_ ; -- Begin function _ZN7rocprim17ROCPRIM_400000_NS6detail17trampoline_kernelINS0_14default_configENS1_22reduce_config_selectorIiEEZNS1_11reduce_implILb1ES3_PiS7_iN6hipcub16HIPCUB_304000_NS6detail34convert_binary_result_type_wrapperINS9_3SumENS9_22TransformInputIteratorIbN2at6native12_GLOBAL__N_19NonZeroOpIfEEPKflEEiEEEE10hipError_tPvRmT1_T2_T3_mT4_P12ihipStream_tbEUlT_E1_NS1_11comp_targetILNS1_3genE10ELNS1_11target_archE1200ELNS1_3gpuE4ELNS1_3repE0EEENS1_30default_config_static_selectorELNS0_4arch9wavefront6targetE0EEEvSQ_
	.p2align	8
	.type	_ZN7rocprim17ROCPRIM_400000_NS6detail17trampoline_kernelINS0_14default_configENS1_22reduce_config_selectorIiEEZNS1_11reduce_implILb1ES3_PiS7_iN6hipcub16HIPCUB_304000_NS6detail34convert_binary_result_type_wrapperINS9_3SumENS9_22TransformInputIteratorIbN2at6native12_GLOBAL__N_19NonZeroOpIfEEPKflEEiEEEE10hipError_tPvRmT1_T2_T3_mT4_P12ihipStream_tbEUlT_E1_NS1_11comp_targetILNS1_3genE10ELNS1_11target_archE1200ELNS1_3gpuE4ELNS1_3repE0EEENS1_30default_config_static_selectorELNS0_4arch9wavefront6targetE0EEEvSQ_,@function
_ZN7rocprim17ROCPRIM_400000_NS6detail17trampoline_kernelINS0_14default_configENS1_22reduce_config_selectorIiEEZNS1_11reduce_implILb1ES3_PiS7_iN6hipcub16HIPCUB_304000_NS6detail34convert_binary_result_type_wrapperINS9_3SumENS9_22TransformInputIteratorIbN2at6native12_GLOBAL__N_19NonZeroOpIfEEPKflEEiEEEE10hipError_tPvRmT1_T2_T3_mT4_P12ihipStream_tbEUlT_E1_NS1_11comp_targetILNS1_3genE10ELNS1_11target_archE1200ELNS1_3gpuE4ELNS1_3repE0EEENS1_30default_config_static_selectorELNS0_4arch9wavefront6targetE0EEEvSQ_: ; @_ZN7rocprim17ROCPRIM_400000_NS6detail17trampoline_kernelINS0_14default_configENS1_22reduce_config_selectorIiEEZNS1_11reduce_implILb1ES3_PiS7_iN6hipcub16HIPCUB_304000_NS6detail34convert_binary_result_type_wrapperINS9_3SumENS9_22TransformInputIteratorIbN2at6native12_GLOBAL__N_19NonZeroOpIfEEPKflEEiEEEE10hipError_tPvRmT1_T2_T3_mT4_P12ihipStream_tbEUlT_E1_NS1_11comp_targetILNS1_3genE10ELNS1_11target_archE1200ELNS1_3gpuE4ELNS1_3repE0EEENS1_30default_config_static_selectorELNS0_4arch9wavefront6targetE0EEEvSQ_
; %bb.0:
	.section	.rodata,"a",@progbits
	.p2align	6, 0x0
	.amdhsa_kernel _ZN7rocprim17ROCPRIM_400000_NS6detail17trampoline_kernelINS0_14default_configENS1_22reduce_config_selectorIiEEZNS1_11reduce_implILb1ES3_PiS7_iN6hipcub16HIPCUB_304000_NS6detail34convert_binary_result_type_wrapperINS9_3SumENS9_22TransformInputIteratorIbN2at6native12_GLOBAL__N_19NonZeroOpIfEEPKflEEiEEEE10hipError_tPvRmT1_T2_T3_mT4_P12ihipStream_tbEUlT_E1_NS1_11comp_targetILNS1_3genE10ELNS1_11target_archE1200ELNS1_3gpuE4ELNS1_3repE0EEENS1_30default_config_static_selectorELNS0_4arch9wavefront6targetE0EEEvSQ_
		.amdhsa_group_segment_fixed_size 0
		.amdhsa_private_segment_fixed_size 0
		.amdhsa_kernarg_size 40
		.amdhsa_user_sgpr_count 2
		.amdhsa_user_sgpr_dispatch_ptr 0
		.amdhsa_user_sgpr_queue_ptr 0
		.amdhsa_user_sgpr_kernarg_segment_ptr 1
		.amdhsa_user_sgpr_dispatch_id 0
		.amdhsa_user_sgpr_private_segment_size 0
		.amdhsa_wavefront_size32 1
		.amdhsa_uses_dynamic_stack 0
		.amdhsa_enable_private_segment 0
		.amdhsa_system_sgpr_workgroup_id_x 1
		.amdhsa_system_sgpr_workgroup_id_y 0
		.amdhsa_system_sgpr_workgroup_id_z 0
		.amdhsa_system_sgpr_workgroup_info 0
		.amdhsa_system_vgpr_workitem_id 0
		.amdhsa_next_free_vgpr 1
		.amdhsa_next_free_sgpr 1
		.amdhsa_reserve_vcc 0
		.amdhsa_float_round_mode_32 0
		.amdhsa_float_round_mode_16_64 0
		.amdhsa_float_denorm_mode_32 3
		.amdhsa_float_denorm_mode_16_64 3
		.amdhsa_fp16_overflow 0
		.amdhsa_workgroup_processor_mode 1
		.amdhsa_memory_ordered 1
		.amdhsa_forward_progress 1
		.amdhsa_inst_pref_size 0
		.amdhsa_round_robin_scheduling 0
		.amdhsa_exception_fp_ieee_invalid_op 0
		.amdhsa_exception_fp_denorm_src 0
		.amdhsa_exception_fp_ieee_div_zero 0
		.amdhsa_exception_fp_ieee_overflow 0
		.amdhsa_exception_fp_ieee_underflow 0
		.amdhsa_exception_fp_ieee_inexact 0
		.amdhsa_exception_int_div_zero 0
	.end_amdhsa_kernel
	.section	.text._ZN7rocprim17ROCPRIM_400000_NS6detail17trampoline_kernelINS0_14default_configENS1_22reduce_config_selectorIiEEZNS1_11reduce_implILb1ES3_PiS7_iN6hipcub16HIPCUB_304000_NS6detail34convert_binary_result_type_wrapperINS9_3SumENS9_22TransformInputIteratorIbN2at6native12_GLOBAL__N_19NonZeroOpIfEEPKflEEiEEEE10hipError_tPvRmT1_T2_T3_mT4_P12ihipStream_tbEUlT_E1_NS1_11comp_targetILNS1_3genE10ELNS1_11target_archE1200ELNS1_3gpuE4ELNS1_3repE0EEENS1_30default_config_static_selectorELNS0_4arch9wavefront6targetE0EEEvSQ_,"axG",@progbits,_ZN7rocprim17ROCPRIM_400000_NS6detail17trampoline_kernelINS0_14default_configENS1_22reduce_config_selectorIiEEZNS1_11reduce_implILb1ES3_PiS7_iN6hipcub16HIPCUB_304000_NS6detail34convert_binary_result_type_wrapperINS9_3SumENS9_22TransformInputIteratorIbN2at6native12_GLOBAL__N_19NonZeroOpIfEEPKflEEiEEEE10hipError_tPvRmT1_T2_T3_mT4_P12ihipStream_tbEUlT_E1_NS1_11comp_targetILNS1_3genE10ELNS1_11target_archE1200ELNS1_3gpuE4ELNS1_3repE0EEENS1_30default_config_static_selectorELNS0_4arch9wavefront6targetE0EEEvSQ_,comdat
.Lfunc_end437:
	.size	_ZN7rocprim17ROCPRIM_400000_NS6detail17trampoline_kernelINS0_14default_configENS1_22reduce_config_selectorIiEEZNS1_11reduce_implILb1ES3_PiS7_iN6hipcub16HIPCUB_304000_NS6detail34convert_binary_result_type_wrapperINS9_3SumENS9_22TransformInputIteratorIbN2at6native12_GLOBAL__N_19NonZeroOpIfEEPKflEEiEEEE10hipError_tPvRmT1_T2_T3_mT4_P12ihipStream_tbEUlT_E1_NS1_11comp_targetILNS1_3genE10ELNS1_11target_archE1200ELNS1_3gpuE4ELNS1_3repE0EEENS1_30default_config_static_selectorELNS0_4arch9wavefront6targetE0EEEvSQ_, .Lfunc_end437-_ZN7rocprim17ROCPRIM_400000_NS6detail17trampoline_kernelINS0_14default_configENS1_22reduce_config_selectorIiEEZNS1_11reduce_implILb1ES3_PiS7_iN6hipcub16HIPCUB_304000_NS6detail34convert_binary_result_type_wrapperINS9_3SumENS9_22TransformInputIteratorIbN2at6native12_GLOBAL__N_19NonZeroOpIfEEPKflEEiEEEE10hipError_tPvRmT1_T2_T3_mT4_P12ihipStream_tbEUlT_E1_NS1_11comp_targetILNS1_3genE10ELNS1_11target_archE1200ELNS1_3gpuE4ELNS1_3repE0EEENS1_30default_config_static_selectorELNS0_4arch9wavefront6targetE0EEEvSQ_
                                        ; -- End function
	.set _ZN7rocprim17ROCPRIM_400000_NS6detail17trampoline_kernelINS0_14default_configENS1_22reduce_config_selectorIiEEZNS1_11reduce_implILb1ES3_PiS7_iN6hipcub16HIPCUB_304000_NS6detail34convert_binary_result_type_wrapperINS9_3SumENS9_22TransformInputIteratorIbN2at6native12_GLOBAL__N_19NonZeroOpIfEEPKflEEiEEEE10hipError_tPvRmT1_T2_T3_mT4_P12ihipStream_tbEUlT_E1_NS1_11comp_targetILNS1_3genE10ELNS1_11target_archE1200ELNS1_3gpuE4ELNS1_3repE0EEENS1_30default_config_static_selectorELNS0_4arch9wavefront6targetE0EEEvSQ_.num_vgpr, 0
	.set _ZN7rocprim17ROCPRIM_400000_NS6detail17trampoline_kernelINS0_14default_configENS1_22reduce_config_selectorIiEEZNS1_11reduce_implILb1ES3_PiS7_iN6hipcub16HIPCUB_304000_NS6detail34convert_binary_result_type_wrapperINS9_3SumENS9_22TransformInputIteratorIbN2at6native12_GLOBAL__N_19NonZeroOpIfEEPKflEEiEEEE10hipError_tPvRmT1_T2_T3_mT4_P12ihipStream_tbEUlT_E1_NS1_11comp_targetILNS1_3genE10ELNS1_11target_archE1200ELNS1_3gpuE4ELNS1_3repE0EEENS1_30default_config_static_selectorELNS0_4arch9wavefront6targetE0EEEvSQ_.num_agpr, 0
	.set _ZN7rocprim17ROCPRIM_400000_NS6detail17trampoline_kernelINS0_14default_configENS1_22reduce_config_selectorIiEEZNS1_11reduce_implILb1ES3_PiS7_iN6hipcub16HIPCUB_304000_NS6detail34convert_binary_result_type_wrapperINS9_3SumENS9_22TransformInputIteratorIbN2at6native12_GLOBAL__N_19NonZeroOpIfEEPKflEEiEEEE10hipError_tPvRmT1_T2_T3_mT4_P12ihipStream_tbEUlT_E1_NS1_11comp_targetILNS1_3genE10ELNS1_11target_archE1200ELNS1_3gpuE4ELNS1_3repE0EEENS1_30default_config_static_selectorELNS0_4arch9wavefront6targetE0EEEvSQ_.numbered_sgpr, 0
	.set _ZN7rocprim17ROCPRIM_400000_NS6detail17trampoline_kernelINS0_14default_configENS1_22reduce_config_selectorIiEEZNS1_11reduce_implILb1ES3_PiS7_iN6hipcub16HIPCUB_304000_NS6detail34convert_binary_result_type_wrapperINS9_3SumENS9_22TransformInputIteratorIbN2at6native12_GLOBAL__N_19NonZeroOpIfEEPKflEEiEEEE10hipError_tPvRmT1_T2_T3_mT4_P12ihipStream_tbEUlT_E1_NS1_11comp_targetILNS1_3genE10ELNS1_11target_archE1200ELNS1_3gpuE4ELNS1_3repE0EEENS1_30default_config_static_selectorELNS0_4arch9wavefront6targetE0EEEvSQ_.num_named_barrier, 0
	.set _ZN7rocprim17ROCPRIM_400000_NS6detail17trampoline_kernelINS0_14default_configENS1_22reduce_config_selectorIiEEZNS1_11reduce_implILb1ES3_PiS7_iN6hipcub16HIPCUB_304000_NS6detail34convert_binary_result_type_wrapperINS9_3SumENS9_22TransformInputIteratorIbN2at6native12_GLOBAL__N_19NonZeroOpIfEEPKflEEiEEEE10hipError_tPvRmT1_T2_T3_mT4_P12ihipStream_tbEUlT_E1_NS1_11comp_targetILNS1_3genE10ELNS1_11target_archE1200ELNS1_3gpuE4ELNS1_3repE0EEENS1_30default_config_static_selectorELNS0_4arch9wavefront6targetE0EEEvSQ_.private_seg_size, 0
	.set _ZN7rocprim17ROCPRIM_400000_NS6detail17trampoline_kernelINS0_14default_configENS1_22reduce_config_selectorIiEEZNS1_11reduce_implILb1ES3_PiS7_iN6hipcub16HIPCUB_304000_NS6detail34convert_binary_result_type_wrapperINS9_3SumENS9_22TransformInputIteratorIbN2at6native12_GLOBAL__N_19NonZeroOpIfEEPKflEEiEEEE10hipError_tPvRmT1_T2_T3_mT4_P12ihipStream_tbEUlT_E1_NS1_11comp_targetILNS1_3genE10ELNS1_11target_archE1200ELNS1_3gpuE4ELNS1_3repE0EEENS1_30default_config_static_selectorELNS0_4arch9wavefront6targetE0EEEvSQ_.uses_vcc, 0
	.set _ZN7rocprim17ROCPRIM_400000_NS6detail17trampoline_kernelINS0_14default_configENS1_22reduce_config_selectorIiEEZNS1_11reduce_implILb1ES3_PiS7_iN6hipcub16HIPCUB_304000_NS6detail34convert_binary_result_type_wrapperINS9_3SumENS9_22TransformInputIteratorIbN2at6native12_GLOBAL__N_19NonZeroOpIfEEPKflEEiEEEE10hipError_tPvRmT1_T2_T3_mT4_P12ihipStream_tbEUlT_E1_NS1_11comp_targetILNS1_3genE10ELNS1_11target_archE1200ELNS1_3gpuE4ELNS1_3repE0EEENS1_30default_config_static_selectorELNS0_4arch9wavefront6targetE0EEEvSQ_.uses_flat_scratch, 0
	.set _ZN7rocprim17ROCPRIM_400000_NS6detail17trampoline_kernelINS0_14default_configENS1_22reduce_config_selectorIiEEZNS1_11reduce_implILb1ES3_PiS7_iN6hipcub16HIPCUB_304000_NS6detail34convert_binary_result_type_wrapperINS9_3SumENS9_22TransformInputIteratorIbN2at6native12_GLOBAL__N_19NonZeroOpIfEEPKflEEiEEEE10hipError_tPvRmT1_T2_T3_mT4_P12ihipStream_tbEUlT_E1_NS1_11comp_targetILNS1_3genE10ELNS1_11target_archE1200ELNS1_3gpuE4ELNS1_3repE0EEENS1_30default_config_static_selectorELNS0_4arch9wavefront6targetE0EEEvSQ_.has_dyn_sized_stack, 0
	.set _ZN7rocprim17ROCPRIM_400000_NS6detail17trampoline_kernelINS0_14default_configENS1_22reduce_config_selectorIiEEZNS1_11reduce_implILb1ES3_PiS7_iN6hipcub16HIPCUB_304000_NS6detail34convert_binary_result_type_wrapperINS9_3SumENS9_22TransformInputIteratorIbN2at6native12_GLOBAL__N_19NonZeroOpIfEEPKflEEiEEEE10hipError_tPvRmT1_T2_T3_mT4_P12ihipStream_tbEUlT_E1_NS1_11comp_targetILNS1_3genE10ELNS1_11target_archE1200ELNS1_3gpuE4ELNS1_3repE0EEENS1_30default_config_static_selectorELNS0_4arch9wavefront6targetE0EEEvSQ_.has_recursion, 0
	.set _ZN7rocprim17ROCPRIM_400000_NS6detail17trampoline_kernelINS0_14default_configENS1_22reduce_config_selectorIiEEZNS1_11reduce_implILb1ES3_PiS7_iN6hipcub16HIPCUB_304000_NS6detail34convert_binary_result_type_wrapperINS9_3SumENS9_22TransformInputIteratorIbN2at6native12_GLOBAL__N_19NonZeroOpIfEEPKflEEiEEEE10hipError_tPvRmT1_T2_T3_mT4_P12ihipStream_tbEUlT_E1_NS1_11comp_targetILNS1_3genE10ELNS1_11target_archE1200ELNS1_3gpuE4ELNS1_3repE0EEENS1_30default_config_static_selectorELNS0_4arch9wavefront6targetE0EEEvSQ_.has_indirect_call, 0
	.section	.AMDGPU.csdata,"",@progbits
; Kernel info:
; codeLenInByte = 0
; TotalNumSgprs: 0
; NumVgprs: 0
; ScratchSize: 0
; MemoryBound: 0
; FloatMode: 240
; IeeeMode: 1
; LDSByteSize: 0 bytes/workgroup (compile time only)
; SGPRBlocks: 0
; VGPRBlocks: 0
; NumSGPRsForWavesPerEU: 1
; NumVGPRsForWavesPerEU: 1
; Occupancy: 16
; WaveLimiterHint : 0
; COMPUTE_PGM_RSRC2:SCRATCH_EN: 0
; COMPUTE_PGM_RSRC2:USER_SGPR: 2
; COMPUTE_PGM_RSRC2:TRAP_HANDLER: 0
; COMPUTE_PGM_RSRC2:TGID_X_EN: 1
; COMPUTE_PGM_RSRC2:TGID_Y_EN: 0
; COMPUTE_PGM_RSRC2:TGID_Z_EN: 0
; COMPUTE_PGM_RSRC2:TIDIG_COMP_CNT: 0
	.section	.text._ZN7rocprim17ROCPRIM_400000_NS6detail17trampoline_kernelINS0_14default_configENS1_22reduce_config_selectorIiEEZNS1_11reduce_implILb1ES3_PiS7_iN6hipcub16HIPCUB_304000_NS6detail34convert_binary_result_type_wrapperINS9_3SumENS9_22TransformInputIteratorIbN2at6native12_GLOBAL__N_19NonZeroOpIfEEPKflEEiEEEE10hipError_tPvRmT1_T2_T3_mT4_P12ihipStream_tbEUlT_E1_NS1_11comp_targetILNS1_3genE9ELNS1_11target_archE1100ELNS1_3gpuE3ELNS1_3repE0EEENS1_30default_config_static_selectorELNS0_4arch9wavefront6targetE0EEEvSQ_,"axG",@progbits,_ZN7rocprim17ROCPRIM_400000_NS6detail17trampoline_kernelINS0_14default_configENS1_22reduce_config_selectorIiEEZNS1_11reduce_implILb1ES3_PiS7_iN6hipcub16HIPCUB_304000_NS6detail34convert_binary_result_type_wrapperINS9_3SumENS9_22TransformInputIteratorIbN2at6native12_GLOBAL__N_19NonZeroOpIfEEPKflEEiEEEE10hipError_tPvRmT1_T2_T3_mT4_P12ihipStream_tbEUlT_E1_NS1_11comp_targetILNS1_3genE9ELNS1_11target_archE1100ELNS1_3gpuE3ELNS1_3repE0EEENS1_30default_config_static_selectorELNS0_4arch9wavefront6targetE0EEEvSQ_,comdat
	.globl	_ZN7rocprim17ROCPRIM_400000_NS6detail17trampoline_kernelINS0_14default_configENS1_22reduce_config_selectorIiEEZNS1_11reduce_implILb1ES3_PiS7_iN6hipcub16HIPCUB_304000_NS6detail34convert_binary_result_type_wrapperINS9_3SumENS9_22TransformInputIteratorIbN2at6native12_GLOBAL__N_19NonZeroOpIfEEPKflEEiEEEE10hipError_tPvRmT1_T2_T3_mT4_P12ihipStream_tbEUlT_E1_NS1_11comp_targetILNS1_3genE9ELNS1_11target_archE1100ELNS1_3gpuE3ELNS1_3repE0EEENS1_30default_config_static_selectorELNS0_4arch9wavefront6targetE0EEEvSQ_ ; -- Begin function _ZN7rocprim17ROCPRIM_400000_NS6detail17trampoline_kernelINS0_14default_configENS1_22reduce_config_selectorIiEEZNS1_11reduce_implILb1ES3_PiS7_iN6hipcub16HIPCUB_304000_NS6detail34convert_binary_result_type_wrapperINS9_3SumENS9_22TransformInputIteratorIbN2at6native12_GLOBAL__N_19NonZeroOpIfEEPKflEEiEEEE10hipError_tPvRmT1_T2_T3_mT4_P12ihipStream_tbEUlT_E1_NS1_11comp_targetILNS1_3genE9ELNS1_11target_archE1100ELNS1_3gpuE3ELNS1_3repE0EEENS1_30default_config_static_selectorELNS0_4arch9wavefront6targetE0EEEvSQ_
	.p2align	8
	.type	_ZN7rocprim17ROCPRIM_400000_NS6detail17trampoline_kernelINS0_14default_configENS1_22reduce_config_selectorIiEEZNS1_11reduce_implILb1ES3_PiS7_iN6hipcub16HIPCUB_304000_NS6detail34convert_binary_result_type_wrapperINS9_3SumENS9_22TransformInputIteratorIbN2at6native12_GLOBAL__N_19NonZeroOpIfEEPKflEEiEEEE10hipError_tPvRmT1_T2_T3_mT4_P12ihipStream_tbEUlT_E1_NS1_11comp_targetILNS1_3genE9ELNS1_11target_archE1100ELNS1_3gpuE3ELNS1_3repE0EEENS1_30default_config_static_selectorELNS0_4arch9wavefront6targetE0EEEvSQ_,@function
_ZN7rocprim17ROCPRIM_400000_NS6detail17trampoline_kernelINS0_14default_configENS1_22reduce_config_selectorIiEEZNS1_11reduce_implILb1ES3_PiS7_iN6hipcub16HIPCUB_304000_NS6detail34convert_binary_result_type_wrapperINS9_3SumENS9_22TransformInputIteratorIbN2at6native12_GLOBAL__N_19NonZeroOpIfEEPKflEEiEEEE10hipError_tPvRmT1_T2_T3_mT4_P12ihipStream_tbEUlT_E1_NS1_11comp_targetILNS1_3genE9ELNS1_11target_archE1100ELNS1_3gpuE3ELNS1_3repE0EEENS1_30default_config_static_selectorELNS0_4arch9wavefront6targetE0EEEvSQ_: ; @_ZN7rocprim17ROCPRIM_400000_NS6detail17trampoline_kernelINS0_14default_configENS1_22reduce_config_selectorIiEEZNS1_11reduce_implILb1ES3_PiS7_iN6hipcub16HIPCUB_304000_NS6detail34convert_binary_result_type_wrapperINS9_3SumENS9_22TransformInputIteratorIbN2at6native12_GLOBAL__N_19NonZeroOpIfEEPKflEEiEEEE10hipError_tPvRmT1_T2_T3_mT4_P12ihipStream_tbEUlT_E1_NS1_11comp_targetILNS1_3genE9ELNS1_11target_archE1100ELNS1_3gpuE3ELNS1_3repE0EEENS1_30default_config_static_selectorELNS0_4arch9wavefront6targetE0EEEvSQ_
; %bb.0:
	.section	.rodata,"a",@progbits
	.p2align	6, 0x0
	.amdhsa_kernel _ZN7rocprim17ROCPRIM_400000_NS6detail17trampoline_kernelINS0_14default_configENS1_22reduce_config_selectorIiEEZNS1_11reduce_implILb1ES3_PiS7_iN6hipcub16HIPCUB_304000_NS6detail34convert_binary_result_type_wrapperINS9_3SumENS9_22TransformInputIteratorIbN2at6native12_GLOBAL__N_19NonZeroOpIfEEPKflEEiEEEE10hipError_tPvRmT1_T2_T3_mT4_P12ihipStream_tbEUlT_E1_NS1_11comp_targetILNS1_3genE9ELNS1_11target_archE1100ELNS1_3gpuE3ELNS1_3repE0EEENS1_30default_config_static_selectorELNS0_4arch9wavefront6targetE0EEEvSQ_
		.amdhsa_group_segment_fixed_size 0
		.amdhsa_private_segment_fixed_size 0
		.amdhsa_kernarg_size 40
		.amdhsa_user_sgpr_count 2
		.amdhsa_user_sgpr_dispatch_ptr 0
		.amdhsa_user_sgpr_queue_ptr 0
		.amdhsa_user_sgpr_kernarg_segment_ptr 1
		.amdhsa_user_sgpr_dispatch_id 0
		.amdhsa_user_sgpr_private_segment_size 0
		.amdhsa_wavefront_size32 1
		.amdhsa_uses_dynamic_stack 0
		.amdhsa_enable_private_segment 0
		.amdhsa_system_sgpr_workgroup_id_x 1
		.amdhsa_system_sgpr_workgroup_id_y 0
		.amdhsa_system_sgpr_workgroup_id_z 0
		.amdhsa_system_sgpr_workgroup_info 0
		.amdhsa_system_vgpr_workitem_id 0
		.amdhsa_next_free_vgpr 1
		.amdhsa_next_free_sgpr 1
		.amdhsa_reserve_vcc 0
		.amdhsa_float_round_mode_32 0
		.amdhsa_float_round_mode_16_64 0
		.amdhsa_float_denorm_mode_32 3
		.amdhsa_float_denorm_mode_16_64 3
		.amdhsa_fp16_overflow 0
		.amdhsa_workgroup_processor_mode 1
		.amdhsa_memory_ordered 1
		.amdhsa_forward_progress 1
		.amdhsa_inst_pref_size 0
		.amdhsa_round_robin_scheduling 0
		.amdhsa_exception_fp_ieee_invalid_op 0
		.amdhsa_exception_fp_denorm_src 0
		.amdhsa_exception_fp_ieee_div_zero 0
		.amdhsa_exception_fp_ieee_overflow 0
		.amdhsa_exception_fp_ieee_underflow 0
		.amdhsa_exception_fp_ieee_inexact 0
		.amdhsa_exception_int_div_zero 0
	.end_amdhsa_kernel
	.section	.text._ZN7rocprim17ROCPRIM_400000_NS6detail17trampoline_kernelINS0_14default_configENS1_22reduce_config_selectorIiEEZNS1_11reduce_implILb1ES3_PiS7_iN6hipcub16HIPCUB_304000_NS6detail34convert_binary_result_type_wrapperINS9_3SumENS9_22TransformInputIteratorIbN2at6native12_GLOBAL__N_19NonZeroOpIfEEPKflEEiEEEE10hipError_tPvRmT1_T2_T3_mT4_P12ihipStream_tbEUlT_E1_NS1_11comp_targetILNS1_3genE9ELNS1_11target_archE1100ELNS1_3gpuE3ELNS1_3repE0EEENS1_30default_config_static_selectorELNS0_4arch9wavefront6targetE0EEEvSQ_,"axG",@progbits,_ZN7rocprim17ROCPRIM_400000_NS6detail17trampoline_kernelINS0_14default_configENS1_22reduce_config_selectorIiEEZNS1_11reduce_implILb1ES3_PiS7_iN6hipcub16HIPCUB_304000_NS6detail34convert_binary_result_type_wrapperINS9_3SumENS9_22TransformInputIteratorIbN2at6native12_GLOBAL__N_19NonZeroOpIfEEPKflEEiEEEE10hipError_tPvRmT1_T2_T3_mT4_P12ihipStream_tbEUlT_E1_NS1_11comp_targetILNS1_3genE9ELNS1_11target_archE1100ELNS1_3gpuE3ELNS1_3repE0EEENS1_30default_config_static_selectorELNS0_4arch9wavefront6targetE0EEEvSQ_,comdat
.Lfunc_end438:
	.size	_ZN7rocprim17ROCPRIM_400000_NS6detail17trampoline_kernelINS0_14default_configENS1_22reduce_config_selectorIiEEZNS1_11reduce_implILb1ES3_PiS7_iN6hipcub16HIPCUB_304000_NS6detail34convert_binary_result_type_wrapperINS9_3SumENS9_22TransformInputIteratorIbN2at6native12_GLOBAL__N_19NonZeroOpIfEEPKflEEiEEEE10hipError_tPvRmT1_T2_T3_mT4_P12ihipStream_tbEUlT_E1_NS1_11comp_targetILNS1_3genE9ELNS1_11target_archE1100ELNS1_3gpuE3ELNS1_3repE0EEENS1_30default_config_static_selectorELNS0_4arch9wavefront6targetE0EEEvSQ_, .Lfunc_end438-_ZN7rocprim17ROCPRIM_400000_NS6detail17trampoline_kernelINS0_14default_configENS1_22reduce_config_selectorIiEEZNS1_11reduce_implILb1ES3_PiS7_iN6hipcub16HIPCUB_304000_NS6detail34convert_binary_result_type_wrapperINS9_3SumENS9_22TransformInputIteratorIbN2at6native12_GLOBAL__N_19NonZeroOpIfEEPKflEEiEEEE10hipError_tPvRmT1_T2_T3_mT4_P12ihipStream_tbEUlT_E1_NS1_11comp_targetILNS1_3genE9ELNS1_11target_archE1100ELNS1_3gpuE3ELNS1_3repE0EEENS1_30default_config_static_selectorELNS0_4arch9wavefront6targetE0EEEvSQ_
                                        ; -- End function
	.set _ZN7rocprim17ROCPRIM_400000_NS6detail17trampoline_kernelINS0_14default_configENS1_22reduce_config_selectorIiEEZNS1_11reduce_implILb1ES3_PiS7_iN6hipcub16HIPCUB_304000_NS6detail34convert_binary_result_type_wrapperINS9_3SumENS9_22TransformInputIteratorIbN2at6native12_GLOBAL__N_19NonZeroOpIfEEPKflEEiEEEE10hipError_tPvRmT1_T2_T3_mT4_P12ihipStream_tbEUlT_E1_NS1_11comp_targetILNS1_3genE9ELNS1_11target_archE1100ELNS1_3gpuE3ELNS1_3repE0EEENS1_30default_config_static_selectorELNS0_4arch9wavefront6targetE0EEEvSQ_.num_vgpr, 0
	.set _ZN7rocprim17ROCPRIM_400000_NS6detail17trampoline_kernelINS0_14default_configENS1_22reduce_config_selectorIiEEZNS1_11reduce_implILb1ES3_PiS7_iN6hipcub16HIPCUB_304000_NS6detail34convert_binary_result_type_wrapperINS9_3SumENS9_22TransformInputIteratorIbN2at6native12_GLOBAL__N_19NonZeroOpIfEEPKflEEiEEEE10hipError_tPvRmT1_T2_T3_mT4_P12ihipStream_tbEUlT_E1_NS1_11comp_targetILNS1_3genE9ELNS1_11target_archE1100ELNS1_3gpuE3ELNS1_3repE0EEENS1_30default_config_static_selectorELNS0_4arch9wavefront6targetE0EEEvSQ_.num_agpr, 0
	.set _ZN7rocprim17ROCPRIM_400000_NS6detail17trampoline_kernelINS0_14default_configENS1_22reduce_config_selectorIiEEZNS1_11reduce_implILb1ES3_PiS7_iN6hipcub16HIPCUB_304000_NS6detail34convert_binary_result_type_wrapperINS9_3SumENS9_22TransformInputIteratorIbN2at6native12_GLOBAL__N_19NonZeroOpIfEEPKflEEiEEEE10hipError_tPvRmT1_T2_T3_mT4_P12ihipStream_tbEUlT_E1_NS1_11comp_targetILNS1_3genE9ELNS1_11target_archE1100ELNS1_3gpuE3ELNS1_3repE0EEENS1_30default_config_static_selectorELNS0_4arch9wavefront6targetE0EEEvSQ_.numbered_sgpr, 0
	.set _ZN7rocprim17ROCPRIM_400000_NS6detail17trampoline_kernelINS0_14default_configENS1_22reduce_config_selectorIiEEZNS1_11reduce_implILb1ES3_PiS7_iN6hipcub16HIPCUB_304000_NS6detail34convert_binary_result_type_wrapperINS9_3SumENS9_22TransformInputIteratorIbN2at6native12_GLOBAL__N_19NonZeroOpIfEEPKflEEiEEEE10hipError_tPvRmT1_T2_T3_mT4_P12ihipStream_tbEUlT_E1_NS1_11comp_targetILNS1_3genE9ELNS1_11target_archE1100ELNS1_3gpuE3ELNS1_3repE0EEENS1_30default_config_static_selectorELNS0_4arch9wavefront6targetE0EEEvSQ_.num_named_barrier, 0
	.set _ZN7rocprim17ROCPRIM_400000_NS6detail17trampoline_kernelINS0_14default_configENS1_22reduce_config_selectorIiEEZNS1_11reduce_implILb1ES3_PiS7_iN6hipcub16HIPCUB_304000_NS6detail34convert_binary_result_type_wrapperINS9_3SumENS9_22TransformInputIteratorIbN2at6native12_GLOBAL__N_19NonZeroOpIfEEPKflEEiEEEE10hipError_tPvRmT1_T2_T3_mT4_P12ihipStream_tbEUlT_E1_NS1_11comp_targetILNS1_3genE9ELNS1_11target_archE1100ELNS1_3gpuE3ELNS1_3repE0EEENS1_30default_config_static_selectorELNS0_4arch9wavefront6targetE0EEEvSQ_.private_seg_size, 0
	.set _ZN7rocprim17ROCPRIM_400000_NS6detail17trampoline_kernelINS0_14default_configENS1_22reduce_config_selectorIiEEZNS1_11reduce_implILb1ES3_PiS7_iN6hipcub16HIPCUB_304000_NS6detail34convert_binary_result_type_wrapperINS9_3SumENS9_22TransformInputIteratorIbN2at6native12_GLOBAL__N_19NonZeroOpIfEEPKflEEiEEEE10hipError_tPvRmT1_T2_T3_mT4_P12ihipStream_tbEUlT_E1_NS1_11comp_targetILNS1_3genE9ELNS1_11target_archE1100ELNS1_3gpuE3ELNS1_3repE0EEENS1_30default_config_static_selectorELNS0_4arch9wavefront6targetE0EEEvSQ_.uses_vcc, 0
	.set _ZN7rocprim17ROCPRIM_400000_NS6detail17trampoline_kernelINS0_14default_configENS1_22reduce_config_selectorIiEEZNS1_11reduce_implILb1ES3_PiS7_iN6hipcub16HIPCUB_304000_NS6detail34convert_binary_result_type_wrapperINS9_3SumENS9_22TransformInputIteratorIbN2at6native12_GLOBAL__N_19NonZeroOpIfEEPKflEEiEEEE10hipError_tPvRmT1_T2_T3_mT4_P12ihipStream_tbEUlT_E1_NS1_11comp_targetILNS1_3genE9ELNS1_11target_archE1100ELNS1_3gpuE3ELNS1_3repE0EEENS1_30default_config_static_selectorELNS0_4arch9wavefront6targetE0EEEvSQ_.uses_flat_scratch, 0
	.set _ZN7rocprim17ROCPRIM_400000_NS6detail17trampoline_kernelINS0_14default_configENS1_22reduce_config_selectorIiEEZNS1_11reduce_implILb1ES3_PiS7_iN6hipcub16HIPCUB_304000_NS6detail34convert_binary_result_type_wrapperINS9_3SumENS9_22TransformInputIteratorIbN2at6native12_GLOBAL__N_19NonZeroOpIfEEPKflEEiEEEE10hipError_tPvRmT1_T2_T3_mT4_P12ihipStream_tbEUlT_E1_NS1_11comp_targetILNS1_3genE9ELNS1_11target_archE1100ELNS1_3gpuE3ELNS1_3repE0EEENS1_30default_config_static_selectorELNS0_4arch9wavefront6targetE0EEEvSQ_.has_dyn_sized_stack, 0
	.set _ZN7rocprim17ROCPRIM_400000_NS6detail17trampoline_kernelINS0_14default_configENS1_22reduce_config_selectorIiEEZNS1_11reduce_implILb1ES3_PiS7_iN6hipcub16HIPCUB_304000_NS6detail34convert_binary_result_type_wrapperINS9_3SumENS9_22TransformInputIteratorIbN2at6native12_GLOBAL__N_19NonZeroOpIfEEPKflEEiEEEE10hipError_tPvRmT1_T2_T3_mT4_P12ihipStream_tbEUlT_E1_NS1_11comp_targetILNS1_3genE9ELNS1_11target_archE1100ELNS1_3gpuE3ELNS1_3repE0EEENS1_30default_config_static_selectorELNS0_4arch9wavefront6targetE0EEEvSQ_.has_recursion, 0
	.set _ZN7rocprim17ROCPRIM_400000_NS6detail17trampoline_kernelINS0_14default_configENS1_22reduce_config_selectorIiEEZNS1_11reduce_implILb1ES3_PiS7_iN6hipcub16HIPCUB_304000_NS6detail34convert_binary_result_type_wrapperINS9_3SumENS9_22TransformInputIteratorIbN2at6native12_GLOBAL__N_19NonZeroOpIfEEPKflEEiEEEE10hipError_tPvRmT1_T2_T3_mT4_P12ihipStream_tbEUlT_E1_NS1_11comp_targetILNS1_3genE9ELNS1_11target_archE1100ELNS1_3gpuE3ELNS1_3repE0EEENS1_30default_config_static_selectorELNS0_4arch9wavefront6targetE0EEEvSQ_.has_indirect_call, 0
	.section	.AMDGPU.csdata,"",@progbits
; Kernel info:
; codeLenInByte = 0
; TotalNumSgprs: 0
; NumVgprs: 0
; ScratchSize: 0
; MemoryBound: 0
; FloatMode: 240
; IeeeMode: 1
; LDSByteSize: 0 bytes/workgroup (compile time only)
; SGPRBlocks: 0
; VGPRBlocks: 0
; NumSGPRsForWavesPerEU: 1
; NumVGPRsForWavesPerEU: 1
; Occupancy: 16
; WaveLimiterHint : 0
; COMPUTE_PGM_RSRC2:SCRATCH_EN: 0
; COMPUTE_PGM_RSRC2:USER_SGPR: 2
; COMPUTE_PGM_RSRC2:TRAP_HANDLER: 0
; COMPUTE_PGM_RSRC2:TGID_X_EN: 1
; COMPUTE_PGM_RSRC2:TGID_Y_EN: 0
; COMPUTE_PGM_RSRC2:TGID_Z_EN: 0
; COMPUTE_PGM_RSRC2:TIDIG_COMP_CNT: 0
	.section	.text._ZN7rocprim17ROCPRIM_400000_NS6detail17trampoline_kernelINS0_14default_configENS1_22reduce_config_selectorIiEEZNS1_11reduce_implILb1ES3_PiS7_iN6hipcub16HIPCUB_304000_NS6detail34convert_binary_result_type_wrapperINS9_3SumENS9_22TransformInputIteratorIbN2at6native12_GLOBAL__N_19NonZeroOpIfEEPKflEEiEEEE10hipError_tPvRmT1_T2_T3_mT4_P12ihipStream_tbEUlT_E1_NS1_11comp_targetILNS1_3genE8ELNS1_11target_archE1030ELNS1_3gpuE2ELNS1_3repE0EEENS1_30default_config_static_selectorELNS0_4arch9wavefront6targetE0EEEvSQ_,"axG",@progbits,_ZN7rocprim17ROCPRIM_400000_NS6detail17trampoline_kernelINS0_14default_configENS1_22reduce_config_selectorIiEEZNS1_11reduce_implILb1ES3_PiS7_iN6hipcub16HIPCUB_304000_NS6detail34convert_binary_result_type_wrapperINS9_3SumENS9_22TransformInputIteratorIbN2at6native12_GLOBAL__N_19NonZeroOpIfEEPKflEEiEEEE10hipError_tPvRmT1_T2_T3_mT4_P12ihipStream_tbEUlT_E1_NS1_11comp_targetILNS1_3genE8ELNS1_11target_archE1030ELNS1_3gpuE2ELNS1_3repE0EEENS1_30default_config_static_selectorELNS0_4arch9wavefront6targetE0EEEvSQ_,comdat
	.globl	_ZN7rocprim17ROCPRIM_400000_NS6detail17trampoline_kernelINS0_14default_configENS1_22reduce_config_selectorIiEEZNS1_11reduce_implILb1ES3_PiS7_iN6hipcub16HIPCUB_304000_NS6detail34convert_binary_result_type_wrapperINS9_3SumENS9_22TransformInputIteratorIbN2at6native12_GLOBAL__N_19NonZeroOpIfEEPKflEEiEEEE10hipError_tPvRmT1_T2_T3_mT4_P12ihipStream_tbEUlT_E1_NS1_11comp_targetILNS1_3genE8ELNS1_11target_archE1030ELNS1_3gpuE2ELNS1_3repE0EEENS1_30default_config_static_selectorELNS0_4arch9wavefront6targetE0EEEvSQ_ ; -- Begin function _ZN7rocprim17ROCPRIM_400000_NS6detail17trampoline_kernelINS0_14default_configENS1_22reduce_config_selectorIiEEZNS1_11reduce_implILb1ES3_PiS7_iN6hipcub16HIPCUB_304000_NS6detail34convert_binary_result_type_wrapperINS9_3SumENS9_22TransformInputIteratorIbN2at6native12_GLOBAL__N_19NonZeroOpIfEEPKflEEiEEEE10hipError_tPvRmT1_T2_T3_mT4_P12ihipStream_tbEUlT_E1_NS1_11comp_targetILNS1_3genE8ELNS1_11target_archE1030ELNS1_3gpuE2ELNS1_3repE0EEENS1_30default_config_static_selectorELNS0_4arch9wavefront6targetE0EEEvSQ_
	.p2align	8
	.type	_ZN7rocprim17ROCPRIM_400000_NS6detail17trampoline_kernelINS0_14default_configENS1_22reduce_config_selectorIiEEZNS1_11reduce_implILb1ES3_PiS7_iN6hipcub16HIPCUB_304000_NS6detail34convert_binary_result_type_wrapperINS9_3SumENS9_22TransformInputIteratorIbN2at6native12_GLOBAL__N_19NonZeroOpIfEEPKflEEiEEEE10hipError_tPvRmT1_T2_T3_mT4_P12ihipStream_tbEUlT_E1_NS1_11comp_targetILNS1_3genE8ELNS1_11target_archE1030ELNS1_3gpuE2ELNS1_3repE0EEENS1_30default_config_static_selectorELNS0_4arch9wavefront6targetE0EEEvSQ_,@function
_ZN7rocprim17ROCPRIM_400000_NS6detail17trampoline_kernelINS0_14default_configENS1_22reduce_config_selectorIiEEZNS1_11reduce_implILb1ES3_PiS7_iN6hipcub16HIPCUB_304000_NS6detail34convert_binary_result_type_wrapperINS9_3SumENS9_22TransformInputIteratorIbN2at6native12_GLOBAL__N_19NonZeroOpIfEEPKflEEiEEEE10hipError_tPvRmT1_T2_T3_mT4_P12ihipStream_tbEUlT_E1_NS1_11comp_targetILNS1_3genE8ELNS1_11target_archE1030ELNS1_3gpuE2ELNS1_3repE0EEENS1_30default_config_static_selectorELNS0_4arch9wavefront6targetE0EEEvSQ_: ; @_ZN7rocprim17ROCPRIM_400000_NS6detail17trampoline_kernelINS0_14default_configENS1_22reduce_config_selectorIiEEZNS1_11reduce_implILb1ES3_PiS7_iN6hipcub16HIPCUB_304000_NS6detail34convert_binary_result_type_wrapperINS9_3SumENS9_22TransformInputIteratorIbN2at6native12_GLOBAL__N_19NonZeroOpIfEEPKflEEiEEEE10hipError_tPvRmT1_T2_T3_mT4_P12ihipStream_tbEUlT_E1_NS1_11comp_targetILNS1_3genE8ELNS1_11target_archE1030ELNS1_3gpuE2ELNS1_3repE0EEENS1_30default_config_static_selectorELNS0_4arch9wavefront6targetE0EEEvSQ_
; %bb.0:
	.section	.rodata,"a",@progbits
	.p2align	6, 0x0
	.amdhsa_kernel _ZN7rocprim17ROCPRIM_400000_NS6detail17trampoline_kernelINS0_14default_configENS1_22reduce_config_selectorIiEEZNS1_11reduce_implILb1ES3_PiS7_iN6hipcub16HIPCUB_304000_NS6detail34convert_binary_result_type_wrapperINS9_3SumENS9_22TransformInputIteratorIbN2at6native12_GLOBAL__N_19NonZeroOpIfEEPKflEEiEEEE10hipError_tPvRmT1_T2_T3_mT4_P12ihipStream_tbEUlT_E1_NS1_11comp_targetILNS1_3genE8ELNS1_11target_archE1030ELNS1_3gpuE2ELNS1_3repE0EEENS1_30default_config_static_selectorELNS0_4arch9wavefront6targetE0EEEvSQ_
		.amdhsa_group_segment_fixed_size 0
		.amdhsa_private_segment_fixed_size 0
		.amdhsa_kernarg_size 40
		.amdhsa_user_sgpr_count 2
		.amdhsa_user_sgpr_dispatch_ptr 0
		.amdhsa_user_sgpr_queue_ptr 0
		.amdhsa_user_sgpr_kernarg_segment_ptr 1
		.amdhsa_user_sgpr_dispatch_id 0
		.amdhsa_user_sgpr_private_segment_size 0
		.amdhsa_wavefront_size32 1
		.amdhsa_uses_dynamic_stack 0
		.amdhsa_enable_private_segment 0
		.amdhsa_system_sgpr_workgroup_id_x 1
		.amdhsa_system_sgpr_workgroup_id_y 0
		.amdhsa_system_sgpr_workgroup_id_z 0
		.amdhsa_system_sgpr_workgroup_info 0
		.amdhsa_system_vgpr_workitem_id 0
		.amdhsa_next_free_vgpr 1
		.amdhsa_next_free_sgpr 1
		.amdhsa_reserve_vcc 0
		.amdhsa_float_round_mode_32 0
		.amdhsa_float_round_mode_16_64 0
		.amdhsa_float_denorm_mode_32 3
		.amdhsa_float_denorm_mode_16_64 3
		.amdhsa_fp16_overflow 0
		.amdhsa_workgroup_processor_mode 1
		.amdhsa_memory_ordered 1
		.amdhsa_forward_progress 1
		.amdhsa_inst_pref_size 0
		.amdhsa_round_robin_scheduling 0
		.amdhsa_exception_fp_ieee_invalid_op 0
		.amdhsa_exception_fp_denorm_src 0
		.amdhsa_exception_fp_ieee_div_zero 0
		.amdhsa_exception_fp_ieee_overflow 0
		.amdhsa_exception_fp_ieee_underflow 0
		.amdhsa_exception_fp_ieee_inexact 0
		.amdhsa_exception_int_div_zero 0
	.end_amdhsa_kernel
	.section	.text._ZN7rocprim17ROCPRIM_400000_NS6detail17trampoline_kernelINS0_14default_configENS1_22reduce_config_selectorIiEEZNS1_11reduce_implILb1ES3_PiS7_iN6hipcub16HIPCUB_304000_NS6detail34convert_binary_result_type_wrapperINS9_3SumENS9_22TransformInputIteratorIbN2at6native12_GLOBAL__N_19NonZeroOpIfEEPKflEEiEEEE10hipError_tPvRmT1_T2_T3_mT4_P12ihipStream_tbEUlT_E1_NS1_11comp_targetILNS1_3genE8ELNS1_11target_archE1030ELNS1_3gpuE2ELNS1_3repE0EEENS1_30default_config_static_selectorELNS0_4arch9wavefront6targetE0EEEvSQ_,"axG",@progbits,_ZN7rocprim17ROCPRIM_400000_NS6detail17trampoline_kernelINS0_14default_configENS1_22reduce_config_selectorIiEEZNS1_11reduce_implILb1ES3_PiS7_iN6hipcub16HIPCUB_304000_NS6detail34convert_binary_result_type_wrapperINS9_3SumENS9_22TransformInputIteratorIbN2at6native12_GLOBAL__N_19NonZeroOpIfEEPKflEEiEEEE10hipError_tPvRmT1_T2_T3_mT4_P12ihipStream_tbEUlT_E1_NS1_11comp_targetILNS1_3genE8ELNS1_11target_archE1030ELNS1_3gpuE2ELNS1_3repE0EEENS1_30default_config_static_selectorELNS0_4arch9wavefront6targetE0EEEvSQ_,comdat
.Lfunc_end439:
	.size	_ZN7rocprim17ROCPRIM_400000_NS6detail17trampoline_kernelINS0_14default_configENS1_22reduce_config_selectorIiEEZNS1_11reduce_implILb1ES3_PiS7_iN6hipcub16HIPCUB_304000_NS6detail34convert_binary_result_type_wrapperINS9_3SumENS9_22TransformInputIteratorIbN2at6native12_GLOBAL__N_19NonZeroOpIfEEPKflEEiEEEE10hipError_tPvRmT1_T2_T3_mT4_P12ihipStream_tbEUlT_E1_NS1_11comp_targetILNS1_3genE8ELNS1_11target_archE1030ELNS1_3gpuE2ELNS1_3repE0EEENS1_30default_config_static_selectorELNS0_4arch9wavefront6targetE0EEEvSQ_, .Lfunc_end439-_ZN7rocprim17ROCPRIM_400000_NS6detail17trampoline_kernelINS0_14default_configENS1_22reduce_config_selectorIiEEZNS1_11reduce_implILb1ES3_PiS7_iN6hipcub16HIPCUB_304000_NS6detail34convert_binary_result_type_wrapperINS9_3SumENS9_22TransformInputIteratorIbN2at6native12_GLOBAL__N_19NonZeroOpIfEEPKflEEiEEEE10hipError_tPvRmT1_T2_T3_mT4_P12ihipStream_tbEUlT_E1_NS1_11comp_targetILNS1_3genE8ELNS1_11target_archE1030ELNS1_3gpuE2ELNS1_3repE0EEENS1_30default_config_static_selectorELNS0_4arch9wavefront6targetE0EEEvSQ_
                                        ; -- End function
	.set _ZN7rocprim17ROCPRIM_400000_NS6detail17trampoline_kernelINS0_14default_configENS1_22reduce_config_selectorIiEEZNS1_11reduce_implILb1ES3_PiS7_iN6hipcub16HIPCUB_304000_NS6detail34convert_binary_result_type_wrapperINS9_3SumENS9_22TransformInputIteratorIbN2at6native12_GLOBAL__N_19NonZeroOpIfEEPKflEEiEEEE10hipError_tPvRmT1_T2_T3_mT4_P12ihipStream_tbEUlT_E1_NS1_11comp_targetILNS1_3genE8ELNS1_11target_archE1030ELNS1_3gpuE2ELNS1_3repE0EEENS1_30default_config_static_selectorELNS0_4arch9wavefront6targetE0EEEvSQ_.num_vgpr, 0
	.set _ZN7rocprim17ROCPRIM_400000_NS6detail17trampoline_kernelINS0_14default_configENS1_22reduce_config_selectorIiEEZNS1_11reduce_implILb1ES3_PiS7_iN6hipcub16HIPCUB_304000_NS6detail34convert_binary_result_type_wrapperINS9_3SumENS9_22TransformInputIteratorIbN2at6native12_GLOBAL__N_19NonZeroOpIfEEPKflEEiEEEE10hipError_tPvRmT1_T2_T3_mT4_P12ihipStream_tbEUlT_E1_NS1_11comp_targetILNS1_3genE8ELNS1_11target_archE1030ELNS1_3gpuE2ELNS1_3repE0EEENS1_30default_config_static_selectorELNS0_4arch9wavefront6targetE0EEEvSQ_.num_agpr, 0
	.set _ZN7rocprim17ROCPRIM_400000_NS6detail17trampoline_kernelINS0_14default_configENS1_22reduce_config_selectorIiEEZNS1_11reduce_implILb1ES3_PiS7_iN6hipcub16HIPCUB_304000_NS6detail34convert_binary_result_type_wrapperINS9_3SumENS9_22TransformInputIteratorIbN2at6native12_GLOBAL__N_19NonZeroOpIfEEPKflEEiEEEE10hipError_tPvRmT1_T2_T3_mT4_P12ihipStream_tbEUlT_E1_NS1_11comp_targetILNS1_3genE8ELNS1_11target_archE1030ELNS1_3gpuE2ELNS1_3repE0EEENS1_30default_config_static_selectorELNS0_4arch9wavefront6targetE0EEEvSQ_.numbered_sgpr, 0
	.set _ZN7rocprim17ROCPRIM_400000_NS6detail17trampoline_kernelINS0_14default_configENS1_22reduce_config_selectorIiEEZNS1_11reduce_implILb1ES3_PiS7_iN6hipcub16HIPCUB_304000_NS6detail34convert_binary_result_type_wrapperINS9_3SumENS9_22TransformInputIteratorIbN2at6native12_GLOBAL__N_19NonZeroOpIfEEPKflEEiEEEE10hipError_tPvRmT1_T2_T3_mT4_P12ihipStream_tbEUlT_E1_NS1_11comp_targetILNS1_3genE8ELNS1_11target_archE1030ELNS1_3gpuE2ELNS1_3repE0EEENS1_30default_config_static_selectorELNS0_4arch9wavefront6targetE0EEEvSQ_.num_named_barrier, 0
	.set _ZN7rocprim17ROCPRIM_400000_NS6detail17trampoline_kernelINS0_14default_configENS1_22reduce_config_selectorIiEEZNS1_11reduce_implILb1ES3_PiS7_iN6hipcub16HIPCUB_304000_NS6detail34convert_binary_result_type_wrapperINS9_3SumENS9_22TransformInputIteratorIbN2at6native12_GLOBAL__N_19NonZeroOpIfEEPKflEEiEEEE10hipError_tPvRmT1_T2_T3_mT4_P12ihipStream_tbEUlT_E1_NS1_11comp_targetILNS1_3genE8ELNS1_11target_archE1030ELNS1_3gpuE2ELNS1_3repE0EEENS1_30default_config_static_selectorELNS0_4arch9wavefront6targetE0EEEvSQ_.private_seg_size, 0
	.set _ZN7rocprim17ROCPRIM_400000_NS6detail17trampoline_kernelINS0_14default_configENS1_22reduce_config_selectorIiEEZNS1_11reduce_implILb1ES3_PiS7_iN6hipcub16HIPCUB_304000_NS6detail34convert_binary_result_type_wrapperINS9_3SumENS9_22TransformInputIteratorIbN2at6native12_GLOBAL__N_19NonZeroOpIfEEPKflEEiEEEE10hipError_tPvRmT1_T2_T3_mT4_P12ihipStream_tbEUlT_E1_NS1_11comp_targetILNS1_3genE8ELNS1_11target_archE1030ELNS1_3gpuE2ELNS1_3repE0EEENS1_30default_config_static_selectorELNS0_4arch9wavefront6targetE0EEEvSQ_.uses_vcc, 0
	.set _ZN7rocprim17ROCPRIM_400000_NS6detail17trampoline_kernelINS0_14default_configENS1_22reduce_config_selectorIiEEZNS1_11reduce_implILb1ES3_PiS7_iN6hipcub16HIPCUB_304000_NS6detail34convert_binary_result_type_wrapperINS9_3SumENS9_22TransformInputIteratorIbN2at6native12_GLOBAL__N_19NonZeroOpIfEEPKflEEiEEEE10hipError_tPvRmT1_T2_T3_mT4_P12ihipStream_tbEUlT_E1_NS1_11comp_targetILNS1_3genE8ELNS1_11target_archE1030ELNS1_3gpuE2ELNS1_3repE0EEENS1_30default_config_static_selectorELNS0_4arch9wavefront6targetE0EEEvSQ_.uses_flat_scratch, 0
	.set _ZN7rocprim17ROCPRIM_400000_NS6detail17trampoline_kernelINS0_14default_configENS1_22reduce_config_selectorIiEEZNS1_11reduce_implILb1ES3_PiS7_iN6hipcub16HIPCUB_304000_NS6detail34convert_binary_result_type_wrapperINS9_3SumENS9_22TransformInputIteratorIbN2at6native12_GLOBAL__N_19NonZeroOpIfEEPKflEEiEEEE10hipError_tPvRmT1_T2_T3_mT4_P12ihipStream_tbEUlT_E1_NS1_11comp_targetILNS1_3genE8ELNS1_11target_archE1030ELNS1_3gpuE2ELNS1_3repE0EEENS1_30default_config_static_selectorELNS0_4arch9wavefront6targetE0EEEvSQ_.has_dyn_sized_stack, 0
	.set _ZN7rocprim17ROCPRIM_400000_NS6detail17trampoline_kernelINS0_14default_configENS1_22reduce_config_selectorIiEEZNS1_11reduce_implILb1ES3_PiS7_iN6hipcub16HIPCUB_304000_NS6detail34convert_binary_result_type_wrapperINS9_3SumENS9_22TransformInputIteratorIbN2at6native12_GLOBAL__N_19NonZeroOpIfEEPKflEEiEEEE10hipError_tPvRmT1_T2_T3_mT4_P12ihipStream_tbEUlT_E1_NS1_11comp_targetILNS1_3genE8ELNS1_11target_archE1030ELNS1_3gpuE2ELNS1_3repE0EEENS1_30default_config_static_selectorELNS0_4arch9wavefront6targetE0EEEvSQ_.has_recursion, 0
	.set _ZN7rocprim17ROCPRIM_400000_NS6detail17trampoline_kernelINS0_14default_configENS1_22reduce_config_selectorIiEEZNS1_11reduce_implILb1ES3_PiS7_iN6hipcub16HIPCUB_304000_NS6detail34convert_binary_result_type_wrapperINS9_3SumENS9_22TransformInputIteratorIbN2at6native12_GLOBAL__N_19NonZeroOpIfEEPKflEEiEEEE10hipError_tPvRmT1_T2_T3_mT4_P12ihipStream_tbEUlT_E1_NS1_11comp_targetILNS1_3genE8ELNS1_11target_archE1030ELNS1_3gpuE2ELNS1_3repE0EEENS1_30default_config_static_selectorELNS0_4arch9wavefront6targetE0EEEvSQ_.has_indirect_call, 0
	.section	.AMDGPU.csdata,"",@progbits
; Kernel info:
; codeLenInByte = 0
; TotalNumSgprs: 0
; NumVgprs: 0
; ScratchSize: 0
; MemoryBound: 0
; FloatMode: 240
; IeeeMode: 1
; LDSByteSize: 0 bytes/workgroup (compile time only)
; SGPRBlocks: 0
; VGPRBlocks: 0
; NumSGPRsForWavesPerEU: 1
; NumVGPRsForWavesPerEU: 1
; Occupancy: 16
; WaveLimiterHint : 0
; COMPUTE_PGM_RSRC2:SCRATCH_EN: 0
; COMPUTE_PGM_RSRC2:USER_SGPR: 2
; COMPUTE_PGM_RSRC2:TRAP_HANDLER: 0
; COMPUTE_PGM_RSRC2:TGID_X_EN: 1
; COMPUTE_PGM_RSRC2:TGID_Y_EN: 0
; COMPUTE_PGM_RSRC2:TGID_Z_EN: 0
; COMPUTE_PGM_RSRC2:TIDIG_COMP_CNT: 0
	.section	.text._ZN7rocprim17ROCPRIM_400000_NS6detail17trampoline_kernelINS0_14default_configENS1_22reduce_config_selectorIbEEZNS1_11reduce_implILb1ES3_N6hipcub16HIPCUB_304000_NS22TransformInputIteratorIbN2at6native12_GLOBAL__N_19NonZeroOpIfEEPKflEEPiiNS8_6detail34convert_binary_result_type_wrapperINS8_3SumESH_iEEEE10hipError_tPvRmT1_T2_T3_mT4_P12ihipStream_tbEUlT_E0_NS1_11comp_targetILNS1_3genE0ELNS1_11target_archE4294967295ELNS1_3gpuE0ELNS1_3repE0EEENS1_30default_config_static_selectorELNS0_4arch9wavefront6targetE0EEEvSQ_,"axG",@progbits,_ZN7rocprim17ROCPRIM_400000_NS6detail17trampoline_kernelINS0_14default_configENS1_22reduce_config_selectorIbEEZNS1_11reduce_implILb1ES3_N6hipcub16HIPCUB_304000_NS22TransformInputIteratorIbN2at6native12_GLOBAL__N_19NonZeroOpIfEEPKflEEPiiNS8_6detail34convert_binary_result_type_wrapperINS8_3SumESH_iEEEE10hipError_tPvRmT1_T2_T3_mT4_P12ihipStream_tbEUlT_E0_NS1_11comp_targetILNS1_3genE0ELNS1_11target_archE4294967295ELNS1_3gpuE0ELNS1_3repE0EEENS1_30default_config_static_selectorELNS0_4arch9wavefront6targetE0EEEvSQ_,comdat
	.globl	_ZN7rocprim17ROCPRIM_400000_NS6detail17trampoline_kernelINS0_14default_configENS1_22reduce_config_selectorIbEEZNS1_11reduce_implILb1ES3_N6hipcub16HIPCUB_304000_NS22TransformInputIteratorIbN2at6native12_GLOBAL__N_19NonZeroOpIfEEPKflEEPiiNS8_6detail34convert_binary_result_type_wrapperINS8_3SumESH_iEEEE10hipError_tPvRmT1_T2_T3_mT4_P12ihipStream_tbEUlT_E0_NS1_11comp_targetILNS1_3genE0ELNS1_11target_archE4294967295ELNS1_3gpuE0ELNS1_3repE0EEENS1_30default_config_static_selectorELNS0_4arch9wavefront6targetE0EEEvSQ_ ; -- Begin function _ZN7rocprim17ROCPRIM_400000_NS6detail17trampoline_kernelINS0_14default_configENS1_22reduce_config_selectorIbEEZNS1_11reduce_implILb1ES3_N6hipcub16HIPCUB_304000_NS22TransformInputIteratorIbN2at6native12_GLOBAL__N_19NonZeroOpIfEEPKflEEPiiNS8_6detail34convert_binary_result_type_wrapperINS8_3SumESH_iEEEE10hipError_tPvRmT1_T2_T3_mT4_P12ihipStream_tbEUlT_E0_NS1_11comp_targetILNS1_3genE0ELNS1_11target_archE4294967295ELNS1_3gpuE0ELNS1_3repE0EEENS1_30default_config_static_selectorELNS0_4arch9wavefront6targetE0EEEvSQ_
	.p2align	8
	.type	_ZN7rocprim17ROCPRIM_400000_NS6detail17trampoline_kernelINS0_14default_configENS1_22reduce_config_selectorIbEEZNS1_11reduce_implILb1ES3_N6hipcub16HIPCUB_304000_NS22TransformInputIteratorIbN2at6native12_GLOBAL__N_19NonZeroOpIfEEPKflEEPiiNS8_6detail34convert_binary_result_type_wrapperINS8_3SumESH_iEEEE10hipError_tPvRmT1_T2_T3_mT4_P12ihipStream_tbEUlT_E0_NS1_11comp_targetILNS1_3genE0ELNS1_11target_archE4294967295ELNS1_3gpuE0ELNS1_3repE0EEENS1_30default_config_static_selectorELNS0_4arch9wavefront6targetE0EEEvSQ_,@function
_ZN7rocprim17ROCPRIM_400000_NS6detail17trampoline_kernelINS0_14default_configENS1_22reduce_config_selectorIbEEZNS1_11reduce_implILb1ES3_N6hipcub16HIPCUB_304000_NS22TransformInputIteratorIbN2at6native12_GLOBAL__N_19NonZeroOpIfEEPKflEEPiiNS8_6detail34convert_binary_result_type_wrapperINS8_3SumESH_iEEEE10hipError_tPvRmT1_T2_T3_mT4_P12ihipStream_tbEUlT_E0_NS1_11comp_targetILNS1_3genE0ELNS1_11target_archE4294967295ELNS1_3gpuE0ELNS1_3repE0EEENS1_30default_config_static_selectorELNS0_4arch9wavefront6targetE0EEEvSQ_: ; @_ZN7rocprim17ROCPRIM_400000_NS6detail17trampoline_kernelINS0_14default_configENS1_22reduce_config_selectorIbEEZNS1_11reduce_implILb1ES3_N6hipcub16HIPCUB_304000_NS22TransformInputIteratorIbN2at6native12_GLOBAL__N_19NonZeroOpIfEEPKflEEPiiNS8_6detail34convert_binary_result_type_wrapperINS8_3SumESH_iEEEE10hipError_tPvRmT1_T2_T3_mT4_P12ihipStream_tbEUlT_E0_NS1_11comp_targetILNS1_3genE0ELNS1_11target_archE4294967295ELNS1_3gpuE0ELNS1_3repE0EEENS1_30default_config_static_selectorELNS0_4arch9wavefront6targetE0EEEvSQ_
; %bb.0:
	.section	.rodata,"a",@progbits
	.p2align	6, 0x0
	.amdhsa_kernel _ZN7rocprim17ROCPRIM_400000_NS6detail17trampoline_kernelINS0_14default_configENS1_22reduce_config_selectorIbEEZNS1_11reduce_implILb1ES3_N6hipcub16HIPCUB_304000_NS22TransformInputIteratorIbN2at6native12_GLOBAL__N_19NonZeroOpIfEEPKflEEPiiNS8_6detail34convert_binary_result_type_wrapperINS8_3SumESH_iEEEE10hipError_tPvRmT1_T2_T3_mT4_P12ihipStream_tbEUlT_E0_NS1_11comp_targetILNS1_3genE0ELNS1_11target_archE4294967295ELNS1_3gpuE0ELNS1_3repE0EEENS1_30default_config_static_selectorELNS0_4arch9wavefront6targetE0EEEvSQ_
		.amdhsa_group_segment_fixed_size 0
		.amdhsa_private_segment_fixed_size 0
		.amdhsa_kernarg_size 64
		.amdhsa_user_sgpr_count 2
		.amdhsa_user_sgpr_dispatch_ptr 0
		.amdhsa_user_sgpr_queue_ptr 0
		.amdhsa_user_sgpr_kernarg_segment_ptr 1
		.amdhsa_user_sgpr_dispatch_id 0
		.amdhsa_user_sgpr_private_segment_size 0
		.amdhsa_wavefront_size32 1
		.amdhsa_uses_dynamic_stack 0
		.amdhsa_enable_private_segment 0
		.amdhsa_system_sgpr_workgroup_id_x 1
		.amdhsa_system_sgpr_workgroup_id_y 0
		.amdhsa_system_sgpr_workgroup_id_z 0
		.amdhsa_system_sgpr_workgroup_info 0
		.amdhsa_system_vgpr_workitem_id 0
		.amdhsa_next_free_vgpr 1
		.amdhsa_next_free_sgpr 1
		.amdhsa_reserve_vcc 0
		.amdhsa_float_round_mode_32 0
		.amdhsa_float_round_mode_16_64 0
		.amdhsa_float_denorm_mode_32 3
		.amdhsa_float_denorm_mode_16_64 3
		.amdhsa_fp16_overflow 0
		.amdhsa_workgroup_processor_mode 1
		.amdhsa_memory_ordered 1
		.amdhsa_forward_progress 1
		.amdhsa_inst_pref_size 0
		.amdhsa_round_robin_scheduling 0
		.amdhsa_exception_fp_ieee_invalid_op 0
		.amdhsa_exception_fp_denorm_src 0
		.amdhsa_exception_fp_ieee_div_zero 0
		.amdhsa_exception_fp_ieee_overflow 0
		.amdhsa_exception_fp_ieee_underflow 0
		.amdhsa_exception_fp_ieee_inexact 0
		.amdhsa_exception_int_div_zero 0
	.end_amdhsa_kernel
	.section	.text._ZN7rocprim17ROCPRIM_400000_NS6detail17trampoline_kernelINS0_14default_configENS1_22reduce_config_selectorIbEEZNS1_11reduce_implILb1ES3_N6hipcub16HIPCUB_304000_NS22TransformInputIteratorIbN2at6native12_GLOBAL__N_19NonZeroOpIfEEPKflEEPiiNS8_6detail34convert_binary_result_type_wrapperINS8_3SumESH_iEEEE10hipError_tPvRmT1_T2_T3_mT4_P12ihipStream_tbEUlT_E0_NS1_11comp_targetILNS1_3genE0ELNS1_11target_archE4294967295ELNS1_3gpuE0ELNS1_3repE0EEENS1_30default_config_static_selectorELNS0_4arch9wavefront6targetE0EEEvSQ_,"axG",@progbits,_ZN7rocprim17ROCPRIM_400000_NS6detail17trampoline_kernelINS0_14default_configENS1_22reduce_config_selectorIbEEZNS1_11reduce_implILb1ES3_N6hipcub16HIPCUB_304000_NS22TransformInputIteratorIbN2at6native12_GLOBAL__N_19NonZeroOpIfEEPKflEEPiiNS8_6detail34convert_binary_result_type_wrapperINS8_3SumESH_iEEEE10hipError_tPvRmT1_T2_T3_mT4_P12ihipStream_tbEUlT_E0_NS1_11comp_targetILNS1_3genE0ELNS1_11target_archE4294967295ELNS1_3gpuE0ELNS1_3repE0EEENS1_30default_config_static_selectorELNS0_4arch9wavefront6targetE0EEEvSQ_,comdat
.Lfunc_end440:
	.size	_ZN7rocprim17ROCPRIM_400000_NS6detail17trampoline_kernelINS0_14default_configENS1_22reduce_config_selectorIbEEZNS1_11reduce_implILb1ES3_N6hipcub16HIPCUB_304000_NS22TransformInputIteratorIbN2at6native12_GLOBAL__N_19NonZeroOpIfEEPKflEEPiiNS8_6detail34convert_binary_result_type_wrapperINS8_3SumESH_iEEEE10hipError_tPvRmT1_T2_T3_mT4_P12ihipStream_tbEUlT_E0_NS1_11comp_targetILNS1_3genE0ELNS1_11target_archE4294967295ELNS1_3gpuE0ELNS1_3repE0EEENS1_30default_config_static_selectorELNS0_4arch9wavefront6targetE0EEEvSQ_, .Lfunc_end440-_ZN7rocprim17ROCPRIM_400000_NS6detail17trampoline_kernelINS0_14default_configENS1_22reduce_config_selectorIbEEZNS1_11reduce_implILb1ES3_N6hipcub16HIPCUB_304000_NS22TransformInputIteratorIbN2at6native12_GLOBAL__N_19NonZeroOpIfEEPKflEEPiiNS8_6detail34convert_binary_result_type_wrapperINS8_3SumESH_iEEEE10hipError_tPvRmT1_T2_T3_mT4_P12ihipStream_tbEUlT_E0_NS1_11comp_targetILNS1_3genE0ELNS1_11target_archE4294967295ELNS1_3gpuE0ELNS1_3repE0EEENS1_30default_config_static_selectorELNS0_4arch9wavefront6targetE0EEEvSQ_
                                        ; -- End function
	.set _ZN7rocprim17ROCPRIM_400000_NS6detail17trampoline_kernelINS0_14default_configENS1_22reduce_config_selectorIbEEZNS1_11reduce_implILb1ES3_N6hipcub16HIPCUB_304000_NS22TransformInputIteratorIbN2at6native12_GLOBAL__N_19NonZeroOpIfEEPKflEEPiiNS8_6detail34convert_binary_result_type_wrapperINS8_3SumESH_iEEEE10hipError_tPvRmT1_T2_T3_mT4_P12ihipStream_tbEUlT_E0_NS1_11comp_targetILNS1_3genE0ELNS1_11target_archE4294967295ELNS1_3gpuE0ELNS1_3repE0EEENS1_30default_config_static_selectorELNS0_4arch9wavefront6targetE0EEEvSQ_.num_vgpr, 0
	.set _ZN7rocprim17ROCPRIM_400000_NS6detail17trampoline_kernelINS0_14default_configENS1_22reduce_config_selectorIbEEZNS1_11reduce_implILb1ES3_N6hipcub16HIPCUB_304000_NS22TransformInputIteratorIbN2at6native12_GLOBAL__N_19NonZeroOpIfEEPKflEEPiiNS8_6detail34convert_binary_result_type_wrapperINS8_3SumESH_iEEEE10hipError_tPvRmT1_T2_T3_mT4_P12ihipStream_tbEUlT_E0_NS1_11comp_targetILNS1_3genE0ELNS1_11target_archE4294967295ELNS1_3gpuE0ELNS1_3repE0EEENS1_30default_config_static_selectorELNS0_4arch9wavefront6targetE0EEEvSQ_.num_agpr, 0
	.set _ZN7rocprim17ROCPRIM_400000_NS6detail17trampoline_kernelINS0_14default_configENS1_22reduce_config_selectorIbEEZNS1_11reduce_implILb1ES3_N6hipcub16HIPCUB_304000_NS22TransformInputIteratorIbN2at6native12_GLOBAL__N_19NonZeroOpIfEEPKflEEPiiNS8_6detail34convert_binary_result_type_wrapperINS8_3SumESH_iEEEE10hipError_tPvRmT1_T2_T3_mT4_P12ihipStream_tbEUlT_E0_NS1_11comp_targetILNS1_3genE0ELNS1_11target_archE4294967295ELNS1_3gpuE0ELNS1_3repE0EEENS1_30default_config_static_selectorELNS0_4arch9wavefront6targetE0EEEvSQ_.numbered_sgpr, 0
	.set _ZN7rocprim17ROCPRIM_400000_NS6detail17trampoline_kernelINS0_14default_configENS1_22reduce_config_selectorIbEEZNS1_11reduce_implILb1ES3_N6hipcub16HIPCUB_304000_NS22TransformInputIteratorIbN2at6native12_GLOBAL__N_19NonZeroOpIfEEPKflEEPiiNS8_6detail34convert_binary_result_type_wrapperINS8_3SumESH_iEEEE10hipError_tPvRmT1_T2_T3_mT4_P12ihipStream_tbEUlT_E0_NS1_11comp_targetILNS1_3genE0ELNS1_11target_archE4294967295ELNS1_3gpuE0ELNS1_3repE0EEENS1_30default_config_static_selectorELNS0_4arch9wavefront6targetE0EEEvSQ_.num_named_barrier, 0
	.set _ZN7rocprim17ROCPRIM_400000_NS6detail17trampoline_kernelINS0_14default_configENS1_22reduce_config_selectorIbEEZNS1_11reduce_implILb1ES3_N6hipcub16HIPCUB_304000_NS22TransformInputIteratorIbN2at6native12_GLOBAL__N_19NonZeroOpIfEEPKflEEPiiNS8_6detail34convert_binary_result_type_wrapperINS8_3SumESH_iEEEE10hipError_tPvRmT1_T2_T3_mT4_P12ihipStream_tbEUlT_E0_NS1_11comp_targetILNS1_3genE0ELNS1_11target_archE4294967295ELNS1_3gpuE0ELNS1_3repE0EEENS1_30default_config_static_selectorELNS0_4arch9wavefront6targetE0EEEvSQ_.private_seg_size, 0
	.set _ZN7rocprim17ROCPRIM_400000_NS6detail17trampoline_kernelINS0_14default_configENS1_22reduce_config_selectorIbEEZNS1_11reduce_implILb1ES3_N6hipcub16HIPCUB_304000_NS22TransformInputIteratorIbN2at6native12_GLOBAL__N_19NonZeroOpIfEEPKflEEPiiNS8_6detail34convert_binary_result_type_wrapperINS8_3SumESH_iEEEE10hipError_tPvRmT1_T2_T3_mT4_P12ihipStream_tbEUlT_E0_NS1_11comp_targetILNS1_3genE0ELNS1_11target_archE4294967295ELNS1_3gpuE0ELNS1_3repE0EEENS1_30default_config_static_selectorELNS0_4arch9wavefront6targetE0EEEvSQ_.uses_vcc, 0
	.set _ZN7rocprim17ROCPRIM_400000_NS6detail17trampoline_kernelINS0_14default_configENS1_22reduce_config_selectorIbEEZNS1_11reduce_implILb1ES3_N6hipcub16HIPCUB_304000_NS22TransformInputIteratorIbN2at6native12_GLOBAL__N_19NonZeroOpIfEEPKflEEPiiNS8_6detail34convert_binary_result_type_wrapperINS8_3SumESH_iEEEE10hipError_tPvRmT1_T2_T3_mT4_P12ihipStream_tbEUlT_E0_NS1_11comp_targetILNS1_3genE0ELNS1_11target_archE4294967295ELNS1_3gpuE0ELNS1_3repE0EEENS1_30default_config_static_selectorELNS0_4arch9wavefront6targetE0EEEvSQ_.uses_flat_scratch, 0
	.set _ZN7rocprim17ROCPRIM_400000_NS6detail17trampoline_kernelINS0_14default_configENS1_22reduce_config_selectorIbEEZNS1_11reduce_implILb1ES3_N6hipcub16HIPCUB_304000_NS22TransformInputIteratorIbN2at6native12_GLOBAL__N_19NonZeroOpIfEEPKflEEPiiNS8_6detail34convert_binary_result_type_wrapperINS8_3SumESH_iEEEE10hipError_tPvRmT1_T2_T3_mT4_P12ihipStream_tbEUlT_E0_NS1_11comp_targetILNS1_3genE0ELNS1_11target_archE4294967295ELNS1_3gpuE0ELNS1_3repE0EEENS1_30default_config_static_selectorELNS0_4arch9wavefront6targetE0EEEvSQ_.has_dyn_sized_stack, 0
	.set _ZN7rocprim17ROCPRIM_400000_NS6detail17trampoline_kernelINS0_14default_configENS1_22reduce_config_selectorIbEEZNS1_11reduce_implILb1ES3_N6hipcub16HIPCUB_304000_NS22TransformInputIteratorIbN2at6native12_GLOBAL__N_19NonZeroOpIfEEPKflEEPiiNS8_6detail34convert_binary_result_type_wrapperINS8_3SumESH_iEEEE10hipError_tPvRmT1_T2_T3_mT4_P12ihipStream_tbEUlT_E0_NS1_11comp_targetILNS1_3genE0ELNS1_11target_archE4294967295ELNS1_3gpuE0ELNS1_3repE0EEENS1_30default_config_static_selectorELNS0_4arch9wavefront6targetE0EEEvSQ_.has_recursion, 0
	.set _ZN7rocprim17ROCPRIM_400000_NS6detail17trampoline_kernelINS0_14default_configENS1_22reduce_config_selectorIbEEZNS1_11reduce_implILb1ES3_N6hipcub16HIPCUB_304000_NS22TransformInputIteratorIbN2at6native12_GLOBAL__N_19NonZeroOpIfEEPKflEEPiiNS8_6detail34convert_binary_result_type_wrapperINS8_3SumESH_iEEEE10hipError_tPvRmT1_T2_T3_mT4_P12ihipStream_tbEUlT_E0_NS1_11comp_targetILNS1_3genE0ELNS1_11target_archE4294967295ELNS1_3gpuE0ELNS1_3repE0EEENS1_30default_config_static_selectorELNS0_4arch9wavefront6targetE0EEEvSQ_.has_indirect_call, 0
	.section	.AMDGPU.csdata,"",@progbits
; Kernel info:
; codeLenInByte = 0
; TotalNumSgprs: 0
; NumVgprs: 0
; ScratchSize: 0
; MemoryBound: 0
; FloatMode: 240
; IeeeMode: 1
; LDSByteSize: 0 bytes/workgroup (compile time only)
; SGPRBlocks: 0
; VGPRBlocks: 0
; NumSGPRsForWavesPerEU: 1
; NumVGPRsForWavesPerEU: 1
; Occupancy: 16
; WaveLimiterHint : 0
; COMPUTE_PGM_RSRC2:SCRATCH_EN: 0
; COMPUTE_PGM_RSRC2:USER_SGPR: 2
; COMPUTE_PGM_RSRC2:TRAP_HANDLER: 0
; COMPUTE_PGM_RSRC2:TGID_X_EN: 1
; COMPUTE_PGM_RSRC2:TGID_Y_EN: 0
; COMPUTE_PGM_RSRC2:TGID_Z_EN: 0
; COMPUTE_PGM_RSRC2:TIDIG_COMP_CNT: 0
	.section	.text._ZN7rocprim17ROCPRIM_400000_NS6detail17trampoline_kernelINS0_14default_configENS1_22reduce_config_selectorIbEEZNS1_11reduce_implILb1ES3_N6hipcub16HIPCUB_304000_NS22TransformInputIteratorIbN2at6native12_GLOBAL__N_19NonZeroOpIfEEPKflEEPiiNS8_6detail34convert_binary_result_type_wrapperINS8_3SumESH_iEEEE10hipError_tPvRmT1_T2_T3_mT4_P12ihipStream_tbEUlT_E0_NS1_11comp_targetILNS1_3genE5ELNS1_11target_archE942ELNS1_3gpuE9ELNS1_3repE0EEENS1_30default_config_static_selectorELNS0_4arch9wavefront6targetE0EEEvSQ_,"axG",@progbits,_ZN7rocprim17ROCPRIM_400000_NS6detail17trampoline_kernelINS0_14default_configENS1_22reduce_config_selectorIbEEZNS1_11reduce_implILb1ES3_N6hipcub16HIPCUB_304000_NS22TransformInputIteratorIbN2at6native12_GLOBAL__N_19NonZeroOpIfEEPKflEEPiiNS8_6detail34convert_binary_result_type_wrapperINS8_3SumESH_iEEEE10hipError_tPvRmT1_T2_T3_mT4_P12ihipStream_tbEUlT_E0_NS1_11comp_targetILNS1_3genE5ELNS1_11target_archE942ELNS1_3gpuE9ELNS1_3repE0EEENS1_30default_config_static_selectorELNS0_4arch9wavefront6targetE0EEEvSQ_,comdat
	.globl	_ZN7rocprim17ROCPRIM_400000_NS6detail17trampoline_kernelINS0_14default_configENS1_22reduce_config_selectorIbEEZNS1_11reduce_implILb1ES3_N6hipcub16HIPCUB_304000_NS22TransformInputIteratorIbN2at6native12_GLOBAL__N_19NonZeroOpIfEEPKflEEPiiNS8_6detail34convert_binary_result_type_wrapperINS8_3SumESH_iEEEE10hipError_tPvRmT1_T2_T3_mT4_P12ihipStream_tbEUlT_E0_NS1_11comp_targetILNS1_3genE5ELNS1_11target_archE942ELNS1_3gpuE9ELNS1_3repE0EEENS1_30default_config_static_selectorELNS0_4arch9wavefront6targetE0EEEvSQ_ ; -- Begin function _ZN7rocprim17ROCPRIM_400000_NS6detail17trampoline_kernelINS0_14default_configENS1_22reduce_config_selectorIbEEZNS1_11reduce_implILb1ES3_N6hipcub16HIPCUB_304000_NS22TransformInputIteratorIbN2at6native12_GLOBAL__N_19NonZeroOpIfEEPKflEEPiiNS8_6detail34convert_binary_result_type_wrapperINS8_3SumESH_iEEEE10hipError_tPvRmT1_T2_T3_mT4_P12ihipStream_tbEUlT_E0_NS1_11comp_targetILNS1_3genE5ELNS1_11target_archE942ELNS1_3gpuE9ELNS1_3repE0EEENS1_30default_config_static_selectorELNS0_4arch9wavefront6targetE0EEEvSQ_
	.p2align	8
	.type	_ZN7rocprim17ROCPRIM_400000_NS6detail17trampoline_kernelINS0_14default_configENS1_22reduce_config_selectorIbEEZNS1_11reduce_implILb1ES3_N6hipcub16HIPCUB_304000_NS22TransformInputIteratorIbN2at6native12_GLOBAL__N_19NonZeroOpIfEEPKflEEPiiNS8_6detail34convert_binary_result_type_wrapperINS8_3SumESH_iEEEE10hipError_tPvRmT1_T2_T3_mT4_P12ihipStream_tbEUlT_E0_NS1_11comp_targetILNS1_3genE5ELNS1_11target_archE942ELNS1_3gpuE9ELNS1_3repE0EEENS1_30default_config_static_selectorELNS0_4arch9wavefront6targetE0EEEvSQ_,@function
_ZN7rocprim17ROCPRIM_400000_NS6detail17trampoline_kernelINS0_14default_configENS1_22reduce_config_selectorIbEEZNS1_11reduce_implILb1ES3_N6hipcub16HIPCUB_304000_NS22TransformInputIteratorIbN2at6native12_GLOBAL__N_19NonZeroOpIfEEPKflEEPiiNS8_6detail34convert_binary_result_type_wrapperINS8_3SumESH_iEEEE10hipError_tPvRmT1_T2_T3_mT4_P12ihipStream_tbEUlT_E0_NS1_11comp_targetILNS1_3genE5ELNS1_11target_archE942ELNS1_3gpuE9ELNS1_3repE0EEENS1_30default_config_static_selectorELNS0_4arch9wavefront6targetE0EEEvSQ_: ; @_ZN7rocprim17ROCPRIM_400000_NS6detail17trampoline_kernelINS0_14default_configENS1_22reduce_config_selectorIbEEZNS1_11reduce_implILb1ES3_N6hipcub16HIPCUB_304000_NS22TransformInputIteratorIbN2at6native12_GLOBAL__N_19NonZeroOpIfEEPKflEEPiiNS8_6detail34convert_binary_result_type_wrapperINS8_3SumESH_iEEEE10hipError_tPvRmT1_T2_T3_mT4_P12ihipStream_tbEUlT_E0_NS1_11comp_targetILNS1_3genE5ELNS1_11target_archE942ELNS1_3gpuE9ELNS1_3repE0EEENS1_30default_config_static_selectorELNS0_4arch9wavefront6targetE0EEEvSQ_
; %bb.0:
	.section	.rodata,"a",@progbits
	.p2align	6, 0x0
	.amdhsa_kernel _ZN7rocprim17ROCPRIM_400000_NS6detail17trampoline_kernelINS0_14default_configENS1_22reduce_config_selectorIbEEZNS1_11reduce_implILb1ES3_N6hipcub16HIPCUB_304000_NS22TransformInputIteratorIbN2at6native12_GLOBAL__N_19NonZeroOpIfEEPKflEEPiiNS8_6detail34convert_binary_result_type_wrapperINS8_3SumESH_iEEEE10hipError_tPvRmT1_T2_T3_mT4_P12ihipStream_tbEUlT_E0_NS1_11comp_targetILNS1_3genE5ELNS1_11target_archE942ELNS1_3gpuE9ELNS1_3repE0EEENS1_30default_config_static_selectorELNS0_4arch9wavefront6targetE0EEEvSQ_
		.amdhsa_group_segment_fixed_size 0
		.amdhsa_private_segment_fixed_size 0
		.amdhsa_kernarg_size 64
		.amdhsa_user_sgpr_count 2
		.amdhsa_user_sgpr_dispatch_ptr 0
		.amdhsa_user_sgpr_queue_ptr 0
		.amdhsa_user_sgpr_kernarg_segment_ptr 1
		.amdhsa_user_sgpr_dispatch_id 0
		.amdhsa_user_sgpr_private_segment_size 0
		.amdhsa_wavefront_size32 1
		.amdhsa_uses_dynamic_stack 0
		.amdhsa_enable_private_segment 0
		.amdhsa_system_sgpr_workgroup_id_x 1
		.amdhsa_system_sgpr_workgroup_id_y 0
		.amdhsa_system_sgpr_workgroup_id_z 0
		.amdhsa_system_sgpr_workgroup_info 0
		.amdhsa_system_vgpr_workitem_id 0
		.amdhsa_next_free_vgpr 1
		.amdhsa_next_free_sgpr 1
		.amdhsa_reserve_vcc 0
		.amdhsa_float_round_mode_32 0
		.amdhsa_float_round_mode_16_64 0
		.amdhsa_float_denorm_mode_32 3
		.amdhsa_float_denorm_mode_16_64 3
		.amdhsa_fp16_overflow 0
		.amdhsa_workgroup_processor_mode 1
		.amdhsa_memory_ordered 1
		.amdhsa_forward_progress 1
		.amdhsa_inst_pref_size 0
		.amdhsa_round_robin_scheduling 0
		.amdhsa_exception_fp_ieee_invalid_op 0
		.amdhsa_exception_fp_denorm_src 0
		.amdhsa_exception_fp_ieee_div_zero 0
		.amdhsa_exception_fp_ieee_overflow 0
		.amdhsa_exception_fp_ieee_underflow 0
		.amdhsa_exception_fp_ieee_inexact 0
		.amdhsa_exception_int_div_zero 0
	.end_amdhsa_kernel
	.section	.text._ZN7rocprim17ROCPRIM_400000_NS6detail17trampoline_kernelINS0_14default_configENS1_22reduce_config_selectorIbEEZNS1_11reduce_implILb1ES3_N6hipcub16HIPCUB_304000_NS22TransformInputIteratorIbN2at6native12_GLOBAL__N_19NonZeroOpIfEEPKflEEPiiNS8_6detail34convert_binary_result_type_wrapperINS8_3SumESH_iEEEE10hipError_tPvRmT1_T2_T3_mT4_P12ihipStream_tbEUlT_E0_NS1_11comp_targetILNS1_3genE5ELNS1_11target_archE942ELNS1_3gpuE9ELNS1_3repE0EEENS1_30default_config_static_selectorELNS0_4arch9wavefront6targetE0EEEvSQ_,"axG",@progbits,_ZN7rocprim17ROCPRIM_400000_NS6detail17trampoline_kernelINS0_14default_configENS1_22reduce_config_selectorIbEEZNS1_11reduce_implILb1ES3_N6hipcub16HIPCUB_304000_NS22TransformInputIteratorIbN2at6native12_GLOBAL__N_19NonZeroOpIfEEPKflEEPiiNS8_6detail34convert_binary_result_type_wrapperINS8_3SumESH_iEEEE10hipError_tPvRmT1_T2_T3_mT4_P12ihipStream_tbEUlT_E0_NS1_11comp_targetILNS1_3genE5ELNS1_11target_archE942ELNS1_3gpuE9ELNS1_3repE0EEENS1_30default_config_static_selectorELNS0_4arch9wavefront6targetE0EEEvSQ_,comdat
.Lfunc_end441:
	.size	_ZN7rocprim17ROCPRIM_400000_NS6detail17trampoline_kernelINS0_14default_configENS1_22reduce_config_selectorIbEEZNS1_11reduce_implILb1ES3_N6hipcub16HIPCUB_304000_NS22TransformInputIteratorIbN2at6native12_GLOBAL__N_19NonZeroOpIfEEPKflEEPiiNS8_6detail34convert_binary_result_type_wrapperINS8_3SumESH_iEEEE10hipError_tPvRmT1_T2_T3_mT4_P12ihipStream_tbEUlT_E0_NS1_11comp_targetILNS1_3genE5ELNS1_11target_archE942ELNS1_3gpuE9ELNS1_3repE0EEENS1_30default_config_static_selectorELNS0_4arch9wavefront6targetE0EEEvSQ_, .Lfunc_end441-_ZN7rocprim17ROCPRIM_400000_NS6detail17trampoline_kernelINS0_14default_configENS1_22reduce_config_selectorIbEEZNS1_11reduce_implILb1ES3_N6hipcub16HIPCUB_304000_NS22TransformInputIteratorIbN2at6native12_GLOBAL__N_19NonZeroOpIfEEPKflEEPiiNS8_6detail34convert_binary_result_type_wrapperINS8_3SumESH_iEEEE10hipError_tPvRmT1_T2_T3_mT4_P12ihipStream_tbEUlT_E0_NS1_11comp_targetILNS1_3genE5ELNS1_11target_archE942ELNS1_3gpuE9ELNS1_3repE0EEENS1_30default_config_static_selectorELNS0_4arch9wavefront6targetE0EEEvSQ_
                                        ; -- End function
	.set _ZN7rocprim17ROCPRIM_400000_NS6detail17trampoline_kernelINS0_14default_configENS1_22reduce_config_selectorIbEEZNS1_11reduce_implILb1ES3_N6hipcub16HIPCUB_304000_NS22TransformInputIteratorIbN2at6native12_GLOBAL__N_19NonZeroOpIfEEPKflEEPiiNS8_6detail34convert_binary_result_type_wrapperINS8_3SumESH_iEEEE10hipError_tPvRmT1_T2_T3_mT4_P12ihipStream_tbEUlT_E0_NS1_11comp_targetILNS1_3genE5ELNS1_11target_archE942ELNS1_3gpuE9ELNS1_3repE0EEENS1_30default_config_static_selectorELNS0_4arch9wavefront6targetE0EEEvSQ_.num_vgpr, 0
	.set _ZN7rocprim17ROCPRIM_400000_NS6detail17trampoline_kernelINS0_14default_configENS1_22reduce_config_selectorIbEEZNS1_11reduce_implILb1ES3_N6hipcub16HIPCUB_304000_NS22TransformInputIteratorIbN2at6native12_GLOBAL__N_19NonZeroOpIfEEPKflEEPiiNS8_6detail34convert_binary_result_type_wrapperINS8_3SumESH_iEEEE10hipError_tPvRmT1_T2_T3_mT4_P12ihipStream_tbEUlT_E0_NS1_11comp_targetILNS1_3genE5ELNS1_11target_archE942ELNS1_3gpuE9ELNS1_3repE0EEENS1_30default_config_static_selectorELNS0_4arch9wavefront6targetE0EEEvSQ_.num_agpr, 0
	.set _ZN7rocprim17ROCPRIM_400000_NS6detail17trampoline_kernelINS0_14default_configENS1_22reduce_config_selectorIbEEZNS1_11reduce_implILb1ES3_N6hipcub16HIPCUB_304000_NS22TransformInputIteratorIbN2at6native12_GLOBAL__N_19NonZeroOpIfEEPKflEEPiiNS8_6detail34convert_binary_result_type_wrapperINS8_3SumESH_iEEEE10hipError_tPvRmT1_T2_T3_mT4_P12ihipStream_tbEUlT_E0_NS1_11comp_targetILNS1_3genE5ELNS1_11target_archE942ELNS1_3gpuE9ELNS1_3repE0EEENS1_30default_config_static_selectorELNS0_4arch9wavefront6targetE0EEEvSQ_.numbered_sgpr, 0
	.set _ZN7rocprim17ROCPRIM_400000_NS6detail17trampoline_kernelINS0_14default_configENS1_22reduce_config_selectorIbEEZNS1_11reduce_implILb1ES3_N6hipcub16HIPCUB_304000_NS22TransformInputIteratorIbN2at6native12_GLOBAL__N_19NonZeroOpIfEEPKflEEPiiNS8_6detail34convert_binary_result_type_wrapperINS8_3SumESH_iEEEE10hipError_tPvRmT1_T2_T3_mT4_P12ihipStream_tbEUlT_E0_NS1_11comp_targetILNS1_3genE5ELNS1_11target_archE942ELNS1_3gpuE9ELNS1_3repE0EEENS1_30default_config_static_selectorELNS0_4arch9wavefront6targetE0EEEvSQ_.num_named_barrier, 0
	.set _ZN7rocprim17ROCPRIM_400000_NS6detail17trampoline_kernelINS0_14default_configENS1_22reduce_config_selectorIbEEZNS1_11reduce_implILb1ES3_N6hipcub16HIPCUB_304000_NS22TransformInputIteratorIbN2at6native12_GLOBAL__N_19NonZeroOpIfEEPKflEEPiiNS8_6detail34convert_binary_result_type_wrapperINS8_3SumESH_iEEEE10hipError_tPvRmT1_T2_T3_mT4_P12ihipStream_tbEUlT_E0_NS1_11comp_targetILNS1_3genE5ELNS1_11target_archE942ELNS1_3gpuE9ELNS1_3repE0EEENS1_30default_config_static_selectorELNS0_4arch9wavefront6targetE0EEEvSQ_.private_seg_size, 0
	.set _ZN7rocprim17ROCPRIM_400000_NS6detail17trampoline_kernelINS0_14default_configENS1_22reduce_config_selectorIbEEZNS1_11reduce_implILb1ES3_N6hipcub16HIPCUB_304000_NS22TransformInputIteratorIbN2at6native12_GLOBAL__N_19NonZeroOpIfEEPKflEEPiiNS8_6detail34convert_binary_result_type_wrapperINS8_3SumESH_iEEEE10hipError_tPvRmT1_T2_T3_mT4_P12ihipStream_tbEUlT_E0_NS1_11comp_targetILNS1_3genE5ELNS1_11target_archE942ELNS1_3gpuE9ELNS1_3repE0EEENS1_30default_config_static_selectorELNS0_4arch9wavefront6targetE0EEEvSQ_.uses_vcc, 0
	.set _ZN7rocprim17ROCPRIM_400000_NS6detail17trampoline_kernelINS0_14default_configENS1_22reduce_config_selectorIbEEZNS1_11reduce_implILb1ES3_N6hipcub16HIPCUB_304000_NS22TransformInputIteratorIbN2at6native12_GLOBAL__N_19NonZeroOpIfEEPKflEEPiiNS8_6detail34convert_binary_result_type_wrapperINS8_3SumESH_iEEEE10hipError_tPvRmT1_T2_T3_mT4_P12ihipStream_tbEUlT_E0_NS1_11comp_targetILNS1_3genE5ELNS1_11target_archE942ELNS1_3gpuE9ELNS1_3repE0EEENS1_30default_config_static_selectorELNS0_4arch9wavefront6targetE0EEEvSQ_.uses_flat_scratch, 0
	.set _ZN7rocprim17ROCPRIM_400000_NS6detail17trampoline_kernelINS0_14default_configENS1_22reduce_config_selectorIbEEZNS1_11reduce_implILb1ES3_N6hipcub16HIPCUB_304000_NS22TransformInputIteratorIbN2at6native12_GLOBAL__N_19NonZeroOpIfEEPKflEEPiiNS8_6detail34convert_binary_result_type_wrapperINS8_3SumESH_iEEEE10hipError_tPvRmT1_T2_T3_mT4_P12ihipStream_tbEUlT_E0_NS1_11comp_targetILNS1_3genE5ELNS1_11target_archE942ELNS1_3gpuE9ELNS1_3repE0EEENS1_30default_config_static_selectorELNS0_4arch9wavefront6targetE0EEEvSQ_.has_dyn_sized_stack, 0
	.set _ZN7rocprim17ROCPRIM_400000_NS6detail17trampoline_kernelINS0_14default_configENS1_22reduce_config_selectorIbEEZNS1_11reduce_implILb1ES3_N6hipcub16HIPCUB_304000_NS22TransformInputIteratorIbN2at6native12_GLOBAL__N_19NonZeroOpIfEEPKflEEPiiNS8_6detail34convert_binary_result_type_wrapperINS8_3SumESH_iEEEE10hipError_tPvRmT1_T2_T3_mT4_P12ihipStream_tbEUlT_E0_NS1_11comp_targetILNS1_3genE5ELNS1_11target_archE942ELNS1_3gpuE9ELNS1_3repE0EEENS1_30default_config_static_selectorELNS0_4arch9wavefront6targetE0EEEvSQ_.has_recursion, 0
	.set _ZN7rocprim17ROCPRIM_400000_NS6detail17trampoline_kernelINS0_14default_configENS1_22reduce_config_selectorIbEEZNS1_11reduce_implILb1ES3_N6hipcub16HIPCUB_304000_NS22TransformInputIteratorIbN2at6native12_GLOBAL__N_19NonZeroOpIfEEPKflEEPiiNS8_6detail34convert_binary_result_type_wrapperINS8_3SumESH_iEEEE10hipError_tPvRmT1_T2_T3_mT4_P12ihipStream_tbEUlT_E0_NS1_11comp_targetILNS1_3genE5ELNS1_11target_archE942ELNS1_3gpuE9ELNS1_3repE0EEENS1_30default_config_static_selectorELNS0_4arch9wavefront6targetE0EEEvSQ_.has_indirect_call, 0
	.section	.AMDGPU.csdata,"",@progbits
; Kernel info:
; codeLenInByte = 0
; TotalNumSgprs: 0
; NumVgprs: 0
; ScratchSize: 0
; MemoryBound: 0
; FloatMode: 240
; IeeeMode: 1
; LDSByteSize: 0 bytes/workgroup (compile time only)
; SGPRBlocks: 0
; VGPRBlocks: 0
; NumSGPRsForWavesPerEU: 1
; NumVGPRsForWavesPerEU: 1
; Occupancy: 16
; WaveLimiterHint : 0
; COMPUTE_PGM_RSRC2:SCRATCH_EN: 0
; COMPUTE_PGM_RSRC2:USER_SGPR: 2
; COMPUTE_PGM_RSRC2:TRAP_HANDLER: 0
; COMPUTE_PGM_RSRC2:TGID_X_EN: 1
; COMPUTE_PGM_RSRC2:TGID_Y_EN: 0
; COMPUTE_PGM_RSRC2:TGID_Z_EN: 0
; COMPUTE_PGM_RSRC2:TIDIG_COMP_CNT: 0
	.section	.text._ZN7rocprim17ROCPRIM_400000_NS6detail17trampoline_kernelINS0_14default_configENS1_22reduce_config_selectorIbEEZNS1_11reduce_implILb1ES3_N6hipcub16HIPCUB_304000_NS22TransformInputIteratorIbN2at6native12_GLOBAL__N_19NonZeroOpIfEEPKflEEPiiNS8_6detail34convert_binary_result_type_wrapperINS8_3SumESH_iEEEE10hipError_tPvRmT1_T2_T3_mT4_P12ihipStream_tbEUlT_E0_NS1_11comp_targetILNS1_3genE4ELNS1_11target_archE910ELNS1_3gpuE8ELNS1_3repE0EEENS1_30default_config_static_selectorELNS0_4arch9wavefront6targetE0EEEvSQ_,"axG",@progbits,_ZN7rocprim17ROCPRIM_400000_NS6detail17trampoline_kernelINS0_14default_configENS1_22reduce_config_selectorIbEEZNS1_11reduce_implILb1ES3_N6hipcub16HIPCUB_304000_NS22TransformInputIteratorIbN2at6native12_GLOBAL__N_19NonZeroOpIfEEPKflEEPiiNS8_6detail34convert_binary_result_type_wrapperINS8_3SumESH_iEEEE10hipError_tPvRmT1_T2_T3_mT4_P12ihipStream_tbEUlT_E0_NS1_11comp_targetILNS1_3genE4ELNS1_11target_archE910ELNS1_3gpuE8ELNS1_3repE0EEENS1_30default_config_static_selectorELNS0_4arch9wavefront6targetE0EEEvSQ_,comdat
	.globl	_ZN7rocprim17ROCPRIM_400000_NS6detail17trampoline_kernelINS0_14default_configENS1_22reduce_config_selectorIbEEZNS1_11reduce_implILb1ES3_N6hipcub16HIPCUB_304000_NS22TransformInputIteratorIbN2at6native12_GLOBAL__N_19NonZeroOpIfEEPKflEEPiiNS8_6detail34convert_binary_result_type_wrapperINS8_3SumESH_iEEEE10hipError_tPvRmT1_T2_T3_mT4_P12ihipStream_tbEUlT_E0_NS1_11comp_targetILNS1_3genE4ELNS1_11target_archE910ELNS1_3gpuE8ELNS1_3repE0EEENS1_30default_config_static_selectorELNS0_4arch9wavefront6targetE0EEEvSQ_ ; -- Begin function _ZN7rocprim17ROCPRIM_400000_NS6detail17trampoline_kernelINS0_14default_configENS1_22reduce_config_selectorIbEEZNS1_11reduce_implILb1ES3_N6hipcub16HIPCUB_304000_NS22TransformInputIteratorIbN2at6native12_GLOBAL__N_19NonZeroOpIfEEPKflEEPiiNS8_6detail34convert_binary_result_type_wrapperINS8_3SumESH_iEEEE10hipError_tPvRmT1_T2_T3_mT4_P12ihipStream_tbEUlT_E0_NS1_11comp_targetILNS1_3genE4ELNS1_11target_archE910ELNS1_3gpuE8ELNS1_3repE0EEENS1_30default_config_static_selectorELNS0_4arch9wavefront6targetE0EEEvSQ_
	.p2align	8
	.type	_ZN7rocprim17ROCPRIM_400000_NS6detail17trampoline_kernelINS0_14default_configENS1_22reduce_config_selectorIbEEZNS1_11reduce_implILb1ES3_N6hipcub16HIPCUB_304000_NS22TransformInputIteratorIbN2at6native12_GLOBAL__N_19NonZeroOpIfEEPKflEEPiiNS8_6detail34convert_binary_result_type_wrapperINS8_3SumESH_iEEEE10hipError_tPvRmT1_T2_T3_mT4_P12ihipStream_tbEUlT_E0_NS1_11comp_targetILNS1_3genE4ELNS1_11target_archE910ELNS1_3gpuE8ELNS1_3repE0EEENS1_30default_config_static_selectorELNS0_4arch9wavefront6targetE0EEEvSQ_,@function
_ZN7rocprim17ROCPRIM_400000_NS6detail17trampoline_kernelINS0_14default_configENS1_22reduce_config_selectorIbEEZNS1_11reduce_implILb1ES3_N6hipcub16HIPCUB_304000_NS22TransformInputIteratorIbN2at6native12_GLOBAL__N_19NonZeroOpIfEEPKflEEPiiNS8_6detail34convert_binary_result_type_wrapperINS8_3SumESH_iEEEE10hipError_tPvRmT1_T2_T3_mT4_P12ihipStream_tbEUlT_E0_NS1_11comp_targetILNS1_3genE4ELNS1_11target_archE910ELNS1_3gpuE8ELNS1_3repE0EEENS1_30default_config_static_selectorELNS0_4arch9wavefront6targetE0EEEvSQ_: ; @_ZN7rocprim17ROCPRIM_400000_NS6detail17trampoline_kernelINS0_14default_configENS1_22reduce_config_selectorIbEEZNS1_11reduce_implILb1ES3_N6hipcub16HIPCUB_304000_NS22TransformInputIteratorIbN2at6native12_GLOBAL__N_19NonZeroOpIfEEPKflEEPiiNS8_6detail34convert_binary_result_type_wrapperINS8_3SumESH_iEEEE10hipError_tPvRmT1_T2_T3_mT4_P12ihipStream_tbEUlT_E0_NS1_11comp_targetILNS1_3genE4ELNS1_11target_archE910ELNS1_3gpuE8ELNS1_3repE0EEENS1_30default_config_static_selectorELNS0_4arch9wavefront6targetE0EEEvSQ_
; %bb.0:
	.section	.rodata,"a",@progbits
	.p2align	6, 0x0
	.amdhsa_kernel _ZN7rocprim17ROCPRIM_400000_NS6detail17trampoline_kernelINS0_14default_configENS1_22reduce_config_selectorIbEEZNS1_11reduce_implILb1ES3_N6hipcub16HIPCUB_304000_NS22TransformInputIteratorIbN2at6native12_GLOBAL__N_19NonZeroOpIfEEPKflEEPiiNS8_6detail34convert_binary_result_type_wrapperINS8_3SumESH_iEEEE10hipError_tPvRmT1_T2_T3_mT4_P12ihipStream_tbEUlT_E0_NS1_11comp_targetILNS1_3genE4ELNS1_11target_archE910ELNS1_3gpuE8ELNS1_3repE0EEENS1_30default_config_static_selectorELNS0_4arch9wavefront6targetE0EEEvSQ_
		.amdhsa_group_segment_fixed_size 0
		.amdhsa_private_segment_fixed_size 0
		.amdhsa_kernarg_size 64
		.amdhsa_user_sgpr_count 2
		.amdhsa_user_sgpr_dispatch_ptr 0
		.amdhsa_user_sgpr_queue_ptr 0
		.amdhsa_user_sgpr_kernarg_segment_ptr 1
		.amdhsa_user_sgpr_dispatch_id 0
		.amdhsa_user_sgpr_private_segment_size 0
		.amdhsa_wavefront_size32 1
		.amdhsa_uses_dynamic_stack 0
		.amdhsa_enable_private_segment 0
		.amdhsa_system_sgpr_workgroup_id_x 1
		.amdhsa_system_sgpr_workgroup_id_y 0
		.amdhsa_system_sgpr_workgroup_id_z 0
		.amdhsa_system_sgpr_workgroup_info 0
		.amdhsa_system_vgpr_workitem_id 0
		.amdhsa_next_free_vgpr 1
		.amdhsa_next_free_sgpr 1
		.amdhsa_reserve_vcc 0
		.amdhsa_float_round_mode_32 0
		.amdhsa_float_round_mode_16_64 0
		.amdhsa_float_denorm_mode_32 3
		.amdhsa_float_denorm_mode_16_64 3
		.amdhsa_fp16_overflow 0
		.amdhsa_workgroup_processor_mode 1
		.amdhsa_memory_ordered 1
		.amdhsa_forward_progress 1
		.amdhsa_inst_pref_size 0
		.amdhsa_round_robin_scheduling 0
		.amdhsa_exception_fp_ieee_invalid_op 0
		.amdhsa_exception_fp_denorm_src 0
		.amdhsa_exception_fp_ieee_div_zero 0
		.amdhsa_exception_fp_ieee_overflow 0
		.amdhsa_exception_fp_ieee_underflow 0
		.amdhsa_exception_fp_ieee_inexact 0
		.amdhsa_exception_int_div_zero 0
	.end_amdhsa_kernel
	.section	.text._ZN7rocprim17ROCPRIM_400000_NS6detail17trampoline_kernelINS0_14default_configENS1_22reduce_config_selectorIbEEZNS1_11reduce_implILb1ES3_N6hipcub16HIPCUB_304000_NS22TransformInputIteratorIbN2at6native12_GLOBAL__N_19NonZeroOpIfEEPKflEEPiiNS8_6detail34convert_binary_result_type_wrapperINS8_3SumESH_iEEEE10hipError_tPvRmT1_T2_T3_mT4_P12ihipStream_tbEUlT_E0_NS1_11comp_targetILNS1_3genE4ELNS1_11target_archE910ELNS1_3gpuE8ELNS1_3repE0EEENS1_30default_config_static_selectorELNS0_4arch9wavefront6targetE0EEEvSQ_,"axG",@progbits,_ZN7rocprim17ROCPRIM_400000_NS6detail17trampoline_kernelINS0_14default_configENS1_22reduce_config_selectorIbEEZNS1_11reduce_implILb1ES3_N6hipcub16HIPCUB_304000_NS22TransformInputIteratorIbN2at6native12_GLOBAL__N_19NonZeroOpIfEEPKflEEPiiNS8_6detail34convert_binary_result_type_wrapperINS8_3SumESH_iEEEE10hipError_tPvRmT1_T2_T3_mT4_P12ihipStream_tbEUlT_E0_NS1_11comp_targetILNS1_3genE4ELNS1_11target_archE910ELNS1_3gpuE8ELNS1_3repE0EEENS1_30default_config_static_selectorELNS0_4arch9wavefront6targetE0EEEvSQ_,comdat
.Lfunc_end442:
	.size	_ZN7rocprim17ROCPRIM_400000_NS6detail17trampoline_kernelINS0_14default_configENS1_22reduce_config_selectorIbEEZNS1_11reduce_implILb1ES3_N6hipcub16HIPCUB_304000_NS22TransformInputIteratorIbN2at6native12_GLOBAL__N_19NonZeroOpIfEEPKflEEPiiNS8_6detail34convert_binary_result_type_wrapperINS8_3SumESH_iEEEE10hipError_tPvRmT1_T2_T3_mT4_P12ihipStream_tbEUlT_E0_NS1_11comp_targetILNS1_3genE4ELNS1_11target_archE910ELNS1_3gpuE8ELNS1_3repE0EEENS1_30default_config_static_selectorELNS0_4arch9wavefront6targetE0EEEvSQ_, .Lfunc_end442-_ZN7rocprim17ROCPRIM_400000_NS6detail17trampoline_kernelINS0_14default_configENS1_22reduce_config_selectorIbEEZNS1_11reduce_implILb1ES3_N6hipcub16HIPCUB_304000_NS22TransformInputIteratorIbN2at6native12_GLOBAL__N_19NonZeroOpIfEEPKflEEPiiNS8_6detail34convert_binary_result_type_wrapperINS8_3SumESH_iEEEE10hipError_tPvRmT1_T2_T3_mT4_P12ihipStream_tbEUlT_E0_NS1_11comp_targetILNS1_3genE4ELNS1_11target_archE910ELNS1_3gpuE8ELNS1_3repE0EEENS1_30default_config_static_selectorELNS0_4arch9wavefront6targetE0EEEvSQ_
                                        ; -- End function
	.set _ZN7rocprim17ROCPRIM_400000_NS6detail17trampoline_kernelINS0_14default_configENS1_22reduce_config_selectorIbEEZNS1_11reduce_implILb1ES3_N6hipcub16HIPCUB_304000_NS22TransformInputIteratorIbN2at6native12_GLOBAL__N_19NonZeroOpIfEEPKflEEPiiNS8_6detail34convert_binary_result_type_wrapperINS8_3SumESH_iEEEE10hipError_tPvRmT1_T2_T3_mT4_P12ihipStream_tbEUlT_E0_NS1_11comp_targetILNS1_3genE4ELNS1_11target_archE910ELNS1_3gpuE8ELNS1_3repE0EEENS1_30default_config_static_selectorELNS0_4arch9wavefront6targetE0EEEvSQ_.num_vgpr, 0
	.set _ZN7rocprim17ROCPRIM_400000_NS6detail17trampoline_kernelINS0_14default_configENS1_22reduce_config_selectorIbEEZNS1_11reduce_implILb1ES3_N6hipcub16HIPCUB_304000_NS22TransformInputIteratorIbN2at6native12_GLOBAL__N_19NonZeroOpIfEEPKflEEPiiNS8_6detail34convert_binary_result_type_wrapperINS8_3SumESH_iEEEE10hipError_tPvRmT1_T2_T3_mT4_P12ihipStream_tbEUlT_E0_NS1_11comp_targetILNS1_3genE4ELNS1_11target_archE910ELNS1_3gpuE8ELNS1_3repE0EEENS1_30default_config_static_selectorELNS0_4arch9wavefront6targetE0EEEvSQ_.num_agpr, 0
	.set _ZN7rocprim17ROCPRIM_400000_NS6detail17trampoline_kernelINS0_14default_configENS1_22reduce_config_selectorIbEEZNS1_11reduce_implILb1ES3_N6hipcub16HIPCUB_304000_NS22TransformInputIteratorIbN2at6native12_GLOBAL__N_19NonZeroOpIfEEPKflEEPiiNS8_6detail34convert_binary_result_type_wrapperINS8_3SumESH_iEEEE10hipError_tPvRmT1_T2_T3_mT4_P12ihipStream_tbEUlT_E0_NS1_11comp_targetILNS1_3genE4ELNS1_11target_archE910ELNS1_3gpuE8ELNS1_3repE0EEENS1_30default_config_static_selectorELNS0_4arch9wavefront6targetE0EEEvSQ_.numbered_sgpr, 0
	.set _ZN7rocprim17ROCPRIM_400000_NS6detail17trampoline_kernelINS0_14default_configENS1_22reduce_config_selectorIbEEZNS1_11reduce_implILb1ES3_N6hipcub16HIPCUB_304000_NS22TransformInputIteratorIbN2at6native12_GLOBAL__N_19NonZeroOpIfEEPKflEEPiiNS8_6detail34convert_binary_result_type_wrapperINS8_3SumESH_iEEEE10hipError_tPvRmT1_T2_T3_mT4_P12ihipStream_tbEUlT_E0_NS1_11comp_targetILNS1_3genE4ELNS1_11target_archE910ELNS1_3gpuE8ELNS1_3repE0EEENS1_30default_config_static_selectorELNS0_4arch9wavefront6targetE0EEEvSQ_.num_named_barrier, 0
	.set _ZN7rocprim17ROCPRIM_400000_NS6detail17trampoline_kernelINS0_14default_configENS1_22reduce_config_selectorIbEEZNS1_11reduce_implILb1ES3_N6hipcub16HIPCUB_304000_NS22TransformInputIteratorIbN2at6native12_GLOBAL__N_19NonZeroOpIfEEPKflEEPiiNS8_6detail34convert_binary_result_type_wrapperINS8_3SumESH_iEEEE10hipError_tPvRmT1_T2_T3_mT4_P12ihipStream_tbEUlT_E0_NS1_11comp_targetILNS1_3genE4ELNS1_11target_archE910ELNS1_3gpuE8ELNS1_3repE0EEENS1_30default_config_static_selectorELNS0_4arch9wavefront6targetE0EEEvSQ_.private_seg_size, 0
	.set _ZN7rocprim17ROCPRIM_400000_NS6detail17trampoline_kernelINS0_14default_configENS1_22reduce_config_selectorIbEEZNS1_11reduce_implILb1ES3_N6hipcub16HIPCUB_304000_NS22TransformInputIteratorIbN2at6native12_GLOBAL__N_19NonZeroOpIfEEPKflEEPiiNS8_6detail34convert_binary_result_type_wrapperINS8_3SumESH_iEEEE10hipError_tPvRmT1_T2_T3_mT4_P12ihipStream_tbEUlT_E0_NS1_11comp_targetILNS1_3genE4ELNS1_11target_archE910ELNS1_3gpuE8ELNS1_3repE0EEENS1_30default_config_static_selectorELNS0_4arch9wavefront6targetE0EEEvSQ_.uses_vcc, 0
	.set _ZN7rocprim17ROCPRIM_400000_NS6detail17trampoline_kernelINS0_14default_configENS1_22reduce_config_selectorIbEEZNS1_11reduce_implILb1ES3_N6hipcub16HIPCUB_304000_NS22TransformInputIteratorIbN2at6native12_GLOBAL__N_19NonZeroOpIfEEPKflEEPiiNS8_6detail34convert_binary_result_type_wrapperINS8_3SumESH_iEEEE10hipError_tPvRmT1_T2_T3_mT4_P12ihipStream_tbEUlT_E0_NS1_11comp_targetILNS1_3genE4ELNS1_11target_archE910ELNS1_3gpuE8ELNS1_3repE0EEENS1_30default_config_static_selectorELNS0_4arch9wavefront6targetE0EEEvSQ_.uses_flat_scratch, 0
	.set _ZN7rocprim17ROCPRIM_400000_NS6detail17trampoline_kernelINS0_14default_configENS1_22reduce_config_selectorIbEEZNS1_11reduce_implILb1ES3_N6hipcub16HIPCUB_304000_NS22TransformInputIteratorIbN2at6native12_GLOBAL__N_19NonZeroOpIfEEPKflEEPiiNS8_6detail34convert_binary_result_type_wrapperINS8_3SumESH_iEEEE10hipError_tPvRmT1_T2_T3_mT4_P12ihipStream_tbEUlT_E0_NS1_11comp_targetILNS1_3genE4ELNS1_11target_archE910ELNS1_3gpuE8ELNS1_3repE0EEENS1_30default_config_static_selectorELNS0_4arch9wavefront6targetE0EEEvSQ_.has_dyn_sized_stack, 0
	.set _ZN7rocprim17ROCPRIM_400000_NS6detail17trampoline_kernelINS0_14default_configENS1_22reduce_config_selectorIbEEZNS1_11reduce_implILb1ES3_N6hipcub16HIPCUB_304000_NS22TransformInputIteratorIbN2at6native12_GLOBAL__N_19NonZeroOpIfEEPKflEEPiiNS8_6detail34convert_binary_result_type_wrapperINS8_3SumESH_iEEEE10hipError_tPvRmT1_T2_T3_mT4_P12ihipStream_tbEUlT_E0_NS1_11comp_targetILNS1_3genE4ELNS1_11target_archE910ELNS1_3gpuE8ELNS1_3repE0EEENS1_30default_config_static_selectorELNS0_4arch9wavefront6targetE0EEEvSQ_.has_recursion, 0
	.set _ZN7rocprim17ROCPRIM_400000_NS6detail17trampoline_kernelINS0_14default_configENS1_22reduce_config_selectorIbEEZNS1_11reduce_implILb1ES3_N6hipcub16HIPCUB_304000_NS22TransformInputIteratorIbN2at6native12_GLOBAL__N_19NonZeroOpIfEEPKflEEPiiNS8_6detail34convert_binary_result_type_wrapperINS8_3SumESH_iEEEE10hipError_tPvRmT1_T2_T3_mT4_P12ihipStream_tbEUlT_E0_NS1_11comp_targetILNS1_3genE4ELNS1_11target_archE910ELNS1_3gpuE8ELNS1_3repE0EEENS1_30default_config_static_selectorELNS0_4arch9wavefront6targetE0EEEvSQ_.has_indirect_call, 0
	.section	.AMDGPU.csdata,"",@progbits
; Kernel info:
; codeLenInByte = 0
; TotalNumSgprs: 0
; NumVgprs: 0
; ScratchSize: 0
; MemoryBound: 0
; FloatMode: 240
; IeeeMode: 1
; LDSByteSize: 0 bytes/workgroup (compile time only)
; SGPRBlocks: 0
; VGPRBlocks: 0
; NumSGPRsForWavesPerEU: 1
; NumVGPRsForWavesPerEU: 1
; Occupancy: 16
; WaveLimiterHint : 0
; COMPUTE_PGM_RSRC2:SCRATCH_EN: 0
; COMPUTE_PGM_RSRC2:USER_SGPR: 2
; COMPUTE_PGM_RSRC2:TRAP_HANDLER: 0
; COMPUTE_PGM_RSRC2:TGID_X_EN: 1
; COMPUTE_PGM_RSRC2:TGID_Y_EN: 0
; COMPUTE_PGM_RSRC2:TGID_Z_EN: 0
; COMPUTE_PGM_RSRC2:TIDIG_COMP_CNT: 0
	.section	.text._ZN7rocprim17ROCPRIM_400000_NS6detail17trampoline_kernelINS0_14default_configENS1_22reduce_config_selectorIbEEZNS1_11reduce_implILb1ES3_N6hipcub16HIPCUB_304000_NS22TransformInputIteratorIbN2at6native12_GLOBAL__N_19NonZeroOpIfEEPKflEEPiiNS8_6detail34convert_binary_result_type_wrapperINS8_3SumESH_iEEEE10hipError_tPvRmT1_T2_T3_mT4_P12ihipStream_tbEUlT_E0_NS1_11comp_targetILNS1_3genE3ELNS1_11target_archE908ELNS1_3gpuE7ELNS1_3repE0EEENS1_30default_config_static_selectorELNS0_4arch9wavefront6targetE0EEEvSQ_,"axG",@progbits,_ZN7rocprim17ROCPRIM_400000_NS6detail17trampoline_kernelINS0_14default_configENS1_22reduce_config_selectorIbEEZNS1_11reduce_implILb1ES3_N6hipcub16HIPCUB_304000_NS22TransformInputIteratorIbN2at6native12_GLOBAL__N_19NonZeroOpIfEEPKflEEPiiNS8_6detail34convert_binary_result_type_wrapperINS8_3SumESH_iEEEE10hipError_tPvRmT1_T2_T3_mT4_P12ihipStream_tbEUlT_E0_NS1_11comp_targetILNS1_3genE3ELNS1_11target_archE908ELNS1_3gpuE7ELNS1_3repE0EEENS1_30default_config_static_selectorELNS0_4arch9wavefront6targetE0EEEvSQ_,comdat
	.globl	_ZN7rocprim17ROCPRIM_400000_NS6detail17trampoline_kernelINS0_14default_configENS1_22reduce_config_selectorIbEEZNS1_11reduce_implILb1ES3_N6hipcub16HIPCUB_304000_NS22TransformInputIteratorIbN2at6native12_GLOBAL__N_19NonZeroOpIfEEPKflEEPiiNS8_6detail34convert_binary_result_type_wrapperINS8_3SumESH_iEEEE10hipError_tPvRmT1_T2_T3_mT4_P12ihipStream_tbEUlT_E0_NS1_11comp_targetILNS1_3genE3ELNS1_11target_archE908ELNS1_3gpuE7ELNS1_3repE0EEENS1_30default_config_static_selectorELNS0_4arch9wavefront6targetE0EEEvSQ_ ; -- Begin function _ZN7rocprim17ROCPRIM_400000_NS6detail17trampoline_kernelINS0_14default_configENS1_22reduce_config_selectorIbEEZNS1_11reduce_implILb1ES3_N6hipcub16HIPCUB_304000_NS22TransformInputIteratorIbN2at6native12_GLOBAL__N_19NonZeroOpIfEEPKflEEPiiNS8_6detail34convert_binary_result_type_wrapperINS8_3SumESH_iEEEE10hipError_tPvRmT1_T2_T3_mT4_P12ihipStream_tbEUlT_E0_NS1_11comp_targetILNS1_3genE3ELNS1_11target_archE908ELNS1_3gpuE7ELNS1_3repE0EEENS1_30default_config_static_selectorELNS0_4arch9wavefront6targetE0EEEvSQ_
	.p2align	8
	.type	_ZN7rocprim17ROCPRIM_400000_NS6detail17trampoline_kernelINS0_14default_configENS1_22reduce_config_selectorIbEEZNS1_11reduce_implILb1ES3_N6hipcub16HIPCUB_304000_NS22TransformInputIteratorIbN2at6native12_GLOBAL__N_19NonZeroOpIfEEPKflEEPiiNS8_6detail34convert_binary_result_type_wrapperINS8_3SumESH_iEEEE10hipError_tPvRmT1_T2_T3_mT4_P12ihipStream_tbEUlT_E0_NS1_11comp_targetILNS1_3genE3ELNS1_11target_archE908ELNS1_3gpuE7ELNS1_3repE0EEENS1_30default_config_static_selectorELNS0_4arch9wavefront6targetE0EEEvSQ_,@function
_ZN7rocprim17ROCPRIM_400000_NS6detail17trampoline_kernelINS0_14default_configENS1_22reduce_config_selectorIbEEZNS1_11reduce_implILb1ES3_N6hipcub16HIPCUB_304000_NS22TransformInputIteratorIbN2at6native12_GLOBAL__N_19NonZeroOpIfEEPKflEEPiiNS8_6detail34convert_binary_result_type_wrapperINS8_3SumESH_iEEEE10hipError_tPvRmT1_T2_T3_mT4_P12ihipStream_tbEUlT_E0_NS1_11comp_targetILNS1_3genE3ELNS1_11target_archE908ELNS1_3gpuE7ELNS1_3repE0EEENS1_30default_config_static_selectorELNS0_4arch9wavefront6targetE0EEEvSQ_: ; @_ZN7rocprim17ROCPRIM_400000_NS6detail17trampoline_kernelINS0_14default_configENS1_22reduce_config_selectorIbEEZNS1_11reduce_implILb1ES3_N6hipcub16HIPCUB_304000_NS22TransformInputIteratorIbN2at6native12_GLOBAL__N_19NonZeroOpIfEEPKflEEPiiNS8_6detail34convert_binary_result_type_wrapperINS8_3SumESH_iEEEE10hipError_tPvRmT1_T2_T3_mT4_P12ihipStream_tbEUlT_E0_NS1_11comp_targetILNS1_3genE3ELNS1_11target_archE908ELNS1_3gpuE7ELNS1_3repE0EEENS1_30default_config_static_selectorELNS0_4arch9wavefront6targetE0EEEvSQ_
; %bb.0:
	.section	.rodata,"a",@progbits
	.p2align	6, 0x0
	.amdhsa_kernel _ZN7rocprim17ROCPRIM_400000_NS6detail17trampoline_kernelINS0_14default_configENS1_22reduce_config_selectorIbEEZNS1_11reduce_implILb1ES3_N6hipcub16HIPCUB_304000_NS22TransformInputIteratorIbN2at6native12_GLOBAL__N_19NonZeroOpIfEEPKflEEPiiNS8_6detail34convert_binary_result_type_wrapperINS8_3SumESH_iEEEE10hipError_tPvRmT1_T2_T3_mT4_P12ihipStream_tbEUlT_E0_NS1_11comp_targetILNS1_3genE3ELNS1_11target_archE908ELNS1_3gpuE7ELNS1_3repE0EEENS1_30default_config_static_selectorELNS0_4arch9wavefront6targetE0EEEvSQ_
		.amdhsa_group_segment_fixed_size 0
		.amdhsa_private_segment_fixed_size 0
		.amdhsa_kernarg_size 64
		.amdhsa_user_sgpr_count 2
		.amdhsa_user_sgpr_dispatch_ptr 0
		.amdhsa_user_sgpr_queue_ptr 0
		.amdhsa_user_sgpr_kernarg_segment_ptr 1
		.amdhsa_user_sgpr_dispatch_id 0
		.amdhsa_user_sgpr_private_segment_size 0
		.amdhsa_wavefront_size32 1
		.amdhsa_uses_dynamic_stack 0
		.amdhsa_enable_private_segment 0
		.amdhsa_system_sgpr_workgroup_id_x 1
		.amdhsa_system_sgpr_workgroup_id_y 0
		.amdhsa_system_sgpr_workgroup_id_z 0
		.amdhsa_system_sgpr_workgroup_info 0
		.amdhsa_system_vgpr_workitem_id 0
		.amdhsa_next_free_vgpr 1
		.amdhsa_next_free_sgpr 1
		.amdhsa_reserve_vcc 0
		.amdhsa_float_round_mode_32 0
		.amdhsa_float_round_mode_16_64 0
		.amdhsa_float_denorm_mode_32 3
		.amdhsa_float_denorm_mode_16_64 3
		.amdhsa_fp16_overflow 0
		.amdhsa_workgroup_processor_mode 1
		.amdhsa_memory_ordered 1
		.amdhsa_forward_progress 1
		.amdhsa_inst_pref_size 0
		.amdhsa_round_robin_scheduling 0
		.amdhsa_exception_fp_ieee_invalid_op 0
		.amdhsa_exception_fp_denorm_src 0
		.amdhsa_exception_fp_ieee_div_zero 0
		.amdhsa_exception_fp_ieee_overflow 0
		.amdhsa_exception_fp_ieee_underflow 0
		.amdhsa_exception_fp_ieee_inexact 0
		.amdhsa_exception_int_div_zero 0
	.end_amdhsa_kernel
	.section	.text._ZN7rocprim17ROCPRIM_400000_NS6detail17trampoline_kernelINS0_14default_configENS1_22reduce_config_selectorIbEEZNS1_11reduce_implILb1ES3_N6hipcub16HIPCUB_304000_NS22TransformInputIteratorIbN2at6native12_GLOBAL__N_19NonZeroOpIfEEPKflEEPiiNS8_6detail34convert_binary_result_type_wrapperINS8_3SumESH_iEEEE10hipError_tPvRmT1_T2_T3_mT4_P12ihipStream_tbEUlT_E0_NS1_11comp_targetILNS1_3genE3ELNS1_11target_archE908ELNS1_3gpuE7ELNS1_3repE0EEENS1_30default_config_static_selectorELNS0_4arch9wavefront6targetE0EEEvSQ_,"axG",@progbits,_ZN7rocprim17ROCPRIM_400000_NS6detail17trampoline_kernelINS0_14default_configENS1_22reduce_config_selectorIbEEZNS1_11reduce_implILb1ES3_N6hipcub16HIPCUB_304000_NS22TransformInputIteratorIbN2at6native12_GLOBAL__N_19NonZeroOpIfEEPKflEEPiiNS8_6detail34convert_binary_result_type_wrapperINS8_3SumESH_iEEEE10hipError_tPvRmT1_T2_T3_mT4_P12ihipStream_tbEUlT_E0_NS1_11comp_targetILNS1_3genE3ELNS1_11target_archE908ELNS1_3gpuE7ELNS1_3repE0EEENS1_30default_config_static_selectorELNS0_4arch9wavefront6targetE0EEEvSQ_,comdat
.Lfunc_end443:
	.size	_ZN7rocprim17ROCPRIM_400000_NS6detail17trampoline_kernelINS0_14default_configENS1_22reduce_config_selectorIbEEZNS1_11reduce_implILb1ES3_N6hipcub16HIPCUB_304000_NS22TransformInputIteratorIbN2at6native12_GLOBAL__N_19NonZeroOpIfEEPKflEEPiiNS8_6detail34convert_binary_result_type_wrapperINS8_3SumESH_iEEEE10hipError_tPvRmT1_T2_T3_mT4_P12ihipStream_tbEUlT_E0_NS1_11comp_targetILNS1_3genE3ELNS1_11target_archE908ELNS1_3gpuE7ELNS1_3repE0EEENS1_30default_config_static_selectorELNS0_4arch9wavefront6targetE0EEEvSQ_, .Lfunc_end443-_ZN7rocprim17ROCPRIM_400000_NS6detail17trampoline_kernelINS0_14default_configENS1_22reduce_config_selectorIbEEZNS1_11reduce_implILb1ES3_N6hipcub16HIPCUB_304000_NS22TransformInputIteratorIbN2at6native12_GLOBAL__N_19NonZeroOpIfEEPKflEEPiiNS8_6detail34convert_binary_result_type_wrapperINS8_3SumESH_iEEEE10hipError_tPvRmT1_T2_T3_mT4_P12ihipStream_tbEUlT_E0_NS1_11comp_targetILNS1_3genE3ELNS1_11target_archE908ELNS1_3gpuE7ELNS1_3repE0EEENS1_30default_config_static_selectorELNS0_4arch9wavefront6targetE0EEEvSQ_
                                        ; -- End function
	.set _ZN7rocprim17ROCPRIM_400000_NS6detail17trampoline_kernelINS0_14default_configENS1_22reduce_config_selectorIbEEZNS1_11reduce_implILb1ES3_N6hipcub16HIPCUB_304000_NS22TransformInputIteratorIbN2at6native12_GLOBAL__N_19NonZeroOpIfEEPKflEEPiiNS8_6detail34convert_binary_result_type_wrapperINS8_3SumESH_iEEEE10hipError_tPvRmT1_T2_T3_mT4_P12ihipStream_tbEUlT_E0_NS1_11comp_targetILNS1_3genE3ELNS1_11target_archE908ELNS1_3gpuE7ELNS1_3repE0EEENS1_30default_config_static_selectorELNS0_4arch9wavefront6targetE0EEEvSQ_.num_vgpr, 0
	.set _ZN7rocprim17ROCPRIM_400000_NS6detail17trampoline_kernelINS0_14default_configENS1_22reduce_config_selectorIbEEZNS1_11reduce_implILb1ES3_N6hipcub16HIPCUB_304000_NS22TransformInputIteratorIbN2at6native12_GLOBAL__N_19NonZeroOpIfEEPKflEEPiiNS8_6detail34convert_binary_result_type_wrapperINS8_3SumESH_iEEEE10hipError_tPvRmT1_T2_T3_mT4_P12ihipStream_tbEUlT_E0_NS1_11comp_targetILNS1_3genE3ELNS1_11target_archE908ELNS1_3gpuE7ELNS1_3repE0EEENS1_30default_config_static_selectorELNS0_4arch9wavefront6targetE0EEEvSQ_.num_agpr, 0
	.set _ZN7rocprim17ROCPRIM_400000_NS6detail17trampoline_kernelINS0_14default_configENS1_22reduce_config_selectorIbEEZNS1_11reduce_implILb1ES3_N6hipcub16HIPCUB_304000_NS22TransformInputIteratorIbN2at6native12_GLOBAL__N_19NonZeroOpIfEEPKflEEPiiNS8_6detail34convert_binary_result_type_wrapperINS8_3SumESH_iEEEE10hipError_tPvRmT1_T2_T3_mT4_P12ihipStream_tbEUlT_E0_NS1_11comp_targetILNS1_3genE3ELNS1_11target_archE908ELNS1_3gpuE7ELNS1_3repE0EEENS1_30default_config_static_selectorELNS0_4arch9wavefront6targetE0EEEvSQ_.numbered_sgpr, 0
	.set _ZN7rocprim17ROCPRIM_400000_NS6detail17trampoline_kernelINS0_14default_configENS1_22reduce_config_selectorIbEEZNS1_11reduce_implILb1ES3_N6hipcub16HIPCUB_304000_NS22TransformInputIteratorIbN2at6native12_GLOBAL__N_19NonZeroOpIfEEPKflEEPiiNS8_6detail34convert_binary_result_type_wrapperINS8_3SumESH_iEEEE10hipError_tPvRmT1_T2_T3_mT4_P12ihipStream_tbEUlT_E0_NS1_11comp_targetILNS1_3genE3ELNS1_11target_archE908ELNS1_3gpuE7ELNS1_3repE0EEENS1_30default_config_static_selectorELNS0_4arch9wavefront6targetE0EEEvSQ_.num_named_barrier, 0
	.set _ZN7rocprim17ROCPRIM_400000_NS6detail17trampoline_kernelINS0_14default_configENS1_22reduce_config_selectorIbEEZNS1_11reduce_implILb1ES3_N6hipcub16HIPCUB_304000_NS22TransformInputIteratorIbN2at6native12_GLOBAL__N_19NonZeroOpIfEEPKflEEPiiNS8_6detail34convert_binary_result_type_wrapperINS8_3SumESH_iEEEE10hipError_tPvRmT1_T2_T3_mT4_P12ihipStream_tbEUlT_E0_NS1_11comp_targetILNS1_3genE3ELNS1_11target_archE908ELNS1_3gpuE7ELNS1_3repE0EEENS1_30default_config_static_selectorELNS0_4arch9wavefront6targetE0EEEvSQ_.private_seg_size, 0
	.set _ZN7rocprim17ROCPRIM_400000_NS6detail17trampoline_kernelINS0_14default_configENS1_22reduce_config_selectorIbEEZNS1_11reduce_implILb1ES3_N6hipcub16HIPCUB_304000_NS22TransformInputIteratorIbN2at6native12_GLOBAL__N_19NonZeroOpIfEEPKflEEPiiNS8_6detail34convert_binary_result_type_wrapperINS8_3SumESH_iEEEE10hipError_tPvRmT1_T2_T3_mT4_P12ihipStream_tbEUlT_E0_NS1_11comp_targetILNS1_3genE3ELNS1_11target_archE908ELNS1_3gpuE7ELNS1_3repE0EEENS1_30default_config_static_selectorELNS0_4arch9wavefront6targetE0EEEvSQ_.uses_vcc, 0
	.set _ZN7rocprim17ROCPRIM_400000_NS6detail17trampoline_kernelINS0_14default_configENS1_22reduce_config_selectorIbEEZNS1_11reduce_implILb1ES3_N6hipcub16HIPCUB_304000_NS22TransformInputIteratorIbN2at6native12_GLOBAL__N_19NonZeroOpIfEEPKflEEPiiNS8_6detail34convert_binary_result_type_wrapperINS8_3SumESH_iEEEE10hipError_tPvRmT1_T2_T3_mT4_P12ihipStream_tbEUlT_E0_NS1_11comp_targetILNS1_3genE3ELNS1_11target_archE908ELNS1_3gpuE7ELNS1_3repE0EEENS1_30default_config_static_selectorELNS0_4arch9wavefront6targetE0EEEvSQ_.uses_flat_scratch, 0
	.set _ZN7rocprim17ROCPRIM_400000_NS6detail17trampoline_kernelINS0_14default_configENS1_22reduce_config_selectorIbEEZNS1_11reduce_implILb1ES3_N6hipcub16HIPCUB_304000_NS22TransformInputIteratorIbN2at6native12_GLOBAL__N_19NonZeroOpIfEEPKflEEPiiNS8_6detail34convert_binary_result_type_wrapperINS8_3SumESH_iEEEE10hipError_tPvRmT1_T2_T3_mT4_P12ihipStream_tbEUlT_E0_NS1_11comp_targetILNS1_3genE3ELNS1_11target_archE908ELNS1_3gpuE7ELNS1_3repE0EEENS1_30default_config_static_selectorELNS0_4arch9wavefront6targetE0EEEvSQ_.has_dyn_sized_stack, 0
	.set _ZN7rocprim17ROCPRIM_400000_NS6detail17trampoline_kernelINS0_14default_configENS1_22reduce_config_selectorIbEEZNS1_11reduce_implILb1ES3_N6hipcub16HIPCUB_304000_NS22TransformInputIteratorIbN2at6native12_GLOBAL__N_19NonZeroOpIfEEPKflEEPiiNS8_6detail34convert_binary_result_type_wrapperINS8_3SumESH_iEEEE10hipError_tPvRmT1_T2_T3_mT4_P12ihipStream_tbEUlT_E0_NS1_11comp_targetILNS1_3genE3ELNS1_11target_archE908ELNS1_3gpuE7ELNS1_3repE0EEENS1_30default_config_static_selectorELNS0_4arch9wavefront6targetE0EEEvSQ_.has_recursion, 0
	.set _ZN7rocprim17ROCPRIM_400000_NS6detail17trampoline_kernelINS0_14default_configENS1_22reduce_config_selectorIbEEZNS1_11reduce_implILb1ES3_N6hipcub16HIPCUB_304000_NS22TransformInputIteratorIbN2at6native12_GLOBAL__N_19NonZeroOpIfEEPKflEEPiiNS8_6detail34convert_binary_result_type_wrapperINS8_3SumESH_iEEEE10hipError_tPvRmT1_T2_T3_mT4_P12ihipStream_tbEUlT_E0_NS1_11comp_targetILNS1_3genE3ELNS1_11target_archE908ELNS1_3gpuE7ELNS1_3repE0EEENS1_30default_config_static_selectorELNS0_4arch9wavefront6targetE0EEEvSQ_.has_indirect_call, 0
	.section	.AMDGPU.csdata,"",@progbits
; Kernel info:
; codeLenInByte = 0
; TotalNumSgprs: 0
; NumVgprs: 0
; ScratchSize: 0
; MemoryBound: 0
; FloatMode: 240
; IeeeMode: 1
; LDSByteSize: 0 bytes/workgroup (compile time only)
; SGPRBlocks: 0
; VGPRBlocks: 0
; NumSGPRsForWavesPerEU: 1
; NumVGPRsForWavesPerEU: 1
; Occupancy: 16
; WaveLimiterHint : 0
; COMPUTE_PGM_RSRC2:SCRATCH_EN: 0
; COMPUTE_PGM_RSRC2:USER_SGPR: 2
; COMPUTE_PGM_RSRC2:TRAP_HANDLER: 0
; COMPUTE_PGM_RSRC2:TGID_X_EN: 1
; COMPUTE_PGM_RSRC2:TGID_Y_EN: 0
; COMPUTE_PGM_RSRC2:TGID_Z_EN: 0
; COMPUTE_PGM_RSRC2:TIDIG_COMP_CNT: 0
	.section	.text._ZN7rocprim17ROCPRIM_400000_NS6detail17trampoline_kernelINS0_14default_configENS1_22reduce_config_selectorIbEEZNS1_11reduce_implILb1ES3_N6hipcub16HIPCUB_304000_NS22TransformInputIteratorIbN2at6native12_GLOBAL__N_19NonZeroOpIfEEPKflEEPiiNS8_6detail34convert_binary_result_type_wrapperINS8_3SumESH_iEEEE10hipError_tPvRmT1_T2_T3_mT4_P12ihipStream_tbEUlT_E0_NS1_11comp_targetILNS1_3genE2ELNS1_11target_archE906ELNS1_3gpuE6ELNS1_3repE0EEENS1_30default_config_static_selectorELNS0_4arch9wavefront6targetE0EEEvSQ_,"axG",@progbits,_ZN7rocprim17ROCPRIM_400000_NS6detail17trampoline_kernelINS0_14default_configENS1_22reduce_config_selectorIbEEZNS1_11reduce_implILb1ES3_N6hipcub16HIPCUB_304000_NS22TransformInputIteratorIbN2at6native12_GLOBAL__N_19NonZeroOpIfEEPKflEEPiiNS8_6detail34convert_binary_result_type_wrapperINS8_3SumESH_iEEEE10hipError_tPvRmT1_T2_T3_mT4_P12ihipStream_tbEUlT_E0_NS1_11comp_targetILNS1_3genE2ELNS1_11target_archE906ELNS1_3gpuE6ELNS1_3repE0EEENS1_30default_config_static_selectorELNS0_4arch9wavefront6targetE0EEEvSQ_,comdat
	.globl	_ZN7rocprim17ROCPRIM_400000_NS6detail17trampoline_kernelINS0_14default_configENS1_22reduce_config_selectorIbEEZNS1_11reduce_implILb1ES3_N6hipcub16HIPCUB_304000_NS22TransformInputIteratorIbN2at6native12_GLOBAL__N_19NonZeroOpIfEEPKflEEPiiNS8_6detail34convert_binary_result_type_wrapperINS8_3SumESH_iEEEE10hipError_tPvRmT1_T2_T3_mT4_P12ihipStream_tbEUlT_E0_NS1_11comp_targetILNS1_3genE2ELNS1_11target_archE906ELNS1_3gpuE6ELNS1_3repE0EEENS1_30default_config_static_selectorELNS0_4arch9wavefront6targetE0EEEvSQ_ ; -- Begin function _ZN7rocprim17ROCPRIM_400000_NS6detail17trampoline_kernelINS0_14default_configENS1_22reduce_config_selectorIbEEZNS1_11reduce_implILb1ES3_N6hipcub16HIPCUB_304000_NS22TransformInputIteratorIbN2at6native12_GLOBAL__N_19NonZeroOpIfEEPKflEEPiiNS8_6detail34convert_binary_result_type_wrapperINS8_3SumESH_iEEEE10hipError_tPvRmT1_T2_T3_mT4_P12ihipStream_tbEUlT_E0_NS1_11comp_targetILNS1_3genE2ELNS1_11target_archE906ELNS1_3gpuE6ELNS1_3repE0EEENS1_30default_config_static_selectorELNS0_4arch9wavefront6targetE0EEEvSQ_
	.p2align	8
	.type	_ZN7rocprim17ROCPRIM_400000_NS6detail17trampoline_kernelINS0_14default_configENS1_22reduce_config_selectorIbEEZNS1_11reduce_implILb1ES3_N6hipcub16HIPCUB_304000_NS22TransformInputIteratorIbN2at6native12_GLOBAL__N_19NonZeroOpIfEEPKflEEPiiNS8_6detail34convert_binary_result_type_wrapperINS8_3SumESH_iEEEE10hipError_tPvRmT1_T2_T3_mT4_P12ihipStream_tbEUlT_E0_NS1_11comp_targetILNS1_3genE2ELNS1_11target_archE906ELNS1_3gpuE6ELNS1_3repE0EEENS1_30default_config_static_selectorELNS0_4arch9wavefront6targetE0EEEvSQ_,@function
_ZN7rocprim17ROCPRIM_400000_NS6detail17trampoline_kernelINS0_14default_configENS1_22reduce_config_selectorIbEEZNS1_11reduce_implILb1ES3_N6hipcub16HIPCUB_304000_NS22TransformInputIteratorIbN2at6native12_GLOBAL__N_19NonZeroOpIfEEPKflEEPiiNS8_6detail34convert_binary_result_type_wrapperINS8_3SumESH_iEEEE10hipError_tPvRmT1_T2_T3_mT4_P12ihipStream_tbEUlT_E0_NS1_11comp_targetILNS1_3genE2ELNS1_11target_archE906ELNS1_3gpuE6ELNS1_3repE0EEENS1_30default_config_static_selectorELNS0_4arch9wavefront6targetE0EEEvSQ_: ; @_ZN7rocprim17ROCPRIM_400000_NS6detail17trampoline_kernelINS0_14default_configENS1_22reduce_config_selectorIbEEZNS1_11reduce_implILb1ES3_N6hipcub16HIPCUB_304000_NS22TransformInputIteratorIbN2at6native12_GLOBAL__N_19NonZeroOpIfEEPKflEEPiiNS8_6detail34convert_binary_result_type_wrapperINS8_3SumESH_iEEEE10hipError_tPvRmT1_T2_T3_mT4_P12ihipStream_tbEUlT_E0_NS1_11comp_targetILNS1_3genE2ELNS1_11target_archE906ELNS1_3gpuE6ELNS1_3repE0EEENS1_30default_config_static_selectorELNS0_4arch9wavefront6targetE0EEEvSQ_
; %bb.0:
	.section	.rodata,"a",@progbits
	.p2align	6, 0x0
	.amdhsa_kernel _ZN7rocprim17ROCPRIM_400000_NS6detail17trampoline_kernelINS0_14default_configENS1_22reduce_config_selectorIbEEZNS1_11reduce_implILb1ES3_N6hipcub16HIPCUB_304000_NS22TransformInputIteratorIbN2at6native12_GLOBAL__N_19NonZeroOpIfEEPKflEEPiiNS8_6detail34convert_binary_result_type_wrapperINS8_3SumESH_iEEEE10hipError_tPvRmT1_T2_T3_mT4_P12ihipStream_tbEUlT_E0_NS1_11comp_targetILNS1_3genE2ELNS1_11target_archE906ELNS1_3gpuE6ELNS1_3repE0EEENS1_30default_config_static_selectorELNS0_4arch9wavefront6targetE0EEEvSQ_
		.amdhsa_group_segment_fixed_size 0
		.amdhsa_private_segment_fixed_size 0
		.amdhsa_kernarg_size 64
		.amdhsa_user_sgpr_count 2
		.amdhsa_user_sgpr_dispatch_ptr 0
		.amdhsa_user_sgpr_queue_ptr 0
		.amdhsa_user_sgpr_kernarg_segment_ptr 1
		.amdhsa_user_sgpr_dispatch_id 0
		.amdhsa_user_sgpr_private_segment_size 0
		.amdhsa_wavefront_size32 1
		.amdhsa_uses_dynamic_stack 0
		.amdhsa_enable_private_segment 0
		.amdhsa_system_sgpr_workgroup_id_x 1
		.amdhsa_system_sgpr_workgroup_id_y 0
		.amdhsa_system_sgpr_workgroup_id_z 0
		.amdhsa_system_sgpr_workgroup_info 0
		.amdhsa_system_vgpr_workitem_id 0
		.amdhsa_next_free_vgpr 1
		.amdhsa_next_free_sgpr 1
		.amdhsa_reserve_vcc 0
		.amdhsa_float_round_mode_32 0
		.amdhsa_float_round_mode_16_64 0
		.amdhsa_float_denorm_mode_32 3
		.amdhsa_float_denorm_mode_16_64 3
		.amdhsa_fp16_overflow 0
		.amdhsa_workgroup_processor_mode 1
		.amdhsa_memory_ordered 1
		.amdhsa_forward_progress 1
		.amdhsa_inst_pref_size 0
		.amdhsa_round_robin_scheduling 0
		.amdhsa_exception_fp_ieee_invalid_op 0
		.amdhsa_exception_fp_denorm_src 0
		.amdhsa_exception_fp_ieee_div_zero 0
		.amdhsa_exception_fp_ieee_overflow 0
		.amdhsa_exception_fp_ieee_underflow 0
		.amdhsa_exception_fp_ieee_inexact 0
		.amdhsa_exception_int_div_zero 0
	.end_amdhsa_kernel
	.section	.text._ZN7rocprim17ROCPRIM_400000_NS6detail17trampoline_kernelINS0_14default_configENS1_22reduce_config_selectorIbEEZNS1_11reduce_implILb1ES3_N6hipcub16HIPCUB_304000_NS22TransformInputIteratorIbN2at6native12_GLOBAL__N_19NonZeroOpIfEEPKflEEPiiNS8_6detail34convert_binary_result_type_wrapperINS8_3SumESH_iEEEE10hipError_tPvRmT1_T2_T3_mT4_P12ihipStream_tbEUlT_E0_NS1_11comp_targetILNS1_3genE2ELNS1_11target_archE906ELNS1_3gpuE6ELNS1_3repE0EEENS1_30default_config_static_selectorELNS0_4arch9wavefront6targetE0EEEvSQ_,"axG",@progbits,_ZN7rocprim17ROCPRIM_400000_NS6detail17trampoline_kernelINS0_14default_configENS1_22reduce_config_selectorIbEEZNS1_11reduce_implILb1ES3_N6hipcub16HIPCUB_304000_NS22TransformInputIteratorIbN2at6native12_GLOBAL__N_19NonZeroOpIfEEPKflEEPiiNS8_6detail34convert_binary_result_type_wrapperINS8_3SumESH_iEEEE10hipError_tPvRmT1_T2_T3_mT4_P12ihipStream_tbEUlT_E0_NS1_11comp_targetILNS1_3genE2ELNS1_11target_archE906ELNS1_3gpuE6ELNS1_3repE0EEENS1_30default_config_static_selectorELNS0_4arch9wavefront6targetE0EEEvSQ_,comdat
.Lfunc_end444:
	.size	_ZN7rocprim17ROCPRIM_400000_NS6detail17trampoline_kernelINS0_14default_configENS1_22reduce_config_selectorIbEEZNS1_11reduce_implILb1ES3_N6hipcub16HIPCUB_304000_NS22TransformInputIteratorIbN2at6native12_GLOBAL__N_19NonZeroOpIfEEPKflEEPiiNS8_6detail34convert_binary_result_type_wrapperINS8_3SumESH_iEEEE10hipError_tPvRmT1_T2_T3_mT4_P12ihipStream_tbEUlT_E0_NS1_11comp_targetILNS1_3genE2ELNS1_11target_archE906ELNS1_3gpuE6ELNS1_3repE0EEENS1_30default_config_static_selectorELNS0_4arch9wavefront6targetE0EEEvSQ_, .Lfunc_end444-_ZN7rocprim17ROCPRIM_400000_NS6detail17trampoline_kernelINS0_14default_configENS1_22reduce_config_selectorIbEEZNS1_11reduce_implILb1ES3_N6hipcub16HIPCUB_304000_NS22TransformInputIteratorIbN2at6native12_GLOBAL__N_19NonZeroOpIfEEPKflEEPiiNS8_6detail34convert_binary_result_type_wrapperINS8_3SumESH_iEEEE10hipError_tPvRmT1_T2_T3_mT4_P12ihipStream_tbEUlT_E0_NS1_11comp_targetILNS1_3genE2ELNS1_11target_archE906ELNS1_3gpuE6ELNS1_3repE0EEENS1_30default_config_static_selectorELNS0_4arch9wavefront6targetE0EEEvSQ_
                                        ; -- End function
	.set _ZN7rocprim17ROCPRIM_400000_NS6detail17trampoline_kernelINS0_14default_configENS1_22reduce_config_selectorIbEEZNS1_11reduce_implILb1ES3_N6hipcub16HIPCUB_304000_NS22TransformInputIteratorIbN2at6native12_GLOBAL__N_19NonZeroOpIfEEPKflEEPiiNS8_6detail34convert_binary_result_type_wrapperINS8_3SumESH_iEEEE10hipError_tPvRmT1_T2_T3_mT4_P12ihipStream_tbEUlT_E0_NS1_11comp_targetILNS1_3genE2ELNS1_11target_archE906ELNS1_3gpuE6ELNS1_3repE0EEENS1_30default_config_static_selectorELNS0_4arch9wavefront6targetE0EEEvSQ_.num_vgpr, 0
	.set _ZN7rocprim17ROCPRIM_400000_NS6detail17trampoline_kernelINS0_14default_configENS1_22reduce_config_selectorIbEEZNS1_11reduce_implILb1ES3_N6hipcub16HIPCUB_304000_NS22TransformInputIteratorIbN2at6native12_GLOBAL__N_19NonZeroOpIfEEPKflEEPiiNS8_6detail34convert_binary_result_type_wrapperINS8_3SumESH_iEEEE10hipError_tPvRmT1_T2_T3_mT4_P12ihipStream_tbEUlT_E0_NS1_11comp_targetILNS1_3genE2ELNS1_11target_archE906ELNS1_3gpuE6ELNS1_3repE0EEENS1_30default_config_static_selectorELNS0_4arch9wavefront6targetE0EEEvSQ_.num_agpr, 0
	.set _ZN7rocprim17ROCPRIM_400000_NS6detail17trampoline_kernelINS0_14default_configENS1_22reduce_config_selectorIbEEZNS1_11reduce_implILb1ES3_N6hipcub16HIPCUB_304000_NS22TransformInputIteratorIbN2at6native12_GLOBAL__N_19NonZeroOpIfEEPKflEEPiiNS8_6detail34convert_binary_result_type_wrapperINS8_3SumESH_iEEEE10hipError_tPvRmT1_T2_T3_mT4_P12ihipStream_tbEUlT_E0_NS1_11comp_targetILNS1_3genE2ELNS1_11target_archE906ELNS1_3gpuE6ELNS1_3repE0EEENS1_30default_config_static_selectorELNS0_4arch9wavefront6targetE0EEEvSQ_.numbered_sgpr, 0
	.set _ZN7rocprim17ROCPRIM_400000_NS6detail17trampoline_kernelINS0_14default_configENS1_22reduce_config_selectorIbEEZNS1_11reduce_implILb1ES3_N6hipcub16HIPCUB_304000_NS22TransformInputIteratorIbN2at6native12_GLOBAL__N_19NonZeroOpIfEEPKflEEPiiNS8_6detail34convert_binary_result_type_wrapperINS8_3SumESH_iEEEE10hipError_tPvRmT1_T2_T3_mT4_P12ihipStream_tbEUlT_E0_NS1_11comp_targetILNS1_3genE2ELNS1_11target_archE906ELNS1_3gpuE6ELNS1_3repE0EEENS1_30default_config_static_selectorELNS0_4arch9wavefront6targetE0EEEvSQ_.num_named_barrier, 0
	.set _ZN7rocprim17ROCPRIM_400000_NS6detail17trampoline_kernelINS0_14default_configENS1_22reduce_config_selectorIbEEZNS1_11reduce_implILb1ES3_N6hipcub16HIPCUB_304000_NS22TransformInputIteratorIbN2at6native12_GLOBAL__N_19NonZeroOpIfEEPKflEEPiiNS8_6detail34convert_binary_result_type_wrapperINS8_3SumESH_iEEEE10hipError_tPvRmT1_T2_T3_mT4_P12ihipStream_tbEUlT_E0_NS1_11comp_targetILNS1_3genE2ELNS1_11target_archE906ELNS1_3gpuE6ELNS1_3repE0EEENS1_30default_config_static_selectorELNS0_4arch9wavefront6targetE0EEEvSQ_.private_seg_size, 0
	.set _ZN7rocprim17ROCPRIM_400000_NS6detail17trampoline_kernelINS0_14default_configENS1_22reduce_config_selectorIbEEZNS1_11reduce_implILb1ES3_N6hipcub16HIPCUB_304000_NS22TransformInputIteratorIbN2at6native12_GLOBAL__N_19NonZeroOpIfEEPKflEEPiiNS8_6detail34convert_binary_result_type_wrapperINS8_3SumESH_iEEEE10hipError_tPvRmT1_T2_T3_mT4_P12ihipStream_tbEUlT_E0_NS1_11comp_targetILNS1_3genE2ELNS1_11target_archE906ELNS1_3gpuE6ELNS1_3repE0EEENS1_30default_config_static_selectorELNS0_4arch9wavefront6targetE0EEEvSQ_.uses_vcc, 0
	.set _ZN7rocprim17ROCPRIM_400000_NS6detail17trampoline_kernelINS0_14default_configENS1_22reduce_config_selectorIbEEZNS1_11reduce_implILb1ES3_N6hipcub16HIPCUB_304000_NS22TransformInputIteratorIbN2at6native12_GLOBAL__N_19NonZeroOpIfEEPKflEEPiiNS8_6detail34convert_binary_result_type_wrapperINS8_3SumESH_iEEEE10hipError_tPvRmT1_T2_T3_mT4_P12ihipStream_tbEUlT_E0_NS1_11comp_targetILNS1_3genE2ELNS1_11target_archE906ELNS1_3gpuE6ELNS1_3repE0EEENS1_30default_config_static_selectorELNS0_4arch9wavefront6targetE0EEEvSQ_.uses_flat_scratch, 0
	.set _ZN7rocprim17ROCPRIM_400000_NS6detail17trampoline_kernelINS0_14default_configENS1_22reduce_config_selectorIbEEZNS1_11reduce_implILb1ES3_N6hipcub16HIPCUB_304000_NS22TransformInputIteratorIbN2at6native12_GLOBAL__N_19NonZeroOpIfEEPKflEEPiiNS8_6detail34convert_binary_result_type_wrapperINS8_3SumESH_iEEEE10hipError_tPvRmT1_T2_T3_mT4_P12ihipStream_tbEUlT_E0_NS1_11comp_targetILNS1_3genE2ELNS1_11target_archE906ELNS1_3gpuE6ELNS1_3repE0EEENS1_30default_config_static_selectorELNS0_4arch9wavefront6targetE0EEEvSQ_.has_dyn_sized_stack, 0
	.set _ZN7rocprim17ROCPRIM_400000_NS6detail17trampoline_kernelINS0_14default_configENS1_22reduce_config_selectorIbEEZNS1_11reduce_implILb1ES3_N6hipcub16HIPCUB_304000_NS22TransformInputIteratorIbN2at6native12_GLOBAL__N_19NonZeroOpIfEEPKflEEPiiNS8_6detail34convert_binary_result_type_wrapperINS8_3SumESH_iEEEE10hipError_tPvRmT1_T2_T3_mT4_P12ihipStream_tbEUlT_E0_NS1_11comp_targetILNS1_3genE2ELNS1_11target_archE906ELNS1_3gpuE6ELNS1_3repE0EEENS1_30default_config_static_selectorELNS0_4arch9wavefront6targetE0EEEvSQ_.has_recursion, 0
	.set _ZN7rocprim17ROCPRIM_400000_NS6detail17trampoline_kernelINS0_14default_configENS1_22reduce_config_selectorIbEEZNS1_11reduce_implILb1ES3_N6hipcub16HIPCUB_304000_NS22TransformInputIteratorIbN2at6native12_GLOBAL__N_19NonZeroOpIfEEPKflEEPiiNS8_6detail34convert_binary_result_type_wrapperINS8_3SumESH_iEEEE10hipError_tPvRmT1_T2_T3_mT4_P12ihipStream_tbEUlT_E0_NS1_11comp_targetILNS1_3genE2ELNS1_11target_archE906ELNS1_3gpuE6ELNS1_3repE0EEENS1_30default_config_static_selectorELNS0_4arch9wavefront6targetE0EEEvSQ_.has_indirect_call, 0
	.section	.AMDGPU.csdata,"",@progbits
; Kernel info:
; codeLenInByte = 0
; TotalNumSgprs: 0
; NumVgprs: 0
; ScratchSize: 0
; MemoryBound: 0
; FloatMode: 240
; IeeeMode: 1
; LDSByteSize: 0 bytes/workgroup (compile time only)
; SGPRBlocks: 0
; VGPRBlocks: 0
; NumSGPRsForWavesPerEU: 1
; NumVGPRsForWavesPerEU: 1
; Occupancy: 16
; WaveLimiterHint : 0
; COMPUTE_PGM_RSRC2:SCRATCH_EN: 0
; COMPUTE_PGM_RSRC2:USER_SGPR: 2
; COMPUTE_PGM_RSRC2:TRAP_HANDLER: 0
; COMPUTE_PGM_RSRC2:TGID_X_EN: 1
; COMPUTE_PGM_RSRC2:TGID_Y_EN: 0
; COMPUTE_PGM_RSRC2:TGID_Z_EN: 0
; COMPUTE_PGM_RSRC2:TIDIG_COMP_CNT: 0
	.section	.text._ZN7rocprim17ROCPRIM_400000_NS6detail17trampoline_kernelINS0_14default_configENS1_22reduce_config_selectorIbEEZNS1_11reduce_implILb1ES3_N6hipcub16HIPCUB_304000_NS22TransformInputIteratorIbN2at6native12_GLOBAL__N_19NonZeroOpIfEEPKflEEPiiNS8_6detail34convert_binary_result_type_wrapperINS8_3SumESH_iEEEE10hipError_tPvRmT1_T2_T3_mT4_P12ihipStream_tbEUlT_E0_NS1_11comp_targetILNS1_3genE10ELNS1_11target_archE1201ELNS1_3gpuE5ELNS1_3repE0EEENS1_30default_config_static_selectorELNS0_4arch9wavefront6targetE0EEEvSQ_,"axG",@progbits,_ZN7rocprim17ROCPRIM_400000_NS6detail17trampoline_kernelINS0_14default_configENS1_22reduce_config_selectorIbEEZNS1_11reduce_implILb1ES3_N6hipcub16HIPCUB_304000_NS22TransformInputIteratorIbN2at6native12_GLOBAL__N_19NonZeroOpIfEEPKflEEPiiNS8_6detail34convert_binary_result_type_wrapperINS8_3SumESH_iEEEE10hipError_tPvRmT1_T2_T3_mT4_P12ihipStream_tbEUlT_E0_NS1_11comp_targetILNS1_3genE10ELNS1_11target_archE1201ELNS1_3gpuE5ELNS1_3repE0EEENS1_30default_config_static_selectorELNS0_4arch9wavefront6targetE0EEEvSQ_,comdat
	.globl	_ZN7rocprim17ROCPRIM_400000_NS6detail17trampoline_kernelINS0_14default_configENS1_22reduce_config_selectorIbEEZNS1_11reduce_implILb1ES3_N6hipcub16HIPCUB_304000_NS22TransformInputIteratorIbN2at6native12_GLOBAL__N_19NonZeroOpIfEEPKflEEPiiNS8_6detail34convert_binary_result_type_wrapperINS8_3SumESH_iEEEE10hipError_tPvRmT1_T2_T3_mT4_P12ihipStream_tbEUlT_E0_NS1_11comp_targetILNS1_3genE10ELNS1_11target_archE1201ELNS1_3gpuE5ELNS1_3repE0EEENS1_30default_config_static_selectorELNS0_4arch9wavefront6targetE0EEEvSQ_ ; -- Begin function _ZN7rocprim17ROCPRIM_400000_NS6detail17trampoline_kernelINS0_14default_configENS1_22reduce_config_selectorIbEEZNS1_11reduce_implILb1ES3_N6hipcub16HIPCUB_304000_NS22TransformInputIteratorIbN2at6native12_GLOBAL__N_19NonZeroOpIfEEPKflEEPiiNS8_6detail34convert_binary_result_type_wrapperINS8_3SumESH_iEEEE10hipError_tPvRmT1_T2_T3_mT4_P12ihipStream_tbEUlT_E0_NS1_11comp_targetILNS1_3genE10ELNS1_11target_archE1201ELNS1_3gpuE5ELNS1_3repE0EEENS1_30default_config_static_selectorELNS0_4arch9wavefront6targetE0EEEvSQ_
	.p2align	8
	.type	_ZN7rocprim17ROCPRIM_400000_NS6detail17trampoline_kernelINS0_14default_configENS1_22reduce_config_selectorIbEEZNS1_11reduce_implILb1ES3_N6hipcub16HIPCUB_304000_NS22TransformInputIteratorIbN2at6native12_GLOBAL__N_19NonZeroOpIfEEPKflEEPiiNS8_6detail34convert_binary_result_type_wrapperINS8_3SumESH_iEEEE10hipError_tPvRmT1_T2_T3_mT4_P12ihipStream_tbEUlT_E0_NS1_11comp_targetILNS1_3genE10ELNS1_11target_archE1201ELNS1_3gpuE5ELNS1_3repE0EEENS1_30default_config_static_selectorELNS0_4arch9wavefront6targetE0EEEvSQ_,@function
_ZN7rocprim17ROCPRIM_400000_NS6detail17trampoline_kernelINS0_14default_configENS1_22reduce_config_selectorIbEEZNS1_11reduce_implILb1ES3_N6hipcub16HIPCUB_304000_NS22TransformInputIteratorIbN2at6native12_GLOBAL__N_19NonZeroOpIfEEPKflEEPiiNS8_6detail34convert_binary_result_type_wrapperINS8_3SumESH_iEEEE10hipError_tPvRmT1_T2_T3_mT4_P12ihipStream_tbEUlT_E0_NS1_11comp_targetILNS1_3genE10ELNS1_11target_archE1201ELNS1_3gpuE5ELNS1_3repE0EEENS1_30default_config_static_selectorELNS0_4arch9wavefront6targetE0EEEvSQ_: ; @_ZN7rocprim17ROCPRIM_400000_NS6detail17trampoline_kernelINS0_14default_configENS1_22reduce_config_selectorIbEEZNS1_11reduce_implILb1ES3_N6hipcub16HIPCUB_304000_NS22TransformInputIteratorIbN2at6native12_GLOBAL__N_19NonZeroOpIfEEPKflEEPiiNS8_6detail34convert_binary_result_type_wrapperINS8_3SumESH_iEEEE10hipError_tPvRmT1_T2_T3_mT4_P12ihipStream_tbEUlT_E0_NS1_11comp_targetILNS1_3genE10ELNS1_11target_archE1201ELNS1_3gpuE5ELNS1_3repE0EEENS1_30default_config_static_selectorELNS0_4arch9wavefront6targetE0EEEvSQ_
; %bb.0:
	s_clause 0x2
	s_load_b256 s[16:23], s[0:1], 0x10
	s_load_b64 s[4:5], s[0:1], 0x0
	s_load_b64 s[26:27], s[0:1], 0x30
	s_lshl_b32 s2, ttmp9, 12
	s_mov_b32 s3, 0
	v_mbcnt_lo_u32_b32 v18, -1, 0
	v_lshlrev_b32_e32 v19, 2, v0
	s_mov_b32 s24, ttmp9
	s_mov_b32 s25, s3
	s_wait_kmcnt 0x0
	s_lshl_b64 s[6:7], s[16:17], 2
	s_lshr_b64 s[8:9], s[18:19], 12
	s_add_nc_u64 s[4:5], s[4:5], s[6:7]
	s_lshl_b64 s[6:7], s[2:3], 2
	s_cmp_lg_u64 s[8:9], s[24:25]
	s_add_nc_u64 s[16:17], s[4:5], s[6:7]
	s_cbranch_scc0 .LBB445_6
; %bb.1:
	s_clause 0xf
	global_load_b32 v1, v19, s[16:17]
	global_load_b32 v2, v19, s[16:17] offset:2048
	global_load_b32 v3, v19, s[16:17] offset:1024
	;; [unrolled: 1-line block ×15, first 2 shown]
	s_mov_b32 s3, exec_lo
	s_wait_loadcnt 0xf
	v_cmp_neq_f32_e32 vcc_lo, 0, v1
	v_cndmask_b32_e64 v1, 0, 1, vcc_lo
	s_wait_loadcnt 0xe
	v_cmp_neq_f32_e32 vcc_lo, 0, v2
	s_wait_alu 0xfffd
	v_cndmask_b32_e64 v2, 0, 1, vcc_lo
	s_wait_loadcnt 0xd
	v_cmp_neq_f32_e32 vcc_lo, 0, v3
	s_wait_alu 0xfffd
	v_add_co_ci_u32_e64 v1, null, 0, v1, vcc_lo
	s_wait_loadcnt 0xc
	v_cmp_neq_f32_e32 vcc_lo, 0, v4
	s_wait_alu 0xfffd
	v_cndmask_b32_e64 v3, 0, 1, vcc_lo
	s_wait_loadcnt 0xb
	v_cmp_neq_f32_e32 vcc_lo, 0, v5
	s_wait_alu 0xfffd
	v_add_co_ci_u32_e64 v1, null, v1, v2, vcc_lo
	;; [unrolled: 8-line block ×7, first 2 shown]
	s_wait_loadcnt 0x0
	v_cmp_neq_f32_e32 vcc_lo, 0, v16
	s_wait_alu 0xfffd
	s_delay_alu instid0(VALU_DEP_2) | instskip(NEXT) | instid1(VALU_DEP_1)
	v_add_co_ci_u32_e64 v1, null, v1, v2, vcc_lo
	v_mov_b32_dpp v2, v1 quad_perm:[1,0,3,2] row_mask:0xf bank_mask:0xf
	s_delay_alu instid0(VALU_DEP_1) | instskip(NEXT) | instid1(VALU_DEP_1)
	v_add_nc_u32_e32 v1, v1, v2
	v_mov_b32_dpp v2, v1 quad_perm:[2,3,0,1] row_mask:0xf bank_mask:0xf
	s_delay_alu instid0(VALU_DEP_1) | instskip(NEXT) | instid1(VALU_DEP_1)
	v_add_nc_u32_e32 v1, v1, v2
	v_mov_b32_dpp v2, v1 row_ror:4 row_mask:0xf bank_mask:0xf
	s_delay_alu instid0(VALU_DEP_1) | instskip(NEXT) | instid1(VALU_DEP_1)
	v_add_nc_u32_e32 v1, v1, v2
	v_mov_b32_dpp v2, v1 row_ror:8 row_mask:0xf bank_mask:0xf
	s_delay_alu instid0(VALU_DEP_1)
	v_add_nc_u32_e32 v1, v1, v2
	ds_swizzle_b32 v2, v1 offset:swizzle(BROADCAST,32,15)
	s_wait_dscnt 0x0
	v_dual_mov_b32 v2, 0 :: v_dual_add_nc_u32 v1, v1, v2
	ds_bpermute_b32 v1, v2, v1 offset:124
	v_cmpx_eq_u32_e32 0, v18
	s_cbranch_execz .LBB445_3
; %bb.2:
	v_lshrrev_b32_e32 v2, 3, v0
	s_delay_alu instid0(VALU_DEP_1)
	v_and_b32_e32 v2, 28, v2
	s_wait_dscnt 0x0
	ds_store_b32 v2, v1
.LBB445_3:
	s_or_b32 exec_lo, exec_lo, s3
	s_delay_alu instid0(SALU_CYCLE_1)
	s_mov_b32 s3, exec_lo
	s_wait_dscnt 0x0
	s_barrier_signal -1
	s_barrier_wait -1
	global_inv scope:SCOPE_SE
	v_cmpx_gt_u32_e32 32, v0
	s_cbranch_execz .LBB445_5
; %bb.4:
	v_and_b32_e32 v1, 7, v18
	s_delay_alu instid0(VALU_DEP_1)
	v_lshlrev_b32_e32 v2, 2, v1
	v_cmp_ne_u32_e32 vcc_lo, 7, v1
	ds_load_b32 v2, v2
	s_wait_alu 0xfffd
	v_add_co_ci_u32_e64 v3, null, 0, v18, vcc_lo
	v_cmp_gt_u32_e32 vcc_lo, 6, v1
	s_delay_alu instid0(VALU_DEP_2) | instskip(SKIP_2) | instid1(VALU_DEP_1)
	v_lshlrev_b32_e32 v3, 2, v3
	s_wait_alu 0xfffd
	v_cndmask_b32_e64 v1, 0, 2, vcc_lo
	v_add_lshl_u32 v1, v1, v18, 2
	s_wait_dscnt 0x0
	ds_bpermute_b32 v3, v3, v2
	s_wait_dscnt 0x0
	v_add_nc_u32_e32 v2, v3, v2
	v_lshlrev_b32_e32 v3, 2, v18
	ds_bpermute_b32 v1, v1, v2
	s_wait_dscnt 0x0
	v_add_nc_u32_e32 v1, v1, v2
	v_or_b32_e32 v2, 16, v3
	ds_bpermute_b32 v2, v2, v1
	s_wait_dscnt 0x0
	v_add_nc_u32_e32 v1, v2, v1
.LBB445_5:
	s_or_b32 exec_lo, exec_lo, s3
	s_branch .LBB445_44
.LBB445_6:
                                        ; implicit-def: $vgpr1
	s_cbranch_execz .LBB445_44
; %bb.7:
	v_mov_b32_e32 v1, 0
	s_sub_co_i32 s28, s18, s2
	s_mov_b32 s2, exec_lo
	s_delay_alu instid0(VALU_DEP_1)
	v_dual_mov_b32 v2, v1 :: v_dual_mov_b32 v3, v1
	v_dual_mov_b32 v4, v1 :: v_dual_mov_b32 v5, v1
	;; [unrolled: 1-line block ×7, first 2 shown]
	v_mov_b32_e32 v16, v1
	v_cmpx_gt_u32_e64 s28, v0
	s_cbranch_execz .LBB445_9
; %bb.8:
	global_load_b32 v2, v19, s[16:17]
	v_dual_mov_b32 v3, v1 :: v_dual_mov_b32 v4, v1
	v_dual_mov_b32 v5, v1 :: v_dual_mov_b32 v6, v1
	;; [unrolled: 1-line block ×7, first 2 shown]
	v_mov_b32_e32 v17, v1
	s_wait_loadcnt 0x0
	v_cmp_neq_f32_e32 vcc_lo, 0, v2
	v_cndmask_b32_e64 v2, 0, 1, vcc_lo
	s_delay_alu instid0(VALU_DEP_1) | instskip(NEXT) | instid1(VALU_DEP_1)
	v_and_b32_e32 v2, 0xffff, v2
	v_mov_b32_e32 v1, v2
	v_mov_b32_e32 v2, v3
	;; [unrolled: 1-line block ×16, first 2 shown]
.LBB445_9:
	s_or_b32 exec_lo, exec_lo, s2
	v_or_b32_e32 v17, 0x100, v0
	s_delay_alu instid0(VALU_DEP_1)
	v_cmp_gt_u32_e32 vcc_lo, s28, v17
	s_and_saveexec_b32 s3, vcc_lo
	s_cbranch_execz .LBB445_11
; %bb.10:
	global_load_b32 v2, v19, s[16:17] offset:1024
	s_wait_loadcnt 0x0
	v_cmp_neq_f32_e64 s2, 0, v2
	s_delay_alu instid0(VALU_DEP_1)
	v_cndmask_b32_e64 v2, 0, 1, s2
.LBB445_11:
	s_or_b32 exec_lo, exec_lo, s3
	v_or_b32_e32 v17, 0x200, v0
	s_delay_alu instid0(VALU_DEP_1)
	v_cmp_gt_u32_e64 s2, s28, v17
	s_and_saveexec_b32 s4, s2
	s_cbranch_execz .LBB445_13
; %bb.12:
	global_load_b32 v3, v19, s[16:17] offset:2048
	s_wait_loadcnt 0x0
	v_cmp_neq_f32_e64 s3, 0, v3
	s_wait_alu 0xf1ff
	s_delay_alu instid0(VALU_DEP_1)
	v_cndmask_b32_e64 v3, 0, 1, s3
.LBB445_13:
	s_or_b32 exec_lo, exec_lo, s4
	v_or_b32_e32 v17, 0x300, v0
	s_delay_alu instid0(VALU_DEP_1)
	v_cmp_gt_u32_e64 s3, s28, v17
	s_and_saveexec_b32 s5, s3
	s_cbranch_execz .LBB445_15
; %bb.14:
	global_load_b32 v4, v19, s[16:17] offset:3072
	s_wait_loadcnt 0x0
	v_cmp_neq_f32_e64 s4, 0, v4
	s_delay_alu instid0(VALU_DEP_1)
	v_cndmask_b32_e64 v4, 0, 1, s4
.LBB445_15:
	s_or_b32 exec_lo, exec_lo, s5
	v_or_b32_e32 v17, 0x400, v0
	s_delay_alu instid0(VALU_DEP_1)
	v_cmp_gt_u32_e64 s4, s28, v17
	s_and_saveexec_b32 s6, s4
	s_cbranch_execz .LBB445_17
; %bb.16:
	global_load_b32 v5, v19, s[16:17] offset:4096
	s_wait_loadcnt 0x0
	v_cmp_neq_f32_e64 s5, 0, v5
	s_wait_alu 0xf1ff
	s_delay_alu instid0(VALU_DEP_1)
	v_cndmask_b32_e64 v5, 0, 1, s5
.LBB445_17:
	s_or_b32 exec_lo, exec_lo, s6
	v_or_b32_e32 v17, 0x500, v0
	s_delay_alu instid0(VALU_DEP_1)
	v_cmp_gt_u32_e64 s5, s28, v17
	s_and_saveexec_b32 s7, s5
	;; [unrolled: 27-line block ×6, first 2 shown]
	s_cbranch_execz .LBB445_35
; %bb.34:
	global_load_b32 v14, v19, s[16:17] offset:13312
	s_wait_loadcnt 0x0
	v_cmp_neq_f32_e64 s14, 0, v14
	s_delay_alu instid0(VALU_DEP_1)
	v_cndmask_b32_e64 v14, 0, 1, s14
.LBB445_35:
	s_or_b32 exec_lo, exec_lo, s15
	v_or_b32_e32 v17, 0xe00, v0
	s_delay_alu instid0(VALU_DEP_1)
	v_cmp_gt_u32_e64 s14, s28, v17
	s_and_saveexec_b32 s29, s14
	s_cbranch_execz .LBB445_37
; %bb.36:
	global_load_b32 v15, v19, s[16:17] offset:14336
	s_wait_loadcnt 0x0
	v_cmp_neq_f32_e64 s15, 0, v15
	s_wait_alu 0xf1ff
	s_delay_alu instid0(VALU_DEP_1)
	v_cndmask_b32_e64 v15, 0, 1, s15
.LBB445_37:
	s_wait_alu 0xfffe
	s_or_b32 exec_lo, exec_lo, s29
	v_or_b32_e32 v17, 0xf00, v0
	s_delay_alu instid0(VALU_DEP_1)
	v_cmp_gt_u32_e64 s15, s28, v17
	s_and_saveexec_b32 s29, s15
	s_cbranch_execz .LBB445_39
; %bb.38:
	global_load_b32 v16, v19, s[16:17] offset:15360
	s_wait_loadcnt 0x0
	v_cmp_neq_f32_e64 s16, 0, v16
	s_delay_alu instid0(VALU_DEP_1)
	v_cndmask_b32_e64 v16, 0, 1, s16
.LBB445_39:
	s_wait_alu 0xfffe
	s_or_b32 exec_lo, exec_lo, s29
	v_cndmask_b32_e32 v2, 0, v2, vcc_lo
	v_cndmask_b32_e64 v3, 0, v3, s2
	v_cndmask_b32_e64 v4, 0, v4, s3
	v_cmp_ne_u32_e32 vcc_lo, 31, v18
	s_min_u32 s2, s28, 0x100
	v_add_nc_u32_e32 v1, v2, v1
	v_cndmask_b32_e64 v2, 0, v5, s4
	v_cndmask_b32_e64 v5, 0, v6, s5
	;; [unrolled: 1-line block ×3, first 2 shown]
	s_mov_b32 s3, exec_lo
	v_add3_u32 v1, v1, v3, v4
	v_cndmask_b32_e64 v3, 0, v7, s6
	v_cndmask_b32_e64 v4, 0, v8, s7
	s_delay_alu instid0(VALU_DEP_3) | instskip(SKIP_2) | instid1(VALU_DEP_3)
	v_add3_u32 v1, v1, v2, v5
	v_cndmask_b32_e64 v2, 0, v9, s8
	v_cndmask_b32_e64 v5, 0, v10, s9
	v_add3_u32 v1, v1, v3, v4
	v_cndmask_b32_e64 v3, 0, v11, s10
	v_cndmask_b32_e64 v4, 0, v12, s11
	s_delay_alu instid0(VALU_DEP_3) | instskip(SKIP_2) | instid1(VALU_DEP_3)
	v_add3_u32 v1, v1, v2, v5
	v_cndmask_b32_e64 v2, 0, v13, s12
	v_cndmask_b32_e64 v5, 0, v14, s13
	v_add3_u32 v1, v1, v3, v4
	v_cndmask_b32_e64 v3, 0, v16, s15
	s_wait_alu 0xfffd
	v_add_co_ci_u32_e64 v4, null, 0, v18, vcc_lo
	v_cmp_gt_u32_e32 vcc_lo, 30, v18
	v_add3_u32 v1, v1, v2, v5
	s_delay_alu instid0(VALU_DEP_3)
	v_lshlrev_b32_e32 v2, 2, v4
	v_add_nc_u32_e32 v4, 1, v18
	s_wait_alu 0xfffd
	v_cndmask_b32_e64 v5, 0, 2, vcc_lo
	v_add3_u32 v1, v1, v6, v3
	v_and_b32_e32 v3, 0xe0, v0
	ds_bpermute_b32 v2, v2, v1
	s_wait_alu 0xfffe
	v_sub_nc_u32_e64 v3, s2, v3 clamp
	s_delay_alu instid0(VALU_DEP_1)
	v_cmp_lt_u32_e32 vcc_lo, v4, v3
	v_add_lshl_u32 v4, v5, v18, 2
	s_wait_dscnt 0x0
	s_wait_alu 0xfffd
	v_cndmask_b32_e32 v2, 0, v2, vcc_lo
	v_cmp_gt_u32_e32 vcc_lo, 28, v18
	s_delay_alu instid0(VALU_DEP_2) | instskip(SKIP_4) | instid1(VALU_DEP_1)
	v_add_nc_u32_e32 v1, v1, v2
	s_wait_alu 0xfffd
	v_cndmask_b32_e64 v5, 0, 4, vcc_lo
	ds_bpermute_b32 v2, v4, v1
	v_add_nc_u32_e32 v4, 2, v18
	v_cmp_lt_u32_e32 vcc_lo, v4, v3
	v_add_lshl_u32 v4, v5, v18, 2
	s_wait_dscnt 0x0
	s_wait_alu 0xfffd
	v_cndmask_b32_e32 v2, 0, v2, vcc_lo
	v_cmp_gt_u32_e32 vcc_lo, 24, v18
	s_delay_alu instid0(VALU_DEP_2) | instskip(SKIP_4) | instid1(VALU_DEP_1)
	v_add_nc_u32_e32 v1, v1, v2
	s_wait_alu 0xfffd
	v_cndmask_b32_e64 v5, 0, 8, vcc_lo
	ds_bpermute_b32 v2, v4, v1
	v_add_nc_u32_e32 v4, 4, v18
	v_cmp_lt_u32_e32 vcc_lo, v4, v3
	v_add_lshl_u32 v4, v5, v18, 2
	v_add_nc_u32_e32 v5, 8, v18
	s_wait_dscnt 0x0
	s_wait_alu 0xfffd
	v_cndmask_b32_e32 v2, 0, v2, vcc_lo
	s_delay_alu instid0(VALU_DEP_2) | instskip(NEXT) | instid1(VALU_DEP_2)
	v_cmp_lt_u32_e32 vcc_lo, v5, v3
	v_add_nc_u32_e32 v1, v1, v2
	v_lshlrev_b32_e32 v2, 2, v18
	ds_bpermute_b32 v4, v4, v1
	v_or_b32_e32 v5, 64, v2
	s_wait_dscnt 0x0
	s_wait_alu 0xfffd
	v_cndmask_b32_e32 v4, 0, v4, vcc_lo
	s_delay_alu instid0(VALU_DEP_1) | instskip(SKIP_2) | instid1(VALU_DEP_1)
	v_add_nc_u32_e32 v1, v1, v4
	ds_bpermute_b32 v4, v5, v1
	v_add_nc_u32_e32 v5, 16, v18
	v_cmp_lt_u32_e32 vcc_lo, v5, v3
	s_wait_dscnt 0x0
	s_wait_alu 0xfffd
	v_cndmask_b32_e32 v3, 0, v4, vcc_lo
	s_delay_alu instid0(VALU_DEP_1)
	v_add_nc_u32_e32 v1, v1, v3
	v_cmpx_eq_u32_e32 0, v18
; %bb.40:
	v_lshrrev_b32_e32 v3, 3, v0
	s_delay_alu instid0(VALU_DEP_1)
	v_and_b32_e32 v3, 28, v3
	ds_store_b32 v3, v1 offset:32
; %bb.41:
	s_or_b32 exec_lo, exec_lo, s3
	s_delay_alu instid0(SALU_CYCLE_1)
	s_mov_b32 s3, exec_lo
	s_wait_loadcnt_dscnt 0x0
	s_barrier_signal -1
	s_barrier_wait -1
	global_inv scope:SCOPE_SE
	v_cmpx_gt_u32_e32 8, v0
	s_cbranch_execz .LBB445_43
; %bb.42:
	ds_load_b32 v1, v2 offset:32
	v_and_b32_e32 v3, 7, v18
	s_add_co_i32 s2, s2, 31
	v_or_b32_e32 v2, 16, v2
	s_wait_alu 0xfffe
	s_lshr_b32 s2, s2, 5
	v_cmp_ne_u32_e32 vcc_lo, 7, v3
	v_add_nc_u32_e32 v5, 1, v3
	s_wait_alu 0xfffd
	v_add_co_ci_u32_e64 v4, null, 0, v18, vcc_lo
	v_cmp_gt_u32_e32 vcc_lo, 6, v3
	s_delay_alu instid0(VALU_DEP_2)
	v_lshlrev_b32_e32 v4, 2, v4
	s_wait_alu 0xfffd
	v_cndmask_b32_e64 v6, 0, 2, vcc_lo
	s_wait_alu 0xfffe
	v_cmp_gt_u32_e32 vcc_lo, s2, v5
	s_wait_dscnt 0x0
	ds_bpermute_b32 v4, v4, v1
	v_add_lshl_u32 v5, v6, v18, 2
	s_wait_dscnt 0x0
	s_wait_alu 0xfffd
	v_cndmask_b32_e32 v4, 0, v4, vcc_lo
	s_delay_alu instid0(VALU_DEP_1) | instskip(SKIP_3) | instid1(VALU_DEP_2)
	v_add_nc_u32_e32 v1, v4, v1
	ds_bpermute_b32 v4, v5, v1
	v_add_nc_u32_e32 v5, 2, v3
	v_add_nc_u32_e32 v3, 4, v3
	v_cmp_gt_u32_e32 vcc_lo, s2, v5
	s_wait_dscnt 0x0
	s_wait_alu 0xfffd
	v_cndmask_b32_e32 v4, 0, v4, vcc_lo
	v_cmp_gt_u32_e32 vcc_lo, s2, v3
	s_delay_alu instid0(VALU_DEP_2) | instskip(SKIP_4) | instid1(VALU_DEP_1)
	v_add_nc_u32_e32 v1, v1, v4
	ds_bpermute_b32 v2, v2, v1
	s_wait_dscnt 0x0
	s_wait_alu 0xfffd
	v_cndmask_b32_e32 v2, 0, v2, vcc_lo
	v_add_nc_u32_e32 v1, v1, v2
.LBB445_43:
	s_wait_alu 0xfffe
	s_or_b32 exec_lo, exec_lo, s3
.LBB445_44:
	s_load_b32 s0, s[0:1], 0x38
	s_mov_b32 s1, exec_lo
	v_cmpx_eq_u32_e32 0, v0
	s_cbranch_execz .LBB445_46
; %bb.45:
	s_mul_u64 s[2:3], s[26:27], s[22:23]
	s_wait_alu 0xfffe
	s_lshl_b64 s[2:3], s[2:3], 2
	s_cmp_eq_u64 s[18:19], 0
	s_wait_alu 0xfffe
	s_add_nc_u64 s[2:3], s[20:21], s[2:3]
	s_cselect_b32 s1, -1, 0
	s_wait_kmcnt 0x0
	v_cndmask_b32_e64 v0, v1, s0, s1
	v_mov_b32_e32 v1, 0
	s_lshl_b64 s[0:1], s[24:25], 2
	s_wait_alu 0xfffe
	s_add_nc_u64 s[0:1], s[2:3], s[0:1]
	global_store_b32 v1, v0, s[0:1]
.LBB445_46:
	s_endpgm
	.section	.rodata,"a",@progbits
	.p2align	6, 0x0
	.amdhsa_kernel _ZN7rocprim17ROCPRIM_400000_NS6detail17trampoline_kernelINS0_14default_configENS1_22reduce_config_selectorIbEEZNS1_11reduce_implILb1ES3_N6hipcub16HIPCUB_304000_NS22TransformInputIteratorIbN2at6native12_GLOBAL__N_19NonZeroOpIfEEPKflEEPiiNS8_6detail34convert_binary_result_type_wrapperINS8_3SumESH_iEEEE10hipError_tPvRmT1_T2_T3_mT4_P12ihipStream_tbEUlT_E0_NS1_11comp_targetILNS1_3genE10ELNS1_11target_archE1201ELNS1_3gpuE5ELNS1_3repE0EEENS1_30default_config_static_selectorELNS0_4arch9wavefront6targetE0EEEvSQ_
		.amdhsa_group_segment_fixed_size 64
		.amdhsa_private_segment_fixed_size 0
		.amdhsa_kernarg_size 64
		.amdhsa_user_sgpr_count 2
		.amdhsa_user_sgpr_dispatch_ptr 0
		.amdhsa_user_sgpr_queue_ptr 0
		.amdhsa_user_sgpr_kernarg_segment_ptr 1
		.amdhsa_user_sgpr_dispatch_id 0
		.amdhsa_user_sgpr_private_segment_size 0
		.amdhsa_wavefront_size32 1
		.amdhsa_uses_dynamic_stack 0
		.amdhsa_enable_private_segment 0
		.amdhsa_system_sgpr_workgroup_id_x 1
		.amdhsa_system_sgpr_workgroup_id_y 0
		.amdhsa_system_sgpr_workgroup_id_z 0
		.amdhsa_system_sgpr_workgroup_info 0
		.amdhsa_system_vgpr_workitem_id 0
		.amdhsa_next_free_vgpr 20
		.amdhsa_next_free_sgpr 30
		.amdhsa_reserve_vcc 1
		.amdhsa_float_round_mode_32 0
		.amdhsa_float_round_mode_16_64 0
		.amdhsa_float_denorm_mode_32 3
		.amdhsa_float_denorm_mode_16_64 3
		.amdhsa_fp16_overflow 0
		.amdhsa_workgroup_processor_mode 1
		.amdhsa_memory_ordered 1
		.amdhsa_forward_progress 1
		.amdhsa_inst_pref_size 25
		.amdhsa_round_robin_scheduling 0
		.amdhsa_exception_fp_ieee_invalid_op 0
		.amdhsa_exception_fp_denorm_src 0
		.amdhsa_exception_fp_ieee_div_zero 0
		.amdhsa_exception_fp_ieee_overflow 0
		.amdhsa_exception_fp_ieee_underflow 0
		.amdhsa_exception_fp_ieee_inexact 0
		.amdhsa_exception_int_div_zero 0
	.end_amdhsa_kernel
	.section	.text._ZN7rocprim17ROCPRIM_400000_NS6detail17trampoline_kernelINS0_14default_configENS1_22reduce_config_selectorIbEEZNS1_11reduce_implILb1ES3_N6hipcub16HIPCUB_304000_NS22TransformInputIteratorIbN2at6native12_GLOBAL__N_19NonZeroOpIfEEPKflEEPiiNS8_6detail34convert_binary_result_type_wrapperINS8_3SumESH_iEEEE10hipError_tPvRmT1_T2_T3_mT4_P12ihipStream_tbEUlT_E0_NS1_11comp_targetILNS1_3genE10ELNS1_11target_archE1201ELNS1_3gpuE5ELNS1_3repE0EEENS1_30default_config_static_selectorELNS0_4arch9wavefront6targetE0EEEvSQ_,"axG",@progbits,_ZN7rocprim17ROCPRIM_400000_NS6detail17trampoline_kernelINS0_14default_configENS1_22reduce_config_selectorIbEEZNS1_11reduce_implILb1ES3_N6hipcub16HIPCUB_304000_NS22TransformInputIteratorIbN2at6native12_GLOBAL__N_19NonZeroOpIfEEPKflEEPiiNS8_6detail34convert_binary_result_type_wrapperINS8_3SumESH_iEEEE10hipError_tPvRmT1_T2_T3_mT4_P12ihipStream_tbEUlT_E0_NS1_11comp_targetILNS1_3genE10ELNS1_11target_archE1201ELNS1_3gpuE5ELNS1_3repE0EEENS1_30default_config_static_selectorELNS0_4arch9wavefront6targetE0EEEvSQ_,comdat
.Lfunc_end445:
	.size	_ZN7rocprim17ROCPRIM_400000_NS6detail17trampoline_kernelINS0_14default_configENS1_22reduce_config_selectorIbEEZNS1_11reduce_implILb1ES3_N6hipcub16HIPCUB_304000_NS22TransformInputIteratorIbN2at6native12_GLOBAL__N_19NonZeroOpIfEEPKflEEPiiNS8_6detail34convert_binary_result_type_wrapperINS8_3SumESH_iEEEE10hipError_tPvRmT1_T2_T3_mT4_P12ihipStream_tbEUlT_E0_NS1_11comp_targetILNS1_3genE10ELNS1_11target_archE1201ELNS1_3gpuE5ELNS1_3repE0EEENS1_30default_config_static_selectorELNS0_4arch9wavefront6targetE0EEEvSQ_, .Lfunc_end445-_ZN7rocprim17ROCPRIM_400000_NS6detail17trampoline_kernelINS0_14default_configENS1_22reduce_config_selectorIbEEZNS1_11reduce_implILb1ES3_N6hipcub16HIPCUB_304000_NS22TransformInputIteratorIbN2at6native12_GLOBAL__N_19NonZeroOpIfEEPKflEEPiiNS8_6detail34convert_binary_result_type_wrapperINS8_3SumESH_iEEEE10hipError_tPvRmT1_T2_T3_mT4_P12ihipStream_tbEUlT_E0_NS1_11comp_targetILNS1_3genE10ELNS1_11target_archE1201ELNS1_3gpuE5ELNS1_3repE0EEENS1_30default_config_static_selectorELNS0_4arch9wavefront6targetE0EEEvSQ_
                                        ; -- End function
	.set _ZN7rocprim17ROCPRIM_400000_NS6detail17trampoline_kernelINS0_14default_configENS1_22reduce_config_selectorIbEEZNS1_11reduce_implILb1ES3_N6hipcub16HIPCUB_304000_NS22TransformInputIteratorIbN2at6native12_GLOBAL__N_19NonZeroOpIfEEPKflEEPiiNS8_6detail34convert_binary_result_type_wrapperINS8_3SumESH_iEEEE10hipError_tPvRmT1_T2_T3_mT4_P12ihipStream_tbEUlT_E0_NS1_11comp_targetILNS1_3genE10ELNS1_11target_archE1201ELNS1_3gpuE5ELNS1_3repE0EEENS1_30default_config_static_selectorELNS0_4arch9wavefront6targetE0EEEvSQ_.num_vgpr, 20
	.set _ZN7rocprim17ROCPRIM_400000_NS6detail17trampoline_kernelINS0_14default_configENS1_22reduce_config_selectorIbEEZNS1_11reduce_implILb1ES3_N6hipcub16HIPCUB_304000_NS22TransformInputIteratorIbN2at6native12_GLOBAL__N_19NonZeroOpIfEEPKflEEPiiNS8_6detail34convert_binary_result_type_wrapperINS8_3SumESH_iEEEE10hipError_tPvRmT1_T2_T3_mT4_P12ihipStream_tbEUlT_E0_NS1_11comp_targetILNS1_3genE10ELNS1_11target_archE1201ELNS1_3gpuE5ELNS1_3repE0EEENS1_30default_config_static_selectorELNS0_4arch9wavefront6targetE0EEEvSQ_.num_agpr, 0
	.set _ZN7rocprim17ROCPRIM_400000_NS6detail17trampoline_kernelINS0_14default_configENS1_22reduce_config_selectorIbEEZNS1_11reduce_implILb1ES3_N6hipcub16HIPCUB_304000_NS22TransformInputIteratorIbN2at6native12_GLOBAL__N_19NonZeroOpIfEEPKflEEPiiNS8_6detail34convert_binary_result_type_wrapperINS8_3SumESH_iEEEE10hipError_tPvRmT1_T2_T3_mT4_P12ihipStream_tbEUlT_E0_NS1_11comp_targetILNS1_3genE10ELNS1_11target_archE1201ELNS1_3gpuE5ELNS1_3repE0EEENS1_30default_config_static_selectorELNS0_4arch9wavefront6targetE0EEEvSQ_.numbered_sgpr, 30
	.set _ZN7rocprim17ROCPRIM_400000_NS6detail17trampoline_kernelINS0_14default_configENS1_22reduce_config_selectorIbEEZNS1_11reduce_implILb1ES3_N6hipcub16HIPCUB_304000_NS22TransformInputIteratorIbN2at6native12_GLOBAL__N_19NonZeroOpIfEEPKflEEPiiNS8_6detail34convert_binary_result_type_wrapperINS8_3SumESH_iEEEE10hipError_tPvRmT1_T2_T3_mT4_P12ihipStream_tbEUlT_E0_NS1_11comp_targetILNS1_3genE10ELNS1_11target_archE1201ELNS1_3gpuE5ELNS1_3repE0EEENS1_30default_config_static_selectorELNS0_4arch9wavefront6targetE0EEEvSQ_.num_named_barrier, 0
	.set _ZN7rocprim17ROCPRIM_400000_NS6detail17trampoline_kernelINS0_14default_configENS1_22reduce_config_selectorIbEEZNS1_11reduce_implILb1ES3_N6hipcub16HIPCUB_304000_NS22TransformInputIteratorIbN2at6native12_GLOBAL__N_19NonZeroOpIfEEPKflEEPiiNS8_6detail34convert_binary_result_type_wrapperINS8_3SumESH_iEEEE10hipError_tPvRmT1_T2_T3_mT4_P12ihipStream_tbEUlT_E0_NS1_11comp_targetILNS1_3genE10ELNS1_11target_archE1201ELNS1_3gpuE5ELNS1_3repE0EEENS1_30default_config_static_selectorELNS0_4arch9wavefront6targetE0EEEvSQ_.private_seg_size, 0
	.set _ZN7rocprim17ROCPRIM_400000_NS6detail17trampoline_kernelINS0_14default_configENS1_22reduce_config_selectorIbEEZNS1_11reduce_implILb1ES3_N6hipcub16HIPCUB_304000_NS22TransformInputIteratorIbN2at6native12_GLOBAL__N_19NonZeroOpIfEEPKflEEPiiNS8_6detail34convert_binary_result_type_wrapperINS8_3SumESH_iEEEE10hipError_tPvRmT1_T2_T3_mT4_P12ihipStream_tbEUlT_E0_NS1_11comp_targetILNS1_3genE10ELNS1_11target_archE1201ELNS1_3gpuE5ELNS1_3repE0EEENS1_30default_config_static_selectorELNS0_4arch9wavefront6targetE0EEEvSQ_.uses_vcc, 1
	.set _ZN7rocprim17ROCPRIM_400000_NS6detail17trampoline_kernelINS0_14default_configENS1_22reduce_config_selectorIbEEZNS1_11reduce_implILb1ES3_N6hipcub16HIPCUB_304000_NS22TransformInputIteratorIbN2at6native12_GLOBAL__N_19NonZeroOpIfEEPKflEEPiiNS8_6detail34convert_binary_result_type_wrapperINS8_3SumESH_iEEEE10hipError_tPvRmT1_T2_T3_mT4_P12ihipStream_tbEUlT_E0_NS1_11comp_targetILNS1_3genE10ELNS1_11target_archE1201ELNS1_3gpuE5ELNS1_3repE0EEENS1_30default_config_static_selectorELNS0_4arch9wavefront6targetE0EEEvSQ_.uses_flat_scratch, 0
	.set _ZN7rocprim17ROCPRIM_400000_NS6detail17trampoline_kernelINS0_14default_configENS1_22reduce_config_selectorIbEEZNS1_11reduce_implILb1ES3_N6hipcub16HIPCUB_304000_NS22TransformInputIteratorIbN2at6native12_GLOBAL__N_19NonZeroOpIfEEPKflEEPiiNS8_6detail34convert_binary_result_type_wrapperINS8_3SumESH_iEEEE10hipError_tPvRmT1_T2_T3_mT4_P12ihipStream_tbEUlT_E0_NS1_11comp_targetILNS1_3genE10ELNS1_11target_archE1201ELNS1_3gpuE5ELNS1_3repE0EEENS1_30default_config_static_selectorELNS0_4arch9wavefront6targetE0EEEvSQ_.has_dyn_sized_stack, 0
	.set _ZN7rocprim17ROCPRIM_400000_NS6detail17trampoline_kernelINS0_14default_configENS1_22reduce_config_selectorIbEEZNS1_11reduce_implILb1ES3_N6hipcub16HIPCUB_304000_NS22TransformInputIteratorIbN2at6native12_GLOBAL__N_19NonZeroOpIfEEPKflEEPiiNS8_6detail34convert_binary_result_type_wrapperINS8_3SumESH_iEEEE10hipError_tPvRmT1_T2_T3_mT4_P12ihipStream_tbEUlT_E0_NS1_11comp_targetILNS1_3genE10ELNS1_11target_archE1201ELNS1_3gpuE5ELNS1_3repE0EEENS1_30default_config_static_selectorELNS0_4arch9wavefront6targetE0EEEvSQ_.has_recursion, 0
	.set _ZN7rocprim17ROCPRIM_400000_NS6detail17trampoline_kernelINS0_14default_configENS1_22reduce_config_selectorIbEEZNS1_11reduce_implILb1ES3_N6hipcub16HIPCUB_304000_NS22TransformInputIteratorIbN2at6native12_GLOBAL__N_19NonZeroOpIfEEPKflEEPiiNS8_6detail34convert_binary_result_type_wrapperINS8_3SumESH_iEEEE10hipError_tPvRmT1_T2_T3_mT4_P12ihipStream_tbEUlT_E0_NS1_11comp_targetILNS1_3genE10ELNS1_11target_archE1201ELNS1_3gpuE5ELNS1_3repE0EEENS1_30default_config_static_selectorELNS0_4arch9wavefront6targetE0EEEvSQ_.has_indirect_call, 0
	.section	.AMDGPU.csdata,"",@progbits
; Kernel info:
; codeLenInByte = 3084
; TotalNumSgprs: 32
; NumVgprs: 20
; ScratchSize: 0
; MemoryBound: 0
; FloatMode: 240
; IeeeMode: 1
; LDSByteSize: 64 bytes/workgroup (compile time only)
; SGPRBlocks: 0
; VGPRBlocks: 2
; NumSGPRsForWavesPerEU: 32
; NumVGPRsForWavesPerEU: 20
; Occupancy: 16
; WaveLimiterHint : 1
; COMPUTE_PGM_RSRC2:SCRATCH_EN: 0
; COMPUTE_PGM_RSRC2:USER_SGPR: 2
; COMPUTE_PGM_RSRC2:TRAP_HANDLER: 0
; COMPUTE_PGM_RSRC2:TGID_X_EN: 1
; COMPUTE_PGM_RSRC2:TGID_Y_EN: 0
; COMPUTE_PGM_RSRC2:TGID_Z_EN: 0
; COMPUTE_PGM_RSRC2:TIDIG_COMP_CNT: 0
	.section	.text._ZN7rocprim17ROCPRIM_400000_NS6detail17trampoline_kernelINS0_14default_configENS1_22reduce_config_selectorIbEEZNS1_11reduce_implILb1ES3_N6hipcub16HIPCUB_304000_NS22TransformInputIteratorIbN2at6native12_GLOBAL__N_19NonZeroOpIfEEPKflEEPiiNS8_6detail34convert_binary_result_type_wrapperINS8_3SumESH_iEEEE10hipError_tPvRmT1_T2_T3_mT4_P12ihipStream_tbEUlT_E0_NS1_11comp_targetILNS1_3genE10ELNS1_11target_archE1200ELNS1_3gpuE4ELNS1_3repE0EEENS1_30default_config_static_selectorELNS0_4arch9wavefront6targetE0EEEvSQ_,"axG",@progbits,_ZN7rocprim17ROCPRIM_400000_NS6detail17trampoline_kernelINS0_14default_configENS1_22reduce_config_selectorIbEEZNS1_11reduce_implILb1ES3_N6hipcub16HIPCUB_304000_NS22TransformInputIteratorIbN2at6native12_GLOBAL__N_19NonZeroOpIfEEPKflEEPiiNS8_6detail34convert_binary_result_type_wrapperINS8_3SumESH_iEEEE10hipError_tPvRmT1_T2_T3_mT4_P12ihipStream_tbEUlT_E0_NS1_11comp_targetILNS1_3genE10ELNS1_11target_archE1200ELNS1_3gpuE4ELNS1_3repE0EEENS1_30default_config_static_selectorELNS0_4arch9wavefront6targetE0EEEvSQ_,comdat
	.globl	_ZN7rocprim17ROCPRIM_400000_NS6detail17trampoline_kernelINS0_14default_configENS1_22reduce_config_selectorIbEEZNS1_11reduce_implILb1ES3_N6hipcub16HIPCUB_304000_NS22TransformInputIteratorIbN2at6native12_GLOBAL__N_19NonZeroOpIfEEPKflEEPiiNS8_6detail34convert_binary_result_type_wrapperINS8_3SumESH_iEEEE10hipError_tPvRmT1_T2_T3_mT4_P12ihipStream_tbEUlT_E0_NS1_11comp_targetILNS1_3genE10ELNS1_11target_archE1200ELNS1_3gpuE4ELNS1_3repE0EEENS1_30default_config_static_selectorELNS0_4arch9wavefront6targetE0EEEvSQ_ ; -- Begin function _ZN7rocprim17ROCPRIM_400000_NS6detail17trampoline_kernelINS0_14default_configENS1_22reduce_config_selectorIbEEZNS1_11reduce_implILb1ES3_N6hipcub16HIPCUB_304000_NS22TransformInputIteratorIbN2at6native12_GLOBAL__N_19NonZeroOpIfEEPKflEEPiiNS8_6detail34convert_binary_result_type_wrapperINS8_3SumESH_iEEEE10hipError_tPvRmT1_T2_T3_mT4_P12ihipStream_tbEUlT_E0_NS1_11comp_targetILNS1_3genE10ELNS1_11target_archE1200ELNS1_3gpuE4ELNS1_3repE0EEENS1_30default_config_static_selectorELNS0_4arch9wavefront6targetE0EEEvSQ_
	.p2align	8
	.type	_ZN7rocprim17ROCPRIM_400000_NS6detail17trampoline_kernelINS0_14default_configENS1_22reduce_config_selectorIbEEZNS1_11reduce_implILb1ES3_N6hipcub16HIPCUB_304000_NS22TransformInputIteratorIbN2at6native12_GLOBAL__N_19NonZeroOpIfEEPKflEEPiiNS8_6detail34convert_binary_result_type_wrapperINS8_3SumESH_iEEEE10hipError_tPvRmT1_T2_T3_mT4_P12ihipStream_tbEUlT_E0_NS1_11comp_targetILNS1_3genE10ELNS1_11target_archE1200ELNS1_3gpuE4ELNS1_3repE0EEENS1_30default_config_static_selectorELNS0_4arch9wavefront6targetE0EEEvSQ_,@function
_ZN7rocprim17ROCPRIM_400000_NS6detail17trampoline_kernelINS0_14default_configENS1_22reduce_config_selectorIbEEZNS1_11reduce_implILb1ES3_N6hipcub16HIPCUB_304000_NS22TransformInputIteratorIbN2at6native12_GLOBAL__N_19NonZeroOpIfEEPKflEEPiiNS8_6detail34convert_binary_result_type_wrapperINS8_3SumESH_iEEEE10hipError_tPvRmT1_T2_T3_mT4_P12ihipStream_tbEUlT_E0_NS1_11comp_targetILNS1_3genE10ELNS1_11target_archE1200ELNS1_3gpuE4ELNS1_3repE0EEENS1_30default_config_static_selectorELNS0_4arch9wavefront6targetE0EEEvSQ_: ; @_ZN7rocprim17ROCPRIM_400000_NS6detail17trampoline_kernelINS0_14default_configENS1_22reduce_config_selectorIbEEZNS1_11reduce_implILb1ES3_N6hipcub16HIPCUB_304000_NS22TransformInputIteratorIbN2at6native12_GLOBAL__N_19NonZeroOpIfEEPKflEEPiiNS8_6detail34convert_binary_result_type_wrapperINS8_3SumESH_iEEEE10hipError_tPvRmT1_T2_T3_mT4_P12ihipStream_tbEUlT_E0_NS1_11comp_targetILNS1_3genE10ELNS1_11target_archE1200ELNS1_3gpuE4ELNS1_3repE0EEENS1_30default_config_static_selectorELNS0_4arch9wavefront6targetE0EEEvSQ_
; %bb.0:
	.section	.rodata,"a",@progbits
	.p2align	6, 0x0
	.amdhsa_kernel _ZN7rocprim17ROCPRIM_400000_NS6detail17trampoline_kernelINS0_14default_configENS1_22reduce_config_selectorIbEEZNS1_11reduce_implILb1ES3_N6hipcub16HIPCUB_304000_NS22TransformInputIteratorIbN2at6native12_GLOBAL__N_19NonZeroOpIfEEPKflEEPiiNS8_6detail34convert_binary_result_type_wrapperINS8_3SumESH_iEEEE10hipError_tPvRmT1_T2_T3_mT4_P12ihipStream_tbEUlT_E0_NS1_11comp_targetILNS1_3genE10ELNS1_11target_archE1200ELNS1_3gpuE4ELNS1_3repE0EEENS1_30default_config_static_selectorELNS0_4arch9wavefront6targetE0EEEvSQ_
		.amdhsa_group_segment_fixed_size 0
		.amdhsa_private_segment_fixed_size 0
		.amdhsa_kernarg_size 64
		.amdhsa_user_sgpr_count 2
		.amdhsa_user_sgpr_dispatch_ptr 0
		.amdhsa_user_sgpr_queue_ptr 0
		.amdhsa_user_sgpr_kernarg_segment_ptr 1
		.amdhsa_user_sgpr_dispatch_id 0
		.amdhsa_user_sgpr_private_segment_size 0
		.amdhsa_wavefront_size32 1
		.amdhsa_uses_dynamic_stack 0
		.amdhsa_enable_private_segment 0
		.amdhsa_system_sgpr_workgroup_id_x 1
		.amdhsa_system_sgpr_workgroup_id_y 0
		.amdhsa_system_sgpr_workgroup_id_z 0
		.amdhsa_system_sgpr_workgroup_info 0
		.amdhsa_system_vgpr_workitem_id 0
		.amdhsa_next_free_vgpr 1
		.amdhsa_next_free_sgpr 1
		.amdhsa_reserve_vcc 0
		.amdhsa_float_round_mode_32 0
		.amdhsa_float_round_mode_16_64 0
		.amdhsa_float_denorm_mode_32 3
		.amdhsa_float_denorm_mode_16_64 3
		.amdhsa_fp16_overflow 0
		.amdhsa_workgroup_processor_mode 1
		.amdhsa_memory_ordered 1
		.amdhsa_forward_progress 1
		.amdhsa_inst_pref_size 0
		.amdhsa_round_robin_scheduling 0
		.amdhsa_exception_fp_ieee_invalid_op 0
		.amdhsa_exception_fp_denorm_src 0
		.amdhsa_exception_fp_ieee_div_zero 0
		.amdhsa_exception_fp_ieee_overflow 0
		.amdhsa_exception_fp_ieee_underflow 0
		.amdhsa_exception_fp_ieee_inexact 0
		.amdhsa_exception_int_div_zero 0
	.end_amdhsa_kernel
	.section	.text._ZN7rocprim17ROCPRIM_400000_NS6detail17trampoline_kernelINS0_14default_configENS1_22reduce_config_selectorIbEEZNS1_11reduce_implILb1ES3_N6hipcub16HIPCUB_304000_NS22TransformInputIteratorIbN2at6native12_GLOBAL__N_19NonZeroOpIfEEPKflEEPiiNS8_6detail34convert_binary_result_type_wrapperINS8_3SumESH_iEEEE10hipError_tPvRmT1_T2_T3_mT4_P12ihipStream_tbEUlT_E0_NS1_11comp_targetILNS1_3genE10ELNS1_11target_archE1200ELNS1_3gpuE4ELNS1_3repE0EEENS1_30default_config_static_selectorELNS0_4arch9wavefront6targetE0EEEvSQ_,"axG",@progbits,_ZN7rocprim17ROCPRIM_400000_NS6detail17trampoline_kernelINS0_14default_configENS1_22reduce_config_selectorIbEEZNS1_11reduce_implILb1ES3_N6hipcub16HIPCUB_304000_NS22TransformInputIteratorIbN2at6native12_GLOBAL__N_19NonZeroOpIfEEPKflEEPiiNS8_6detail34convert_binary_result_type_wrapperINS8_3SumESH_iEEEE10hipError_tPvRmT1_T2_T3_mT4_P12ihipStream_tbEUlT_E0_NS1_11comp_targetILNS1_3genE10ELNS1_11target_archE1200ELNS1_3gpuE4ELNS1_3repE0EEENS1_30default_config_static_selectorELNS0_4arch9wavefront6targetE0EEEvSQ_,comdat
.Lfunc_end446:
	.size	_ZN7rocprim17ROCPRIM_400000_NS6detail17trampoline_kernelINS0_14default_configENS1_22reduce_config_selectorIbEEZNS1_11reduce_implILb1ES3_N6hipcub16HIPCUB_304000_NS22TransformInputIteratorIbN2at6native12_GLOBAL__N_19NonZeroOpIfEEPKflEEPiiNS8_6detail34convert_binary_result_type_wrapperINS8_3SumESH_iEEEE10hipError_tPvRmT1_T2_T3_mT4_P12ihipStream_tbEUlT_E0_NS1_11comp_targetILNS1_3genE10ELNS1_11target_archE1200ELNS1_3gpuE4ELNS1_3repE0EEENS1_30default_config_static_selectorELNS0_4arch9wavefront6targetE0EEEvSQ_, .Lfunc_end446-_ZN7rocprim17ROCPRIM_400000_NS6detail17trampoline_kernelINS0_14default_configENS1_22reduce_config_selectorIbEEZNS1_11reduce_implILb1ES3_N6hipcub16HIPCUB_304000_NS22TransformInputIteratorIbN2at6native12_GLOBAL__N_19NonZeroOpIfEEPKflEEPiiNS8_6detail34convert_binary_result_type_wrapperINS8_3SumESH_iEEEE10hipError_tPvRmT1_T2_T3_mT4_P12ihipStream_tbEUlT_E0_NS1_11comp_targetILNS1_3genE10ELNS1_11target_archE1200ELNS1_3gpuE4ELNS1_3repE0EEENS1_30default_config_static_selectorELNS0_4arch9wavefront6targetE0EEEvSQ_
                                        ; -- End function
	.set _ZN7rocprim17ROCPRIM_400000_NS6detail17trampoline_kernelINS0_14default_configENS1_22reduce_config_selectorIbEEZNS1_11reduce_implILb1ES3_N6hipcub16HIPCUB_304000_NS22TransformInputIteratorIbN2at6native12_GLOBAL__N_19NonZeroOpIfEEPKflEEPiiNS8_6detail34convert_binary_result_type_wrapperINS8_3SumESH_iEEEE10hipError_tPvRmT1_T2_T3_mT4_P12ihipStream_tbEUlT_E0_NS1_11comp_targetILNS1_3genE10ELNS1_11target_archE1200ELNS1_3gpuE4ELNS1_3repE0EEENS1_30default_config_static_selectorELNS0_4arch9wavefront6targetE0EEEvSQ_.num_vgpr, 0
	.set _ZN7rocprim17ROCPRIM_400000_NS6detail17trampoline_kernelINS0_14default_configENS1_22reduce_config_selectorIbEEZNS1_11reduce_implILb1ES3_N6hipcub16HIPCUB_304000_NS22TransformInputIteratorIbN2at6native12_GLOBAL__N_19NonZeroOpIfEEPKflEEPiiNS8_6detail34convert_binary_result_type_wrapperINS8_3SumESH_iEEEE10hipError_tPvRmT1_T2_T3_mT4_P12ihipStream_tbEUlT_E0_NS1_11comp_targetILNS1_3genE10ELNS1_11target_archE1200ELNS1_3gpuE4ELNS1_3repE0EEENS1_30default_config_static_selectorELNS0_4arch9wavefront6targetE0EEEvSQ_.num_agpr, 0
	.set _ZN7rocprim17ROCPRIM_400000_NS6detail17trampoline_kernelINS0_14default_configENS1_22reduce_config_selectorIbEEZNS1_11reduce_implILb1ES3_N6hipcub16HIPCUB_304000_NS22TransformInputIteratorIbN2at6native12_GLOBAL__N_19NonZeroOpIfEEPKflEEPiiNS8_6detail34convert_binary_result_type_wrapperINS8_3SumESH_iEEEE10hipError_tPvRmT1_T2_T3_mT4_P12ihipStream_tbEUlT_E0_NS1_11comp_targetILNS1_3genE10ELNS1_11target_archE1200ELNS1_3gpuE4ELNS1_3repE0EEENS1_30default_config_static_selectorELNS0_4arch9wavefront6targetE0EEEvSQ_.numbered_sgpr, 0
	.set _ZN7rocprim17ROCPRIM_400000_NS6detail17trampoline_kernelINS0_14default_configENS1_22reduce_config_selectorIbEEZNS1_11reduce_implILb1ES3_N6hipcub16HIPCUB_304000_NS22TransformInputIteratorIbN2at6native12_GLOBAL__N_19NonZeroOpIfEEPKflEEPiiNS8_6detail34convert_binary_result_type_wrapperINS8_3SumESH_iEEEE10hipError_tPvRmT1_T2_T3_mT4_P12ihipStream_tbEUlT_E0_NS1_11comp_targetILNS1_3genE10ELNS1_11target_archE1200ELNS1_3gpuE4ELNS1_3repE0EEENS1_30default_config_static_selectorELNS0_4arch9wavefront6targetE0EEEvSQ_.num_named_barrier, 0
	.set _ZN7rocprim17ROCPRIM_400000_NS6detail17trampoline_kernelINS0_14default_configENS1_22reduce_config_selectorIbEEZNS1_11reduce_implILb1ES3_N6hipcub16HIPCUB_304000_NS22TransformInputIteratorIbN2at6native12_GLOBAL__N_19NonZeroOpIfEEPKflEEPiiNS8_6detail34convert_binary_result_type_wrapperINS8_3SumESH_iEEEE10hipError_tPvRmT1_T2_T3_mT4_P12ihipStream_tbEUlT_E0_NS1_11comp_targetILNS1_3genE10ELNS1_11target_archE1200ELNS1_3gpuE4ELNS1_3repE0EEENS1_30default_config_static_selectorELNS0_4arch9wavefront6targetE0EEEvSQ_.private_seg_size, 0
	.set _ZN7rocprim17ROCPRIM_400000_NS6detail17trampoline_kernelINS0_14default_configENS1_22reduce_config_selectorIbEEZNS1_11reduce_implILb1ES3_N6hipcub16HIPCUB_304000_NS22TransformInputIteratorIbN2at6native12_GLOBAL__N_19NonZeroOpIfEEPKflEEPiiNS8_6detail34convert_binary_result_type_wrapperINS8_3SumESH_iEEEE10hipError_tPvRmT1_T2_T3_mT4_P12ihipStream_tbEUlT_E0_NS1_11comp_targetILNS1_3genE10ELNS1_11target_archE1200ELNS1_3gpuE4ELNS1_3repE0EEENS1_30default_config_static_selectorELNS0_4arch9wavefront6targetE0EEEvSQ_.uses_vcc, 0
	.set _ZN7rocprim17ROCPRIM_400000_NS6detail17trampoline_kernelINS0_14default_configENS1_22reduce_config_selectorIbEEZNS1_11reduce_implILb1ES3_N6hipcub16HIPCUB_304000_NS22TransformInputIteratorIbN2at6native12_GLOBAL__N_19NonZeroOpIfEEPKflEEPiiNS8_6detail34convert_binary_result_type_wrapperINS8_3SumESH_iEEEE10hipError_tPvRmT1_T2_T3_mT4_P12ihipStream_tbEUlT_E0_NS1_11comp_targetILNS1_3genE10ELNS1_11target_archE1200ELNS1_3gpuE4ELNS1_3repE0EEENS1_30default_config_static_selectorELNS0_4arch9wavefront6targetE0EEEvSQ_.uses_flat_scratch, 0
	.set _ZN7rocprim17ROCPRIM_400000_NS6detail17trampoline_kernelINS0_14default_configENS1_22reduce_config_selectorIbEEZNS1_11reduce_implILb1ES3_N6hipcub16HIPCUB_304000_NS22TransformInputIteratorIbN2at6native12_GLOBAL__N_19NonZeroOpIfEEPKflEEPiiNS8_6detail34convert_binary_result_type_wrapperINS8_3SumESH_iEEEE10hipError_tPvRmT1_T2_T3_mT4_P12ihipStream_tbEUlT_E0_NS1_11comp_targetILNS1_3genE10ELNS1_11target_archE1200ELNS1_3gpuE4ELNS1_3repE0EEENS1_30default_config_static_selectorELNS0_4arch9wavefront6targetE0EEEvSQ_.has_dyn_sized_stack, 0
	.set _ZN7rocprim17ROCPRIM_400000_NS6detail17trampoline_kernelINS0_14default_configENS1_22reduce_config_selectorIbEEZNS1_11reduce_implILb1ES3_N6hipcub16HIPCUB_304000_NS22TransformInputIteratorIbN2at6native12_GLOBAL__N_19NonZeroOpIfEEPKflEEPiiNS8_6detail34convert_binary_result_type_wrapperINS8_3SumESH_iEEEE10hipError_tPvRmT1_T2_T3_mT4_P12ihipStream_tbEUlT_E0_NS1_11comp_targetILNS1_3genE10ELNS1_11target_archE1200ELNS1_3gpuE4ELNS1_3repE0EEENS1_30default_config_static_selectorELNS0_4arch9wavefront6targetE0EEEvSQ_.has_recursion, 0
	.set _ZN7rocprim17ROCPRIM_400000_NS6detail17trampoline_kernelINS0_14default_configENS1_22reduce_config_selectorIbEEZNS1_11reduce_implILb1ES3_N6hipcub16HIPCUB_304000_NS22TransformInputIteratorIbN2at6native12_GLOBAL__N_19NonZeroOpIfEEPKflEEPiiNS8_6detail34convert_binary_result_type_wrapperINS8_3SumESH_iEEEE10hipError_tPvRmT1_T2_T3_mT4_P12ihipStream_tbEUlT_E0_NS1_11comp_targetILNS1_3genE10ELNS1_11target_archE1200ELNS1_3gpuE4ELNS1_3repE0EEENS1_30default_config_static_selectorELNS0_4arch9wavefront6targetE0EEEvSQ_.has_indirect_call, 0
	.section	.AMDGPU.csdata,"",@progbits
; Kernel info:
; codeLenInByte = 0
; TotalNumSgprs: 0
; NumVgprs: 0
; ScratchSize: 0
; MemoryBound: 0
; FloatMode: 240
; IeeeMode: 1
; LDSByteSize: 0 bytes/workgroup (compile time only)
; SGPRBlocks: 0
; VGPRBlocks: 0
; NumSGPRsForWavesPerEU: 1
; NumVGPRsForWavesPerEU: 1
; Occupancy: 16
; WaveLimiterHint : 0
; COMPUTE_PGM_RSRC2:SCRATCH_EN: 0
; COMPUTE_PGM_RSRC2:USER_SGPR: 2
; COMPUTE_PGM_RSRC2:TRAP_HANDLER: 0
; COMPUTE_PGM_RSRC2:TGID_X_EN: 1
; COMPUTE_PGM_RSRC2:TGID_Y_EN: 0
; COMPUTE_PGM_RSRC2:TGID_Z_EN: 0
; COMPUTE_PGM_RSRC2:TIDIG_COMP_CNT: 0
	.section	.text._ZN7rocprim17ROCPRIM_400000_NS6detail17trampoline_kernelINS0_14default_configENS1_22reduce_config_selectorIbEEZNS1_11reduce_implILb1ES3_N6hipcub16HIPCUB_304000_NS22TransformInputIteratorIbN2at6native12_GLOBAL__N_19NonZeroOpIfEEPKflEEPiiNS8_6detail34convert_binary_result_type_wrapperINS8_3SumESH_iEEEE10hipError_tPvRmT1_T2_T3_mT4_P12ihipStream_tbEUlT_E0_NS1_11comp_targetILNS1_3genE9ELNS1_11target_archE1100ELNS1_3gpuE3ELNS1_3repE0EEENS1_30default_config_static_selectorELNS0_4arch9wavefront6targetE0EEEvSQ_,"axG",@progbits,_ZN7rocprim17ROCPRIM_400000_NS6detail17trampoline_kernelINS0_14default_configENS1_22reduce_config_selectorIbEEZNS1_11reduce_implILb1ES3_N6hipcub16HIPCUB_304000_NS22TransformInputIteratorIbN2at6native12_GLOBAL__N_19NonZeroOpIfEEPKflEEPiiNS8_6detail34convert_binary_result_type_wrapperINS8_3SumESH_iEEEE10hipError_tPvRmT1_T2_T3_mT4_P12ihipStream_tbEUlT_E0_NS1_11comp_targetILNS1_3genE9ELNS1_11target_archE1100ELNS1_3gpuE3ELNS1_3repE0EEENS1_30default_config_static_selectorELNS0_4arch9wavefront6targetE0EEEvSQ_,comdat
	.globl	_ZN7rocprim17ROCPRIM_400000_NS6detail17trampoline_kernelINS0_14default_configENS1_22reduce_config_selectorIbEEZNS1_11reduce_implILb1ES3_N6hipcub16HIPCUB_304000_NS22TransformInputIteratorIbN2at6native12_GLOBAL__N_19NonZeroOpIfEEPKflEEPiiNS8_6detail34convert_binary_result_type_wrapperINS8_3SumESH_iEEEE10hipError_tPvRmT1_T2_T3_mT4_P12ihipStream_tbEUlT_E0_NS1_11comp_targetILNS1_3genE9ELNS1_11target_archE1100ELNS1_3gpuE3ELNS1_3repE0EEENS1_30default_config_static_selectorELNS0_4arch9wavefront6targetE0EEEvSQ_ ; -- Begin function _ZN7rocprim17ROCPRIM_400000_NS6detail17trampoline_kernelINS0_14default_configENS1_22reduce_config_selectorIbEEZNS1_11reduce_implILb1ES3_N6hipcub16HIPCUB_304000_NS22TransformInputIteratorIbN2at6native12_GLOBAL__N_19NonZeroOpIfEEPKflEEPiiNS8_6detail34convert_binary_result_type_wrapperINS8_3SumESH_iEEEE10hipError_tPvRmT1_T2_T3_mT4_P12ihipStream_tbEUlT_E0_NS1_11comp_targetILNS1_3genE9ELNS1_11target_archE1100ELNS1_3gpuE3ELNS1_3repE0EEENS1_30default_config_static_selectorELNS0_4arch9wavefront6targetE0EEEvSQ_
	.p2align	8
	.type	_ZN7rocprim17ROCPRIM_400000_NS6detail17trampoline_kernelINS0_14default_configENS1_22reduce_config_selectorIbEEZNS1_11reduce_implILb1ES3_N6hipcub16HIPCUB_304000_NS22TransformInputIteratorIbN2at6native12_GLOBAL__N_19NonZeroOpIfEEPKflEEPiiNS8_6detail34convert_binary_result_type_wrapperINS8_3SumESH_iEEEE10hipError_tPvRmT1_T2_T3_mT4_P12ihipStream_tbEUlT_E0_NS1_11comp_targetILNS1_3genE9ELNS1_11target_archE1100ELNS1_3gpuE3ELNS1_3repE0EEENS1_30default_config_static_selectorELNS0_4arch9wavefront6targetE0EEEvSQ_,@function
_ZN7rocprim17ROCPRIM_400000_NS6detail17trampoline_kernelINS0_14default_configENS1_22reduce_config_selectorIbEEZNS1_11reduce_implILb1ES3_N6hipcub16HIPCUB_304000_NS22TransformInputIteratorIbN2at6native12_GLOBAL__N_19NonZeroOpIfEEPKflEEPiiNS8_6detail34convert_binary_result_type_wrapperINS8_3SumESH_iEEEE10hipError_tPvRmT1_T2_T3_mT4_P12ihipStream_tbEUlT_E0_NS1_11comp_targetILNS1_3genE9ELNS1_11target_archE1100ELNS1_3gpuE3ELNS1_3repE0EEENS1_30default_config_static_selectorELNS0_4arch9wavefront6targetE0EEEvSQ_: ; @_ZN7rocprim17ROCPRIM_400000_NS6detail17trampoline_kernelINS0_14default_configENS1_22reduce_config_selectorIbEEZNS1_11reduce_implILb1ES3_N6hipcub16HIPCUB_304000_NS22TransformInputIteratorIbN2at6native12_GLOBAL__N_19NonZeroOpIfEEPKflEEPiiNS8_6detail34convert_binary_result_type_wrapperINS8_3SumESH_iEEEE10hipError_tPvRmT1_T2_T3_mT4_P12ihipStream_tbEUlT_E0_NS1_11comp_targetILNS1_3genE9ELNS1_11target_archE1100ELNS1_3gpuE3ELNS1_3repE0EEENS1_30default_config_static_selectorELNS0_4arch9wavefront6targetE0EEEvSQ_
; %bb.0:
	.section	.rodata,"a",@progbits
	.p2align	6, 0x0
	.amdhsa_kernel _ZN7rocprim17ROCPRIM_400000_NS6detail17trampoline_kernelINS0_14default_configENS1_22reduce_config_selectorIbEEZNS1_11reduce_implILb1ES3_N6hipcub16HIPCUB_304000_NS22TransformInputIteratorIbN2at6native12_GLOBAL__N_19NonZeroOpIfEEPKflEEPiiNS8_6detail34convert_binary_result_type_wrapperINS8_3SumESH_iEEEE10hipError_tPvRmT1_T2_T3_mT4_P12ihipStream_tbEUlT_E0_NS1_11comp_targetILNS1_3genE9ELNS1_11target_archE1100ELNS1_3gpuE3ELNS1_3repE0EEENS1_30default_config_static_selectorELNS0_4arch9wavefront6targetE0EEEvSQ_
		.amdhsa_group_segment_fixed_size 0
		.amdhsa_private_segment_fixed_size 0
		.amdhsa_kernarg_size 64
		.amdhsa_user_sgpr_count 2
		.amdhsa_user_sgpr_dispatch_ptr 0
		.amdhsa_user_sgpr_queue_ptr 0
		.amdhsa_user_sgpr_kernarg_segment_ptr 1
		.amdhsa_user_sgpr_dispatch_id 0
		.amdhsa_user_sgpr_private_segment_size 0
		.amdhsa_wavefront_size32 1
		.amdhsa_uses_dynamic_stack 0
		.amdhsa_enable_private_segment 0
		.amdhsa_system_sgpr_workgroup_id_x 1
		.amdhsa_system_sgpr_workgroup_id_y 0
		.amdhsa_system_sgpr_workgroup_id_z 0
		.amdhsa_system_sgpr_workgroup_info 0
		.amdhsa_system_vgpr_workitem_id 0
		.amdhsa_next_free_vgpr 1
		.amdhsa_next_free_sgpr 1
		.amdhsa_reserve_vcc 0
		.amdhsa_float_round_mode_32 0
		.amdhsa_float_round_mode_16_64 0
		.amdhsa_float_denorm_mode_32 3
		.amdhsa_float_denorm_mode_16_64 3
		.amdhsa_fp16_overflow 0
		.amdhsa_workgroup_processor_mode 1
		.amdhsa_memory_ordered 1
		.amdhsa_forward_progress 1
		.amdhsa_inst_pref_size 0
		.amdhsa_round_robin_scheduling 0
		.amdhsa_exception_fp_ieee_invalid_op 0
		.amdhsa_exception_fp_denorm_src 0
		.amdhsa_exception_fp_ieee_div_zero 0
		.amdhsa_exception_fp_ieee_overflow 0
		.amdhsa_exception_fp_ieee_underflow 0
		.amdhsa_exception_fp_ieee_inexact 0
		.amdhsa_exception_int_div_zero 0
	.end_amdhsa_kernel
	.section	.text._ZN7rocprim17ROCPRIM_400000_NS6detail17trampoline_kernelINS0_14default_configENS1_22reduce_config_selectorIbEEZNS1_11reduce_implILb1ES3_N6hipcub16HIPCUB_304000_NS22TransformInputIteratorIbN2at6native12_GLOBAL__N_19NonZeroOpIfEEPKflEEPiiNS8_6detail34convert_binary_result_type_wrapperINS8_3SumESH_iEEEE10hipError_tPvRmT1_T2_T3_mT4_P12ihipStream_tbEUlT_E0_NS1_11comp_targetILNS1_3genE9ELNS1_11target_archE1100ELNS1_3gpuE3ELNS1_3repE0EEENS1_30default_config_static_selectorELNS0_4arch9wavefront6targetE0EEEvSQ_,"axG",@progbits,_ZN7rocprim17ROCPRIM_400000_NS6detail17trampoline_kernelINS0_14default_configENS1_22reduce_config_selectorIbEEZNS1_11reduce_implILb1ES3_N6hipcub16HIPCUB_304000_NS22TransformInputIteratorIbN2at6native12_GLOBAL__N_19NonZeroOpIfEEPKflEEPiiNS8_6detail34convert_binary_result_type_wrapperINS8_3SumESH_iEEEE10hipError_tPvRmT1_T2_T3_mT4_P12ihipStream_tbEUlT_E0_NS1_11comp_targetILNS1_3genE9ELNS1_11target_archE1100ELNS1_3gpuE3ELNS1_3repE0EEENS1_30default_config_static_selectorELNS0_4arch9wavefront6targetE0EEEvSQ_,comdat
.Lfunc_end447:
	.size	_ZN7rocprim17ROCPRIM_400000_NS6detail17trampoline_kernelINS0_14default_configENS1_22reduce_config_selectorIbEEZNS1_11reduce_implILb1ES3_N6hipcub16HIPCUB_304000_NS22TransformInputIteratorIbN2at6native12_GLOBAL__N_19NonZeroOpIfEEPKflEEPiiNS8_6detail34convert_binary_result_type_wrapperINS8_3SumESH_iEEEE10hipError_tPvRmT1_T2_T3_mT4_P12ihipStream_tbEUlT_E0_NS1_11comp_targetILNS1_3genE9ELNS1_11target_archE1100ELNS1_3gpuE3ELNS1_3repE0EEENS1_30default_config_static_selectorELNS0_4arch9wavefront6targetE0EEEvSQ_, .Lfunc_end447-_ZN7rocprim17ROCPRIM_400000_NS6detail17trampoline_kernelINS0_14default_configENS1_22reduce_config_selectorIbEEZNS1_11reduce_implILb1ES3_N6hipcub16HIPCUB_304000_NS22TransformInputIteratorIbN2at6native12_GLOBAL__N_19NonZeroOpIfEEPKflEEPiiNS8_6detail34convert_binary_result_type_wrapperINS8_3SumESH_iEEEE10hipError_tPvRmT1_T2_T3_mT4_P12ihipStream_tbEUlT_E0_NS1_11comp_targetILNS1_3genE9ELNS1_11target_archE1100ELNS1_3gpuE3ELNS1_3repE0EEENS1_30default_config_static_selectorELNS0_4arch9wavefront6targetE0EEEvSQ_
                                        ; -- End function
	.set _ZN7rocprim17ROCPRIM_400000_NS6detail17trampoline_kernelINS0_14default_configENS1_22reduce_config_selectorIbEEZNS1_11reduce_implILb1ES3_N6hipcub16HIPCUB_304000_NS22TransformInputIteratorIbN2at6native12_GLOBAL__N_19NonZeroOpIfEEPKflEEPiiNS8_6detail34convert_binary_result_type_wrapperINS8_3SumESH_iEEEE10hipError_tPvRmT1_T2_T3_mT4_P12ihipStream_tbEUlT_E0_NS1_11comp_targetILNS1_3genE9ELNS1_11target_archE1100ELNS1_3gpuE3ELNS1_3repE0EEENS1_30default_config_static_selectorELNS0_4arch9wavefront6targetE0EEEvSQ_.num_vgpr, 0
	.set _ZN7rocprim17ROCPRIM_400000_NS6detail17trampoline_kernelINS0_14default_configENS1_22reduce_config_selectorIbEEZNS1_11reduce_implILb1ES3_N6hipcub16HIPCUB_304000_NS22TransformInputIteratorIbN2at6native12_GLOBAL__N_19NonZeroOpIfEEPKflEEPiiNS8_6detail34convert_binary_result_type_wrapperINS8_3SumESH_iEEEE10hipError_tPvRmT1_T2_T3_mT4_P12ihipStream_tbEUlT_E0_NS1_11comp_targetILNS1_3genE9ELNS1_11target_archE1100ELNS1_3gpuE3ELNS1_3repE0EEENS1_30default_config_static_selectorELNS0_4arch9wavefront6targetE0EEEvSQ_.num_agpr, 0
	.set _ZN7rocprim17ROCPRIM_400000_NS6detail17trampoline_kernelINS0_14default_configENS1_22reduce_config_selectorIbEEZNS1_11reduce_implILb1ES3_N6hipcub16HIPCUB_304000_NS22TransformInputIteratorIbN2at6native12_GLOBAL__N_19NonZeroOpIfEEPKflEEPiiNS8_6detail34convert_binary_result_type_wrapperINS8_3SumESH_iEEEE10hipError_tPvRmT1_T2_T3_mT4_P12ihipStream_tbEUlT_E0_NS1_11comp_targetILNS1_3genE9ELNS1_11target_archE1100ELNS1_3gpuE3ELNS1_3repE0EEENS1_30default_config_static_selectorELNS0_4arch9wavefront6targetE0EEEvSQ_.numbered_sgpr, 0
	.set _ZN7rocprim17ROCPRIM_400000_NS6detail17trampoline_kernelINS0_14default_configENS1_22reduce_config_selectorIbEEZNS1_11reduce_implILb1ES3_N6hipcub16HIPCUB_304000_NS22TransformInputIteratorIbN2at6native12_GLOBAL__N_19NonZeroOpIfEEPKflEEPiiNS8_6detail34convert_binary_result_type_wrapperINS8_3SumESH_iEEEE10hipError_tPvRmT1_T2_T3_mT4_P12ihipStream_tbEUlT_E0_NS1_11comp_targetILNS1_3genE9ELNS1_11target_archE1100ELNS1_3gpuE3ELNS1_3repE0EEENS1_30default_config_static_selectorELNS0_4arch9wavefront6targetE0EEEvSQ_.num_named_barrier, 0
	.set _ZN7rocprim17ROCPRIM_400000_NS6detail17trampoline_kernelINS0_14default_configENS1_22reduce_config_selectorIbEEZNS1_11reduce_implILb1ES3_N6hipcub16HIPCUB_304000_NS22TransformInputIteratorIbN2at6native12_GLOBAL__N_19NonZeroOpIfEEPKflEEPiiNS8_6detail34convert_binary_result_type_wrapperINS8_3SumESH_iEEEE10hipError_tPvRmT1_T2_T3_mT4_P12ihipStream_tbEUlT_E0_NS1_11comp_targetILNS1_3genE9ELNS1_11target_archE1100ELNS1_3gpuE3ELNS1_3repE0EEENS1_30default_config_static_selectorELNS0_4arch9wavefront6targetE0EEEvSQ_.private_seg_size, 0
	.set _ZN7rocprim17ROCPRIM_400000_NS6detail17trampoline_kernelINS0_14default_configENS1_22reduce_config_selectorIbEEZNS1_11reduce_implILb1ES3_N6hipcub16HIPCUB_304000_NS22TransformInputIteratorIbN2at6native12_GLOBAL__N_19NonZeroOpIfEEPKflEEPiiNS8_6detail34convert_binary_result_type_wrapperINS8_3SumESH_iEEEE10hipError_tPvRmT1_T2_T3_mT4_P12ihipStream_tbEUlT_E0_NS1_11comp_targetILNS1_3genE9ELNS1_11target_archE1100ELNS1_3gpuE3ELNS1_3repE0EEENS1_30default_config_static_selectorELNS0_4arch9wavefront6targetE0EEEvSQ_.uses_vcc, 0
	.set _ZN7rocprim17ROCPRIM_400000_NS6detail17trampoline_kernelINS0_14default_configENS1_22reduce_config_selectorIbEEZNS1_11reduce_implILb1ES3_N6hipcub16HIPCUB_304000_NS22TransformInputIteratorIbN2at6native12_GLOBAL__N_19NonZeroOpIfEEPKflEEPiiNS8_6detail34convert_binary_result_type_wrapperINS8_3SumESH_iEEEE10hipError_tPvRmT1_T2_T3_mT4_P12ihipStream_tbEUlT_E0_NS1_11comp_targetILNS1_3genE9ELNS1_11target_archE1100ELNS1_3gpuE3ELNS1_3repE0EEENS1_30default_config_static_selectorELNS0_4arch9wavefront6targetE0EEEvSQ_.uses_flat_scratch, 0
	.set _ZN7rocprim17ROCPRIM_400000_NS6detail17trampoline_kernelINS0_14default_configENS1_22reduce_config_selectorIbEEZNS1_11reduce_implILb1ES3_N6hipcub16HIPCUB_304000_NS22TransformInputIteratorIbN2at6native12_GLOBAL__N_19NonZeroOpIfEEPKflEEPiiNS8_6detail34convert_binary_result_type_wrapperINS8_3SumESH_iEEEE10hipError_tPvRmT1_T2_T3_mT4_P12ihipStream_tbEUlT_E0_NS1_11comp_targetILNS1_3genE9ELNS1_11target_archE1100ELNS1_3gpuE3ELNS1_3repE0EEENS1_30default_config_static_selectorELNS0_4arch9wavefront6targetE0EEEvSQ_.has_dyn_sized_stack, 0
	.set _ZN7rocprim17ROCPRIM_400000_NS6detail17trampoline_kernelINS0_14default_configENS1_22reduce_config_selectorIbEEZNS1_11reduce_implILb1ES3_N6hipcub16HIPCUB_304000_NS22TransformInputIteratorIbN2at6native12_GLOBAL__N_19NonZeroOpIfEEPKflEEPiiNS8_6detail34convert_binary_result_type_wrapperINS8_3SumESH_iEEEE10hipError_tPvRmT1_T2_T3_mT4_P12ihipStream_tbEUlT_E0_NS1_11comp_targetILNS1_3genE9ELNS1_11target_archE1100ELNS1_3gpuE3ELNS1_3repE0EEENS1_30default_config_static_selectorELNS0_4arch9wavefront6targetE0EEEvSQ_.has_recursion, 0
	.set _ZN7rocprim17ROCPRIM_400000_NS6detail17trampoline_kernelINS0_14default_configENS1_22reduce_config_selectorIbEEZNS1_11reduce_implILb1ES3_N6hipcub16HIPCUB_304000_NS22TransformInputIteratorIbN2at6native12_GLOBAL__N_19NonZeroOpIfEEPKflEEPiiNS8_6detail34convert_binary_result_type_wrapperINS8_3SumESH_iEEEE10hipError_tPvRmT1_T2_T3_mT4_P12ihipStream_tbEUlT_E0_NS1_11comp_targetILNS1_3genE9ELNS1_11target_archE1100ELNS1_3gpuE3ELNS1_3repE0EEENS1_30default_config_static_selectorELNS0_4arch9wavefront6targetE0EEEvSQ_.has_indirect_call, 0
	.section	.AMDGPU.csdata,"",@progbits
; Kernel info:
; codeLenInByte = 0
; TotalNumSgprs: 0
; NumVgprs: 0
; ScratchSize: 0
; MemoryBound: 0
; FloatMode: 240
; IeeeMode: 1
; LDSByteSize: 0 bytes/workgroup (compile time only)
; SGPRBlocks: 0
; VGPRBlocks: 0
; NumSGPRsForWavesPerEU: 1
; NumVGPRsForWavesPerEU: 1
; Occupancy: 16
; WaveLimiterHint : 0
; COMPUTE_PGM_RSRC2:SCRATCH_EN: 0
; COMPUTE_PGM_RSRC2:USER_SGPR: 2
; COMPUTE_PGM_RSRC2:TRAP_HANDLER: 0
; COMPUTE_PGM_RSRC2:TGID_X_EN: 1
; COMPUTE_PGM_RSRC2:TGID_Y_EN: 0
; COMPUTE_PGM_RSRC2:TGID_Z_EN: 0
; COMPUTE_PGM_RSRC2:TIDIG_COMP_CNT: 0
	.section	.text._ZN7rocprim17ROCPRIM_400000_NS6detail17trampoline_kernelINS0_14default_configENS1_22reduce_config_selectorIbEEZNS1_11reduce_implILb1ES3_N6hipcub16HIPCUB_304000_NS22TransformInputIteratorIbN2at6native12_GLOBAL__N_19NonZeroOpIfEEPKflEEPiiNS8_6detail34convert_binary_result_type_wrapperINS8_3SumESH_iEEEE10hipError_tPvRmT1_T2_T3_mT4_P12ihipStream_tbEUlT_E0_NS1_11comp_targetILNS1_3genE8ELNS1_11target_archE1030ELNS1_3gpuE2ELNS1_3repE0EEENS1_30default_config_static_selectorELNS0_4arch9wavefront6targetE0EEEvSQ_,"axG",@progbits,_ZN7rocprim17ROCPRIM_400000_NS6detail17trampoline_kernelINS0_14default_configENS1_22reduce_config_selectorIbEEZNS1_11reduce_implILb1ES3_N6hipcub16HIPCUB_304000_NS22TransformInputIteratorIbN2at6native12_GLOBAL__N_19NonZeroOpIfEEPKflEEPiiNS8_6detail34convert_binary_result_type_wrapperINS8_3SumESH_iEEEE10hipError_tPvRmT1_T2_T3_mT4_P12ihipStream_tbEUlT_E0_NS1_11comp_targetILNS1_3genE8ELNS1_11target_archE1030ELNS1_3gpuE2ELNS1_3repE0EEENS1_30default_config_static_selectorELNS0_4arch9wavefront6targetE0EEEvSQ_,comdat
	.globl	_ZN7rocprim17ROCPRIM_400000_NS6detail17trampoline_kernelINS0_14default_configENS1_22reduce_config_selectorIbEEZNS1_11reduce_implILb1ES3_N6hipcub16HIPCUB_304000_NS22TransformInputIteratorIbN2at6native12_GLOBAL__N_19NonZeroOpIfEEPKflEEPiiNS8_6detail34convert_binary_result_type_wrapperINS8_3SumESH_iEEEE10hipError_tPvRmT1_T2_T3_mT4_P12ihipStream_tbEUlT_E0_NS1_11comp_targetILNS1_3genE8ELNS1_11target_archE1030ELNS1_3gpuE2ELNS1_3repE0EEENS1_30default_config_static_selectorELNS0_4arch9wavefront6targetE0EEEvSQ_ ; -- Begin function _ZN7rocprim17ROCPRIM_400000_NS6detail17trampoline_kernelINS0_14default_configENS1_22reduce_config_selectorIbEEZNS1_11reduce_implILb1ES3_N6hipcub16HIPCUB_304000_NS22TransformInputIteratorIbN2at6native12_GLOBAL__N_19NonZeroOpIfEEPKflEEPiiNS8_6detail34convert_binary_result_type_wrapperINS8_3SumESH_iEEEE10hipError_tPvRmT1_T2_T3_mT4_P12ihipStream_tbEUlT_E0_NS1_11comp_targetILNS1_3genE8ELNS1_11target_archE1030ELNS1_3gpuE2ELNS1_3repE0EEENS1_30default_config_static_selectorELNS0_4arch9wavefront6targetE0EEEvSQ_
	.p2align	8
	.type	_ZN7rocprim17ROCPRIM_400000_NS6detail17trampoline_kernelINS0_14default_configENS1_22reduce_config_selectorIbEEZNS1_11reduce_implILb1ES3_N6hipcub16HIPCUB_304000_NS22TransformInputIteratorIbN2at6native12_GLOBAL__N_19NonZeroOpIfEEPKflEEPiiNS8_6detail34convert_binary_result_type_wrapperINS8_3SumESH_iEEEE10hipError_tPvRmT1_T2_T3_mT4_P12ihipStream_tbEUlT_E0_NS1_11comp_targetILNS1_3genE8ELNS1_11target_archE1030ELNS1_3gpuE2ELNS1_3repE0EEENS1_30default_config_static_selectorELNS0_4arch9wavefront6targetE0EEEvSQ_,@function
_ZN7rocprim17ROCPRIM_400000_NS6detail17trampoline_kernelINS0_14default_configENS1_22reduce_config_selectorIbEEZNS1_11reduce_implILb1ES3_N6hipcub16HIPCUB_304000_NS22TransformInputIteratorIbN2at6native12_GLOBAL__N_19NonZeroOpIfEEPKflEEPiiNS8_6detail34convert_binary_result_type_wrapperINS8_3SumESH_iEEEE10hipError_tPvRmT1_T2_T3_mT4_P12ihipStream_tbEUlT_E0_NS1_11comp_targetILNS1_3genE8ELNS1_11target_archE1030ELNS1_3gpuE2ELNS1_3repE0EEENS1_30default_config_static_selectorELNS0_4arch9wavefront6targetE0EEEvSQ_: ; @_ZN7rocprim17ROCPRIM_400000_NS6detail17trampoline_kernelINS0_14default_configENS1_22reduce_config_selectorIbEEZNS1_11reduce_implILb1ES3_N6hipcub16HIPCUB_304000_NS22TransformInputIteratorIbN2at6native12_GLOBAL__N_19NonZeroOpIfEEPKflEEPiiNS8_6detail34convert_binary_result_type_wrapperINS8_3SumESH_iEEEE10hipError_tPvRmT1_T2_T3_mT4_P12ihipStream_tbEUlT_E0_NS1_11comp_targetILNS1_3genE8ELNS1_11target_archE1030ELNS1_3gpuE2ELNS1_3repE0EEENS1_30default_config_static_selectorELNS0_4arch9wavefront6targetE0EEEvSQ_
; %bb.0:
	.section	.rodata,"a",@progbits
	.p2align	6, 0x0
	.amdhsa_kernel _ZN7rocprim17ROCPRIM_400000_NS6detail17trampoline_kernelINS0_14default_configENS1_22reduce_config_selectorIbEEZNS1_11reduce_implILb1ES3_N6hipcub16HIPCUB_304000_NS22TransformInputIteratorIbN2at6native12_GLOBAL__N_19NonZeroOpIfEEPKflEEPiiNS8_6detail34convert_binary_result_type_wrapperINS8_3SumESH_iEEEE10hipError_tPvRmT1_T2_T3_mT4_P12ihipStream_tbEUlT_E0_NS1_11comp_targetILNS1_3genE8ELNS1_11target_archE1030ELNS1_3gpuE2ELNS1_3repE0EEENS1_30default_config_static_selectorELNS0_4arch9wavefront6targetE0EEEvSQ_
		.amdhsa_group_segment_fixed_size 0
		.amdhsa_private_segment_fixed_size 0
		.amdhsa_kernarg_size 64
		.amdhsa_user_sgpr_count 2
		.amdhsa_user_sgpr_dispatch_ptr 0
		.amdhsa_user_sgpr_queue_ptr 0
		.amdhsa_user_sgpr_kernarg_segment_ptr 1
		.amdhsa_user_sgpr_dispatch_id 0
		.amdhsa_user_sgpr_private_segment_size 0
		.amdhsa_wavefront_size32 1
		.amdhsa_uses_dynamic_stack 0
		.amdhsa_enable_private_segment 0
		.amdhsa_system_sgpr_workgroup_id_x 1
		.amdhsa_system_sgpr_workgroup_id_y 0
		.amdhsa_system_sgpr_workgroup_id_z 0
		.amdhsa_system_sgpr_workgroup_info 0
		.amdhsa_system_vgpr_workitem_id 0
		.amdhsa_next_free_vgpr 1
		.amdhsa_next_free_sgpr 1
		.amdhsa_reserve_vcc 0
		.amdhsa_float_round_mode_32 0
		.amdhsa_float_round_mode_16_64 0
		.amdhsa_float_denorm_mode_32 3
		.amdhsa_float_denorm_mode_16_64 3
		.amdhsa_fp16_overflow 0
		.amdhsa_workgroup_processor_mode 1
		.amdhsa_memory_ordered 1
		.amdhsa_forward_progress 1
		.amdhsa_inst_pref_size 0
		.amdhsa_round_robin_scheduling 0
		.amdhsa_exception_fp_ieee_invalid_op 0
		.amdhsa_exception_fp_denorm_src 0
		.amdhsa_exception_fp_ieee_div_zero 0
		.amdhsa_exception_fp_ieee_overflow 0
		.amdhsa_exception_fp_ieee_underflow 0
		.amdhsa_exception_fp_ieee_inexact 0
		.amdhsa_exception_int_div_zero 0
	.end_amdhsa_kernel
	.section	.text._ZN7rocprim17ROCPRIM_400000_NS6detail17trampoline_kernelINS0_14default_configENS1_22reduce_config_selectorIbEEZNS1_11reduce_implILb1ES3_N6hipcub16HIPCUB_304000_NS22TransformInputIteratorIbN2at6native12_GLOBAL__N_19NonZeroOpIfEEPKflEEPiiNS8_6detail34convert_binary_result_type_wrapperINS8_3SumESH_iEEEE10hipError_tPvRmT1_T2_T3_mT4_P12ihipStream_tbEUlT_E0_NS1_11comp_targetILNS1_3genE8ELNS1_11target_archE1030ELNS1_3gpuE2ELNS1_3repE0EEENS1_30default_config_static_selectorELNS0_4arch9wavefront6targetE0EEEvSQ_,"axG",@progbits,_ZN7rocprim17ROCPRIM_400000_NS6detail17trampoline_kernelINS0_14default_configENS1_22reduce_config_selectorIbEEZNS1_11reduce_implILb1ES3_N6hipcub16HIPCUB_304000_NS22TransformInputIteratorIbN2at6native12_GLOBAL__N_19NonZeroOpIfEEPKflEEPiiNS8_6detail34convert_binary_result_type_wrapperINS8_3SumESH_iEEEE10hipError_tPvRmT1_T2_T3_mT4_P12ihipStream_tbEUlT_E0_NS1_11comp_targetILNS1_3genE8ELNS1_11target_archE1030ELNS1_3gpuE2ELNS1_3repE0EEENS1_30default_config_static_selectorELNS0_4arch9wavefront6targetE0EEEvSQ_,comdat
.Lfunc_end448:
	.size	_ZN7rocprim17ROCPRIM_400000_NS6detail17trampoline_kernelINS0_14default_configENS1_22reduce_config_selectorIbEEZNS1_11reduce_implILb1ES3_N6hipcub16HIPCUB_304000_NS22TransformInputIteratorIbN2at6native12_GLOBAL__N_19NonZeroOpIfEEPKflEEPiiNS8_6detail34convert_binary_result_type_wrapperINS8_3SumESH_iEEEE10hipError_tPvRmT1_T2_T3_mT4_P12ihipStream_tbEUlT_E0_NS1_11comp_targetILNS1_3genE8ELNS1_11target_archE1030ELNS1_3gpuE2ELNS1_3repE0EEENS1_30default_config_static_selectorELNS0_4arch9wavefront6targetE0EEEvSQ_, .Lfunc_end448-_ZN7rocprim17ROCPRIM_400000_NS6detail17trampoline_kernelINS0_14default_configENS1_22reduce_config_selectorIbEEZNS1_11reduce_implILb1ES3_N6hipcub16HIPCUB_304000_NS22TransformInputIteratorIbN2at6native12_GLOBAL__N_19NonZeroOpIfEEPKflEEPiiNS8_6detail34convert_binary_result_type_wrapperINS8_3SumESH_iEEEE10hipError_tPvRmT1_T2_T3_mT4_P12ihipStream_tbEUlT_E0_NS1_11comp_targetILNS1_3genE8ELNS1_11target_archE1030ELNS1_3gpuE2ELNS1_3repE0EEENS1_30default_config_static_selectorELNS0_4arch9wavefront6targetE0EEEvSQ_
                                        ; -- End function
	.set _ZN7rocprim17ROCPRIM_400000_NS6detail17trampoline_kernelINS0_14default_configENS1_22reduce_config_selectorIbEEZNS1_11reduce_implILb1ES3_N6hipcub16HIPCUB_304000_NS22TransformInputIteratorIbN2at6native12_GLOBAL__N_19NonZeroOpIfEEPKflEEPiiNS8_6detail34convert_binary_result_type_wrapperINS8_3SumESH_iEEEE10hipError_tPvRmT1_T2_T3_mT4_P12ihipStream_tbEUlT_E0_NS1_11comp_targetILNS1_3genE8ELNS1_11target_archE1030ELNS1_3gpuE2ELNS1_3repE0EEENS1_30default_config_static_selectorELNS0_4arch9wavefront6targetE0EEEvSQ_.num_vgpr, 0
	.set _ZN7rocprim17ROCPRIM_400000_NS6detail17trampoline_kernelINS0_14default_configENS1_22reduce_config_selectorIbEEZNS1_11reduce_implILb1ES3_N6hipcub16HIPCUB_304000_NS22TransformInputIteratorIbN2at6native12_GLOBAL__N_19NonZeroOpIfEEPKflEEPiiNS8_6detail34convert_binary_result_type_wrapperINS8_3SumESH_iEEEE10hipError_tPvRmT1_T2_T3_mT4_P12ihipStream_tbEUlT_E0_NS1_11comp_targetILNS1_3genE8ELNS1_11target_archE1030ELNS1_3gpuE2ELNS1_3repE0EEENS1_30default_config_static_selectorELNS0_4arch9wavefront6targetE0EEEvSQ_.num_agpr, 0
	.set _ZN7rocprim17ROCPRIM_400000_NS6detail17trampoline_kernelINS0_14default_configENS1_22reduce_config_selectorIbEEZNS1_11reduce_implILb1ES3_N6hipcub16HIPCUB_304000_NS22TransformInputIteratorIbN2at6native12_GLOBAL__N_19NonZeroOpIfEEPKflEEPiiNS8_6detail34convert_binary_result_type_wrapperINS8_3SumESH_iEEEE10hipError_tPvRmT1_T2_T3_mT4_P12ihipStream_tbEUlT_E0_NS1_11comp_targetILNS1_3genE8ELNS1_11target_archE1030ELNS1_3gpuE2ELNS1_3repE0EEENS1_30default_config_static_selectorELNS0_4arch9wavefront6targetE0EEEvSQ_.numbered_sgpr, 0
	.set _ZN7rocprim17ROCPRIM_400000_NS6detail17trampoline_kernelINS0_14default_configENS1_22reduce_config_selectorIbEEZNS1_11reduce_implILb1ES3_N6hipcub16HIPCUB_304000_NS22TransformInputIteratorIbN2at6native12_GLOBAL__N_19NonZeroOpIfEEPKflEEPiiNS8_6detail34convert_binary_result_type_wrapperINS8_3SumESH_iEEEE10hipError_tPvRmT1_T2_T3_mT4_P12ihipStream_tbEUlT_E0_NS1_11comp_targetILNS1_3genE8ELNS1_11target_archE1030ELNS1_3gpuE2ELNS1_3repE0EEENS1_30default_config_static_selectorELNS0_4arch9wavefront6targetE0EEEvSQ_.num_named_barrier, 0
	.set _ZN7rocprim17ROCPRIM_400000_NS6detail17trampoline_kernelINS0_14default_configENS1_22reduce_config_selectorIbEEZNS1_11reduce_implILb1ES3_N6hipcub16HIPCUB_304000_NS22TransformInputIteratorIbN2at6native12_GLOBAL__N_19NonZeroOpIfEEPKflEEPiiNS8_6detail34convert_binary_result_type_wrapperINS8_3SumESH_iEEEE10hipError_tPvRmT1_T2_T3_mT4_P12ihipStream_tbEUlT_E0_NS1_11comp_targetILNS1_3genE8ELNS1_11target_archE1030ELNS1_3gpuE2ELNS1_3repE0EEENS1_30default_config_static_selectorELNS0_4arch9wavefront6targetE0EEEvSQ_.private_seg_size, 0
	.set _ZN7rocprim17ROCPRIM_400000_NS6detail17trampoline_kernelINS0_14default_configENS1_22reduce_config_selectorIbEEZNS1_11reduce_implILb1ES3_N6hipcub16HIPCUB_304000_NS22TransformInputIteratorIbN2at6native12_GLOBAL__N_19NonZeroOpIfEEPKflEEPiiNS8_6detail34convert_binary_result_type_wrapperINS8_3SumESH_iEEEE10hipError_tPvRmT1_T2_T3_mT4_P12ihipStream_tbEUlT_E0_NS1_11comp_targetILNS1_3genE8ELNS1_11target_archE1030ELNS1_3gpuE2ELNS1_3repE0EEENS1_30default_config_static_selectorELNS0_4arch9wavefront6targetE0EEEvSQ_.uses_vcc, 0
	.set _ZN7rocprim17ROCPRIM_400000_NS6detail17trampoline_kernelINS0_14default_configENS1_22reduce_config_selectorIbEEZNS1_11reduce_implILb1ES3_N6hipcub16HIPCUB_304000_NS22TransformInputIteratorIbN2at6native12_GLOBAL__N_19NonZeroOpIfEEPKflEEPiiNS8_6detail34convert_binary_result_type_wrapperINS8_3SumESH_iEEEE10hipError_tPvRmT1_T2_T3_mT4_P12ihipStream_tbEUlT_E0_NS1_11comp_targetILNS1_3genE8ELNS1_11target_archE1030ELNS1_3gpuE2ELNS1_3repE0EEENS1_30default_config_static_selectorELNS0_4arch9wavefront6targetE0EEEvSQ_.uses_flat_scratch, 0
	.set _ZN7rocprim17ROCPRIM_400000_NS6detail17trampoline_kernelINS0_14default_configENS1_22reduce_config_selectorIbEEZNS1_11reduce_implILb1ES3_N6hipcub16HIPCUB_304000_NS22TransformInputIteratorIbN2at6native12_GLOBAL__N_19NonZeroOpIfEEPKflEEPiiNS8_6detail34convert_binary_result_type_wrapperINS8_3SumESH_iEEEE10hipError_tPvRmT1_T2_T3_mT4_P12ihipStream_tbEUlT_E0_NS1_11comp_targetILNS1_3genE8ELNS1_11target_archE1030ELNS1_3gpuE2ELNS1_3repE0EEENS1_30default_config_static_selectorELNS0_4arch9wavefront6targetE0EEEvSQ_.has_dyn_sized_stack, 0
	.set _ZN7rocprim17ROCPRIM_400000_NS6detail17trampoline_kernelINS0_14default_configENS1_22reduce_config_selectorIbEEZNS1_11reduce_implILb1ES3_N6hipcub16HIPCUB_304000_NS22TransformInputIteratorIbN2at6native12_GLOBAL__N_19NonZeroOpIfEEPKflEEPiiNS8_6detail34convert_binary_result_type_wrapperINS8_3SumESH_iEEEE10hipError_tPvRmT1_T2_T3_mT4_P12ihipStream_tbEUlT_E0_NS1_11comp_targetILNS1_3genE8ELNS1_11target_archE1030ELNS1_3gpuE2ELNS1_3repE0EEENS1_30default_config_static_selectorELNS0_4arch9wavefront6targetE0EEEvSQ_.has_recursion, 0
	.set _ZN7rocprim17ROCPRIM_400000_NS6detail17trampoline_kernelINS0_14default_configENS1_22reduce_config_selectorIbEEZNS1_11reduce_implILb1ES3_N6hipcub16HIPCUB_304000_NS22TransformInputIteratorIbN2at6native12_GLOBAL__N_19NonZeroOpIfEEPKflEEPiiNS8_6detail34convert_binary_result_type_wrapperINS8_3SumESH_iEEEE10hipError_tPvRmT1_T2_T3_mT4_P12ihipStream_tbEUlT_E0_NS1_11comp_targetILNS1_3genE8ELNS1_11target_archE1030ELNS1_3gpuE2ELNS1_3repE0EEENS1_30default_config_static_selectorELNS0_4arch9wavefront6targetE0EEEvSQ_.has_indirect_call, 0
	.section	.AMDGPU.csdata,"",@progbits
; Kernel info:
; codeLenInByte = 0
; TotalNumSgprs: 0
; NumVgprs: 0
; ScratchSize: 0
; MemoryBound: 0
; FloatMode: 240
; IeeeMode: 1
; LDSByteSize: 0 bytes/workgroup (compile time only)
; SGPRBlocks: 0
; VGPRBlocks: 0
; NumSGPRsForWavesPerEU: 1
; NumVGPRsForWavesPerEU: 1
; Occupancy: 16
; WaveLimiterHint : 0
; COMPUTE_PGM_RSRC2:SCRATCH_EN: 0
; COMPUTE_PGM_RSRC2:USER_SGPR: 2
; COMPUTE_PGM_RSRC2:TRAP_HANDLER: 0
; COMPUTE_PGM_RSRC2:TGID_X_EN: 1
; COMPUTE_PGM_RSRC2:TGID_Y_EN: 0
; COMPUTE_PGM_RSRC2:TGID_Z_EN: 0
; COMPUTE_PGM_RSRC2:TIDIG_COMP_CNT: 0
	.section	.text._ZN7rocprim17ROCPRIM_400000_NS6detail17trampoline_kernelINS0_14default_configENS1_22reduce_config_selectorIbEEZNS1_11reduce_implILb1ES3_N6hipcub16HIPCUB_304000_NS22TransformInputIteratorIbN2at6native12_GLOBAL__N_19NonZeroOpIfEEPKflEEPiiNS8_6detail34convert_binary_result_type_wrapperINS8_3SumESH_iEEEE10hipError_tPvRmT1_T2_T3_mT4_P12ihipStream_tbEUlT_E1_NS1_11comp_targetILNS1_3genE0ELNS1_11target_archE4294967295ELNS1_3gpuE0ELNS1_3repE0EEENS1_30default_config_static_selectorELNS0_4arch9wavefront6targetE0EEEvSQ_,"axG",@progbits,_ZN7rocprim17ROCPRIM_400000_NS6detail17trampoline_kernelINS0_14default_configENS1_22reduce_config_selectorIbEEZNS1_11reduce_implILb1ES3_N6hipcub16HIPCUB_304000_NS22TransformInputIteratorIbN2at6native12_GLOBAL__N_19NonZeroOpIfEEPKflEEPiiNS8_6detail34convert_binary_result_type_wrapperINS8_3SumESH_iEEEE10hipError_tPvRmT1_T2_T3_mT4_P12ihipStream_tbEUlT_E1_NS1_11comp_targetILNS1_3genE0ELNS1_11target_archE4294967295ELNS1_3gpuE0ELNS1_3repE0EEENS1_30default_config_static_selectorELNS0_4arch9wavefront6targetE0EEEvSQ_,comdat
	.globl	_ZN7rocprim17ROCPRIM_400000_NS6detail17trampoline_kernelINS0_14default_configENS1_22reduce_config_selectorIbEEZNS1_11reduce_implILb1ES3_N6hipcub16HIPCUB_304000_NS22TransformInputIteratorIbN2at6native12_GLOBAL__N_19NonZeroOpIfEEPKflEEPiiNS8_6detail34convert_binary_result_type_wrapperINS8_3SumESH_iEEEE10hipError_tPvRmT1_T2_T3_mT4_P12ihipStream_tbEUlT_E1_NS1_11comp_targetILNS1_3genE0ELNS1_11target_archE4294967295ELNS1_3gpuE0ELNS1_3repE0EEENS1_30default_config_static_selectorELNS0_4arch9wavefront6targetE0EEEvSQ_ ; -- Begin function _ZN7rocprim17ROCPRIM_400000_NS6detail17trampoline_kernelINS0_14default_configENS1_22reduce_config_selectorIbEEZNS1_11reduce_implILb1ES3_N6hipcub16HIPCUB_304000_NS22TransformInputIteratorIbN2at6native12_GLOBAL__N_19NonZeroOpIfEEPKflEEPiiNS8_6detail34convert_binary_result_type_wrapperINS8_3SumESH_iEEEE10hipError_tPvRmT1_T2_T3_mT4_P12ihipStream_tbEUlT_E1_NS1_11comp_targetILNS1_3genE0ELNS1_11target_archE4294967295ELNS1_3gpuE0ELNS1_3repE0EEENS1_30default_config_static_selectorELNS0_4arch9wavefront6targetE0EEEvSQ_
	.p2align	8
	.type	_ZN7rocprim17ROCPRIM_400000_NS6detail17trampoline_kernelINS0_14default_configENS1_22reduce_config_selectorIbEEZNS1_11reduce_implILb1ES3_N6hipcub16HIPCUB_304000_NS22TransformInputIteratorIbN2at6native12_GLOBAL__N_19NonZeroOpIfEEPKflEEPiiNS8_6detail34convert_binary_result_type_wrapperINS8_3SumESH_iEEEE10hipError_tPvRmT1_T2_T3_mT4_P12ihipStream_tbEUlT_E1_NS1_11comp_targetILNS1_3genE0ELNS1_11target_archE4294967295ELNS1_3gpuE0ELNS1_3repE0EEENS1_30default_config_static_selectorELNS0_4arch9wavefront6targetE0EEEvSQ_,@function
_ZN7rocprim17ROCPRIM_400000_NS6detail17trampoline_kernelINS0_14default_configENS1_22reduce_config_selectorIbEEZNS1_11reduce_implILb1ES3_N6hipcub16HIPCUB_304000_NS22TransformInputIteratorIbN2at6native12_GLOBAL__N_19NonZeroOpIfEEPKflEEPiiNS8_6detail34convert_binary_result_type_wrapperINS8_3SumESH_iEEEE10hipError_tPvRmT1_T2_T3_mT4_P12ihipStream_tbEUlT_E1_NS1_11comp_targetILNS1_3genE0ELNS1_11target_archE4294967295ELNS1_3gpuE0ELNS1_3repE0EEENS1_30default_config_static_selectorELNS0_4arch9wavefront6targetE0EEEvSQ_: ; @_ZN7rocprim17ROCPRIM_400000_NS6detail17trampoline_kernelINS0_14default_configENS1_22reduce_config_selectorIbEEZNS1_11reduce_implILb1ES3_N6hipcub16HIPCUB_304000_NS22TransformInputIteratorIbN2at6native12_GLOBAL__N_19NonZeroOpIfEEPKflEEPiiNS8_6detail34convert_binary_result_type_wrapperINS8_3SumESH_iEEEE10hipError_tPvRmT1_T2_T3_mT4_P12ihipStream_tbEUlT_E1_NS1_11comp_targetILNS1_3genE0ELNS1_11target_archE4294967295ELNS1_3gpuE0ELNS1_3repE0EEENS1_30default_config_static_selectorELNS0_4arch9wavefront6targetE0EEEvSQ_
; %bb.0:
	.section	.rodata,"a",@progbits
	.p2align	6, 0x0
	.amdhsa_kernel _ZN7rocprim17ROCPRIM_400000_NS6detail17trampoline_kernelINS0_14default_configENS1_22reduce_config_selectorIbEEZNS1_11reduce_implILb1ES3_N6hipcub16HIPCUB_304000_NS22TransformInputIteratorIbN2at6native12_GLOBAL__N_19NonZeroOpIfEEPKflEEPiiNS8_6detail34convert_binary_result_type_wrapperINS8_3SumESH_iEEEE10hipError_tPvRmT1_T2_T3_mT4_P12ihipStream_tbEUlT_E1_NS1_11comp_targetILNS1_3genE0ELNS1_11target_archE4294967295ELNS1_3gpuE0ELNS1_3repE0EEENS1_30default_config_static_selectorELNS0_4arch9wavefront6targetE0EEEvSQ_
		.amdhsa_group_segment_fixed_size 0
		.amdhsa_private_segment_fixed_size 0
		.amdhsa_kernarg_size 48
		.amdhsa_user_sgpr_count 2
		.amdhsa_user_sgpr_dispatch_ptr 0
		.amdhsa_user_sgpr_queue_ptr 0
		.amdhsa_user_sgpr_kernarg_segment_ptr 1
		.amdhsa_user_sgpr_dispatch_id 0
		.amdhsa_user_sgpr_private_segment_size 0
		.amdhsa_wavefront_size32 1
		.amdhsa_uses_dynamic_stack 0
		.amdhsa_enable_private_segment 0
		.amdhsa_system_sgpr_workgroup_id_x 1
		.amdhsa_system_sgpr_workgroup_id_y 0
		.amdhsa_system_sgpr_workgroup_id_z 0
		.amdhsa_system_sgpr_workgroup_info 0
		.amdhsa_system_vgpr_workitem_id 0
		.amdhsa_next_free_vgpr 1
		.amdhsa_next_free_sgpr 1
		.amdhsa_reserve_vcc 0
		.amdhsa_float_round_mode_32 0
		.amdhsa_float_round_mode_16_64 0
		.amdhsa_float_denorm_mode_32 3
		.amdhsa_float_denorm_mode_16_64 3
		.amdhsa_fp16_overflow 0
		.amdhsa_workgroup_processor_mode 1
		.amdhsa_memory_ordered 1
		.amdhsa_forward_progress 1
		.amdhsa_inst_pref_size 0
		.amdhsa_round_robin_scheduling 0
		.amdhsa_exception_fp_ieee_invalid_op 0
		.amdhsa_exception_fp_denorm_src 0
		.amdhsa_exception_fp_ieee_div_zero 0
		.amdhsa_exception_fp_ieee_overflow 0
		.amdhsa_exception_fp_ieee_underflow 0
		.amdhsa_exception_fp_ieee_inexact 0
		.amdhsa_exception_int_div_zero 0
	.end_amdhsa_kernel
	.section	.text._ZN7rocprim17ROCPRIM_400000_NS6detail17trampoline_kernelINS0_14default_configENS1_22reduce_config_selectorIbEEZNS1_11reduce_implILb1ES3_N6hipcub16HIPCUB_304000_NS22TransformInputIteratorIbN2at6native12_GLOBAL__N_19NonZeroOpIfEEPKflEEPiiNS8_6detail34convert_binary_result_type_wrapperINS8_3SumESH_iEEEE10hipError_tPvRmT1_T2_T3_mT4_P12ihipStream_tbEUlT_E1_NS1_11comp_targetILNS1_3genE0ELNS1_11target_archE4294967295ELNS1_3gpuE0ELNS1_3repE0EEENS1_30default_config_static_selectorELNS0_4arch9wavefront6targetE0EEEvSQ_,"axG",@progbits,_ZN7rocprim17ROCPRIM_400000_NS6detail17trampoline_kernelINS0_14default_configENS1_22reduce_config_selectorIbEEZNS1_11reduce_implILb1ES3_N6hipcub16HIPCUB_304000_NS22TransformInputIteratorIbN2at6native12_GLOBAL__N_19NonZeroOpIfEEPKflEEPiiNS8_6detail34convert_binary_result_type_wrapperINS8_3SumESH_iEEEE10hipError_tPvRmT1_T2_T3_mT4_P12ihipStream_tbEUlT_E1_NS1_11comp_targetILNS1_3genE0ELNS1_11target_archE4294967295ELNS1_3gpuE0ELNS1_3repE0EEENS1_30default_config_static_selectorELNS0_4arch9wavefront6targetE0EEEvSQ_,comdat
.Lfunc_end449:
	.size	_ZN7rocprim17ROCPRIM_400000_NS6detail17trampoline_kernelINS0_14default_configENS1_22reduce_config_selectorIbEEZNS1_11reduce_implILb1ES3_N6hipcub16HIPCUB_304000_NS22TransformInputIteratorIbN2at6native12_GLOBAL__N_19NonZeroOpIfEEPKflEEPiiNS8_6detail34convert_binary_result_type_wrapperINS8_3SumESH_iEEEE10hipError_tPvRmT1_T2_T3_mT4_P12ihipStream_tbEUlT_E1_NS1_11comp_targetILNS1_3genE0ELNS1_11target_archE4294967295ELNS1_3gpuE0ELNS1_3repE0EEENS1_30default_config_static_selectorELNS0_4arch9wavefront6targetE0EEEvSQ_, .Lfunc_end449-_ZN7rocprim17ROCPRIM_400000_NS6detail17trampoline_kernelINS0_14default_configENS1_22reduce_config_selectorIbEEZNS1_11reduce_implILb1ES3_N6hipcub16HIPCUB_304000_NS22TransformInputIteratorIbN2at6native12_GLOBAL__N_19NonZeroOpIfEEPKflEEPiiNS8_6detail34convert_binary_result_type_wrapperINS8_3SumESH_iEEEE10hipError_tPvRmT1_T2_T3_mT4_P12ihipStream_tbEUlT_E1_NS1_11comp_targetILNS1_3genE0ELNS1_11target_archE4294967295ELNS1_3gpuE0ELNS1_3repE0EEENS1_30default_config_static_selectorELNS0_4arch9wavefront6targetE0EEEvSQ_
                                        ; -- End function
	.set _ZN7rocprim17ROCPRIM_400000_NS6detail17trampoline_kernelINS0_14default_configENS1_22reduce_config_selectorIbEEZNS1_11reduce_implILb1ES3_N6hipcub16HIPCUB_304000_NS22TransformInputIteratorIbN2at6native12_GLOBAL__N_19NonZeroOpIfEEPKflEEPiiNS8_6detail34convert_binary_result_type_wrapperINS8_3SumESH_iEEEE10hipError_tPvRmT1_T2_T3_mT4_P12ihipStream_tbEUlT_E1_NS1_11comp_targetILNS1_3genE0ELNS1_11target_archE4294967295ELNS1_3gpuE0ELNS1_3repE0EEENS1_30default_config_static_selectorELNS0_4arch9wavefront6targetE0EEEvSQ_.num_vgpr, 0
	.set _ZN7rocprim17ROCPRIM_400000_NS6detail17trampoline_kernelINS0_14default_configENS1_22reduce_config_selectorIbEEZNS1_11reduce_implILb1ES3_N6hipcub16HIPCUB_304000_NS22TransformInputIteratorIbN2at6native12_GLOBAL__N_19NonZeroOpIfEEPKflEEPiiNS8_6detail34convert_binary_result_type_wrapperINS8_3SumESH_iEEEE10hipError_tPvRmT1_T2_T3_mT4_P12ihipStream_tbEUlT_E1_NS1_11comp_targetILNS1_3genE0ELNS1_11target_archE4294967295ELNS1_3gpuE0ELNS1_3repE0EEENS1_30default_config_static_selectorELNS0_4arch9wavefront6targetE0EEEvSQ_.num_agpr, 0
	.set _ZN7rocprim17ROCPRIM_400000_NS6detail17trampoline_kernelINS0_14default_configENS1_22reduce_config_selectorIbEEZNS1_11reduce_implILb1ES3_N6hipcub16HIPCUB_304000_NS22TransformInputIteratorIbN2at6native12_GLOBAL__N_19NonZeroOpIfEEPKflEEPiiNS8_6detail34convert_binary_result_type_wrapperINS8_3SumESH_iEEEE10hipError_tPvRmT1_T2_T3_mT4_P12ihipStream_tbEUlT_E1_NS1_11comp_targetILNS1_3genE0ELNS1_11target_archE4294967295ELNS1_3gpuE0ELNS1_3repE0EEENS1_30default_config_static_selectorELNS0_4arch9wavefront6targetE0EEEvSQ_.numbered_sgpr, 0
	.set _ZN7rocprim17ROCPRIM_400000_NS6detail17trampoline_kernelINS0_14default_configENS1_22reduce_config_selectorIbEEZNS1_11reduce_implILb1ES3_N6hipcub16HIPCUB_304000_NS22TransformInputIteratorIbN2at6native12_GLOBAL__N_19NonZeroOpIfEEPKflEEPiiNS8_6detail34convert_binary_result_type_wrapperINS8_3SumESH_iEEEE10hipError_tPvRmT1_T2_T3_mT4_P12ihipStream_tbEUlT_E1_NS1_11comp_targetILNS1_3genE0ELNS1_11target_archE4294967295ELNS1_3gpuE0ELNS1_3repE0EEENS1_30default_config_static_selectorELNS0_4arch9wavefront6targetE0EEEvSQ_.num_named_barrier, 0
	.set _ZN7rocprim17ROCPRIM_400000_NS6detail17trampoline_kernelINS0_14default_configENS1_22reduce_config_selectorIbEEZNS1_11reduce_implILb1ES3_N6hipcub16HIPCUB_304000_NS22TransformInputIteratorIbN2at6native12_GLOBAL__N_19NonZeroOpIfEEPKflEEPiiNS8_6detail34convert_binary_result_type_wrapperINS8_3SumESH_iEEEE10hipError_tPvRmT1_T2_T3_mT4_P12ihipStream_tbEUlT_E1_NS1_11comp_targetILNS1_3genE0ELNS1_11target_archE4294967295ELNS1_3gpuE0ELNS1_3repE0EEENS1_30default_config_static_selectorELNS0_4arch9wavefront6targetE0EEEvSQ_.private_seg_size, 0
	.set _ZN7rocprim17ROCPRIM_400000_NS6detail17trampoline_kernelINS0_14default_configENS1_22reduce_config_selectorIbEEZNS1_11reduce_implILb1ES3_N6hipcub16HIPCUB_304000_NS22TransformInputIteratorIbN2at6native12_GLOBAL__N_19NonZeroOpIfEEPKflEEPiiNS8_6detail34convert_binary_result_type_wrapperINS8_3SumESH_iEEEE10hipError_tPvRmT1_T2_T3_mT4_P12ihipStream_tbEUlT_E1_NS1_11comp_targetILNS1_3genE0ELNS1_11target_archE4294967295ELNS1_3gpuE0ELNS1_3repE0EEENS1_30default_config_static_selectorELNS0_4arch9wavefront6targetE0EEEvSQ_.uses_vcc, 0
	.set _ZN7rocprim17ROCPRIM_400000_NS6detail17trampoline_kernelINS0_14default_configENS1_22reduce_config_selectorIbEEZNS1_11reduce_implILb1ES3_N6hipcub16HIPCUB_304000_NS22TransformInputIteratorIbN2at6native12_GLOBAL__N_19NonZeroOpIfEEPKflEEPiiNS8_6detail34convert_binary_result_type_wrapperINS8_3SumESH_iEEEE10hipError_tPvRmT1_T2_T3_mT4_P12ihipStream_tbEUlT_E1_NS1_11comp_targetILNS1_3genE0ELNS1_11target_archE4294967295ELNS1_3gpuE0ELNS1_3repE0EEENS1_30default_config_static_selectorELNS0_4arch9wavefront6targetE0EEEvSQ_.uses_flat_scratch, 0
	.set _ZN7rocprim17ROCPRIM_400000_NS6detail17trampoline_kernelINS0_14default_configENS1_22reduce_config_selectorIbEEZNS1_11reduce_implILb1ES3_N6hipcub16HIPCUB_304000_NS22TransformInputIteratorIbN2at6native12_GLOBAL__N_19NonZeroOpIfEEPKflEEPiiNS8_6detail34convert_binary_result_type_wrapperINS8_3SumESH_iEEEE10hipError_tPvRmT1_T2_T3_mT4_P12ihipStream_tbEUlT_E1_NS1_11comp_targetILNS1_3genE0ELNS1_11target_archE4294967295ELNS1_3gpuE0ELNS1_3repE0EEENS1_30default_config_static_selectorELNS0_4arch9wavefront6targetE0EEEvSQ_.has_dyn_sized_stack, 0
	.set _ZN7rocprim17ROCPRIM_400000_NS6detail17trampoline_kernelINS0_14default_configENS1_22reduce_config_selectorIbEEZNS1_11reduce_implILb1ES3_N6hipcub16HIPCUB_304000_NS22TransformInputIteratorIbN2at6native12_GLOBAL__N_19NonZeroOpIfEEPKflEEPiiNS8_6detail34convert_binary_result_type_wrapperINS8_3SumESH_iEEEE10hipError_tPvRmT1_T2_T3_mT4_P12ihipStream_tbEUlT_E1_NS1_11comp_targetILNS1_3genE0ELNS1_11target_archE4294967295ELNS1_3gpuE0ELNS1_3repE0EEENS1_30default_config_static_selectorELNS0_4arch9wavefront6targetE0EEEvSQ_.has_recursion, 0
	.set _ZN7rocprim17ROCPRIM_400000_NS6detail17trampoline_kernelINS0_14default_configENS1_22reduce_config_selectorIbEEZNS1_11reduce_implILb1ES3_N6hipcub16HIPCUB_304000_NS22TransformInputIteratorIbN2at6native12_GLOBAL__N_19NonZeroOpIfEEPKflEEPiiNS8_6detail34convert_binary_result_type_wrapperINS8_3SumESH_iEEEE10hipError_tPvRmT1_T2_T3_mT4_P12ihipStream_tbEUlT_E1_NS1_11comp_targetILNS1_3genE0ELNS1_11target_archE4294967295ELNS1_3gpuE0ELNS1_3repE0EEENS1_30default_config_static_selectorELNS0_4arch9wavefront6targetE0EEEvSQ_.has_indirect_call, 0
	.section	.AMDGPU.csdata,"",@progbits
; Kernel info:
; codeLenInByte = 0
; TotalNumSgprs: 0
; NumVgprs: 0
; ScratchSize: 0
; MemoryBound: 0
; FloatMode: 240
; IeeeMode: 1
; LDSByteSize: 0 bytes/workgroup (compile time only)
; SGPRBlocks: 0
; VGPRBlocks: 0
; NumSGPRsForWavesPerEU: 1
; NumVGPRsForWavesPerEU: 1
; Occupancy: 16
; WaveLimiterHint : 0
; COMPUTE_PGM_RSRC2:SCRATCH_EN: 0
; COMPUTE_PGM_RSRC2:USER_SGPR: 2
; COMPUTE_PGM_RSRC2:TRAP_HANDLER: 0
; COMPUTE_PGM_RSRC2:TGID_X_EN: 1
; COMPUTE_PGM_RSRC2:TGID_Y_EN: 0
; COMPUTE_PGM_RSRC2:TGID_Z_EN: 0
; COMPUTE_PGM_RSRC2:TIDIG_COMP_CNT: 0
	.section	.text._ZN7rocprim17ROCPRIM_400000_NS6detail17trampoline_kernelINS0_14default_configENS1_22reduce_config_selectorIbEEZNS1_11reduce_implILb1ES3_N6hipcub16HIPCUB_304000_NS22TransformInputIteratorIbN2at6native12_GLOBAL__N_19NonZeroOpIfEEPKflEEPiiNS8_6detail34convert_binary_result_type_wrapperINS8_3SumESH_iEEEE10hipError_tPvRmT1_T2_T3_mT4_P12ihipStream_tbEUlT_E1_NS1_11comp_targetILNS1_3genE5ELNS1_11target_archE942ELNS1_3gpuE9ELNS1_3repE0EEENS1_30default_config_static_selectorELNS0_4arch9wavefront6targetE0EEEvSQ_,"axG",@progbits,_ZN7rocprim17ROCPRIM_400000_NS6detail17trampoline_kernelINS0_14default_configENS1_22reduce_config_selectorIbEEZNS1_11reduce_implILb1ES3_N6hipcub16HIPCUB_304000_NS22TransformInputIteratorIbN2at6native12_GLOBAL__N_19NonZeroOpIfEEPKflEEPiiNS8_6detail34convert_binary_result_type_wrapperINS8_3SumESH_iEEEE10hipError_tPvRmT1_T2_T3_mT4_P12ihipStream_tbEUlT_E1_NS1_11comp_targetILNS1_3genE5ELNS1_11target_archE942ELNS1_3gpuE9ELNS1_3repE0EEENS1_30default_config_static_selectorELNS0_4arch9wavefront6targetE0EEEvSQ_,comdat
	.globl	_ZN7rocprim17ROCPRIM_400000_NS6detail17trampoline_kernelINS0_14default_configENS1_22reduce_config_selectorIbEEZNS1_11reduce_implILb1ES3_N6hipcub16HIPCUB_304000_NS22TransformInputIteratorIbN2at6native12_GLOBAL__N_19NonZeroOpIfEEPKflEEPiiNS8_6detail34convert_binary_result_type_wrapperINS8_3SumESH_iEEEE10hipError_tPvRmT1_T2_T3_mT4_P12ihipStream_tbEUlT_E1_NS1_11comp_targetILNS1_3genE5ELNS1_11target_archE942ELNS1_3gpuE9ELNS1_3repE0EEENS1_30default_config_static_selectorELNS0_4arch9wavefront6targetE0EEEvSQ_ ; -- Begin function _ZN7rocprim17ROCPRIM_400000_NS6detail17trampoline_kernelINS0_14default_configENS1_22reduce_config_selectorIbEEZNS1_11reduce_implILb1ES3_N6hipcub16HIPCUB_304000_NS22TransformInputIteratorIbN2at6native12_GLOBAL__N_19NonZeroOpIfEEPKflEEPiiNS8_6detail34convert_binary_result_type_wrapperINS8_3SumESH_iEEEE10hipError_tPvRmT1_T2_T3_mT4_P12ihipStream_tbEUlT_E1_NS1_11comp_targetILNS1_3genE5ELNS1_11target_archE942ELNS1_3gpuE9ELNS1_3repE0EEENS1_30default_config_static_selectorELNS0_4arch9wavefront6targetE0EEEvSQ_
	.p2align	8
	.type	_ZN7rocprim17ROCPRIM_400000_NS6detail17trampoline_kernelINS0_14default_configENS1_22reduce_config_selectorIbEEZNS1_11reduce_implILb1ES3_N6hipcub16HIPCUB_304000_NS22TransformInputIteratorIbN2at6native12_GLOBAL__N_19NonZeroOpIfEEPKflEEPiiNS8_6detail34convert_binary_result_type_wrapperINS8_3SumESH_iEEEE10hipError_tPvRmT1_T2_T3_mT4_P12ihipStream_tbEUlT_E1_NS1_11comp_targetILNS1_3genE5ELNS1_11target_archE942ELNS1_3gpuE9ELNS1_3repE0EEENS1_30default_config_static_selectorELNS0_4arch9wavefront6targetE0EEEvSQ_,@function
_ZN7rocprim17ROCPRIM_400000_NS6detail17trampoline_kernelINS0_14default_configENS1_22reduce_config_selectorIbEEZNS1_11reduce_implILb1ES3_N6hipcub16HIPCUB_304000_NS22TransformInputIteratorIbN2at6native12_GLOBAL__N_19NonZeroOpIfEEPKflEEPiiNS8_6detail34convert_binary_result_type_wrapperINS8_3SumESH_iEEEE10hipError_tPvRmT1_T2_T3_mT4_P12ihipStream_tbEUlT_E1_NS1_11comp_targetILNS1_3genE5ELNS1_11target_archE942ELNS1_3gpuE9ELNS1_3repE0EEENS1_30default_config_static_selectorELNS0_4arch9wavefront6targetE0EEEvSQ_: ; @_ZN7rocprim17ROCPRIM_400000_NS6detail17trampoline_kernelINS0_14default_configENS1_22reduce_config_selectorIbEEZNS1_11reduce_implILb1ES3_N6hipcub16HIPCUB_304000_NS22TransformInputIteratorIbN2at6native12_GLOBAL__N_19NonZeroOpIfEEPKflEEPiiNS8_6detail34convert_binary_result_type_wrapperINS8_3SumESH_iEEEE10hipError_tPvRmT1_T2_T3_mT4_P12ihipStream_tbEUlT_E1_NS1_11comp_targetILNS1_3genE5ELNS1_11target_archE942ELNS1_3gpuE9ELNS1_3repE0EEENS1_30default_config_static_selectorELNS0_4arch9wavefront6targetE0EEEvSQ_
; %bb.0:
	.section	.rodata,"a",@progbits
	.p2align	6, 0x0
	.amdhsa_kernel _ZN7rocprim17ROCPRIM_400000_NS6detail17trampoline_kernelINS0_14default_configENS1_22reduce_config_selectorIbEEZNS1_11reduce_implILb1ES3_N6hipcub16HIPCUB_304000_NS22TransformInputIteratorIbN2at6native12_GLOBAL__N_19NonZeroOpIfEEPKflEEPiiNS8_6detail34convert_binary_result_type_wrapperINS8_3SumESH_iEEEE10hipError_tPvRmT1_T2_T3_mT4_P12ihipStream_tbEUlT_E1_NS1_11comp_targetILNS1_3genE5ELNS1_11target_archE942ELNS1_3gpuE9ELNS1_3repE0EEENS1_30default_config_static_selectorELNS0_4arch9wavefront6targetE0EEEvSQ_
		.amdhsa_group_segment_fixed_size 0
		.amdhsa_private_segment_fixed_size 0
		.amdhsa_kernarg_size 48
		.amdhsa_user_sgpr_count 2
		.amdhsa_user_sgpr_dispatch_ptr 0
		.amdhsa_user_sgpr_queue_ptr 0
		.amdhsa_user_sgpr_kernarg_segment_ptr 1
		.amdhsa_user_sgpr_dispatch_id 0
		.amdhsa_user_sgpr_private_segment_size 0
		.amdhsa_wavefront_size32 1
		.amdhsa_uses_dynamic_stack 0
		.amdhsa_enable_private_segment 0
		.amdhsa_system_sgpr_workgroup_id_x 1
		.amdhsa_system_sgpr_workgroup_id_y 0
		.amdhsa_system_sgpr_workgroup_id_z 0
		.amdhsa_system_sgpr_workgroup_info 0
		.amdhsa_system_vgpr_workitem_id 0
		.amdhsa_next_free_vgpr 1
		.amdhsa_next_free_sgpr 1
		.amdhsa_reserve_vcc 0
		.amdhsa_float_round_mode_32 0
		.amdhsa_float_round_mode_16_64 0
		.amdhsa_float_denorm_mode_32 3
		.amdhsa_float_denorm_mode_16_64 3
		.amdhsa_fp16_overflow 0
		.amdhsa_workgroup_processor_mode 1
		.amdhsa_memory_ordered 1
		.amdhsa_forward_progress 1
		.amdhsa_inst_pref_size 0
		.amdhsa_round_robin_scheduling 0
		.amdhsa_exception_fp_ieee_invalid_op 0
		.amdhsa_exception_fp_denorm_src 0
		.amdhsa_exception_fp_ieee_div_zero 0
		.amdhsa_exception_fp_ieee_overflow 0
		.amdhsa_exception_fp_ieee_underflow 0
		.amdhsa_exception_fp_ieee_inexact 0
		.amdhsa_exception_int_div_zero 0
	.end_amdhsa_kernel
	.section	.text._ZN7rocprim17ROCPRIM_400000_NS6detail17trampoline_kernelINS0_14default_configENS1_22reduce_config_selectorIbEEZNS1_11reduce_implILb1ES3_N6hipcub16HIPCUB_304000_NS22TransformInputIteratorIbN2at6native12_GLOBAL__N_19NonZeroOpIfEEPKflEEPiiNS8_6detail34convert_binary_result_type_wrapperINS8_3SumESH_iEEEE10hipError_tPvRmT1_T2_T3_mT4_P12ihipStream_tbEUlT_E1_NS1_11comp_targetILNS1_3genE5ELNS1_11target_archE942ELNS1_3gpuE9ELNS1_3repE0EEENS1_30default_config_static_selectorELNS0_4arch9wavefront6targetE0EEEvSQ_,"axG",@progbits,_ZN7rocprim17ROCPRIM_400000_NS6detail17trampoline_kernelINS0_14default_configENS1_22reduce_config_selectorIbEEZNS1_11reduce_implILb1ES3_N6hipcub16HIPCUB_304000_NS22TransformInputIteratorIbN2at6native12_GLOBAL__N_19NonZeroOpIfEEPKflEEPiiNS8_6detail34convert_binary_result_type_wrapperINS8_3SumESH_iEEEE10hipError_tPvRmT1_T2_T3_mT4_P12ihipStream_tbEUlT_E1_NS1_11comp_targetILNS1_3genE5ELNS1_11target_archE942ELNS1_3gpuE9ELNS1_3repE0EEENS1_30default_config_static_selectorELNS0_4arch9wavefront6targetE0EEEvSQ_,comdat
.Lfunc_end450:
	.size	_ZN7rocprim17ROCPRIM_400000_NS6detail17trampoline_kernelINS0_14default_configENS1_22reduce_config_selectorIbEEZNS1_11reduce_implILb1ES3_N6hipcub16HIPCUB_304000_NS22TransformInputIteratorIbN2at6native12_GLOBAL__N_19NonZeroOpIfEEPKflEEPiiNS8_6detail34convert_binary_result_type_wrapperINS8_3SumESH_iEEEE10hipError_tPvRmT1_T2_T3_mT4_P12ihipStream_tbEUlT_E1_NS1_11comp_targetILNS1_3genE5ELNS1_11target_archE942ELNS1_3gpuE9ELNS1_3repE0EEENS1_30default_config_static_selectorELNS0_4arch9wavefront6targetE0EEEvSQ_, .Lfunc_end450-_ZN7rocprim17ROCPRIM_400000_NS6detail17trampoline_kernelINS0_14default_configENS1_22reduce_config_selectorIbEEZNS1_11reduce_implILb1ES3_N6hipcub16HIPCUB_304000_NS22TransformInputIteratorIbN2at6native12_GLOBAL__N_19NonZeroOpIfEEPKflEEPiiNS8_6detail34convert_binary_result_type_wrapperINS8_3SumESH_iEEEE10hipError_tPvRmT1_T2_T3_mT4_P12ihipStream_tbEUlT_E1_NS1_11comp_targetILNS1_3genE5ELNS1_11target_archE942ELNS1_3gpuE9ELNS1_3repE0EEENS1_30default_config_static_selectorELNS0_4arch9wavefront6targetE0EEEvSQ_
                                        ; -- End function
	.set _ZN7rocprim17ROCPRIM_400000_NS6detail17trampoline_kernelINS0_14default_configENS1_22reduce_config_selectorIbEEZNS1_11reduce_implILb1ES3_N6hipcub16HIPCUB_304000_NS22TransformInputIteratorIbN2at6native12_GLOBAL__N_19NonZeroOpIfEEPKflEEPiiNS8_6detail34convert_binary_result_type_wrapperINS8_3SumESH_iEEEE10hipError_tPvRmT1_T2_T3_mT4_P12ihipStream_tbEUlT_E1_NS1_11comp_targetILNS1_3genE5ELNS1_11target_archE942ELNS1_3gpuE9ELNS1_3repE0EEENS1_30default_config_static_selectorELNS0_4arch9wavefront6targetE0EEEvSQ_.num_vgpr, 0
	.set _ZN7rocprim17ROCPRIM_400000_NS6detail17trampoline_kernelINS0_14default_configENS1_22reduce_config_selectorIbEEZNS1_11reduce_implILb1ES3_N6hipcub16HIPCUB_304000_NS22TransformInputIteratorIbN2at6native12_GLOBAL__N_19NonZeroOpIfEEPKflEEPiiNS8_6detail34convert_binary_result_type_wrapperINS8_3SumESH_iEEEE10hipError_tPvRmT1_T2_T3_mT4_P12ihipStream_tbEUlT_E1_NS1_11comp_targetILNS1_3genE5ELNS1_11target_archE942ELNS1_3gpuE9ELNS1_3repE0EEENS1_30default_config_static_selectorELNS0_4arch9wavefront6targetE0EEEvSQ_.num_agpr, 0
	.set _ZN7rocprim17ROCPRIM_400000_NS6detail17trampoline_kernelINS0_14default_configENS1_22reduce_config_selectorIbEEZNS1_11reduce_implILb1ES3_N6hipcub16HIPCUB_304000_NS22TransformInputIteratorIbN2at6native12_GLOBAL__N_19NonZeroOpIfEEPKflEEPiiNS8_6detail34convert_binary_result_type_wrapperINS8_3SumESH_iEEEE10hipError_tPvRmT1_T2_T3_mT4_P12ihipStream_tbEUlT_E1_NS1_11comp_targetILNS1_3genE5ELNS1_11target_archE942ELNS1_3gpuE9ELNS1_3repE0EEENS1_30default_config_static_selectorELNS0_4arch9wavefront6targetE0EEEvSQ_.numbered_sgpr, 0
	.set _ZN7rocprim17ROCPRIM_400000_NS6detail17trampoline_kernelINS0_14default_configENS1_22reduce_config_selectorIbEEZNS1_11reduce_implILb1ES3_N6hipcub16HIPCUB_304000_NS22TransformInputIteratorIbN2at6native12_GLOBAL__N_19NonZeroOpIfEEPKflEEPiiNS8_6detail34convert_binary_result_type_wrapperINS8_3SumESH_iEEEE10hipError_tPvRmT1_T2_T3_mT4_P12ihipStream_tbEUlT_E1_NS1_11comp_targetILNS1_3genE5ELNS1_11target_archE942ELNS1_3gpuE9ELNS1_3repE0EEENS1_30default_config_static_selectorELNS0_4arch9wavefront6targetE0EEEvSQ_.num_named_barrier, 0
	.set _ZN7rocprim17ROCPRIM_400000_NS6detail17trampoline_kernelINS0_14default_configENS1_22reduce_config_selectorIbEEZNS1_11reduce_implILb1ES3_N6hipcub16HIPCUB_304000_NS22TransformInputIteratorIbN2at6native12_GLOBAL__N_19NonZeroOpIfEEPKflEEPiiNS8_6detail34convert_binary_result_type_wrapperINS8_3SumESH_iEEEE10hipError_tPvRmT1_T2_T3_mT4_P12ihipStream_tbEUlT_E1_NS1_11comp_targetILNS1_3genE5ELNS1_11target_archE942ELNS1_3gpuE9ELNS1_3repE0EEENS1_30default_config_static_selectorELNS0_4arch9wavefront6targetE0EEEvSQ_.private_seg_size, 0
	.set _ZN7rocprim17ROCPRIM_400000_NS6detail17trampoline_kernelINS0_14default_configENS1_22reduce_config_selectorIbEEZNS1_11reduce_implILb1ES3_N6hipcub16HIPCUB_304000_NS22TransformInputIteratorIbN2at6native12_GLOBAL__N_19NonZeroOpIfEEPKflEEPiiNS8_6detail34convert_binary_result_type_wrapperINS8_3SumESH_iEEEE10hipError_tPvRmT1_T2_T3_mT4_P12ihipStream_tbEUlT_E1_NS1_11comp_targetILNS1_3genE5ELNS1_11target_archE942ELNS1_3gpuE9ELNS1_3repE0EEENS1_30default_config_static_selectorELNS0_4arch9wavefront6targetE0EEEvSQ_.uses_vcc, 0
	.set _ZN7rocprim17ROCPRIM_400000_NS6detail17trampoline_kernelINS0_14default_configENS1_22reduce_config_selectorIbEEZNS1_11reduce_implILb1ES3_N6hipcub16HIPCUB_304000_NS22TransformInputIteratorIbN2at6native12_GLOBAL__N_19NonZeroOpIfEEPKflEEPiiNS8_6detail34convert_binary_result_type_wrapperINS8_3SumESH_iEEEE10hipError_tPvRmT1_T2_T3_mT4_P12ihipStream_tbEUlT_E1_NS1_11comp_targetILNS1_3genE5ELNS1_11target_archE942ELNS1_3gpuE9ELNS1_3repE0EEENS1_30default_config_static_selectorELNS0_4arch9wavefront6targetE0EEEvSQ_.uses_flat_scratch, 0
	.set _ZN7rocprim17ROCPRIM_400000_NS6detail17trampoline_kernelINS0_14default_configENS1_22reduce_config_selectorIbEEZNS1_11reduce_implILb1ES3_N6hipcub16HIPCUB_304000_NS22TransformInputIteratorIbN2at6native12_GLOBAL__N_19NonZeroOpIfEEPKflEEPiiNS8_6detail34convert_binary_result_type_wrapperINS8_3SumESH_iEEEE10hipError_tPvRmT1_T2_T3_mT4_P12ihipStream_tbEUlT_E1_NS1_11comp_targetILNS1_3genE5ELNS1_11target_archE942ELNS1_3gpuE9ELNS1_3repE0EEENS1_30default_config_static_selectorELNS0_4arch9wavefront6targetE0EEEvSQ_.has_dyn_sized_stack, 0
	.set _ZN7rocprim17ROCPRIM_400000_NS6detail17trampoline_kernelINS0_14default_configENS1_22reduce_config_selectorIbEEZNS1_11reduce_implILb1ES3_N6hipcub16HIPCUB_304000_NS22TransformInputIteratorIbN2at6native12_GLOBAL__N_19NonZeroOpIfEEPKflEEPiiNS8_6detail34convert_binary_result_type_wrapperINS8_3SumESH_iEEEE10hipError_tPvRmT1_T2_T3_mT4_P12ihipStream_tbEUlT_E1_NS1_11comp_targetILNS1_3genE5ELNS1_11target_archE942ELNS1_3gpuE9ELNS1_3repE0EEENS1_30default_config_static_selectorELNS0_4arch9wavefront6targetE0EEEvSQ_.has_recursion, 0
	.set _ZN7rocprim17ROCPRIM_400000_NS6detail17trampoline_kernelINS0_14default_configENS1_22reduce_config_selectorIbEEZNS1_11reduce_implILb1ES3_N6hipcub16HIPCUB_304000_NS22TransformInputIteratorIbN2at6native12_GLOBAL__N_19NonZeroOpIfEEPKflEEPiiNS8_6detail34convert_binary_result_type_wrapperINS8_3SumESH_iEEEE10hipError_tPvRmT1_T2_T3_mT4_P12ihipStream_tbEUlT_E1_NS1_11comp_targetILNS1_3genE5ELNS1_11target_archE942ELNS1_3gpuE9ELNS1_3repE0EEENS1_30default_config_static_selectorELNS0_4arch9wavefront6targetE0EEEvSQ_.has_indirect_call, 0
	.section	.AMDGPU.csdata,"",@progbits
; Kernel info:
; codeLenInByte = 0
; TotalNumSgprs: 0
; NumVgprs: 0
; ScratchSize: 0
; MemoryBound: 0
; FloatMode: 240
; IeeeMode: 1
; LDSByteSize: 0 bytes/workgroup (compile time only)
; SGPRBlocks: 0
; VGPRBlocks: 0
; NumSGPRsForWavesPerEU: 1
; NumVGPRsForWavesPerEU: 1
; Occupancy: 16
; WaveLimiterHint : 0
; COMPUTE_PGM_RSRC2:SCRATCH_EN: 0
; COMPUTE_PGM_RSRC2:USER_SGPR: 2
; COMPUTE_PGM_RSRC2:TRAP_HANDLER: 0
; COMPUTE_PGM_RSRC2:TGID_X_EN: 1
; COMPUTE_PGM_RSRC2:TGID_Y_EN: 0
; COMPUTE_PGM_RSRC2:TGID_Z_EN: 0
; COMPUTE_PGM_RSRC2:TIDIG_COMP_CNT: 0
	.section	.text._ZN7rocprim17ROCPRIM_400000_NS6detail17trampoline_kernelINS0_14default_configENS1_22reduce_config_selectorIbEEZNS1_11reduce_implILb1ES3_N6hipcub16HIPCUB_304000_NS22TransformInputIteratorIbN2at6native12_GLOBAL__N_19NonZeroOpIfEEPKflEEPiiNS8_6detail34convert_binary_result_type_wrapperINS8_3SumESH_iEEEE10hipError_tPvRmT1_T2_T3_mT4_P12ihipStream_tbEUlT_E1_NS1_11comp_targetILNS1_3genE4ELNS1_11target_archE910ELNS1_3gpuE8ELNS1_3repE0EEENS1_30default_config_static_selectorELNS0_4arch9wavefront6targetE0EEEvSQ_,"axG",@progbits,_ZN7rocprim17ROCPRIM_400000_NS6detail17trampoline_kernelINS0_14default_configENS1_22reduce_config_selectorIbEEZNS1_11reduce_implILb1ES3_N6hipcub16HIPCUB_304000_NS22TransformInputIteratorIbN2at6native12_GLOBAL__N_19NonZeroOpIfEEPKflEEPiiNS8_6detail34convert_binary_result_type_wrapperINS8_3SumESH_iEEEE10hipError_tPvRmT1_T2_T3_mT4_P12ihipStream_tbEUlT_E1_NS1_11comp_targetILNS1_3genE4ELNS1_11target_archE910ELNS1_3gpuE8ELNS1_3repE0EEENS1_30default_config_static_selectorELNS0_4arch9wavefront6targetE0EEEvSQ_,comdat
	.globl	_ZN7rocprim17ROCPRIM_400000_NS6detail17trampoline_kernelINS0_14default_configENS1_22reduce_config_selectorIbEEZNS1_11reduce_implILb1ES3_N6hipcub16HIPCUB_304000_NS22TransformInputIteratorIbN2at6native12_GLOBAL__N_19NonZeroOpIfEEPKflEEPiiNS8_6detail34convert_binary_result_type_wrapperINS8_3SumESH_iEEEE10hipError_tPvRmT1_T2_T3_mT4_P12ihipStream_tbEUlT_E1_NS1_11comp_targetILNS1_3genE4ELNS1_11target_archE910ELNS1_3gpuE8ELNS1_3repE0EEENS1_30default_config_static_selectorELNS0_4arch9wavefront6targetE0EEEvSQ_ ; -- Begin function _ZN7rocprim17ROCPRIM_400000_NS6detail17trampoline_kernelINS0_14default_configENS1_22reduce_config_selectorIbEEZNS1_11reduce_implILb1ES3_N6hipcub16HIPCUB_304000_NS22TransformInputIteratorIbN2at6native12_GLOBAL__N_19NonZeroOpIfEEPKflEEPiiNS8_6detail34convert_binary_result_type_wrapperINS8_3SumESH_iEEEE10hipError_tPvRmT1_T2_T3_mT4_P12ihipStream_tbEUlT_E1_NS1_11comp_targetILNS1_3genE4ELNS1_11target_archE910ELNS1_3gpuE8ELNS1_3repE0EEENS1_30default_config_static_selectorELNS0_4arch9wavefront6targetE0EEEvSQ_
	.p2align	8
	.type	_ZN7rocprim17ROCPRIM_400000_NS6detail17trampoline_kernelINS0_14default_configENS1_22reduce_config_selectorIbEEZNS1_11reduce_implILb1ES3_N6hipcub16HIPCUB_304000_NS22TransformInputIteratorIbN2at6native12_GLOBAL__N_19NonZeroOpIfEEPKflEEPiiNS8_6detail34convert_binary_result_type_wrapperINS8_3SumESH_iEEEE10hipError_tPvRmT1_T2_T3_mT4_P12ihipStream_tbEUlT_E1_NS1_11comp_targetILNS1_3genE4ELNS1_11target_archE910ELNS1_3gpuE8ELNS1_3repE0EEENS1_30default_config_static_selectorELNS0_4arch9wavefront6targetE0EEEvSQ_,@function
_ZN7rocprim17ROCPRIM_400000_NS6detail17trampoline_kernelINS0_14default_configENS1_22reduce_config_selectorIbEEZNS1_11reduce_implILb1ES3_N6hipcub16HIPCUB_304000_NS22TransformInputIteratorIbN2at6native12_GLOBAL__N_19NonZeroOpIfEEPKflEEPiiNS8_6detail34convert_binary_result_type_wrapperINS8_3SumESH_iEEEE10hipError_tPvRmT1_T2_T3_mT4_P12ihipStream_tbEUlT_E1_NS1_11comp_targetILNS1_3genE4ELNS1_11target_archE910ELNS1_3gpuE8ELNS1_3repE0EEENS1_30default_config_static_selectorELNS0_4arch9wavefront6targetE0EEEvSQ_: ; @_ZN7rocprim17ROCPRIM_400000_NS6detail17trampoline_kernelINS0_14default_configENS1_22reduce_config_selectorIbEEZNS1_11reduce_implILb1ES3_N6hipcub16HIPCUB_304000_NS22TransformInputIteratorIbN2at6native12_GLOBAL__N_19NonZeroOpIfEEPKflEEPiiNS8_6detail34convert_binary_result_type_wrapperINS8_3SumESH_iEEEE10hipError_tPvRmT1_T2_T3_mT4_P12ihipStream_tbEUlT_E1_NS1_11comp_targetILNS1_3genE4ELNS1_11target_archE910ELNS1_3gpuE8ELNS1_3repE0EEENS1_30default_config_static_selectorELNS0_4arch9wavefront6targetE0EEEvSQ_
; %bb.0:
	.section	.rodata,"a",@progbits
	.p2align	6, 0x0
	.amdhsa_kernel _ZN7rocprim17ROCPRIM_400000_NS6detail17trampoline_kernelINS0_14default_configENS1_22reduce_config_selectorIbEEZNS1_11reduce_implILb1ES3_N6hipcub16HIPCUB_304000_NS22TransformInputIteratorIbN2at6native12_GLOBAL__N_19NonZeroOpIfEEPKflEEPiiNS8_6detail34convert_binary_result_type_wrapperINS8_3SumESH_iEEEE10hipError_tPvRmT1_T2_T3_mT4_P12ihipStream_tbEUlT_E1_NS1_11comp_targetILNS1_3genE4ELNS1_11target_archE910ELNS1_3gpuE8ELNS1_3repE0EEENS1_30default_config_static_selectorELNS0_4arch9wavefront6targetE0EEEvSQ_
		.amdhsa_group_segment_fixed_size 0
		.amdhsa_private_segment_fixed_size 0
		.amdhsa_kernarg_size 48
		.amdhsa_user_sgpr_count 2
		.amdhsa_user_sgpr_dispatch_ptr 0
		.amdhsa_user_sgpr_queue_ptr 0
		.amdhsa_user_sgpr_kernarg_segment_ptr 1
		.amdhsa_user_sgpr_dispatch_id 0
		.amdhsa_user_sgpr_private_segment_size 0
		.amdhsa_wavefront_size32 1
		.amdhsa_uses_dynamic_stack 0
		.amdhsa_enable_private_segment 0
		.amdhsa_system_sgpr_workgroup_id_x 1
		.amdhsa_system_sgpr_workgroup_id_y 0
		.amdhsa_system_sgpr_workgroup_id_z 0
		.amdhsa_system_sgpr_workgroup_info 0
		.amdhsa_system_vgpr_workitem_id 0
		.amdhsa_next_free_vgpr 1
		.amdhsa_next_free_sgpr 1
		.amdhsa_reserve_vcc 0
		.amdhsa_float_round_mode_32 0
		.amdhsa_float_round_mode_16_64 0
		.amdhsa_float_denorm_mode_32 3
		.amdhsa_float_denorm_mode_16_64 3
		.amdhsa_fp16_overflow 0
		.amdhsa_workgroup_processor_mode 1
		.amdhsa_memory_ordered 1
		.amdhsa_forward_progress 1
		.amdhsa_inst_pref_size 0
		.amdhsa_round_robin_scheduling 0
		.amdhsa_exception_fp_ieee_invalid_op 0
		.amdhsa_exception_fp_denorm_src 0
		.amdhsa_exception_fp_ieee_div_zero 0
		.amdhsa_exception_fp_ieee_overflow 0
		.amdhsa_exception_fp_ieee_underflow 0
		.amdhsa_exception_fp_ieee_inexact 0
		.amdhsa_exception_int_div_zero 0
	.end_amdhsa_kernel
	.section	.text._ZN7rocprim17ROCPRIM_400000_NS6detail17trampoline_kernelINS0_14default_configENS1_22reduce_config_selectorIbEEZNS1_11reduce_implILb1ES3_N6hipcub16HIPCUB_304000_NS22TransformInputIteratorIbN2at6native12_GLOBAL__N_19NonZeroOpIfEEPKflEEPiiNS8_6detail34convert_binary_result_type_wrapperINS8_3SumESH_iEEEE10hipError_tPvRmT1_T2_T3_mT4_P12ihipStream_tbEUlT_E1_NS1_11comp_targetILNS1_3genE4ELNS1_11target_archE910ELNS1_3gpuE8ELNS1_3repE0EEENS1_30default_config_static_selectorELNS0_4arch9wavefront6targetE0EEEvSQ_,"axG",@progbits,_ZN7rocprim17ROCPRIM_400000_NS6detail17trampoline_kernelINS0_14default_configENS1_22reduce_config_selectorIbEEZNS1_11reduce_implILb1ES3_N6hipcub16HIPCUB_304000_NS22TransformInputIteratorIbN2at6native12_GLOBAL__N_19NonZeroOpIfEEPKflEEPiiNS8_6detail34convert_binary_result_type_wrapperINS8_3SumESH_iEEEE10hipError_tPvRmT1_T2_T3_mT4_P12ihipStream_tbEUlT_E1_NS1_11comp_targetILNS1_3genE4ELNS1_11target_archE910ELNS1_3gpuE8ELNS1_3repE0EEENS1_30default_config_static_selectorELNS0_4arch9wavefront6targetE0EEEvSQ_,comdat
.Lfunc_end451:
	.size	_ZN7rocprim17ROCPRIM_400000_NS6detail17trampoline_kernelINS0_14default_configENS1_22reduce_config_selectorIbEEZNS1_11reduce_implILb1ES3_N6hipcub16HIPCUB_304000_NS22TransformInputIteratorIbN2at6native12_GLOBAL__N_19NonZeroOpIfEEPKflEEPiiNS8_6detail34convert_binary_result_type_wrapperINS8_3SumESH_iEEEE10hipError_tPvRmT1_T2_T3_mT4_P12ihipStream_tbEUlT_E1_NS1_11comp_targetILNS1_3genE4ELNS1_11target_archE910ELNS1_3gpuE8ELNS1_3repE0EEENS1_30default_config_static_selectorELNS0_4arch9wavefront6targetE0EEEvSQ_, .Lfunc_end451-_ZN7rocprim17ROCPRIM_400000_NS6detail17trampoline_kernelINS0_14default_configENS1_22reduce_config_selectorIbEEZNS1_11reduce_implILb1ES3_N6hipcub16HIPCUB_304000_NS22TransformInputIteratorIbN2at6native12_GLOBAL__N_19NonZeroOpIfEEPKflEEPiiNS8_6detail34convert_binary_result_type_wrapperINS8_3SumESH_iEEEE10hipError_tPvRmT1_T2_T3_mT4_P12ihipStream_tbEUlT_E1_NS1_11comp_targetILNS1_3genE4ELNS1_11target_archE910ELNS1_3gpuE8ELNS1_3repE0EEENS1_30default_config_static_selectorELNS0_4arch9wavefront6targetE0EEEvSQ_
                                        ; -- End function
	.set _ZN7rocprim17ROCPRIM_400000_NS6detail17trampoline_kernelINS0_14default_configENS1_22reduce_config_selectorIbEEZNS1_11reduce_implILb1ES3_N6hipcub16HIPCUB_304000_NS22TransformInputIteratorIbN2at6native12_GLOBAL__N_19NonZeroOpIfEEPKflEEPiiNS8_6detail34convert_binary_result_type_wrapperINS8_3SumESH_iEEEE10hipError_tPvRmT1_T2_T3_mT4_P12ihipStream_tbEUlT_E1_NS1_11comp_targetILNS1_3genE4ELNS1_11target_archE910ELNS1_3gpuE8ELNS1_3repE0EEENS1_30default_config_static_selectorELNS0_4arch9wavefront6targetE0EEEvSQ_.num_vgpr, 0
	.set _ZN7rocprim17ROCPRIM_400000_NS6detail17trampoline_kernelINS0_14default_configENS1_22reduce_config_selectorIbEEZNS1_11reduce_implILb1ES3_N6hipcub16HIPCUB_304000_NS22TransformInputIteratorIbN2at6native12_GLOBAL__N_19NonZeroOpIfEEPKflEEPiiNS8_6detail34convert_binary_result_type_wrapperINS8_3SumESH_iEEEE10hipError_tPvRmT1_T2_T3_mT4_P12ihipStream_tbEUlT_E1_NS1_11comp_targetILNS1_3genE4ELNS1_11target_archE910ELNS1_3gpuE8ELNS1_3repE0EEENS1_30default_config_static_selectorELNS0_4arch9wavefront6targetE0EEEvSQ_.num_agpr, 0
	.set _ZN7rocprim17ROCPRIM_400000_NS6detail17trampoline_kernelINS0_14default_configENS1_22reduce_config_selectorIbEEZNS1_11reduce_implILb1ES3_N6hipcub16HIPCUB_304000_NS22TransformInputIteratorIbN2at6native12_GLOBAL__N_19NonZeroOpIfEEPKflEEPiiNS8_6detail34convert_binary_result_type_wrapperINS8_3SumESH_iEEEE10hipError_tPvRmT1_T2_T3_mT4_P12ihipStream_tbEUlT_E1_NS1_11comp_targetILNS1_3genE4ELNS1_11target_archE910ELNS1_3gpuE8ELNS1_3repE0EEENS1_30default_config_static_selectorELNS0_4arch9wavefront6targetE0EEEvSQ_.numbered_sgpr, 0
	.set _ZN7rocprim17ROCPRIM_400000_NS6detail17trampoline_kernelINS0_14default_configENS1_22reduce_config_selectorIbEEZNS1_11reduce_implILb1ES3_N6hipcub16HIPCUB_304000_NS22TransformInputIteratorIbN2at6native12_GLOBAL__N_19NonZeroOpIfEEPKflEEPiiNS8_6detail34convert_binary_result_type_wrapperINS8_3SumESH_iEEEE10hipError_tPvRmT1_T2_T3_mT4_P12ihipStream_tbEUlT_E1_NS1_11comp_targetILNS1_3genE4ELNS1_11target_archE910ELNS1_3gpuE8ELNS1_3repE0EEENS1_30default_config_static_selectorELNS0_4arch9wavefront6targetE0EEEvSQ_.num_named_barrier, 0
	.set _ZN7rocprim17ROCPRIM_400000_NS6detail17trampoline_kernelINS0_14default_configENS1_22reduce_config_selectorIbEEZNS1_11reduce_implILb1ES3_N6hipcub16HIPCUB_304000_NS22TransformInputIteratorIbN2at6native12_GLOBAL__N_19NonZeroOpIfEEPKflEEPiiNS8_6detail34convert_binary_result_type_wrapperINS8_3SumESH_iEEEE10hipError_tPvRmT1_T2_T3_mT4_P12ihipStream_tbEUlT_E1_NS1_11comp_targetILNS1_3genE4ELNS1_11target_archE910ELNS1_3gpuE8ELNS1_3repE0EEENS1_30default_config_static_selectorELNS0_4arch9wavefront6targetE0EEEvSQ_.private_seg_size, 0
	.set _ZN7rocprim17ROCPRIM_400000_NS6detail17trampoline_kernelINS0_14default_configENS1_22reduce_config_selectorIbEEZNS1_11reduce_implILb1ES3_N6hipcub16HIPCUB_304000_NS22TransformInputIteratorIbN2at6native12_GLOBAL__N_19NonZeroOpIfEEPKflEEPiiNS8_6detail34convert_binary_result_type_wrapperINS8_3SumESH_iEEEE10hipError_tPvRmT1_T2_T3_mT4_P12ihipStream_tbEUlT_E1_NS1_11comp_targetILNS1_3genE4ELNS1_11target_archE910ELNS1_3gpuE8ELNS1_3repE0EEENS1_30default_config_static_selectorELNS0_4arch9wavefront6targetE0EEEvSQ_.uses_vcc, 0
	.set _ZN7rocprim17ROCPRIM_400000_NS6detail17trampoline_kernelINS0_14default_configENS1_22reduce_config_selectorIbEEZNS1_11reduce_implILb1ES3_N6hipcub16HIPCUB_304000_NS22TransformInputIteratorIbN2at6native12_GLOBAL__N_19NonZeroOpIfEEPKflEEPiiNS8_6detail34convert_binary_result_type_wrapperINS8_3SumESH_iEEEE10hipError_tPvRmT1_T2_T3_mT4_P12ihipStream_tbEUlT_E1_NS1_11comp_targetILNS1_3genE4ELNS1_11target_archE910ELNS1_3gpuE8ELNS1_3repE0EEENS1_30default_config_static_selectorELNS0_4arch9wavefront6targetE0EEEvSQ_.uses_flat_scratch, 0
	.set _ZN7rocprim17ROCPRIM_400000_NS6detail17trampoline_kernelINS0_14default_configENS1_22reduce_config_selectorIbEEZNS1_11reduce_implILb1ES3_N6hipcub16HIPCUB_304000_NS22TransformInputIteratorIbN2at6native12_GLOBAL__N_19NonZeroOpIfEEPKflEEPiiNS8_6detail34convert_binary_result_type_wrapperINS8_3SumESH_iEEEE10hipError_tPvRmT1_T2_T3_mT4_P12ihipStream_tbEUlT_E1_NS1_11comp_targetILNS1_3genE4ELNS1_11target_archE910ELNS1_3gpuE8ELNS1_3repE0EEENS1_30default_config_static_selectorELNS0_4arch9wavefront6targetE0EEEvSQ_.has_dyn_sized_stack, 0
	.set _ZN7rocprim17ROCPRIM_400000_NS6detail17trampoline_kernelINS0_14default_configENS1_22reduce_config_selectorIbEEZNS1_11reduce_implILb1ES3_N6hipcub16HIPCUB_304000_NS22TransformInputIteratorIbN2at6native12_GLOBAL__N_19NonZeroOpIfEEPKflEEPiiNS8_6detail34convert_binary_result_type_wrapperINS8_3SumESH_iEEEE10hipError_tPvRmT1_T2_T3_mT4_P12ihipStream_tbEUlT_E1_NS1_11comp_targetILNS1_3genE4ELNS1_11target_archE910ELNS1_3gpuE8ELNS1_3repE0EEENS1_30default_config_static_selectorELNS0_4arch9wavefront6targetE0EEEvSQ_.has_recursion, 0
	.set _ZN7rocprim17ROCPRIM_400000_NS6detail17trampoline_kernelINS0_14default_configENS1_22reduce_config_selectorIbEEZNS1_11reduce_implILb1ES3_N6hipcub16HIPCUB_304000_NS22TransformInputIteratorIbN2at6native12_GLOBAL__N_19NonZeroOpIfEEPKflEEPiiNS8_6detail34convert_binary_result_type_wrapperINS8_3SumESH_iEEEE10hipError_tPvRmT1_T2_T3_mT4_P12ihipStream_tbEUlT_E1_NS1_11comp_targetILNS1_3genE4ELNS1_11target_archE910ELNS1_3gpuE8ELNS1_3repE0EEENS1_30default_config_static_selectorELNS0_4arch9wavefront6targetE0EEEvSQ_.has_indirect_call, 0
	.section	.AMDGPU.csdata,"",@progbits
; Kernel info:
; codeLenInByte = 0
; TotalNumSgprs: 0
; NumVgprs: 0
; ScratchSize: 0
; MemoryBound: 0
; FloatMode: 240
; IeeeMode: 1
; LDSByteSize: 0 bytes/workgroup (compile time only)
; SGPRBlocks: 0
; VGPRBlocks: 0
; NumSGPRsForWavesPerEU: 1
; NumVGPRsForWavesPerEU: 1
; Occupancy: 16
; WaveLimiterHint : 0
; COMPUTE_PGM_RSRC2:SCRATCH_EN: 0
; COMPUTE_PGM_RSRC2:USER_SGPR: 2
; COMPUTE_PGM_RSRC2:TRAP_HANDLER: 0
; COMPUTE_PGM_RSRC2:TGID_X_EN: 1
; COMPUTE_PGM_RSRC2:TGID_Y_EN: 0
; COMPUTE_PGM_RSRC2:TGID_Z_EN: 0
; COMPUTE_PGM_RSRC2:TIDIG_COMP_CNT: 0
	.section	.text._ZN7rocprim17ROCPRIM_400000_NS6detail17trampoline_kernelINS0_14default_configENS1_22reduce_config_selectorIbEEZNS1_11reduce_implILb1ES3_N6hipcub16HIPCUB_304000_NS22TransformInputIteratorIbN2at6native12_GLOBAL__N_19NonZeroOpIfEEPKflEEPiiNS8_6detail34convert_binary_result_type_wrapperINS8_3SumESH_iEEEE10hipError_tPvRmT1_T2_T3_mT4_P12ihipStream_tbEUlT_E1_NS1_11comp_targetILNS1_3genE3ELNS1_11target_archE908ELNS1_3gpuE7ELNS1_3repE0EEENS1_30default_config_static_selectorELNS0_4arch9wavefront6targetE0EEEvSQ_,"axG",@progbits,_ZN7rocprim17ROCPRIM_400000_NS6detail17trampoline_kernelINS0_14default_configENS1_22reduce_config_selectorIbEEZNS1_11reduce_implILb1ES3_N6hipcub16HIPCUB_304000_NS22TransformInputIteratorIbN2at6native12_GLOBAL__N_19NonZeroOpIfEEPKflEEPiiNS8_6detail34convert_binary_result_type_wrapperINS8_3SumESH_iEEEE10hipError_tPvRmT1_T2_T3_mT4_P12ihipStream_tbEUlT_E1_NS1_11comp_targetILNS1_3genE3ELNS1_11target_archE908ELNS1_3gpuE7ELNS1_3repE0EEENS1_30default_config_static_selectorELNS0_4arch9wavefront6targetE0EEEvSQ_,comdat
	.globl	_ZN7rocprim17ROCPRIM_400000_NS6detail17trampoline_kernelINS0_14default_configENS1_22reduce_config_selectorIbEEZNS1_11reduce_implILb1ES3_N6hipcub16HIPCUB_304000_NS22TransformInputIteratorIbN2at6native12_GLOBAL__N_19NonZeroOpIfEEPKflEEPiiNS8_6detail34convert_binary_result_type_wrapperINS8_3SumESH_iEEEE10hipError_tPvRmT1_T2_T3_mT4_P12ihipStream_tbEUlT_E1_NS1_11comp_targetILNS1_3genE3ELNS1_11target_archE908ELNS1_3gpuE7ELNS1_3repE0EEENS1_30default_config_static_selectorELNS0_4arch9wavefront6targetE0EEEvSQ_ ; -- Begin function _ZN7rocprim17ROCPRIM_400000_NS6detail17trampoline_kernelINS0_14default_configENS1_22reduce_config_selectorIbEEZNS1_11reduce_implILb1ES3_N6hipcub16HIPCUB_304000_NS22TransformInputIteratorIbN2at6native12_GLOBAL__N_19NonZeroOpIfEEPKflEEPiiNS8_6detail34convert_binary_result_type_wrapperINS8_3SumESH_iEEEE10hipError_tPvRmT1_T2_T3_mT4_P12ihipStream_tbEUlT_E1_NS1_11comp_targetILNS1_3genE3ELNS1_11target_archE908ELNS1_3gpuE7ELNS1_3repE0EEENS1_30default_config_static_selectorELNS0_4arch9wavefront6targetE0EEEvSQ_
	.p2align	8
	.type	_ZN7rocprim17ROCPRIM_400000_NS6detail17trampoline_kernelINS0_14default_configENS1_22reduce_config_selectorIbEEZNS1_11reduce_implILb1ES3_N6hipcub16HIPCUB_304000_NS22TransformInputIteratorIbN2at6native12_GLOBAL__N_19NonZeroOpIfEEPKflEEPiiNS8_6detail34convert_binary_result_type_wrapperINS8_3SumESH_iEEEE10hipError_tPvRmT1_T2_T3_mT4_P12ihipStream_tbEUlT_E1_NS1_11comp_targetILNS1_3genE3ELNS1_11target_archE908ELNS1_3gpuE7ELNS1_3repE0EEENS1_30default_config_static_selectorELNS0_4arch9wavefront6targetE0EEEvSQ_,@function
_ZN7rocprim17ROCPRIM_400000_NS6detail17trampoline_kernelINS0_14default_configENS1_22reduce_config_selectorIbEEZNS1_11reduce_implILb1ES3_N6hipcub16HIPCUB_304000_NS22TransformInputIteratorIbN2at6native12_GLOBAL__N_19NonZeroOpIfEEPKflEEPiiNS8_6detail34convert_binary_result_type_wrapperINS8_3SumESH_iEEEE10hipError_tPvRmT1_T2_T3_mT4_P12ihipStream_tbEUlT_E1_NS1_11comp_targetILNS1_3genE3ELNS1_11target_archE908ELNS1_3gpuE7ELNS1_3repE0EEENS1_30default_config_static_selectorELNS0_4arch9wavefront6targetE0EEEvSQ_: ; @_ZN7rocprim17ROCPRIM_400000_NS6detail17trampoline_kernelINS0_14default_configENS1_22reduce_config_selectorIbEEZNS1_11reduce_implILb1ES3_N6hipcub16HIPCUB_304000_NS22TransformInputIteratorIbN2at6native12_GLOBAL__N_19NonZeroOpIfEEPKflEEPiiNS8_6detail34convert_binary_result_type_wrapperINS8_3SumESH_iEEEE10hipError_tPvRmT1_T2_T3_mT4_P12ihipStream_tbEUlT_E1_NS1_11comp_targetILNS1_3genE3ELNS1_11target_archE908ELNS1_3gpuE7ELNS1_3repE0EEENS1_30default_config_static_selectorELNS0_4arch9wavefront6targetE0EEEvSQ_
; %bb.0:
	.section	.rodata,"a",@progbits
	.p2align	6, 0x0
	.amdhsa_kernel _ZN7rocprim17ROCPRIM_400000_NS6detail17trampoline_kernelINS0_14default_configENS1_22reduce_config_selectorIbEEZNS1_11reduce_implILb1ES3_N6hipcub16HIPCUB_304000_NS22TransformInputIteratorIbN2at6native12_GLOBAL__N_19NonZeroOpIfEEPKflEEPiiNS8_6detail34convert_binary_result_type_wrapperINS8_3SumESH_iEEEE10hipError_tPvRmT1_T2_T3_mT4_P12ihipStream_tbEUlT_E1_NS1_11comp_targetILNS1_3genE3ELNS1_11target_archE908ELNS1_3gpuE7ELNS1_3repE0EEENS1_30default_config_static_selectorELNS0_4arch9wavefront6targetE0EEEvSQ_
		.amdhsa_group_segment_fixed_size 0
		.amdhsa_private_segment_fixed_size 0
		.amdhsa_kernarg_size 48
		.amdhsa_user_sgpr_count 2
		.amdhsa_user_sgpr_dispatch_ptr 0
		.amdhsa_user_sgpr_queue_ptr 0
		.amdhsa_user_sgpr_kernarg_segment_ptr 1
		.amdhsa_user_sgpr_dispatch_id 0
		.amdhsa_user_sgpr_private_segment_size 0
		.amdhsa_wavefront_size32 1
		.amdhsa_uses_dynamic_stack 0
		.amdhsa_enable_private_segment 0
		.amdhsa_system_sgpr_workgroup_id_x 1
		.amdhsa_system_sgpr_workgroup_id_y 0
		.amdhsa_system_sgpr_workgroup_id_z 0
		.amdhsa_system_sgpr_workgroup_info 0
		.amdhsa_system_vgpr_workitem_id 0
		.amdhsa_next_free_vgpr 1
		.amdhsa_next_free_sgpr 1
		.amdhsa_reserve_vcc 0
		.amdhsa_float_round_mode_32 0
		.amdhsa_float_round_mode_16_64 0
		.amdhsa_float_denorm_mode_32 3
		.amdhsa_float_denorm_mode_16_64 3
		.amdhsa_fp16_overflow 0
		.amdhsa_workgroup_processor_mode 1
		.amdhsa_memory_ordered 1
		.amdhsa_forward_progress 1
		.amdhsa_inst_pref_size 0
		.amdhsa_round_robin_scheduling 0
		.amdhsa_exception_fp_ieee_invalid_op 0
		.amdhsa_exception_fp_denorm_src 0
		.amdhsa_exception_fp_ieee_div_zero 0
		.amdhsa_exception_fp_ieee_overflow 0
		.amdhsa_exception_fp_ieee_underflow 0
		.amdhsa_exception_fp_ieee_inexact 0
		.amdhsa_exception_int_div_zero 0
	.end_amdhsa_kernel
	.section	.text._ZN7rocprim17ROCPRIM_400000_NS6detail17trampoline_kernelINS0_14default_configENS1_22reduce_config_selectorIbEEZNS1_11reduce_implILb1ES3_N6hipcub16HIPCUB_304000_NS22TransformInputIteratorIbN2at6native12_GLOBAL__N_19NonZeroOpIfEEPKflEEPiiNS8_6detail34convert_binary_result_type_wrapperINS8_3SumESH_iEEEE10hipError_tPvRmT1_T2_T3_mT4_P12ihipStream_tbEUlT_E1_NS1_11comp_targetILNS1_3genE3ELNS1_11target_archE908ELNS1_3gpuE7ELNS1_3repE0EEENS1_30default_config_static_selectorELNS0_4arch9wavefront6targetE0EEEvSQ_,"axG",@progbits,_ZN7rocprim17ROCPRIM_400000_NS6detail17trampoline_kernelINS0_14default_configENS1_22reduce_config_selectorIbEEZNS1_11reduce_implILb1ES3_N6hipcub16HIPCUB_304000_NS22TransformInputIteratorIbN2at6native12_GLOBAL__N_19NonZeroOpIfEEPKflEEPiiNS8_6detail34convert_binary_result_type_wrapperINS8_3SumESH_iEEEE10hipError_tPvRmT1_T2_T3_mT4_P12ihipStream_tbEUlT_E1_NS1_11comp_targetILNS1_3genE3ELNS1_11target_archE908ELNS1_3gpuE7ELNS1_3repE0EEENS1_30default_config_static_selectorELNS0_4arch9wavefront6targetE0EEEvSQ_,comdat
.Lfunc_end452:
	.size	_ZN7rocprim17ROCPRIM_400000_NS6detail17trampoline_kernelINS0_14default_configENS1_22reduce_config_selectorIbEEZNS1_11reduce_implILb1ES3_N6hipcub16HIPCUB_304000_NS22TransformInputIteratorIbN2at6native12_GLOBAL__N_19NonZeroOpIfEEPKflEEPiiNS8_6detail34convert_binary_result_type_wrapperINS8_3SumESH_iEEEE10hipError_tPvRmT1_T2_T3_mT4_P12ihipStream_tbEUlT_E1_NS1_11comp_targetILNS1_3genE3ELNS1_11target_archE908ELNS1_3gpuE7ELNS1_3repE0EEENS1_30default_config_static_selectorELNS0_4arch9wavefront6targetE0EEEvSQ_, .Lfunc_end452-_ZN7rocprim17ROCPRIM_400000_NS6detail17trampoline_kernelINS0_14default_configENS1_22reduce_config_selectorIbEEZNS1_11reduce_implILb1ES3_N6hipcub16HIPCUB_304000_NS22TransformInputIteratorIbN2at6native12_GLOBAL__N_19NonZeroOpIfEEPKflEEPiiNS8_6detail34convert_binary_result_type_wrapperINS8_3SumESH_iEEEE10hipError_tPvRmT1_T2_T3_mT4_P12ihipStream_tbEUlT_E1_NS1_11comp_targetILNS1_3genE3ELNS1_11target_archE908ELNS1_3gpuE7ELNS1_3repE0EEENS1_30default_config_static_selectorELNS0_4arch9wavefront6targetE0EEEvSQ_
                                        ; -- End function
	.set _ZN7rocprim17ROCPRIM_400000_NS6detail17trampoline_kernelINS0_14default_configENS1_22reduce_config_selectorIbEEZNS1_11reduce_implILb1ES3_N6hipcub16HIPCUB_304000_NS22TransformInputIteratorIbN2at6native12_GLOBAL__N_19NonZeroOpIfEEPKflEEPiiNS8_6detail34convert_binary_result_type_wrapperINS8_3SumESH_iEEEE10hipError_tPvRmT1_T2_T3_mT4_P12ihipStream_tbEUlT_E1_NS1_11comp_targetILNS1_3genE3ELNS1_11target_archE908ELNS1_3gpuE7ELNS1_3repE0EEENS1_30default_config_static_selectorELNS0_4arch9wavefront6targetE0EEEvSQ_.num_vgpr, 0
	.set _ZN7rocprim17ROCPRIM_400000_NS6detail17trampoline_kernelINS0_14default_configENS1_22reduce_config_selectorIbEEZNS1_11reduce_implILb1ES3_N6hipcub16HIPCUB_304000_NS22TransformInputIteratorIbN2at6native12_GLOBAL__N_19NonZeroOpIfEEPKflEEPiiNS8_6detail34convert_binary_result_type_wrapperINS8_3SumESH_iEEEE10hipError_tPvRmT1_T2_T3_mT4_P12ihipStream_tbEUlT_E1_NS1_11comp_targetILNS1_3genE3ELNS1_11target_archE908ELNS1_3gpuE7ELNS1_3repE0EEENS1_30default_config_static_selectorELNS0_4arch9wavefront6targetE0EEEvSQ_.num_agpr, 0
	.set _ZN7rocprim17ROCPRIM_400000_NS6detail17trampoline_kernelINS0_14default_configENS1_22reduce_config_selectorIbEEZNS1_11reduce_implILb1ES3_N6hipcub16HIPCUB_304000_NS22TransformInputIteratorIbN2at6native12_GLOBAL__N_19NonZeroOpIfEEPKflEEPiiNS8_6detail34convert_binary_result_type_wrapperINS8_3SumESH_iEEEE10hipError_tPvRmT1_T2_T3_mT4_P12ihipStream_tbEUlT_E1_NS1_11comp_targetILNS1_3genE3ELNS1_11target_archE908ELNS1_3gpuE7ELNS1_3repE0EEENS1_30default_config_static_selectorELNS0_4arch9wavefront6targetE0EEEvSQ_.numbered_sgpr, 0
	.set _ZN7rocprim17ROCPRIM_400000_NS6detail17trampoline_kernelINS0_14default_configENS1_22reduce_config_selectorIbEEZNS1_11reduce_implILb1ES3_N6hipcub16HIPCUB_304000_NS22TransformInputIteratorIbN2at6native12_GLOBAL__N_19NonZeroOpIfEEPKflEEPiiNS8_6detail34convert_binary_result_type_wrapperINS8_3SumESH_iEEEE10hipError_tPvRmT1_T2_T3_mT4_P12ihipStream_tbEUlT_E1_NS1_11comp_targetILNS1_3genE3ELNS1_11target_archE908ELNS1_3gpuE7ELNS1_3repE0EEENS1_30default_config_static_selectorELNS0_4arch9wavefront6targetE0EEEvSQ_.num_named_barrier, 0
	.set _ZN7rocprim17ROCPRIM_400000_NS6detail17trampoline_kernelINS0_14default_configENS1_22reduce_config_selectorIbEEZNS1_11reduce_implILb1ES3_N6hipcub16HIPCUB_304000_NS22TransformInputIteratorIbN2at6native12_GLOBAL__N_19NonZeroOpIfEEPKflEEPiiNS8_6detail34convert_binary_result_type_wrapperINS8_3SumESH_iEEEE10hipError_tPvRmT1_T2_T3_mT4_P12ihipStream_tbEUlT_E1_NS1_11comp_targetILNS1_3genE3ELNS1_11target_archE908ELNS1_3gpuE7ELNS1_3repE0EEENS1_30default_config_static_selectorELNS0_4arch9wavefront6targetE0EEEvSQ_.private_seg_size, 0
	.set _ZN7rocprim17ROCPRIM_400000_NS6detail17trampoline_kernelINS0_14default_configENS1_22reduce_config_selectorIbEEZNS1_11reduce_implILb1ES3_N6hipcub16HIPCUB_304000_NS22TransformInputIteratorIbN2at6native12_GLOBAL__N_19NonZeroOpIfEEPKflEEPiiNS8_6detail34convert_binary_result_type_wrapperINS8_3SumESH_iEEEE10hipError_tPvRmT1_T2_T3_mT4_P12ihipStream_tbEUlT_E1_NS1_11comp_targetILNS1_3genE3ELNS1_11target_archE908ELNS1_3gpuE7ELNS1_3repE0EEENS1_30default_config_static_selectorELNS0_4arch9wavefront6targetE0EEEvSQ_.uses_vcc, 0
	.set _ZN7rocprim17ROCPRIM_400000_NS6detail17trampoline_kernelINS0_14default_configENS1_22reduce_config_selectorIbEEZNS1_11reduce_implILb1ES3_N6hipcub16HIPCUB_304000_NS22TransformInputIteratorIbN2at6native12_GLOBAL__N_19NonZeroOpIfEEPKflEEPiiNS8_6detail34convert_binary_result_type_wrapperINS8_3SumESH_iEEEE10hipError_tPvRmT1_T2_T3_mT4_P12ihipStream_tbEUlT_E1_NS1_11comp_targetILNS1_3genE3ELNS1_11target_archE908ELNS1_3gpuE7ELNS1_3repE0EEENS1_30default_config_static_selectorELNS0_4arch9wavefront6targetE0EEEvSQ_.uses_flat_scratch, 0
	.set _ZN7rocprim17ROCPRIM_400000_NS6detail17trampoline_kernelINS0_14default_configENS1_22reduce_config_selectorIbEEZNS1_11reduce_implILb1ES3_N6hipcub16HIPCUB_304000_NS22TransformInputIteratorIbN2at6native12_GLOBAL__N_19NonZeroOpIfEEPKflEEPiiNS8_6detail34convert_binary_result_type_wrapperINS8_3SumESH_iEEEE10hipError_tPvRmT1_T2_T3_mT4_P12ihipStream_tbEUlT_E1_NS1_11comp_targetILNS1_3genE3ELNS1_11target_archE908ELNS1_3gpuE7ELNS1_3repE0EEENS1_30default_config_static_selectorELNS0_4arch9wavefront6targetE0EEEvSQ_.has_dyn_sized_stack, 0
	.set _ZN7rocprim17ROCPRIM_400000_NS6detail17trampoline_kernelINS0_14default_configENS1_22reduce_config_selectorIbEEZNS1_11reduce_implILb1ES3_N6hipcub16HIPCUB_304000_NS22TransformInputIteratorIbN2at6native12_GLOBAL__N_19NonZeroOpIfEEPKflEEPiiNS8_6detail34convert_binary_result_type_wrapperINS8_3SumESH_iEEEE10hipError_tPvRmT1_T2_T3_mT4_P12ihipStream_tbEUlT_E1_NS1_11comp_targetILNS1_3genE3ELNS1_11target_archE908ELNS1_3gpuE7ELNS1_3repE0EEENS1_30default_config_static_selectorELNS0_4arch9wavefront6targetE0EEEvSQ_.has_recursion, 0
	.set _ZN7rocprim17ROCPRIM_400000_NS6detail17trampoline_kernelINS0_14default_configENS1_22reduce_config_selectorIbEEZNS1_11reduce_implILb1ES3_N6hipcub16HIPCUB_304000_NS22TransformInputIteratorIbN2at6native12_GLOBAL__N_19NonZeroOpIfEEPKflEEPiiNS8_6detail34convert_binary_result_type_wrapperINS8_3SumESH_iEEEE10hipError_tPvRmT1_T2_T3_mT4_P12ihipStream_tbEUlT_E1_NS1_11comp_targetILNS1_3genE3ELNS1_11target_archE908ELNS1_3gpuE7ELNS1_3repE0EEENS1_30default_config_static_selectorELNS0_4arch9wavefront6targetE0EEEvSQ_.has_indirect_call, 0
	.section	.AMDGPU.csdata,"",@progbits
; Kernel info:
; codeLenInByte = 0
; TotalNumSgprs: 0
; NumVgprs: 0
; ScratchSize: 0
; MemoryBound: 0
; FloatMode: 240
; IeeeMode: 1
; LDSByteSize: 0 bytes/workgroup (compile time only)
; SGPRBlocks: 0
; VGPRBlocks: 0
; NumSGPRsForWavesPerEU: 1
; NumVGPRsForWavesPerEU: 1
; Occupancy: 16
; WaveLimiterHint : 0
; COMPUTE_PGM_RSRC2:SCRATCH_EN: 0
; COMPUTE_PGM_RSRC2:USER_SGPR: 2
; COMPUTE_PGM_RSRC2:TRAP_HANDLER: 0
; COMPUTE_PGM_RSRC2:TGID_X_EN: 1
; COMPUTE_PGM_RSRC2:TGID_Y_EN: 0
; COMPUTE_PGM_RSRC2:TGID_Z_EN: 0
; COMPUTE_PGM_RSRC2:TIDIG_COMP_CNT: 0
	.section	.text._ZN7rocprim17ROCPRIM_400000_NS6detail17trampoline_kernelINS0_14default_configENS1_22reduce_config_selectorIbEEZNS1_11reduce_implILb1ES3_N6hipcub16HIPCUB_304000_NS22TransformInputIteratorIbN2at6native12_GLOBAL__N_19NonZeroOpIfEEPKflEEPiiNS8_6detail34convert_binary_result_type_wrapperINS8_3SumESH_iEEEE10hipError_tPvRmT1_T2_T3_mT4_P12ihipStream_tbEUlT_E1_NS1_11comp_targetILNS1_3genE2ELNS1_11target_archE906ELNS1_3gpuE6ELNS1_3repE0EEENS1_30default_config_static_selectorELNS0_4arch9wavefront6targetE0EEEvSQ_,"axG",@progbits,_ZN7rocprim17ROCPRIM_400000_NS6detail17trampoline_kernelINS0_14default_configENS1_22reduce_config_selectorIbEEZNS1_11reduce_implILb1ES3_N6hipcub16HIPCUB_304000_NS22TransformInputIteratorIbN2at6native12_GLOBAL__N_19NonZeroOpIfEEPKflEEPiiNS8_6detail34convert_binary_result_type_wrapperINS8_3SumESH_iEEEE10hipError_tPvRmT1_T2_T3_mT4_P12ihipStream_tbEUlT_E1_NS1_11comp_targetILNS1_3genE2ELNS1_11target_archE906ELNS1_3gpuE6ELNS1_3repE0EEENS1_30default_config_static_selectorELNS0_4arch9wavefront6targetE0EEEvSQ_,comdat
	.globl	_ZN7rocprim17ROCPRIM_400000_NS6detail17trampoline_kernelINS0_14default_configENS1_22reduce_config_selectorIbEEZNS1_11reduce_implILb1ES3_N6hipcub16HIPCUB_304000_NS22TransformInputIteratorIbN2at6native12_GLOBAL__N_19NonZeroOpIfEEPKflEEPiiNS8_6detail34convert_binary_result_type_wrapperINS8_3SumESH_iEEEE10hipError_tPvRmT1_T2_T3_mT4_P12ihipStream_tbEUlT_E1_NS1_11comp_targetILNS1_3genE2ELNS1_11target_archE906ELNS1_3gpuE6ELNS1_3repE0EEENS1_30default_config_static_selectorELNS0_4arch9wavefront6targetE0EEEvSQ_ ; -- Begin function _ZN7rocprim17ROCPRIM_400000_NS6detail17trampoline_kernelINS0_14default_configENS1_22reduce_config_selectorIbEEZNS1_11reduce_implILb1ES3_N6hipcub16HIPCUB_304000_NS22TransformInputIteratorIbN2at6native12_GLOBAL__N_19NonZeroOpIfEEPKflEEPiiNS8_6detail34convert_binary_result_type_wrapperINS8_3SumESH_iEEEE10hipError_tPvRmT1_T2_T3_mT4_P12ihipStream_tbEUlT_E1_NS1_11comp_targetILNS1_3genE2ELNS1_11target_archE906ELNS1_3gpuE6ELNS1_3repE0EEENS1_30default_config_static_selectorELNS0_4arch9wavefront6targetE0EEEvSQ_
	.p2align	8
	.type	_ZN7rocprim17ROCPRIM_400000_NS6detail17trampoline_kernelINS0_14default_configENS1_22reduce_config_selectorIbEEZNS1_11reduce_implILb1ES3_N6hipcub16HIPCUB_304000_NS22TransformInputIteratorIbN2at6native12_GLOBAL__N_19NonZeroOpIfEEPKflEEPiiNS8_6detail34convert_binary_result_type_wrapperINS8_3SumESH_iEEEE10hipError_tPvRmT1_T2_T3_mT4_P12ihipStream_tbEUlT_E1_NS1_11comp_targetILNS1_3genE2ELNS1_11target_archE906ELNS1_3gpuE6ELNS1_3repE0EEENS1_30default_config_static_selectorELNS0_4arch9wavefront6targetE0EEEvSQ_,@function
_ZN7rocprim17ROCPRIM_400000_NS6detail17trampoline_kernelINS0_14default_configENS1_22reduce_config_selectorIbEEZNS1_11reduce_implILb1ES3_N6hipcub16HIPCUB_304000_NS22TransformInputIteratorIbN2at6native12_GLOBAL__N_19NonZeroOpIfEEPKflEEPiiNS8_6detail34convert_binary_result_type_wrapperINS8_3SumESH_iEEEE10hipError_tPvRmT1_T2_T3_mT4_P12ihipStream_tbEUlT_E1_NS1_11comp_targetILNS1_3genE2ELNS1_11target_archE906ELNS1_3gpuE6ELNS1_3repE0EEENS1_30default_config_static_selectorELNS0_4arch9wavefront6targetE0EEEvSQ_: ; @_ZN7rocprim17ROCPRIM_400000_NS6detail17trampoline_kernelINS0_14default_configENS1_22reduce_config_selectorIbEEZNS1_11reduce_implILb1ES3_N6hipcub16HIPCUB_304000_NS22TransformInputIteratorIbN2at6native12_GLOBAL__N_19NonZeroOpIfEEPKflEEPiiNS8_6detail34convert_binary_result_type_wrapperINS8_3SumESH_iEEEE10hipError_tPvRmT1_T2_T3_mT4_P12ihipStream_tbEUlT_E1_NS1_11comp_targetILNS1_3genE2ELNS1_11target_archE906ELNS1_3gpuE6ELNS1_3repE0EEENS1_30default_config_static_selectorELNS0_4arch9wavefront6targetE0EEEvSQ_
; %bb.0:
	.section	.rodata,"a",@progbits
	.p2align	6, 0x0
	.amdhsa_kernel _ZN7rocprim17ROCPRIM_400000_NS6detail17trampoline_kernelINS0_14default_configENS1_22reduce_config_selectorIbEEZNS1_11reduce_implILb1ES3_N6hipcub16HIPCUB_304000_NS22TransformInputIteratorIbN2at6native12_GLOBAL__N_19NonZeroOpIfEEPKflEEPiiNS8_6detail34convert_binary_result_type_wrapperINS8_3SumESH_iEEEE10hipError_tPvRmT1_T2_T3_mT4_P12ihipStream_tbEUlT_E1_NS1_11comp_targetILNS1_3genE2ELNS1_11target_archE906ELNS1_3gpuE6ELNS1_3repE0EEENS1_30default_config_static_selectorELNS0_4arch9wavefront6targetE0EEEvSQ_
		.amdhsa_group_segment_fixed_size 0
		.amdhsa_private_segment_fixed_size 0
		.amdhsa_kernarg_size 48
		.amdhsa_user_sgpr_count 2
		.amdhsa_user_sgpr_dispatch_ptr 0
		.amdhsa_user_sgpr_queue_ptr 0
		.amdhsa_user_sgpr_kernarg_segment_ptr 1
		.amdhsa_user_sgpr_dispatch_id 0
		.amdhsa_user_sgpr_private_segment_size 0
		.amdhsa_wavefront_size32 1
		.amdhsa_uses_dynamic_stack 0
		.amdhsa_enable_private_segment 0
		.amdhsa_system_sgpr_workgroup_id_x 1
		.amdhsa_system_sgpr_workgroup_id_y 0
		.amdhsa_system_sgpr_workgroup_id_z 0
		.amdhsa_system_sgpr_workgroup_info 0
		.amdhsa_system_vgpr_workitem_id 0
		.amdhsa_next_free_vgpr 1
		.amdhsa_next_free_sgpr 1
		.amdhsa_reserve_vcc 0
		.amdhsa_float_round_mode_32 0
		.amdhsa_float_round_mode_16_64 0
		.amdhsa_float_denorm_mode_32 3
		.amdhsa_float_denorm_mode_16_64 3
		.amdhsa_fp16_overflow 0
		.amdhsa_workgroup_processor_mode 1
		.amdhsa_memory_ordered 1
		.amdhsa_forward_progress 1
		.amdhsa_inst_pref_size 0
		.amdhsa_round_robin_scheduling 0
		.amdhsa_exception_fp_ieee_invalid_op 0
		.amdhsa_exception_fp_denorm_src 0
		.amdhsa_exception_fp_ieee_div_zero 0
		.amdhsa_exception_fp_ieee_overflow 0
		.amdhsa_exception_fp_ieee_underflow 0
		.amdhsa_exception_fp_ieee_inexact 0
		.amdhsa_exception_int_div_zero 0
	.end_amdhsa_kernel
	.section	.text._ZN7rocprim17ROCPRIM_400000_NS6detail17trampoline_kernelINS0_14default_configENS1_22reduce_config_selectorIbEEZNS1_11reduce_implILb1ES3_N6hipcub16HIPCUB_304000_NS22TransformInputIteratorIbN2at6native12_GLOBAL__N_19NonZeroOpIfEEPKflEEPiiNS8_6detail34convert_binary_result_type_wrapperINS8_3SumESH_iEEEE10hipError_tPvRmT1_T2_T3_mT4_P12ihipStream_tbEUlT_E1_NS1_11comp_targetILNS1_3genE2ELNS1_11target_archE906ELNS1_3gpuE6ELNS1_3repE0EEENS1_30default_config_static_selectorELNS0_4arch9wavefront6targetE0EEEvSQ_,"axG",@progbits,_ZN7rocprim17ROCPRIM_400000_NS6detail17trampoline_kernelINS0_14default_configENS1_22reduce_config_selectorIbEEZNS1_11reduce_implILb1ES3_N6hipcub16HIPCUB_304000_NS22TransformInputIteratorIbN2at6native12_GLOBAL__N_19NonZeroOpIfEEPKflEEPiiNS8_6detail34convert_binary_result_type_wrapperINS8_3SumESH_iEEEE10hipError_tPvRmT1_T2_T3_mT4_P12ihipStream_tbEUlT_E1_NS1_11comp_targetILNS1_3genE2ELNS1_11target_archE906ELNS1_3gpuE6ELNS1_3repE0EEENS1_30default_config_static_selectorELNS0_4arch9wavefront6targetE0EEEvSQ_,comdat
.Lfunc_end453:
	.size	_ZN7rocprim17ROCPRIM_400000_NS6detail17trampoline_kernelINS0_14default_configENS1_22reduce_config_selectorIbEEZNS1_11reduce_implILb1ES3_N6hipcub16HIPCUB_304000_NS22TransformInputIteratorIbN2at6native12_GLOBAL__N_19NonZeroOpIfEEPKflEEPiiNS8_6detail34convert_binary_result_type_wrapperINS8_3SumESH_iEEEE10hipError_tPvRmT1_T2_T3_mT4_P12ihipStream_tbEUlT_E1_NS1_11comp_targetILNS1_3genE2ELNS1_11target_archE906ELNS1_3gpuE6ELNS1_3repE0EEENS1_30default_config_static_selectorELNS0_4arch9wavefront6targetE0EEEvSQ_, .Lfunc_end453-_ZN7rocprim17ROCPRIM_400000_NS6detail17trampoline_kernelINS0_14default_configENS1_22reduce_config_selectorIbEEZNS1_11reduce_implILb1ES3_N6hipcub16HIPCUB_304000_NS22TransformInputIteratorIbN2at6native12_GLOBAL__N_19NonZeroOpIfEEPKflEEPiiNS8_6detail34convert_binary_result_type_wrapperINS8_3SumESH_iEEEE10hipError_tPvRmT1_T2_T3_mT4_P12ihipStream_tbEUlT_E1_NS1_11comp_targetILNS1_3genE2ELNS1_11target_archE906ELNS1_3gpuE6ELNS1_3repE0EEENS1_30default_config_static_selectorELNS0_4arch9wavefront6targetE0EEEvSQ_
                                        ; -- End function
	.set _ZN7rocprim17ROCPRIM_400000_NS6detail17trampoline_kernelINS0_14default_configENS1_22reduce_config_selectorIbEEZNS1_11reduce_implILb1ES3_N6hipcub16HIPCUB_304000_NS22TransformInputIteratorIbN2at6native12_GLOBAL__N_19NonZeroOpIfEEPKflEEPiiNS8_6detail34convert_binary_result_type_wrapperINS8_3SumESH_iEEEE10hipError_tPvRmT1_T2_T3_mT4_P12ihipStream_tbEUlT_E1_NS1_11comp_targetILNS1_3genE2ELNS1_11target_archE906ELNS1_3gpuE6ELNS1_3repE0EEENS1_30default_config_static_selectorELNS0_4arch9wavefront6targetE0EEEvSQ_.num_vgpr, 0
	.set _ZN7rocprim17ROCPRIM_400000_NS6detail17trampoline_kernelINS0_14default_configENS1_22reduce_config_selectorIbEEZNS1_11reduce_implILb1ES3_N6hipcub16HIPCUB_304000_NS22TransformInputIteratorIbN2at6native12_GLOBAL__N_19NonZeroOpIfEEPKflEEPiiNS8_6detail34convert_binary_result_type_wrapperINS8_3SumESH_iEEEE10hipError_tPvRmT1_T2_T3_mT4_P12ihipStream_tbEUlT_E1_NS1_11comp_targetILNS1_3genE2ELNS1_11target_archE906ELNS1_3gpuE6ELNS1_3repE0EEENS1_30default_config_static_selectorELNS0_4arch9wavefront6targetE0EEEvSQ_.num_agpr, 0
	.set _ZN7rocprim17ROCPRIM_400000_NS6detail17trampoline_kernelINS0_14default_configENS1_22reduce_config_selectorIbEEZNS1_11reduce_implILb1ES3_N6hipcub16HIPCUB_304000_NS22TransformInputIteratorIbN2at6native12_GLOBAL__N_19NonZeroOpIfEEPKflEEPiiNS8_6detail34convert_binary_result_type_wrapperINS8_3SumESH_iEEEE10hipError_tPvRmT1_T2_T3_mT4_P12ihipStream_tbEUlT_E1_NS1_11comp_targetILNS1_3genE2ELNS1_11target_archE906ELNS1_3gpuE6ELNS1_3repE0EEENS1_30default_config_static_selectorELNS0_4arch9wavefront6targetE0EEEvSQ_.numbered_sgpr, 0
	.set _ZN7rocprim17ROCPRIM_400000_NS6detail17trampoline_kernelINS0_14default_configENS1_22reduce_config_selectorIbEEZNS1_11reduce_implILb1ES3_N6hipcub16HIPCUB_304000_NS22TransformInputIteratorIbN2at6native12_GLOBAL__N_19NonZeroOpIfEEPKflEEPiiNS8_6detail34convert_binary_result_type_wrapperINS8_3SumESH_iEEEE10hipError_tPvRmT1_T2_T3_mT4_P12ihipStream_tbEUlT_E1_NS1_11comp_targetILNS1_3genE2ELNS1_11target_archE906ELNS1_3gpuE6ELNS1_3repE0EEENS1_30default_config_static_selectorELNS0_4arch9wavefront6targetE0EEEvSQ_.num_named_barrier, 0
	.set _ZN7rocprim17ROCPRIM_400000_NS6detail17trampoline_kernelINS0_14default_configENS1_22reduce_config_selectorIbEEZNS1_11reduce_implILb1ES3_N6hipcub16HIPCUB_304000_NS22TransformInputIteratorIbN2at6native12_GLOBAL__N_19NonZeroOpIfEEPKflEEPiiNS8_6detail34convert_binary_result_type_wrapperINS8_3SumESH_iEEEE10hipError_tPvRmT1_T2_T3_mT4_P12ihipStream_tbEUlT_E1_NS1_11comp_targetILNS1_3genE2ELNS1_11target_archE906ELNS1_3gpuE6ELNS1_3repE0EEENS1_30default_config_static_selectorELNS0_4arch9wavefront6targetE0EEEvSQ_.private_seg_size, 0
	.set _ZN7rocprim17ROCPRIM_400000_NS6detail17trampoline_kernelINS0_14default_configENS1_22reduce_config_selectorIbEEZNS1_11reduce_implILb1ES3_N6hipcub16HIPCUB_304000_NS22TransformInputIteratorIbN2at6native12_GLOBAL__N_19NonZeroOpIfEEPKflEEPiiNS8_6detail34convert_binary_result_type_wrapperINS8_3SumESH_iEEEE10hipError_tPvRmT1_T2_T3_mT4_P12ihipStream_tbEUlT_E1_NS1_11comp_targetILNS1_3genE2ELNS1_11target_archE906ELNS1_3gpuE6ELNS1_3repE0EEENS1_30default_config_static_selectorELNS0_4arch9wavefront6targetE0EEEvSQ_.uses_vcc, 0
	.set _ZN7rocprim17ROCPRIM_400000_NS6detail17trampoline_kernelINS0_14default_configENS1_22reduce_config_selectorIbEEZNS1_11reduce_implILb1ES3_N6hipcub16HIPCUB_304000_NS22TransformInputIteratorIbN2at6native12_GLOBAL__N_19NonZeroOpIfEEPKflEEPiiNS8_6detail34convert_binary_result_type_wrapperINS8_3SumESH_iEEEE10hipError_tPvRmT1_T2_T3_mT4_P12ihipStream_tbEUlT_E1_NS1_11comp_targetILNS1_3genE2ELNS1_11target_archE906ELNS1_3gpuE6ELNS1_3repE0EEENS1_30default_config_static_selectorELNS0_4arch9wavefront6targetE0EEEvSQ_.uses_flat_scratch, 0
	.set _ZN7rocprim17ROCPRIM_400000_NS6detail17trampoline_kernelINS0_14default_configENS1_22reduce_config_selectorIbEEZNS1_11reduce_implILb1ES3_N6hipcub16HIPCUB_304000_NS22TransformInputIteratorIbN2at6native12_GLOBAL__N_19NonZeroOpIfEEPKflEEPiiNS8_6detail34convert_binary_result_type_wrapperINS8_3SumESH_iEEEE10hipError_tPvRmT1_T2_T3_mT4_P12ihipStream_tbEUlT_E1_NS1_11comp_targetILNS1_3genE2ELNS1_11target_archE906ELNS1_3gpuE6ELNS1_3repE0EEENS1_30default_config_static_selectorELNS0_4arch9wavefront6targetE0EEEvSQ_.has_dyn_sized_stack, 0
	.set _ZN7rocprim17ROCPRIM_400000_NS6detail17trampoline_kernelINS0_14default_configENS1_22reduce_config_selectorIbEEZNS1_11reduce_implILb1ES3_N6hipcub16HIPCUB_304000_NS22TransformInputIteratorIbN2at6native12_GLOBAL__N_19NonZeroOpIfEEPKflEEPiiNS8_6detail34convert_binary_result_type_wrapperINS8_3SumESH_iEEEE10hipError_tPvRmT1_T2_T3_mT4_P12ihipStream_tbEUlT_E1_NS1_11comp_targetILNS1_3genE2ELNS1_11target_archE906ELNS1_3gpuE6ELNS1_3repE0EEENS1_30default_config_static_selectorELNS0_4arch9wavefront6targetE0EEEvSQ_.has_recursion, 0
	.set _ZN7rocprim17ROCPRIM_400000_NS6detail17trampoline_kernelINS0_14default_configENS1_22reduce_config_selectorIbEEZNS1_11reduce_implILb1ES3_N6hipcub16HIPCUB_304000_NS22TransformInputIteratorIbN2at6native12_GLOBAL__N_19NonZeroOpIfEEPKflEEPiiNS8_6detail34convert_binary_result_type_wrapperINS8_3SumESH_iEEEE10hipError_tPvRmT1_T2_T3_mT4_P12ihipStream_tbEUlT_E1_NS1_11comp_targetILNS1_3genE2ELNS1_11target_archE906ELNS1_3gpuE6ELNS1_3repE0EEENS1_30default_config_static_selectorELNS0_4arch9wavefront6targetE0EEEvSQ_.has_indirect_call, 0
	.section	.AMDGPU.csdata,"",@progbits
; Kernel info:
; codeLenInByte = 0
; TotalNumSgprs: 0
; NumVgprs: 0
; ScratchSize: 0
; MemoryBound: 0
; FloatMode: 240
; IeeeMode: 1
; LDSByteSize: 0 bytes/workgroup (compile time only)
; SGPRBlocks: 0
; VGPRBlocks: 0
; NumSGPRsForWavesPerEU: 1
; NumVGPRsForWavesPerEU: 1
; Occupancy: 16
; WaveLimiterHint : 0
; COMPUTE_PGM_RSRC2:SCRATCH_EN: 0
; COMPUTE_PGM_RSRC2:USER_SGPR: 2
; COMPUTE_PGM_RSRC2:TRAP_HANDLER: 0
; COMPUTE_PGM_RSRC2:TGID_X_EN: 1
; COMPUTE_PGM_RSRC2:TGID_Y_EN: 0
; COMPUTE_PGM_RSRC2:TGID_Z_EN: 0
; COMPUTE_PGM_RSRC2:TIDIG_COMP_CNT: 0
	.section	.text._ZN7rocprim17ROCPRIM_400000_NS6detail17trampoline_kernelINS0_14default_configENS1_22reduce_config_selectorIbEEZNS1_11reduce_implILb1ES3_N6hipcub16HIPCUB_304000_NS22TransformInputIteratorIbN2at6native12_GLOBAL__N_19NonZeroOpIfEEPKflEEPiiNS8_6detail34convert_binary_result_type_wrapperINS8_3SumESH_iEEEE10hipError_tPvRmT1_T2_T3_mT4_P12ihipStream_tbEUlT_E1_NS1_11comp_targetILNS1_3genE10ELNS1_11target_archE1201ELNS1_3gpuE5ELNS1_3repE0EEENS1_30default_config_static_selectorELNS0_4arch9wavefront6targetE0EEEvSQ_,"axG",@progbits,_ZN7rocprim17ROCPRIM_400000_NS6detail17trampoline_kernelINS0_14default_configENS1_22reduce_config_selectorIbEEZNS1_11reduce_implILb1ES3_N6hipcub16HIPCUB_304000_NS22TransformInputIteratorIbN2at6native12_GLOBAL__N_19NonZeroOpIfEEPKflEEPiiNS8_6detail34convert_binary_result_type_wrapperINS8_3SumESH_iEEEE10hipError_tPvRmT1_T2_T3_mT4_P12ihipStream_tbEUlT_E1_NS1_11comp_targetILNS1_3genE10ELNS1_11target_archE1201ELNS1_3gpuE5ELNS1_3repE0EEENS1_30default_config_static_selectorELNS0_4arch9wavefront6targetE0EEEvSQ_,comdat
	.globl	_ZN7rocprim17ROCPRIM_400000_NS6detail17trampoline_kernelINS0_14default_configENS1_22reduce_config_selectorIbEEZNS1_11reduce_implILb1ES3_N6hipcub16HIPCUB_304000_NS22TransformInputIteratorIbN2at6native12_GLOBAL__N_19NonZeroOpIfEEPKflEEPiiNS8_6detail34convert_binary_result_type_wrapperINS8_3SumESH_iEEEE10hipError_tPvRmT1_T2_T3_mT4_P12ihipStream_tbEUlT_E1_NS1_11comp_targetILNS1_3genE10ELNS1_11target_archE1201ELNS1_3gpuE5ELNS1_3repE0EEENS1_30default_config_static_selectorELNS0_4arch9wavefront6targetE0EEEvSQ_ ; -- Begin function _ZN7rocprim17ROCPRIM_400000_NS6detail17trampoline_kernelINS0_14default_configENS1_22reduce_config_selectorIbEEZNS1_11reduce_implILb1ES3_N6hipcub16HIPCUB_304000_NS22TransformInputIteratorIbN2at6native12_GLOBAL__N_19NonZeroOpIfEEPKflEEPiiNS8_6detail34convert_binary_result_type_wrapperINS8_3SumESH_iEEEE10hipError_tPvRmT1_T2_T3_mT4_P12ihipStream_tbEUlT_E1_NS1_11comp_targetILNS1_3genE10ELNS1_11target_archE1201ELNS1_3gpuE5ELNS1_3repE0EEENS1_30default_config_static_selectorELNS0_4arch9wavefront6targetE0EEEvSQ_
	.p2align	8
	.type	_ZN7rocprim17ROCPRIM_400000_NS6detail17trampoline_kernelINS0_14default_configENS1_22reduce_config_selectorIbEEZNS1_11reduce_implILb1ES3_N6hipcub16HIPCUB_304000_NS22TransformInputIteratorIbN2at6native12_GLOBAL__N_19NonZeroOpIfEEPKflEEPiiNS8_6detail34convert_binary_result_type_wrapperINS8_3SumESH_iEEEE10hipError_tPvRmT1_T2_T3_mT4_P12ihipStream_tbEUlT_E1_NS1_11comp_targetILNS1_3genE10ELNS1_11target_archE1201ELNS1_3gpuE5ELNS1_3repE0EEENS1_30default_config_static_selectorELNS0_4arch9wavefront6targetE0EEEvSQ_,@function
_ZN7rocprim17ROCPRIM_400000_NS6detail17trampoline_kernelINS0_14default_configENS1_22reduce_config_selectorIbEEZNS1_11reduce_implILb1ES3_N6hipcub16HIPCUB_304000_NS22TransformInputIteratorIbN2at6native12_GLOBAL__N_19NonZeroOpIfEEPKflEEPiiNS8_6detail34convert_binary_result_type_wrapperINS8_3SumESH_iEEEE10hipError_tPvRmT1_T2_T3_mT4_P12ihipStream_tbEUlT_E1_NS1_11comp_targetILNS1_3genE10ELNS1_11target_archE1201ELNS1_3gpuE5ELNS1_3repE0EEENS1_30default_config_static_selectorELNS0_4arch9wavefront6targetE0EEEvSQ_: ; @_ZN7rocprim17ROCPRIM_400000_NS6detail17trampoline_kernelINS0_14default_configENS1_22reduce_config_selectorIbEEZNS1_11reduce_implILb1ES3_N6hipcub16HIPCUB_304000_NS22TransformInputIteratorIbN2at6native12_GLOBAL__N_19NonZeroOpIfEEPKflEEPiiNS8_6detail34convert_binary_result_type_wrapperINS8_3SumESH_iEEEE10hipError_tPvRmT1_T2_T3_mT4_P12ihipStream_tbEUlT_E1_NS1_11comp_targetILNS1_3genE10ELNS1_11target_archE1201ELNS1_3gpuE5ELNS1_3repE0EEENS1_30default_config_static_selectorELNS0_4arch9wavefront6targetE0EEEvSQ_
; %bb.0:
	s_clause 0x2
	s_load_b32 s44, s[0:1], 0x4
	s_load_b64 s[40:41], s[0:1], 0x8
	s_load_b128 s[36:39], s[0:1], 0x18
	s_mov_b32 s34, ttmp9
	s_wait_kmcnt 0x0
	s_cmp_lt_i32 s44, 16
	s_cbranch_scc1 .LBB454_12
; %bb.1:
	s_cmp_gt_i32 s44, 63
	s_cbranch_scc0 .LBB454_13
; %bb.2:
	s_cmp_gt_i32 s44, 0x7f
	s_cbranch_scc0 .LBB454_22
; %bb.3:
	s_cmp_eq_u32 s44, 0x80
	s_mov_b32 s6, 0
	s_cbranch_scc0 .LBB454_23
; %bb.4:
	s_mov_b32 s35, 0
	s_lshl_b32 s4, s34, 15
	s_mov_b32 s5, s35
	s_lshr_b64 s[2:3], s[36:37], 15
	s_lshl_b64 s[8:9], s[4:5], 2
	s_cmp_lg_u64 s[2:3], s[34:35]
	s_add_nc_u64 s[2:3], s[40:41], s[8:9]
	s_cbranch_scc0 .LBB454_34
; %bb.5:
	v_lshlrev_b32_e32 v1, 2, v0
	s_mov_b32 s5, exec_lo
	s_clause 0x1f
	global_load_b32 v2, v1, s[2:3]
	global_load_b32 v3, v1, s[2:3] offset:2048
	global_load_b32 v4, v1, s[2:3] offset:1024
	global_load_b32 v5, v1, s[2:3] offset:4096
	global_load_b32 v6, v1, s[2:3] offset:3072
	global_load_b32 v7, v1, s[2:3] offset:6144
	global_load_b32 v8, v1, s[2:3] offset:5120
	global_load_b32 v9, v1, s[2:3] offset:8192
	global_load_b32 v10, v1, s[2:3] offset:7168
	global_load_b32 v11, v1, s[2:3] offset:10240
	global_load_b32 v12, v1, s[2:3] offset:9216
	global_load_b32 v13, v1, s[2:3] offset:12288
	global_load_b32 v14, v1, s[2:3] offset:11264
	global_load_b32 v15, v1, s[2:3] offset:14336
	global_load_b32 v16, v1, s[2:3] offset:13312
	global_load_b32 v17, v1, s[2:3] offset:16384
	global_load_b32 v18, v1, s[2:3] offset:15360
	global_load_b32 v19, v1, s[2:3] offset:18432
	global_load_b32 v20, v1, s[2:3] offset:17408
	global_load_b32 v21, v1, s[2:3] offset:20480
	global_load_b32 v22, v1, s[2:3] offset:19456
	global_load_b32 v23, v1, s[2:3] offset:22528
	global_load_b32 v24, v1, s[2:3] offset:21504
	global_load_b32 v25, v1, s[2:3] offset:24576
	global_load_b32 v26, v1, s[2:3] offset:23552
	global_load_b32 v27, v1, s[2:3] offset:26624
	global_load_b32 v28, v1, s[2:3] offset:25600
	global_load_b32 v29, v1, s[2:3] offset:28672
	global_load_b32 v30, v1, s[2:3] offset:27648
	global_load_b32 v31, v1, s[2:3] offset:30720
	global_load_b32 v32, v1, s[2:3] offset:29696
	global_load_b32 v33, v1, s[2:3] offset:32768
	s_clause 0x1f
	global_load_b32 v34, v1, s[2:3] offset:31744
	global_load_b32 v35, v1, s[2:3] offset:34816
	global_load_b32 v36, v1, s[2:3] offset:33792
	global_load_b32 v37, v1, s[2:3] offset:36864
	global_load_b32 v38, v1, s[2:3] offset:35840
	global_load_b32 v39, v1, s[2:3] offset:38912
	global_load_b32 v40, v1, s[2:3] offset:37888
	global_load_b32 v41, v1, s[2:3] offset:40960
	global_load_b32 v42, v1, s[2:3] offset:39936
	global_load_b32 v43, v1, s[2:3] offset:43008
	global_load_b32 v44, v1, s[2:3] offset:41984
	global_load_b32 v45, v1, s[2:3] offset:45056
	global_load_b32 v46, v1, s[2:3] offset:44032
	global_load_b32 v47, v1, s[2:3] offset:47104
	global_load_b32 v48, v1, s[2:3] offset:46080
	global_load_b32 v49, v1, s[2:3] offset:49152
	global_load_b32 v50, v1, s[2:3] offset:48128
	global_load_b32 v51, v1, s[2:3] offset:51200
	global_load_b32 v52, v1, s[2:3] offset:50176
	global_load_b32 v53, v1, s[2:3] offset:53248
	global_load_b32 v54, v1, s[2:3] offset:52224
	global_load_b32 v55, v1, s[2:3] offset:55296
	global_load_b32 v56, v1, s[2:3] offset:54272
	global_load_b32 v57, v1, s[2:3] offset:57344
	global_load_b32 v58, v1, s[2:3] offset:56320
	global_load_b32 v59, v1, s[2:3] offset:59392
	global_load_b32 v60, v1, s[2:3] offset:58368
	global_load_b32 v61, v1, s[2:3] offset:61440
	global_load_b32 v62, v1, s[2:3] offset:60416
	global_load_b32 v63, v1, s[2:3] offset:63488
	global_load_b32 v64, v1, s[2:3] offset:62464
	global_load_b32 v65, v1, s[2:3] offset:65536
	s_clause 0x1f
	global_load_b32 v66, v1, s[2:3] offset:64512
	;; [unrolled: 33-line block ×3, first 2 shown]
	global_load_b32 v99, v1, s[2:3] offset:100352
	global_load_b32 v100, v1, s[2:3] offset:99328
	;; [unrolled: 1-line block ×31, first 2 shown]
	s_wait_loadcnt 0x3e
	v_cmp_neq_f32_e32 vcc_lo, 0, v2
	v_cndmask_b32_e64 v2, 0, 1, vcc_lo
	v_cmp_neq_f32_e32 vcc_lo, 0, v3
	s_wait_alu 0xfffd
	v_cndmask_b32_e64 v3, 0, 1, vcc_lo
	v_cmp_neq_f32_e32 vcc_lo, 0, v4
	s_wait_alu 0xfffd
	v_add_co_ci_u32_e64 v2, null, 0, v2, vcc_lo
	v_cmp_neq_f32_e32 vcc_lo, 0, v5
	s_wait_alu 0xfffd
	v_cndmask_b32_e64 v4, 0, 1, vcc_lo
	v_cmp_neq_f32_e32 vcc_lo, 0, v6
	s_wait_alu 0xfffd
	v_add_co_ci_u32_e64 v2, null, v2, v3, vcc_lo
	;; [unrolled: 6-line block ×32, first 2 shown]
	v_cmp_neq_f32_e32 vcc_lo, 0, v67
	s_wait_alu 0xfffd
	v_cndmask_b32_e64 v3, 0, 1, vcc_lo
	s_wait_loadcnt 0x3d
	v_cmp_neq_f32_e32 vcc_lo, 0, v68
	s_wait_alu 0xfffd
	v_add_co_ci_u32_e64 v2, null, v2, v4, vcc_lo
	s_wait_loadcnt 0x3c
	v_cmp_neq_f32_e32 vcc_lo, 0, v69
	s_wait_alu 0xfffd
	v_cndmask_b32_e64 v4, 0, 1, vcc_lo
	s_wait_loadcnt 0x3b
	v_cmp_neq_f32_e32 vcc_lo, 0, v70
	s_wait_alu 0xfffd
	v_add_co_ci_u32_e64 v2, null, v2, v3, vcc_lo
	s_wait_loadcnt 0x3a
	;; [unrolled: 8-line block ×31, first 2 shown]
	v_cmp_neq_f32_e32 vcc_lo, 0, v1
	s_wait_alu 0xfffd
	s_delay_alu instid0(VALU_DEP_2) | instskip(NEXT) | instid1(VALU_DEP_1)
	v_add_co_ci_u32_e64 v1, null, v2, v3, vcc_lo
	v_mov_b32_dpp v2, v1 quad_perm:[1,0,3,2] row_mask:0xf bank_mask:0xf
	s_delay_alu instid0(VALU_DEP_1) | instskip(NEXT) | instid1(VALU_DEP_1)
	v_add_nc_u32_e32 v1, v1, v2
	v_mov_b32_dpp v2, v1 quad_perm:[2,3,0,1] row_mask:0xf bank_mask:0xf
	s_delay_alu instid0(VALU_DEP_1) | instskip(NEXT) | instid1(VALU_DEP_1)
	v_add_nc_u32_e32 v1, v1, v2
	v_mov_b32_dpp v2, v1 row_ror:4 row_mask:0xf bank_mask:0xf
	s_delay_alu instid0(VALU_DEP_1) | instskip(NEXT) | instid1(VALU_DEP_1)
	v_add_nc_u32_e32 v1, v1, v2
	v_mov_b32_dpp v2, v1 row_ror:8 row_mask:0xf bank_mask:0xf
	s_delay_alu instid0(VALU_DEP_1)
	v_add_nc_u32_e32 v1, v1, v2
	ds_swizzle_b32 v2, v1 offset:swizzle(BROADCAST,32,15)
	s_wait_dscnt 0x0
	v_dual_mov_b32 v2, 0 :: v_dual_add_nc_u32 v1, v1, v2
	ds_bpermute_b32 v1, v2, v1 offset:124
	v_mbcnt_lo_u32_b32 v2, -1, 0
	s_delay_alu instid0(VALU_DEP_1)
	v_cmpx_eq_u32_e32 0, v2
	s_cbranch_execz .LBB454_7
; %bb.6:
	v_lshrrev_b32_e32 v3, 3, v0
	s_delay_alu instid0(VALU_DEP_1)
	v_and_b32_e32 v3, 28, v3
	s_wait_dscnt 0x0
	ds_store_b32 v3, v1
.LBB454_7:
	s_or_b32 exec_lo, exec_lo, s5
	s_delay_alu instid0(SALU_CYCLE_1)
	s_mov_b32 s5, exec_lo
	s_wait_dscnt 0x0
	s_barrier_signal -1
	s_barrier_wait -1
	global_inv scope:SCOPE_SE
	v_cmpx_gt_u32_e32 32, v0
	s_cbranch_execz .LBB454_9
; %bb.8:
	v_and_b32_e32 v1, 7, v2
	s_delay_alu instid0(VALU_DEP_1)
	v_lshlrev_b32_e32 v3, 2, v1
	v_cmp_ne_u32_e32 vcc_lo, 7, v1
	ds_load_b32 v3, v3
	s_wait_alu 0xfffd
	v_add_co_ci_u32_e64 v4, null, 0, v2, vcc_lo
	v_cmp_gt_u32_e32 vcc_lo, 6, v1
	s_delay_alu instid0(VALU_DEP_2) | instskip(SKIP_2) | instid1(VALU_DEP_1)
	v_lshlrev_b32_e32 v4, 2, v4
	s_wait_alu 0xfffd
	v_cndmask_b32_e64 v1, 0, 2, vcc_lo
	v_add_lshl_u32 v1, v1, v2, 2
	v_lshlrev_b32_e32 v2, 2, v2
	s_delay_alu instid0(VALU_DEP_1)
	v_or_b32_e32 v2, 16, v2
	s_wait_dscnt 0x0
	ds_bpermute_b32 v4, v4, v3
	s_wait_dscnt 0x0
	v_add_nc_u32_e32 v3, v4, v3
	ds_bpermute_b32 v1, v1, v3
	s_wait_dscnt 0x0
	v_add_nc_u32_e32 v1, v1, v3
	;; [unrolled: 3-line block ×3, first 2 shown]
.LBB454_9:
	s_or_b32 exec_lo, exec_lo, s5
.LBB454_10:
	v_cmp_eq_u32_e64 s2, 0, v0
	s_and_b32 vcc_lo, exec_lo, s6
	s_wait_alu 0xfffe
	s_cbranch_vccnz .LBB454_24
.LBB454_11:
	s_branch .LBB454_512
.LBB454_12:
	s_mov_b32 s2, 0
                                        ; implicit-def: $vgpr1
	s_cbranch_execz .LBB454_623
	s_branch .LBB454_513
.LBB454_13:
	s_mov_b32 s2, 0
                                        ; implicit-def: $vgpr1
	s_cbranch_execz .LBB454_512
; %bb.14:
	s_cmp_gt_i32 s44, 31
	s_cbranch_scc0 .LBB454_31
; %bb.15:
	s_cmp_eq_u32 s44, 32
	s_cbranch_scc0 .LBB454_32
; %bb.16:
	s_mov_b32 s35, 0
	s_lshl_b32 s2, s34, 13
	s_mov_b32 s3, s35
	s_lshr_b64 s[4:5], s[36:37], 13
	s_lshl_b64 s[6:7], s[2:3], 2
	s_cmp_lg_u64 s[4:5], s[34:35]
	s_add_nc_u64 s[42:43], s[40:41], s[6:7]
	s_cbranch_scc0 .LBB454_296
; %bb.17:
	v_lshlrev_b32_e32 v1, 2, v0
	s_mov_b32 s3, exec_lo
	s_clause 0x1f
	global_load_b32 v2, v1, s[42:43]
	global_load_b32 v3, v1, s[42:43] offset:2048
	global_load_b32 v4, v1, s[42:43] offset:1024
	global_load_b32 v5, v1, s[42:43] offset:4096
	global_load_b32 v6, v1, s[42:43] offset:3072
	global_load_b32 v7, v1, s[42:43] offset:6144
	global_load_b32 v8, v1, s[42:43] offset:5120
	global_load_b32 v9, v1, s[42:43] offset:8192
	global_load_b32 v10, v1, s[42:43] offset:7168
	global_load_b32 v11, v1, s[42:43] offset:10240
	global_load_b32 v12, v1, s[42:43] offset:9216
	global_load_b32 v13, v1, s[42:43] offset:12288
	global_load_b32 v14, v1, s[42:43] offset:11264
	global_load_b32 v15, v1, s[42:43] offset:14336
	global_load_b32 v16, v1, s[42:43] offset:13312
	global_load_b32 v17, v1, s[42:43] offset:16384
	global_load_b32 v18, v1, s[42:43] offset:15360
	global_load_b32 v19, v1, s[42:43] offset:18432
	global_load_b32 v20, v1, s[42:43] offset:17408
	global_load_b32 v21, v1, s[42:43] offset:20480
	global_load_b32 v22, v1, s[42:43] offset:19456
	global_load_b32 v23, v1, s[42:43] offset:22528
	global_load_b32 v24, v1, s[42:43] offset:21504
	global_load_b32 v25, v1, s[42:43] offset:24576
	global_load_b32 v26, v1, s[42:43] offset:23552
	global_load_b32 v27, v1, s[42:43] offset:26624
	global_load_b32 v28, v1, s[42:43] offset:25600
	global_load_b32 v29, v1, s[42:43] offset:28672
	global_load_b32 v30, v1, s[42:43] offset:27648
	global_load_b32 v31, v1, s[42:43] offset:30720
	global_load_b32 v32, v1, s[42:43] offset:29696
	global_load_b32 v1, v1, s[42:43] offset:31744
	s_wait_loadcnt 0x1f
	v_cmp_neq_f32_e32 vcc_lo, 0, v2
	v_cndmask_b32_e64 v2, 0, 1, vcc_lo
	s_wait_loadcnt 0x1e
	v_cmp_neq_f32_e32 vcc_lo, 0, v3
	s_wait_alu 0xfffd
	v_cndmask_b32_e64 v3, 0, 1, vcc_lo
	s_wait_loadcnt 0x1d
	v_cmp_neq_f32_e32 vcc_lo, 0, v4
	s_wait_alu 0xfffd
	v_add_co_ci_u32_e64 v2, null, 0, v2, vcc_lo
	s_wait_loadcnt 0x1c
	v_cmp_neq_f32_e32 vcc_lo, 0, v5
	s_wait_alu 0xfffd
	v_cndmask_b32_e64 v4, 0, 1, vcc_lo
	s_wait_loadcnt 0x1b
	v_cmp_neq_f32_e32 vcc_lo, 0, v6
	s_wait_alu 0xfffd
	v_add_co_ci_u32_e64 v2, null, v2, v3, vcc_lo
	;; [unrolled: 8-line block ×15, first 2 shown]
	s_wait_loadcnt 0x0
	v_cmp_neq_f32_e32 vcc_lo, 0, v1
	s_wait_alu 0xfffd
	s_delay_alu instid0(VALU_DEP_2) | instskip(NEXT) | instid1(VALU_DEP_1)
	v_add_co_ci_u32_e64 v1, null, v2, v3, vcc_lo
	v_mov_b32_dpp v2, v1 quad_perm:[1,0,3,2] row_mask:0xf bank_mask:0xf
	s_delay_alu instid0(VALU_DEP_1) | instskip(NEXT) | instid1(VALU_DEP_1)
	v_add_nc_u32_e32 v1, v1, v2
	v_mov_b32_dpp v2, v1 quad_perm:[2,3,0,1] row_mask:0xf bank_mask:0xf
	s_delay_alu instid0(VALU_DEP_1) | instskip(NEXT) | instid1(VALU_DEP_1)
	v_add_nc_u32_e32 v1, v1, v2
	v_mov_b32_dpp v2, v1 row_ror:4 row_mask:0xf bank_mask:0xf
	s_delay_alu instid0(VALU_DEP_1) | instskip(NEXT) | instid1(VALU_DEP_1)
	v_add_nc_u32_e32 v1, v1, v2
	v_mov_b32_dpp v2, v1 row_ror:8 row_mask:0xf bank_mask:0xf
	s_delay_alu instid0(VALU_DEP_1)
	v_add_nc_u32_e32 v1, v1, v2
	ds_swizzle_b32 v2, v1 offset:swizzle(BROADCAST,32,15)
	s_wait_dscnt 0x0
	v_dual_mov_b32 v2, 0 :: v_dual_add_nc_u32 v1, v1, v2
	ds_bpermute_b32 v1, v2, v1 offset:124
	v_mbcnt_lo_u32_b32 v2, -1, 0
	s_delay_alu instid0(VALU_DEP_1)
	v_cmpx_eq_u32_e32 0, v2
	s_cbranch_execz .LBB454_19
; %bb.18:
	v_lshrrev_b32_e32 v3, 3, v0
	s_delay_alu instid0(VALU_DEP_1)
	v_and_b32_e32 v3, 28, v3
	s_wait_dscnt 0x0
	ds_store_b32 v3, v1 offset:128
.LBB454_19:
	s_or_b32 exec_lo, exec_lo, s3
	s_delay_alu instid0(SALU_CYCLE_1)
	s_mov_b32 s3, exec_lo
	s_wait_dscnt 0x0
	s_barrier_signal -1
	s_barrier_wait -1
	global_inv scope:SCOPE_SE
	v_cmpx_gt_u32_e32 32, v0
	s_cbranch_execz .LBB454_21
; %bb.20:
	v_and_b32_e32 v1, 7, v2
	s_delay_alu instid0(VALU_DEP_1)
	v_lshlrev_b32_e32 v3, 2, v1
	v_cmp_ne_u32_e32 vcc_lo, 7, v1
	ds_load_b32 v3, v3 offset:128
	s_wait_alu 0xfffd
	v_add_co_ci_u32_e64 v4, null, 0, v2, vcc_lo
	v_cmp_gt_u32_e32 vcc_lo, 6, v1
	s_delay_alu instid0(VALU_DEP_2) | instskip(SKIP_2) | instid1(VALU_DEP_1)
	v_lshlrev_b32_e32 v4, 2, v4
	s_wait_alu 0xfffd
	v_cndmask_b32_e64 v1, 0, 2, vcc_lo
	v_add_lshl_u32 v1, v1, v2, 2
	v_lshlrev_b32_e32 v2, 2, v2
	s_delay_alu instid0(VALU_DEP_1)
	v_or_b32_e32 v2, 16, v2
	s_wait_dscnt 0x0
	ds_bpermute_b32 v4, v4, v3
	s_wait_dscnt 0x0
	v_add_nc_u32_e32 v3, v4, v3
	ds_bpermute_b32 v1, v1, v3
	s_wait_dscnt 0x0
	v_add_nc_u32_e32 v1, v1, v3
	;; [unrolled: 3-line block ×3, first 2 shown]
.LBB454_21:
	s_or_b32 exec_lo, exec_lo, s3
	s_mov_b32 s3, 0
	s_branch .LBB454_297
.LBB454_22:
	s_mov_b32 s6, -1
.LBB454_23:
	s_mov_b32 s2, 0
                                        ; implicit-def: $vgpr1
	s_and_b32 vcc_lo, exec_lo, s6
	s_cbranch_vccz .LBB454_11
.LBB454_24:
	s_cmp_eq_u32 s44, 64
	s_cbranch_scc0 .LBB454_33
; %bb.25:
	s_mov_b32 s35, 0
	s_lshl_b32 s4, s34, 14
	s_mov_b32 s5, s35
	s_lshr_b64 s[2:3], s[36:37], 14
	s_wait_alu 0xfffe
	s_lshl_b64 s[6:7], s[4:5], 2
	s_cmp_lg_u64 s[2:3], s[34:35]
	s_add_nc_u64 s[2:3], s[40:41], s[6:7]
	s_cbranch_scc0 .LBB454_376
; %bb.26:
	v_lshlrev_b32_e32 v1, 2, v0
	s_mov_b32 s5, exec_lo
	s_clause 0x1f
	global_load_b32 v2, v1, s[2:3]
	global_load_b32 v3, v1, s[2:3] offset:2048
	global_load_b32 v4, v1, s[2:3] offset:1024
	global_load_b32 v5, v1, s[2:3] offset:4096
	global_load_b32 v6, v1, s[2:3] offset:3072
	global_load_b32 v7, v1, s[2:3] offset:6144
	global_load_b32 v8, v1, s[2:3] offset:5120
	global_load_b32 v9, v1, s[2:3] offset:8192
	global_load_b32 v10, v1, s[2:3] offset:7168
	global_load_b32 v11, v1, s[2:3] offset:10240
	global_load_b32 v12, v1, s[2:3] offset:9216
	global_load_b32 v13, v1, s[2:3] offset:12288
	global_load_b32 v14, v1, s[2:3] offset:11264
	global_load_b32 v15, v1, s[2:3] offset:14336
	global_load_b32 v16, v1, s[2:3] offset:13312
	global_load_b32 v17, v1, s[2:3] offset:16384
	global_load_b32 v18, v1, s[2:3] offset:15360
	global_load_b32 v19, v1, s[2:3] offset:18432
	global_load_b32 v20, v1, s[2:3] offset:17408
	global_load_b32 v21, v1, s[2:3] offset:20480
	global_load_b32 v22, v1, s[2:3] offset:19456
	global_load_b32 v23, v1, s[2:3] offset:22528
	global_load_b32 v24, v1, s[2:3] offset:21504
	global_load_b32 v25, v1, s[2:3] offset:24576
	global_load_b32 v26, v1, s[2:3] offset:23552
	global_load_b32 v27, v1, s[2:3] offset:26624
	global_load_b32 v28, v1, s[2:3] offset:25600
	global_load_b32 v29, v1, s[2:3] offset:28672
	global_load_b32 v30, v1, s[2:3] offset:27648
	global_load_b32 v31, v1, s[2:3] offset:30720
	global_load_b32 v32, v1, s[2:3] offset:29696
	global_load_b32 v33, v1, s[2:3] offset:32768
	s_clause 0x1f
	global_load_b32 v34, v1, s[2:3] offset:31744
	global_load_b32 v35, v1, s[2:3] offset:34816
	;; [unrolled: 1-line block ×32, first 2 shown]
	s_wait_loadcnt 0x3e
	v_cmp_neq_f32_e32 vcc_lo, 0, v2
	s_wait_alu 0xfffd
	v_cndmask_b32_e64 v2, 0, 1, vcc_lo
	v_cmp_neq_f32_e32 vcc_lo, 0, v3
	s_wait_alu 0xfffd
	v_cndmask_b32_e64 v3, 0, 1, vcc_lo
	s_wait_loadcnt 0x3d
	v_cmp_neq_f32_e32 vcc_lo, 0, v4
	s_wait_alu 0xfffd
	v_add_co_ci_u32_e64 v2, null, 0, v2, vcc_lo
	s_wait_loadcnt 0x3c
	v_cmp_neq_f32_e32 vcc_lo, 0, v5
	s_wait_alu 0xfffd
	v_cndmask_b32_e64 v4, 0, 1, vcc_lo
	s_wait_loadcnt 0x3b
	v_cmp_neq_f32_e32 vcc_lo, 0, v6
	s_wait_alu 0xfffd
	v_add_co_ci_u32_e64 v2, null, v2, v3, vcc_lo
	s_wait_loadcnt 0x3a
	v_cmp_neq_f32_e32 vcc_lo, 0, v7
	s_wait_alu 0xfffd
	v_cndmask_b32_e64 v3, 0, 1, vcc_lo
	s_wait_loadcnt 0x39
	v_cmp_neq_f32_e32 vcc_lo, 0, v8
	s_wait_alu 0xfffd
	v_add_co_ci_u32_e64 v2, null, v2, v4, vcc_lo
	s_wait_loadcnt 0x38
	v_cmp_neq_f32_e32 vcc_lo, 0, v9
	s_wait_alu 0xfffd
	v_cndmask_b32_e64 v4, 0, 1, vcc_lo
	s_wait_loadcnt 0x37
	v_cmp_neq_f32_e32 vcc_lo, 0, v10
	s_wait_alu 0xfffd
	v_add_co_ci_u32_e64 v2, null, v2, v3, vcc_lo
	s_wait_loadcnt 0x36
	v_cmp_neq_f32_e32 vcc_lo, 0, v11
	s_wait_alu 0xfffd
	v_cndmask_b32_e64 v3, 0, 1, vcc_lo
	s_wait_loadcnt 0x35
	v_cmp_neq_f32_e32 vcc_lo, 0, v12
	s_wait_alu 0xfffd
	v_add_co_ci_u32_e64 v2, null, v2, v4, vcc_lo
	s_wait_loadcnt 0x34
	v_cmp_neq_f32_e32 vcc_lo, 0, v13
	s_wait_alu 0xfffd
	v_cndmask_b32_e64 v4, 0, 1, vcc_lo
	s_wait_loadcnt 0x33
	v_cmp_neq_f32_e32 vcc_lo, 0, v14
	s_wait_alu 0xfffd
	v_add_co_ci_u32_e64 v2, null, v2, v3, vcc_lo
	s_wait_loadcnt 0x32
	v_cmp_neq_f32_e32 vcc_lo, 0, v15
	s_wait_alu 0xfffd
	v_cndmask_b32_e64 v3, 0, 1, vcc_lo
	s_wait_loadcnt 0x31
	v_cmp_neq_f32_e32 vcc_lo, 0, v16
	s_wait_alu 0xfffd
	v_add_co_ci_u32_e64 v2, null, v2, v4, vcc_lo
	s_wait_loadcnt 0x30
	v_cmp_neq_f32_e32 vcc_lo, 0, v17
	s_wait_alu 0xfffd
	v_cndmask_b32_e64 v4, 0, 1, vcc_lo
	s_wait_loadcnt 0x2f
	v_cmp_neq_f32_e32 vcc_lo, 0, v18
	s_wait_alu 0xfffd
	v_add_co_ci_u32_e64 v2, null, v2, v3, vcc_lo
	s_wait_loadcnt 0x2e
	v_cmp_neq_f32_e32 vcc_lo, 0, v19
	s_wait_alu 0xfffd
	v_cndmask_b32_e64 v3, 0, 1, vcc_lo
	s_wait_loadcnt 0x2d
	v_cmp_neq_f32_e32 vcc_lo, 0, v20
	s_wait_alu 0xfffd
	v_add_co_ci_u32_e64 v2, null, v2, v4, vcc_lo
	s_wait_loadcnt 0x2c
	v_cmp_neq_f32_e32 vcc_lo, 0, v21
	s_wait_alu 0xfffd
	v_cndmask_b32_e64 v4, 0, 1, vcc_lo
	s_wait_loadcnt 0x2b
	v_cmp_neq_f32_e32 vcc_lo, 0, v22
	s_wait_alu 0xfffd
	v_add_co_ci_u32_e64 v2, null, v2, v3, vcc_lo
	s_wait_loadcnt 0x2a
	v_cmp_neq_f32_e32 vcc_lo, 0, v23
	s_wait_alu 0xfffd
	v_cndmask_b32_e64 v3, 0, 1, vcc_lo
	s_wait_loadcnt 0x29
	v_cmp_neq_f32_e32 vcc_lo, 0, v24
	s_wait_alu 0xfffd
	v_add_co_ci_u32_e64 v2, null, v2, v4, vcc_lo
	s_wait_loadcnt 0x28
	v_cmp_neq_f32_e32 vcc_lo, 0, v25
	s_wait_alu 0xfffd
	v_cndmask_b32_e64 v4, 0, 1, vcc_lo
	s_wait_loadcnt 0x27
	v_cmp_neq_f32_e32 vcc_lo, 0, v26
	s_wait_alu 0xfffd
	v_add_co_ci_u32_e64 v2, null, v2, v3, vcc_lo
	s_wait_loadcnt 0x26
	v_cmp_neq_f32_e32 vcc_lo, 0, v27
	s_wait_alu 0xfffd
	v_cndmask_b32_e64 v3, 0, 1, vcc_lo
	s_wait_loadcnt 0x25
	v_cmp_neq_f32_e32 vcc_lo, 0, v28
	s_wait_alu 0xfffd
	v_add_co_ci_u32_e64 v2, null, v2, v4, vcc_lo
	s_wait_loadcnt 0x24
	v_cmp_neq_f32_e32 vcc_lo, 0, v29
	s_wait_alu 0xfffd
	v_cndmask_b32_e64 v4, 0, 1, vcc_lo
	s_wait_loadcnt 0x23
	v_cmp_neq_f32_e32 vcc_lo, 0, v30
	s_wait_alu 0xfffd
	v_add_co_ci_u32_e64 v2, null, v2, v3, vcc_lo
	s_wait_loadcnt 0x22
	v_cmp_neq_f32_e32 vcc_lo, 0, v31
	s_wait_alu 0xfffd
	v_cndmask_b32_e64 v3, 0, 1, vcc_lo
	s_wait_loadcnt 0x21
	v_cmp_neq_f32_e32 vcc_lo, 0, v32
	s_wait_alu 0xfffd
	v_add_co_ci_u32_e64 v2, null, v2, v4, vcc_lo
	s_wait_loadcnt 0x20
	v_cmp_neq_f32_e32 vcc_lo, 0, v33
	s_wait_alu 0xfffd
	v_cndmask_b32_e64 v4, 0, 1, vcc_lo
	s_wait_loadcnt 0x1f
	v_cmp_neq_f32_e32 vcc_lo, 0, v34
	s_wait_alu 0xfffd
	v_add_co_ci_u32_e64 v2, null, v2, v3, vcc_lo
	s_wait_loadcnt 0x1e
	v_cmp_neq_f32_e32 vcc_lo, 0, v35
	s_wait_alu 0xfffd
	v_cndmask_b32_e64 v3, 0, 1, vcc_lo
	s_wait_loadcnt 0x1d
	v_cmp_neq_f32_e32 vcc_lo, 0, v36
	s_wait_alu 0xfffd
	v_add_co_ci_u32_e64 v2, null, v2, v4, vcc_lo
	s_wait_loadcnt 0x1c
	v_cmp_neq_f32_e32 vcc_lo, 0, v37
	s_wait_alu 0xfffd
	v_cndmask_b32_e64 v4, 0, 1, vcc_lo
	s_wait_loadcnt 0x1b
	v_cmp_neq_f32_e32 vcc_lo, 0, v38
	s_wait_alu 0xfffd
	v_add_co_ci_u32_e64 v2, null, v2, v3, vcc_lo
	s_wait_loadcnt 0x1a
	v_cmp_neq_f32_e32 vcc_lo, 0, v39
	s_wait_alu 0xfffd
	v_cndmask_b32_e64 v3, 0, 1, vcc_lo
	s_wait_loadcnt 0x19
	v_cmp_neq_f32_e32 vcc_lo, 0, v40
	s_wait_alu 0xfffd
	v_add_co_ci_u32_e64 v2, null, v2, v4, vcc_lo
	s_wait_loadcnt 0x18
	v_cmp_neq_f32_e32 vcc_lo, 0, v41
	s_wait_alu 0xfffd
	v_cndmask_b32_e64 v4, 0, 1, vcc_lo
	s_wait_loadcnt 0x17
	v_cmp_neq_f32_e32 vcc_lo, 0, v42
	s_wait_alu 0xfffd
	v_add_co_ci_u32_e64 v2, null, v2, v3, vcc_lo
	s_wait_loadcnt 0x16
	v_cmp_neq_f32_e32 vcc_lo, 0, v43
	s_wait_alu 0xfffd
	v_cndmask_b32_e64 v3, 0, 1, vcc_lo
	s_wait_loadcnt 0x15
	v_cmp_neq_f32_e32 vcc_lo, 0, v44
	s_wait_alu 0xfffd
	v_add_co_ci_u32_e64 v2, null, v2, v4, vcc_lo
	s_wait_loadcnt 0x14
	v_cmp_neq_f32_e32 vcc_lo, 0, v45
	s_wait_alu 0xfffd
	v_cndmask_b32_e64 v4, 0, 1, vcc_lo
	s_wait_loadcnt 0x13
	v_cmp_neq_f32_e32 vcc_lo, 0, v46
	s_wait_alu 0xfffd
	v_add_co_ci_u32_e64 v2, null, v2, v3, vcc_lo
	s_wait_loadcnt 0x12
	v_cmp_neq_f32_e32 vcc_lo, 0, v47
	s_wait_alu 0xfffd
	v_cndmask_b32_e64 v3, 0, 1, vcc_lo
	s_wait_loadcnt 0x11
	v_cmp_neq_f32_e32 vcc_lo, 0, v48
	s_wait_alu 0xfffd
	v_add_co_ci_u32_e64 v2, null, v2, v4, vcc_lo
	s_wait_loadcnt 0x10
	v_cmp_neq_f32_e32 vcc_lo, 0, v49
	s_wait_alu 0xfffd
	v_cndmask_b32_e64 v4, 0, 1, vcc_lo
	s_wait_loadcnt 0xf
	v_cmp_neq_f32_e32 vcc_lo, 0, v50
	s_wait_alu 0xfffd
	v_add_co_ci_u32_e64 v2, null, v2, v3, vcc_lo
	s_wait_loadcnt 0xe
	v_cmp_neq_f32_e32 vcc_lo, 0, v51
	s_wait_alu 0xfffd
	v_cndmask_b32_e64 v3, 0, 1, vcc_lo
	s_wait_loadcnt 0xd
	v_cmp_neq_f32_e32 vcc_lo, 0, v52
	s_wait_alu 0xfffd
	v_add_co_ci_u32_e64 v2, null, v2, v4, vcc_lo
	s_wait_loadcnt 0xc
	v_cmp_neq_f32_e32 vcc_lo, 0, v53
	s_wait_alu 0xfffd
	v_cndmask_b32_e64 v4, 0, 1, vcc_lo
	s_wait_loadcnt 0xb
	v_cmp_neq_f32_e32 vcc_lo, 0, v54
	s_wait_alu 0xfffd
	v_add_co_ci_u32_e64 v2, null, v2, v3, vcc_lo
	s_wait_loadcnt 0xa
	v_cmp_neq_f32_e32 vcc_lo, 0, v55
	s_wait_alu 0xfffd
	v_cndmask_b32_e64 v3, 0, 1, vcc_lo
	s_wait_loadcnt 0x9
	v_cmp_neq_f32_e32 vcc_lo, 0, v56
	s_wait_alu 0xfffd
	v_add_co_ci_u32_e64 v2, null, v2, v4, vcc_lo
	s_wait_loadcnt 0x8
	v_cmp_neq_f32_e32 vcc_lo, 0, v57
	s_wait_alu 0xfffd
	v_cndmask_b32_e64 v4, 0, 1, vcc_lo
	s_wait_loadcnt 0x7
	v_cmp_neq_f32_e32 vcc_lo, 0, v58
	s_wait_alu 0xfffd
	v_add_co_ci_u32_e64 v2, null, v2, v3, vcc_lo
	s_wait_loadcnt 0x6
	v_cmp_neq_f32_e32 vcc_lo, 0, v59
	s_wait_alu 0xfffd
	v_cndmask_b32_e64 v3, 0, 1, vcc_lo
	s_wait_loadcnt 0x5
	v_cmp_neq_f32_e32 vcc_lo, 0, v60
	s_wait_alu 0xfffd
	v_add_co_ci_u32_e64 v2, null, v2, v4, vcc_lo
	s_wait_loadcnt 0x4
	v_cmp_neq_f32_e32 vcc_lo, 0, v61
	s_wait_alu 0xfffd
	v_cndmask_b32_e64 v4, 0, 1, vcc_lo
	s_wait_loadcnt 0x3
	v_cmp_neq_f32_e32 vcc_lo, 0, v62
	s_wait_alu 0xfffd
	v_add_co_ci_u32_e64 v2, null, v2, v3, vcc_lo
	s_wait_loadcnt 0x2
	v_cmp_neq_f32_e32 vcc_lo, 0, v63
	s_wait_alu 0xfffd
	v_cndmask_b32_e64 v3, 0, 1, vcc_lo
	s_wait_loadcnt 0x1
	v_cmp_neq_f32_e32 vcc_lo, 0, v64
	s_wait_alu 0xfffd
	v_add_co_ci_u32_e64 v2, null, v2, v4, vcc_lo
	s_wait_loadcnt 0x0
	v_cmp_neq_f32_e32 vcc_lo, 0, v1
	s_wait_alu 0xfffd
	s_delay_alu instid0(VALU_DEP_2) | instskip(NEXT) | instid1(VALU_DEP_1)
	v_add_co_ci_u32_e64 v1, null, v2, v3, vcc_lo
	v_mov_b32_dpp v2, v1 quad_perm:[1,0,3,2] row_mask:0xf bank_mask:0xf
	s_delay_alu instid0(VALU_DEP_1) | instskip(NEXT) | instid1(VALU_DEP_1)
	v_add_nc_u32_e32 v1, v1, v2
	v_mov_b32_dpp v2, v1 quad_perm:[2,3,0,1] row_mask:0xf bank_mask:0xf
	s_delay_alu instid0(VALU_DEP_1) | instskip(NEXT) | instid1(VALU_DEP_1)
	v_add_nc_u32_e32 v1, v1, v2
	v_mov_b32_dpp v2, v1 row_ror:4 row_mask:0xf bank_mask:0xf
	s_delay_alu instid0(VALU_DEP_1) | instskip(NEXT) | instid1(VALU_DEP_1)
	v_add_nc_u32_e32 v1, v1, v2
	v_mov_b32_dpp v2, v1 row_ror:8 row_mask:0xf bank_mask:0xf
	s_delay_alu instid0(VALU_DEP_1)
	v_add_nc_u32_e32 v1, v1, v2
	ds_swizzle_b32 v2, v1 offset:swizzle(BROADCAST,32,15)
	s_wait_dscnt 0x0
	v_dual_mov_b32 v2, 0 :: v_dual_add_nc_u32 v1, v1, v2
	ds_bpermute_b32 v1, v2, v1 offset:124
	v_mbcnt_lo_u32_b32 v2, -1, 0
	s_delay_alu instid0(VALU_DEP_1)
	v_cmpx_eq_u32_e32 0, v2
	s_cbranch_execz .LBB454_28
; %bb.27:
	v_lshrrev_b32_e32 v3, 3, v0
	s_delay_alu instid0(VALU_DEP_1)
	v_and_b32_e32 v3, 28, v3
	s_wait_dscnt 0x0
	ds_store_b32 v3, v1 offset:192
.LBB454_28:
	s_wait_alu 0xfffe
	s_or_b32 exec_lo, exec_lo, s5
	s_delay_alu instid0(SALU_CYCLE_1)
	s_mov_b32 s5, exec_lo
	s_wait_dscnt 0x0
	s_barrier_signal -1
	s_barrier_wait -1
	global_inv scope:SCOPE_SE
	v_cmpx_gt_u32_e32 32, v0
	s_cbranch_execz .LBB454_30
; %bb.29:
	v_and_b32_e32 v1, 7, v2
	s_delay_alu instid0(VALU_DEP_1)
	v_lshlrev_b32_e32 v3, 2, v1
	v_cmp_ne_u32_e32 vcc_lo, 7, v1
	ds_load_b32 v3, v3 offset:192
	s_wait_alu 0xfffd
	v_add_co_ci_u32_e64 v4, null, 0, v2, vcc_lo
	v_cmp_gt_u32_e32 vcc_lo, 6, v1
	s_delay_alu instid0(VALU_DEP_2) | instskip(SKIP_2) | instid1(VALU_DEP_1)
	v_lshlrev_b32_e32 v4, 2, v4
	s_wait_alu 0xfffd
	v_cndmask_b32_e64 v1, 0, 2, vcc_lo
	v_add_lshl_u32 v1, v1, v2, 2
	v_lshlrev_b32_e32 v2, 2, v2
	s_delay_alu instid0(VALU_DEP_1)
	v_or_b32_e32 v2, 16, v2
	s_wait_dscnt 0x0
	ds_bpermute_b32 v4, v4, v3
	s_wait_dscnt 0x0
	v_add_nc_u32_e32 v3, v4, v3
	ds_bpermute_b32 v1, v1, v3
	s_wait_dscnt 0x0
	v_add_nc_u32_e32 v1, v1, v3
	;; [unrolled: 3-line block ×3, first 2 shown]
.LBB454_30:
	s_wait_alu 0xfffe
	s_or_b32 exec_lo, exec_lo, s5
	s_mov_b32 s5, 0
	s_branch .LBB454_377
.LBB454_31:
                                        ; implicit-def: $vgpr1
	s_cbranch_execz .LBB454_512
	s_branch .LBB454_368
.LBB454_32:
                                        ; implicit-def: $vgpr1
	s_branch .LBB454_512
.LBB454_33:
                                        ; implicit-def: $vgpr1
	s_branch .LBB454_512
.LBB454_34:
                                        ; implicit-def: $vgpr1
	s_cbranch_execz .LBB454_10
; %bb.35:
	s_sub_co_i32 s4, s36, s4
	s_mov_b32 s5, exec_lo
                                        ; implicit-def: $vgpr1
	v_cmpx_gt_u32_e64 s4, v0
	s_cbranch_execz .LBB454_37
; %bb.36:
	v_lshlrev_b32_e32 v1, 2, v0
	global_load_b32 v1, v1, s[2:3]
	s_wait_loadcnt 0x0
	v_cmp_neq_f32_e32 vcc_lo, 0, v1
	v_cndmask_b32_e64 v1, 0, 1, vcc_lo
.LBB454_37:
	s_or_b32 exec_lo, exec_lo, s5
	v_or_b32_e32 v3, 0x100, v0
	v_mov_b32_e32 v2, 0
	s_delay_alu instid0(VALU_DEP_2)
	v_cmp_gt_u32_e32 vcc_lo, s4, v3
	v_mov_b32_e32 v3, 0
	s_and_saveexec_b32 s5, vcc_lo
	s_cbranch_execz .LBB454_39
; %bb.38:
	v_lshlrev_b32_e32 v3, 2, v0
	global_load_b32 v3, v3, s[2:3] offset:1024
	s_wait_loadcnt 0x0
	v_cmp_neq_f32_e32 vcc_lo, 0, v3
	s_wait_alu 0xfffd
	v_cndmask_b32_e64 v3, 0, 1, vcc_lo
.LBB454_39:
	s_wait_alu 0xfffe
	s_or_b32 exec_lo, exec_lo, s5
	v_or_b32_e32 v4, 0x200, v0
	s_mov_b32 s5, exec_lo
	s_delay_alu instid0(VALU_DEP_1)
	v_cmpx_gt_u32_e64 s4, v4
	s_cbranch_execz .LBB454_41
; %bb.40:
	v_lshlrev_b32_e32 v2, 2, v0
	global_load_b32 v2, v2, s[2:3] offset:2048
	s_wait_loadcnt 0x0
	v_cmp_neq_f32_e32 vcc_lo, 0, v2
	s_wait_alu 0xfffd
	v_cndmask_b32_e64 v2, 0, 1, vcc_lo
.LBB454_41:
	s_wait_alu 0xfffe
	s_or_b32 exec_lo, exec_lo, s5
	v_or_b32_e32 v5, 0x300, v0
	v_mov_b32_e32 v4, 0
	s_delay_alu instid0(VALU_DEP_2)
	v_cmp_gt_u32_e32 vcc_lo, s4, v5
	v_mov_b32_e32 v5, 0
	s_and_saveexec_b32 s5, vcc_lo
	s_cbranch_execz .LBB454_43
; %bb.42:
	v_lshlrev_b32_e32 v5, 2, v0
	global_load_b32 v5, v5, s[2:3] offset:3072
	s_wait_loadcnt 0x0
	v_cmp_neq_f32_e32 vcc_lo, 0, v5
	s_wait_alu 0xfffd
	v_cndmask_b32_e64 v5, 0, 1, vcc_lo
.LBB454_43:
	s_wait_alu 0xfffe
	s_or_b32 exec_lo, exec_lo, s5
	v_or_b32_e32 v6, 0x400, v0
	s_mov_b32 s5, exec_lo
	s_delay_alu instid0(VALU_DEP_1)
	v_cmpx_gt_u32_e64 s4, v6
	s_cbranch_execz .LBB454_45
; %bb.44:
	v_lshlrev_b32_e32 v4, 2, v0
	global_load_b32 v4, v4, s[2:3] offset:4096
	s_wait_loadcnt 0x0
	v_cmp_neq_f32_e32 vcc_lo, 0, v4
	s_wait_alu 0xfffd
	v_cndmask_b32_e64 v4, 0, 1, vcc_lo
.LBB454_45:
	s_wait_alu 0xfffe
	;; [unrolled: 32-line block ×63, first 2 shown]
	s_or_b32 exec_lo, exec_lo, s5
	v_or_b32_e32 v128, 0x7f00, v0
	s_delay_alu instid0(VALU_DEP_1)
	v_cmp_gt_u32_e32 vcc_lo, s4, v128
	v_mov_b32_e32 v128, 0
	s_and_saveexec_b32 s5, vcc_lo
	s_cbranch_execz .LBB454_291
; %bb.290:
	v_lshlrev_b32_e32 v128, 2, v0
	global_load_b32 v128, v128, s[2:3] offset:130048
	s_wait_loadcnt 0x0
	v_cmp_neq_f32_e32 vcc_lo, 0, v128
	s_wait_alu 0xfffd
	v_cndmask_b32_e64 v128, 0, 1, vcc_lo
.LBB454_291:
	s_wait_alu 0xfffe
	s_or_b32 exec_lo, exec_lo, s5
	v_add_nc_u32_e32 v1, v3, v1
	s_min_u32 s2, s4, 0x100
	s_mov_b32 s3, exec_lo
	s_delay_alu instid0(VALU_DEP_1) | instskip(SKIP_1) | instid1(VALU_DEP_2)
	v_add3_u32 v1, v1, v2, v5
	v_mbcnt_lo_u32_b32 v2, -1, 0
	v_add3_u32 v1, v1, v4, v7
	s_delay_alu instid0(VALU_DEP_2) | instskip(SKIP_1) | instid1(VALU_DEP_3)
	v_cmp_ne_u32_e32 vcc_lo, 31, v2
	v_add_nc_u32_e32 v5, 1, v2
	v_add3_u32 v1, v1, v6, v9
	s_wait_alu 0xfffd
	v_add_co_ci_u32_e64 v3, null, 0, v2, vcc_lo
	v_cmp_gt_u32_e32 vcc_lo, 30, v2
	s_delay_alu instid0(VALU_DEP_3) | instskip(NEXT) | instid1(VALU_DEP_3)
	v_add3_u32 v1, v1, v8, v11
	v_lshlrev_b32_e32 v3, 2, v3
	s_wait_alu 0xfffd
	v_cndmask_b32_e64 v6, 0, 2, vcc_lo
	s_delay_alu instid0(VALU_DEP_3) | instskip(NEXT) | instid1(VALU_DEP_1)
	v_add3_u32 v1, v1, v10, v13
	v_add3_u32 v1, v1, v12, v15
	s_delay_alu instid0(VALU_DEP_1) | instskip(NEXT) | instid1(VALU_DEP_1)
	v_add3_u32 v1, v1, v14, v17
	v_add3_u32 v1, v1, v16, v19
	s_delay_alu instid0(VALU_DEP_1) | instskip(NEXT) | instid1(VALU_DEP_1)
	;; [unrolled: 3-line block ×28, first 2 shown]
	v_add3_u32 v1, v1, v122, v125
	v_add3_u32 v1, v1, v124, v127
	s_delay_alu instid0(VALU_DEP_1) | instskip(SKIP_2) | instid1(VALU_DEP_1)
	v_add3_u32 v1, v1, v126, v128
	ds_bpermute_b32 v3, v3, v1
	v_and_b32_e32 v4, 0xe0, v0
	v_sub_nc_u32_e64 v4, s2, v4 clamp
	s_delay_alu instid0(VALU_DEP_1)
	v_cmp_lt_u32_e32 vcc_lo, v5, v4
	v_add_lshl_u32 v5, v6, v2, 2
	s_wait_dscnt 0x0
	s_wait_alu 0xfffd
	v_cndmask_b32_e32 v3, 0, v3, vcc_lo
	v_cmp_gt_u32_e32 vcc_lo, 28, v2
	s_delay_alu instid0(VALU_DEP_2) | instskip(SKIP_4) | instid1(VALU_DEP_1)
	v_add_nc_u32_e32 v1, v3, v1
	s_wait_alu 0xfffd
	v_cndmask_b32_e64 v6, 0, 4, vcc_lo
	ds_bpermute_b32 v3, v5, v1
	v_add_nc_u32_e32 v5, 2, v2
	v_cmp_lt_u32_e32 vcc_lo, v5, v4
	v_add_lshl_u32 v5, v6, v2, 2
	s_wait_dscnt 0x0
	s_wait_alu 0xfffd
	v_cndmask_b32_e32 v3, 0, v3, vcc_lo
	v_cmp_gt_u32_e32 vcc_lo, 24, v2
	s_delay_alu instid0(VALU_DEP_2) | instskip(SKIP_4) | instid1(VALU_DEP_1)
	v_add_nc_u32_e32 v1, v1, v3
	s_wait_alu 0xfffd
	v_cndmask_b32_e64 v6, 0, 8, vcc_lo
	ds_bpermute_b32 v3, v5, v1
	v_add_nc_u32_e32 v5, 4, v2
	v_cmp_lt_u32_e32 vcc_lo, v5, v4
	v_add_lshl_u32 v5, v6, v2, 2
	s_wait_dscnt 0x0
	s_wait_alu 0xfffd
	v_dual_cndmask_b32 v3, 0, v3 :: v_dual_add_nc_u32 v6, 8, v2
	s_delay_alu instid0(VALU_DEP_1) | instskip(NEXT) | instid1(VALU_DEP_2)
	v_cmp_lt_u32_e32 vcc_lo, v6, v4
	v_add_nc_u32_e32 v1, v1, v3
	v_lshlrev_b32_e32 v3, 2, v2
	ds_bpermute_b32 v5, v5, v1
	v_or_b32_e32 v6, 64, v3
	s_wait_dscnt 0x0
	s_wait_alu 0xfffd
	v_cndmask_b32_e32 v5, 0, v5, vcc_lo
	s_delay_alu instid0(VALU_DEP_1) | instskip(SKIP_2) | instid1(VALU_DEP_1)
	v_add_nc_u32_e32 v1, v1, v5
	ds_bpermute_b32 v5, v6, v1
	v_add_nc_u32_e32 v6, 16, v2
	v_cmp_lt_u32_e32 vcc_lo, v6, v4
	s_wait_dscnt 0x0
	s_wait_alu 0xfffd
	v_cndmask_b32_e32 v4, 0, v5, vcc_lo
	s_delay_alu instid0(VALU_DEP_1)
	v_add_nc_u32_e32 v1, v1, v4
	v_cmpx_eq_u32_e32 0, v2
; %bb.292:
	v_lshrrev_b32_e32 v4, 3, v0
	s_delay_alu instid0(VALU_DEP_1)
	v_and_b32_e32 v4, 28, v4
	ds_store_b32 v4, v1 offset:256
; %bb.293:
	s_or_b32 exec_lo, exec_lo, s3
	s_delay_alu instid0(SALU_CYCLE_1)
	s_mov_b32 s3, exec_lo
	s_wait_loadcnt_dscnt 0x0
	s_barrier_signal -1
	s_barrier_wait -1
	global_inv scope:SCOPE_SE
	v_cmpx_gt_u32_e32 8, v0
	s_cbranch_execz .LBB454_295
; %bb.294:
	ds_load_b32 v1, v3 offset:256
	v_and_b32_e32 v4, 7, v2
	s_add_co_i32 s2, s2, 31
	s_wait_alu 0xfffe
	s_lshr_b32 s2, s2, 5
	s_delay_alu instid0(VALU_DEP_1) | instskip(SKIP_4) | instid1(VALU_DEP_2)
	v_cmp_ne_u32_e32 vcc_lo, 7, v4
	v_add_nc_u32_e32 v6, 1, v4
	s_wait_alu 0xfffd
	v_add_co_ci_u32_e64 v5, null, 0, v2, vcc_lo
	v_cmp_gt_u32_e32 vcc_lo, 6, v4
	v_lshlrev_b32_e32 v5, 2, v5
	s_wait_alu 0xfffd
	v_cndmask_b32_e64 v7, 0, 2, vcc_lo
	s_wait_alu 0xfffe
	v_cmp_gt_u32_e32 vcc_lo, s2, v6
	s_wait_dscnt 0x0
	ds_bpermute_b32 v5, v5, v1
	v_add_lshl_u32 v2, v7, v2, 2
	s_wait_dscnt 0x0
	s_wait_alu 0xfffd
	v_cndmask_b32_e32 v5, 0, v5, vcc_lo
	s_delay_alu instid0(VALU_DEP_1)
	v_add_nc_u32_e32 v1, v5, v1
	v_add_nc_u32_e32 v5, 2, v4
	ds_bpermute_b32 v2, v2, v1
	v_cmp_gt_u32_e32 vcc_lo, s2, v5
	s_wait_dscnt 0x0
	s_wait_alu 0xfffd
	v_cndmask_b32_e32 v2, 0, v2, vcc_lo
	s_delay_alu instid0(VALU_DEP_1)
	v_add_nc_u32_e32 v1, v1, v2
	v_or_b32_e32 v2, 16, v3
	v_add_nc_u32_e32 v3, 4, v4
	ds_bpermute_b32 v2, v2, v1
	v_cmp_gt_u32_e32 vcc_lo, s2, v3
	s_wait_dscnt 0x0
	s_wait_alu 0xfffd
	v_cndmask_b32_e32 v2, 0, v2, vcc_lo
	s_delay_alu instid0(VALU_DEP_1)
	v_add_nc_u32_e32 v1, v1, v2
.LBB454_295:
	s_wait_alu 0xfffe
	s_or_b32 exec_lo, exec_lo, s3
	v_cmp_eq_u32_e64 s2, 0, v0
	s_and_b32 vcc_lo, exec_lo, s6
	s_wait_alu 0xfffe
	s_cbranch_vccnz .LBB454_24
	s_branch .LBB454_11
.LBB454_296:
	s_mov_b32 s3, -1
                                        ; implicit-def: $vgpr1
.LBB454_297:
	s_delay_alu instid0(SALU_CYCLE_1)
	s_and_b32 vcc_lo, exec_lo, s3
	s_wait_alu 0xfffe
	s_cbranch_vccz .LBB454_367
; %bb.298:
	v_mov_b32_e32 v1, 0
	s_sub_co_i32 s45, s36, s2
	s_delay_alu instid0(SALU_CYCLE_1) | instskip(NEXT) | instid1(VALU_DEP_2)
	v_cmp_gt_u32_e32 vcc_lo, s45, v0
	v_dual_mov_b32 v2, v1 :: v_dual_mov_b32 v3, v1
	v_dual_mov_b32 v4, v1 :: v_dual_mov_b32 v5, v1
	;; [unrolled: 1-line block ×15, first 2 shown]
	v_mov_b32_e32 v32, v1
	s_and_saveexec_b32 s2, vcc_lo
	s_cbranch_execz .LBB454_300
; %bb.299:
	v_dual_mov_b32 v3, v1 :: v_dual_lshlrev_b32 v2, 2, v0
	v_dual_mov_b32 v32, v1 :: v_dual_mov_b32 v33, v1
	v_dual_mov_b32 v4, v1 :: v_dual_mov_b32 v5, v1
	global_load_b32 v2, v2, s[42:43]
	v_dual_mov_b32 v6, v1 :: v_dual_mov_b32 v7, v1
	v_dual_mov_b32 v8, v1 :: v_dual_mov_b32 v9, v1
	;; [unrolled: 1-line block ×13, first 2 shown]
	s_wait_loadcnt 0x0
	v_cmp_neq_f32_e32 vcc_lo, 0, v2
	s_wait_alu 0xfffd
	v_cndmask_b32_e64 v2, 0, 1, vcc_lo
	s_delay_alu instid0(VALU_DEP_1)
	v_mov_b32_e32 v1, v2
	v_mov_b32_e32 v2, v3
	;; [unrolled: 1-line block ×32, first 2 shown]
.LBB454_300:
	s_or_b32 exec_lo, exec_lo, s2
	v_or_b32_e32 v33, 0x100, v0
	s_delay_alu instid0(VALU_DEP_1)
	v_cmp_gt_u32_e32 vcc_lo, s45, v33
	s_and_saveexec_b32 s3, vcc_lo
	s_cbranch_execz .LBB454_302
; %bb.301:
	v_lshlrev_b32_e32 v2, 2, v0
	global_load_b32 v2, v2, s[42:43] offset:1024
	s_wait_loadcnt 0x0
	v_cmp_neq_f32_e64 s2, 0, v2
	s_delay_alu instid0(VALU_DEP_1)
	v_cndmask_b32_e64 v2, 0, 1, s2
.LBB454_302:
	s_or_b32 exec_lo, exec_lo, s3
	v_or_b32_e32 v33, 0x200, v0
	s_delay_alu instid0(VALU_DEP_1)
	v_cmp_gt_u32_e64 s2, s45, v33
	s_and_saveexec_b32 s4, s2
	s_cbranch_execz .LBB454_304
; %bb.303:
	v_lshlrev_b32_e32 v3, 2, v0
	global_load_b32 v3, v3, s[42:43] offset:2048
	s_wait_loadcnt 0x0
	v_cmp_neq_f32_e64 s3, 0, v3
	s_wait_alu 0xf1ff
	s_delay_alu instid0(VALU_DEP_1)
	v_cndmask_b32_e64 v3, 0, 1, s3
.LBB454_304:
	s_or_b32 exec_lo, exec_lo, s4
	v_or_b32_e32 v33, 0x300, v0
	s_delay_alu instid0(VALU_DEP_1)
	v_cmp_gt_u32_e64 s3, s45, v33
	s_and_saveexec_b32 s5, s3
	s_cbranch_execz .LBB454_306
; %bb.305:
	v_lshlrev_b32_e32 v4, 2, v0
	global_load_b32 v4, v4, s[42:43] offset:3072
	s_wait_loadcnt 0x0
	v_cmp_neq_f32_e64 s4, 0, v4
	s_delay_alu instid0(VALU_DEP_1)
	v_cndmask_b32_e64 v4, 0, 1, s4
.LBB454_306:
	s_or_b32 exec_lo, exec_lo, s5
	v_or_b32_e32 v33, 0x400, v0
	s_delay_alu instid0(VALU_DEP_1)
	v_cmp_gt_u32_e64 s4, s45, v33
	s_and_saveexec_b32 s6, s4
	s_cbranch_execz .LBB454_308
; %bb.307:
	v_lshlrev_b32_e32 v5, 2, v0
	global_load_b32 v5, v5, s[42:43] offset:4096
	s_wait_loadcnt 0x0
	v_cmp_neq_f32_e64 s5, 0, v5
	s_wait_alu 0xf1ff
	s_delay_alu instid0(VALU_DEP_1)
	v_cndmask_b32_e64 v5, 0, 1, s5
.LBB454_308:
	s_or_b32 exec_lo, exec_lo, s6
	v_or_b32_e32 v33, 0x500, v0
	s_delay_alu instid0(VALU_DEP_1)
	v_cmp_gt_u32_e64 s5, s45, v33
	s_and_saveexec_b32 s7, s5
	;; [unrolled: 29-line block ×15, first 2 shown]
	s_cbranch_execz .LBB454_362
; %bb.361:
	v_lshlrev_b32_e32 v32, 2, v0
	global_load_b32 v32, v32, s[42:43] offset:31744
	s_wait_loadcnt 0x0
	v_cmp_neq_f32_e64 s33, 0, v32
	s_delay_alu instid0(VALU_DEP_1)
	v_cndmask_b32_e64 v32, 0, 1, s33
.LBB454_362:
	s_or_b32 exec_lo, exec_lo, s46
	v_cndmask_b32_e32 v2, 0, v2, vcc_lo
	v_cndmask_b32_e64 v3, 0, v3, s2
	v_cndmask_b32_e64 v4, 0, v4, s3
	s_min_u32 s2, s45, 0x100
	s_mov_b32 s3, exec_lo
	v_add_nc_u32_e32 v1, v2, v1
	v_cndmask_b32_e64 v2, 0, v5, s4
	v_cndmask_b32_e64 v5, 0, v6, s5
	;; [unrolled: 1-line block ×3, first 2 shown]
	s_delay_alu instid0(VALU_DEP_4) | instskip(SKIP_3) | instid1(VALU_DEP_4)
	v_add3_u32 v1, v1, v3, v4
	v_cndmask_b32_e64 v3, 0, v7, s6
	v_cndmask_b32_e64 v4, 0, v8, s7
	;; [unrolled: 1-line block ×3, first 2 shown]
	v_add3_u32 v1, v1, v2, v5
	v_cndmask_b32_e64 v2, 0, v9, s8
	v_cndmask_b32_e64 v5, 0, v10, s9
	s_delay_alu instid0(VALU_DEP_3) | instskip(SKIP_2) | instid1(VALU_DEP_3)
	v_add3_u32 v1, v1, v3, v4
	v_cndmask_b32_e64 v3, 0, v11, s10
	v_cndmask_b32_e64 v4, 0, v12, s11
	v_add3_u32 v1, v1, v2, v5
	v_cndmask_b32_e64 v2, 0, v13, s12
	v_cndmask_b32_e64 v5, 0, v14, s13
	s_delay_alu instid0(VALU_DEP_3) | instskip(SKIP_2) | instid1(VALU_DEP_3)
	v_add3_u32 v1, v1, v3, v4
	v_cndmask_b32_e64 v3, 0, v15, s14
	v_cndmask_b32_e64 v4, 0, v16, s15
	v_add3_u32 v1, v1, v2, v5
	v_cndmask_b32_e64 v2, 0, v17, s16
	v_cndmask_b32_e64 v5, 0, v18, s17
	s_delay_alu instid0(VALU_DEP_3) | instskip(SKIP_2) | instid1(VALU_DEP_3)
	v_add3_u32 v1, v1, v3, v4
	v_cndmask_b32_e64 v3, 0, v19, s18
	v_cndmask_b32_e64 v4, 0, v20, s19
	v_add3_u32 v1, v1, v2, v5
	v_cndmask_b32_e64 v2, 0, v21, s20
	v_cndmask_b32_e64 v5, 0, v22, s21
	s_delay_alu instid0(VALU_DEP_3) | instskip(SKIP_2) | instid1(VALU_DEP_3)
	v_add3_u32 v1, v1, v3, v4
	v_cndmask_b32_e64 v3, 0, v23, s22
	v_cndmask_b32_e64 v4, 0, v24, s23
	v_add3_u32 v1, v1, v2, v5
	v_cndmask_b32_e64 v2, 0, v25, s24
	v_cndmask_b32_e64 v5, 0, v26, s25
	s_delay_alu instid0(VALU_DEP_3) | instskip(SKIP_2) | instid1(VALU_DEP_3)
	v_add3_u32 v1, v1, v3, v4
	v_cndmask_b32_e64 v3, 0, v27, s26
	v_cndmask_b32_e64 v4, 0, v28, s27
	v_add3_u32 v1, v1, v2, v5
	v_mbcnt_lo_u32_b32 v2, -1, 0
	v_cndmask_b32_e64 v5, 0, v29, s28
	s_delay_alu instid0(VALU_DEP_3) | instskip(NEXT) | instid1(VALU_DEP_3)
	v_add3_u32 v1, v1, v3, v4
	v_cmp_ne_u32_e32 vcc_lo, 31, v2
	v_cndmask_b32_e64 v3, 0, v32, s31
	s_delay_alu instid0(VALU_DEP_3)
	v_add3_u32 v1, v1, v5, v6
	s_wait_alu 0xfffd
	v_add_co_ci_u32_e64 v4, null, 0, v2, vcc_lo
	v_add_nc_u32_e32 v5, 1, v2
	v_cmp_gt_u32_e32 vcc_lo, 30, v2
	v_add3_u32 v1, v1, v7, v3
	s_delay_alu instid0(VALU_DEP_4)
	v_lshlrev_b32_e32 v4, 2, v4
	s_wait_alu 0xfffd
	v_cndmask_b32_e64 v6, 0, 2, vcc_lo
	ds_bpermute_b32 v3, v4, v1
	v_and_b32_e32 v4, 0xe0, v0
	s_wait_alu 0xfffe
	s_delay_alu instid0(VALU_DEP_1) | instskip(NEXT) | instid1(VALU_DEP_1)
	v_sub_nc_u32_e64 v4, s2, v4 clamp
	v_cmp_lt_u32_e32 vcc_lo, v5, v4
	v_add_lshl_u32 v5, v6, v2, 2
	s_wait_dscnt 0x0
	s_wait_alu 0xfffd
	v_cndmask_b32_e32 v3, 0, v3, vcc_lo
	v_cmp_gt_u32_e32 vcc_lo, 28, v2
	s_delay_alu instid0(VALU_DEP_2) | instskip(SKIP_4) | instid1(VALU_DEP_1)
	v_add_nc_u32_e32 v1, v1, v3
	s_wait_alu 0xfffd
	v_cndmask_b32_e64 v6, 0, 4, vcc_lo
	ds_bpermute_b32 v3, v5, v1
	v_add_nc_u32_e32 v5, 2, v2
	v_cmp_lt_u32_e32 vcc_lo, v5, v4
	v_add_lshl_u32 v5, v6, v2, 2
	s_wait_dscnt 0x0
	s_wait_alu 0xfffd
	v_cndmask_b32_e32 v3, 0, v3, vcc_lo
	v_cmp_gt_u32_e32 vcc_lo, 24, v2
	s_delay_alu instid0(VALU_DEP_2) | instskip(SKIP_4) | instid1(VALU_DEP_1)
	v_add_nc_u32_e32 v1, v1, v3
	s_wait_alu 0xfffd
	v_cndmask_b32_e64 v6, 0, 8, vcc_lo
	ds_bpermute_b32 v3, v5, v1
	v_add_nc_u32_e32 v5, 4, v2
	v_cmp_lt_u32_e32 vcc_lo, v5, v4
	v_add_lshl_u32 v5, v6, v2, 2
	s_wait_dscnt 0x0
	s_wait_alu 0xfffd
	v_cndmask_b32_e32 v3, 0, v3, vcc_lo
	s_delay_alu instid0(VALU_DEP_1) | instskip(SKIP_3) | instid1(VALU_DEP_1)
	v_add_nc_u32_e32 v1, v1, v3
	v_lshlrev_b32_e32 v3, 2, v2
	ds_bpermute_b32 v5, v5, v1
	v_add_nc_u32_e32 v6, 8, v2
	v_cmp_lt_u32_e32 vcc_lo, v6, v4
	v_or_b32_e32 v6, 64, v3
	s_wait_dscnt 0x0
	s_wait_alu 0xfffd
	v_cndmask_b32_e32 v5, 0, v5, vcc_lo
	s_delay_alu instid0(VALU_DEP_1) | instskip(SKIP_2) | instid1(VALU_DEP_1)
	v_add_nc_u32_e32 v1, v1, v5
	ds_bpermute_b32 v5, v6, v1
	v_add_nc_u32_e32 v6, 16, v2
	v_cmp_lt_u32_e32 vcc_lo, v6, v4
	s_wait_dscnt 0x0
	s_wait_alu 0xfffd
	v_cndmask_b32_e32 v4, 0, v5, vcc_lo
	s_delay_alu instid0(VALU_DEP_1)
	v_add_nc_u32_e32 v1, v1, v4
	v_cmpx_eq_u32_e32 0, v2
; %bb.363:
	v_lshrrev_b32_e32 v4, 3, v0
	s_delay_alu instid0(VALU_DEP_1)
	v_and_b32_e32 v4, 28, v4
	ds_store_b32 v4, v1 offset:256
; %bb.364:
	s_or_b32 exec_lo, exec_lo, s3
	s_delay_alu instid0(SALU_CYCLE_1)
	s_mov_b32 s3, exec_lo
	s_wait_loadcnt_dscnt 0x0
	s_barrier_signal -1
	s_barrier_wait -1
	global_inv scope:SCOPE_SE
	v_cmpx_gt_u32_e32 8, v0
	s_cbranch_execz .LBB454_366
; %bb.365:
	ds_load_b32 v1, v3 offset:256
	v_and_b32_e32 v4, 7, v2
	s_add_co_i32 s2, s2, 31
	s_wait_alu 0xfffe
	s_lshr_b32 s2, s2, 5
	s_delay_alu instid0(VALU_DEP_1) | instskip(SKIP_4) | instid1(VALU_DEP_2)
	v_cmp_ne_u32_e32 vcc_lo, 7, v4
	v_add_nc_u32_e32 v6, 1, v4
	s_wait_alu 0xfffd
	v_add_co_ci_u32_e64 v5, null, 0, v2, vcc_lo
	v_cmp_gt_u32_e32 vcc_lo, 6, v4
	v_lshlrev_b32_e32 v5, 2, v5
	s_wait_alu 0xfffd
	v_cndmask_b32_e64 v7, 0, 2, vcc_lo
	s_wait_alu 0xfffe
	v_cmp_gt_u32_e32 vcc_lo, s2, v6
	s_wait_dscnt 0x0
	ds_bpermute_b32 v5, v5, v1
	v_add_lshl_u32 v2, v7, v2, 2
	s_wait_dscnt 0x0
	s_wait_alu 0xfffd
	v_cndmask_b32_e32 v5, 0, v5, vcc_lo
	s_delay_alu instid0(VALU_DEP_1)
	v_add_nc_u32_e32 v1, v5, v1
	v_add_nc_u32_e32 v5, 2, v4
	ds_bpermute_b32 v2, v2, v1
	v_cmp_gt_u32_e32 vcc_lo, s2, v5
	s_wait_dscnt 0x0
	s_wait_alu 0xfffd
	v_cndmask_b32_e32 v2, 0, v2, vcc_lo
	s_delay_alu instid0(VALU_DEP_1)
	v_add_nc_u32_e32 v1, v1, v2
	v_or_b32_e32 v2, 16, v3
	v_add_nc_u32_e32 v3, 4, v4
	ds_bpermute_b32 v2, v2, v1
	v_cmp_gt_u32_e32 vcc_lo, s2, v3
	s_wait_dscnt 0x0
	s_wait_alu 0xfffd
	v_cndmask_b32_e32 v2, 0, v2, vcc_lo
	s_delay_alu instid0(VALU_DEP_1)
	v_add_nc_u32_e32 v1, v1, v2
.LBB454_366:
	s_wait_alu 0xfffe
	s_or_b32 exec_lo, exec_lo, s3
.LBB454_367:
	v_cmp_eq_u32_e64 s2, 0, v0
	s_branch .LBB454_512
.LBB454_368:
	s_cmp_eq_u32 s44, 16
	s_cbranch_scc0 .LBB454_375
; %bb.369:
	s_mov_b32 s35, 0
	s_lshl_b32 s2, s34, 12
	s_mov_b32 s3, s35
	s_lshr_b64 s[4:5], s[36:37], 12
	s_lshl_b64 s[6:7], s[2:3], 2
	s_cmp_lg_u64 s[4:5], s[34:35]
	s_add_nc_u64 s[16:17], s[40:41], s[6:7]
	s_cbranch_scc0 .LBB454_533
; %bb.370:
	v_lshlrev_b32_e32 v1, 2, v0
	s_mov_b32 s3, exec_lo
	s_clause 0xf
	global_load_b32 v2, v1, s[16:17]
	global_load_b32 v3, v1, s[16:17] offset:2048
	global_load_b32 v4, v1, s[16:17] offset:1024
	;; [unrolled: 1-line block ×15, first 2 shown]
	s_wait_loadcnt 0xf
	v_cmp_neq_f32_e32 vcc_lo, 0, v2
	v_cndmask_b32_e64 v2, 0, 1, vcc_lo
	s_wait_loadcnt 0xe
	v_cmp_neq_f32_e32 vcc_lo, 0, v3
	s_wait_alu 0xfffd
	v_cndmask_b32_e64 v3, 0, 1, vcc_lo
	s_wait_loadcnt 0xd
	v_cmp_neq_f32_e32 vcc_lo, 0, v4
	s_wait_alu 0xfffd
	v_add_co_ci_u32_e64 v2, null, 0, v2, vcc_lo
	s_wait_loadcnt 0xc
	v_cmp_neq_f32_e32 vcc_lo, 0, v5
	s_wait_alu 0xfffd
	v_cndmask_b32_e64 v4, 0, 1, vcc_lo
	s_wait_loadcnt 0xb
	v_cmp_neq_f32_e32 vcc_lo, 0, v6
	s_wait_alu 0xfffd
	v_add_co_ci_u32_e64 v2, null, v2, v3, vcc_lo
	;; [unrolled: 8-line block ×7, first 2 shown]
	s_wait_loadcnt 0x0
	v_cmp_neq_f32_e32 vcc_lo, 0, v1
	s_wait_alu 0xfffd
	s_delay_alu instid0(VALU_DEP_2) | instskip(NEXT) | instid1(VALU_DEP_1)
	v_add_co_ci_u32_e64 v1, null, v2, v3, vcc_lo
	v_mov_b32_dpp v2, v1 quad_perm:[1,0,3,2] row_mask:0xf bank_mask:0xf
	s_delay_alu instid0(VALU_DEP_1) | instskip(NEXT) | instid1(VALU_DEP_1)
	v_add_nc_u32_e32 v1, v1, v2
	v_mov_b32_dpp v2, v1 quad_perm:[2,3,0,1] row_mask:0xf bank_mask:0xf
	s_delay_alu instid0(VALU_DEP_1) | instskip(NEXT) | instid1(VALU_DEP_1)
	v_add_nc_u32_e32 v1, v1, v2
	v_mov_b32_dpp v2, v1 row_ror:4 row_mask:0xf bank_mask:0xf
	s_delay_alu instid0(VALU_DEP_1) | instskip(NEXT) | instid1(VALU_DEP_1)
	v_add_nc_u32_e32 v1, v1, v2
	v_mov_b32_dpp v2, v1 row_ror:8 row_mask:0xf bank_mask:0xf
	s_delay_alu instid0(VALU_DEP_1)
	v_add_nc_u32_e32 v1, v1, v2
	ds_swizzle_b32 v2, v1 offset:swizzle(BROADCAST,32,15)
	s_wait_dscnt 0x0
	v_dual_mov_b32 v2, 0 :: v_dual_add_nc_u32 v1, v1, v2
	ds_bpermute_b32 v1, v2, v1 offset:124
	v_mbcnt_lo_u32_b32 v2, -1, 0
	s_delay_alu instid0(VALU_DEP_1)
	v_cmpx_eq_u32_e32 0, v2
	s_cbranch_execz .LBB454_372
; %bb.371:
	v_lshrrev_b32_e32 v3, 3, v0
	s_delay_alu instid0(VALU_DEP_1)
	v_and_b32_e32 v3, 28, v3
	s_wait_dscnt 0x0
	ds_store_b32 v3, v1 offset:32
.LBB454_372:
	s_or_b32 exec_lo, exec_lo, s3
	s_delay_alu instid0(SALU_CYCLE_1)
	s_mov_b32 s3, exec_lo
	s_wait_dscnt 0x0
	s_barrier_signal -1
	s_barrier_wait -1
	global_inv scope:SCOPE_SE
	v_cmpx_gt_u32_e32 32, v0
	s_cbranch_execz .LBB454_374
; %bb.373:
	v_and_b32_e32 v1, 7, v2
	s_delay_alu instid0(VALU_DEP_1)
	v_lshlrev_b32_e32 v3, 2, v1
	v_cmp_ne_u32_e32 vcc_lo, 7, v1
	ds_load_b32 v3, v3 offset:32
	s_wait_alu 0xfffd
	v_add_co_ci_u32_e64 v4, null, 0, v2, vcc_lo
	v_cmp_gt_u32_e32 vcc_lo, 6, v1
	s_delay_alu instid0(VALU_DEP_2) | instskip(SKIP_2) | instid1(VALU_DEP_1)
	v_lshlrev_b32_e32 v4, 2, v4
	s_wait_alu 0xfffd
	v_cndmask_b32_e64 v1, 0, 2, vcc_lo
	v_add_lshl_u32 v1, v1, v2, 2
	v_lshlrev_b32_e32 v2, 2, v2
	s_delay_alu instid0(VALU_DEP_1)
	v_or_b32_e32 v2, 16, v2
	s_wait_dscnt 0x0
	ds_bpermute_b32 v4, v4, v3
	s_wait_dscnt 0x0
	v_add_nc_u32_e32 v3, v4, v3
	ds_bpermute_b32 v1, v1, v3
	s_wait_dscnt 0x0
	v_add_nc_u32_e32 v1, v1, v3
	;; [unrolled: 3-line block ×3, first 2 shown]
.LBB454_374:
	s_or_b32 exec_lo, exec_lo, s3
	s_mov_b32 s3, 0
	s_branch .LBB454_534
.LBB454_375:
                                        ; implicit-def: $vgpr1
	s_branch .LBB454_623
.LBB454_376:
	s_mov_b32 s5, -1
                                        ; implicit-def: $vgpr1
.LBB454_377:
	s_wait_alu 0xfffe
	s_and_b32 vcc_lo, exec_lo, s5
	s_wait_alu 0xfffe
	s_cbranch_vccz .LBB454_511
; %bb.378:
	s_sub_co_i32 s4, s36, s4
	s_mov_b32 s5, exec_lo
                                        ; implicit-def: $vgpr1
	s_wait_alu 0xfffe
	v_cmpx_gt_u32_e64 s4, v0
	s_cbranch_execz .LBB454_380
; %bb.379:
	v_lshlrev_b32_e32 v1, 2, v0
	global_load_b32 v1, v1, s[2:3]
	s_wait_loadcnt 0x0
	v_cmp_neq_f32_e32 vcc_lo, 0, v1
	s_wait_alu 0xfffd
	v_cndmask_b32_e64 v1, 0, 1, vcc_lo
.LBB454_380:
	s_or_b32 exec_lo, exec_lo, s5
	v_or_b32_e32 v3, 0x100, v0
	v_mov_b32_e32 v2, 0
	s_delay_alu instid0(VALU_DEP_2)
	v_cmp_gt_u32_e32 vcc_lo, s4, v3
	v_mov_b32_e32 v3, 0
	s_and_saveexec_b32 s5, vcc_lo
	s_cbranch_execz .LBB454_382
; %bb.381:
	v_lshlrev_b32_e32 v3, 2, v0
	global_load_b32 v3, v3, s[2:3] offset:1024
	s_wait_loadcnt 0x0
	v_cmp_neq_f32_e32 vcc_lo, 0, v3
	s_wait_alu 0xfffd
	v_cndmask_b32_e64 v3, 0, 1, vcc_lo
.LBB454_382:
	s_wait_alu 0xfffe
	s_or_b32 exec_lo, exec_lo, s5
	v_or_b32_e32 v4, 0x200, v0
	s_mov_b32 s5, exec_lo
	s_delay_alu instid0(VALU_DEP_1)
	v_cmpx_gt_u32_e64 s4, v4
	s_cbranch_execz .LBB454_384
; %bb.383:
	v_lshlrev_b32_e32 v2, 2, v0
	global_load_b32 v2, v2, s[2:3] offset:2048
	s_wait_loadcnt 0x0
	v_cmp_neq_f32_e32 vcc_lo, 0, v2
	s_wait_alu 0xfffd
	v_cndmask_b32_e64 v2, 0, 1, vcc_lo
.LBB454_384:
	s_wait_alu 0xfffe
	s_or_b32 exec_lo, exec_lo, s5
	v_or_b32_e32 v5, 0x300, v0
	v_mov_b32_e32 v4, 0
	s_delay_alu instid0(VALU_DEP_2)
	v_cmp_gt_u32_e32 vcc_lo, s4, v5
	v_mov_b32_e32 v5, 0
	s_and_saveexec_b32 s5, vcc_lo
	s_cbranch_execz .LBB454_386
; %bb.385:
	v_lshlrev_b32_e32 v5, 2, v0
	global_load_b32 v5, v5, s[2:3] offset:3072
	s_wait_loadcnt 0x0
	v_cmp_neq_f32_e32 vcc_lo, 0, v5
	s_wait_alu 0xfffd
	v_cndmask_b32_e64 v5, 0, 1, vcc_lo
.LBB454_386:
	s_wait_alu 0xfffe
	s_or_b32 exec_lo, exec_lo, s5
	v_or_b32_e32 v6, 0x400, v0
	s_mov_b32 s5, exec_lo
	s_delay_alu instid0(VALU_DEP_1)
	v_cmpx_gt_u32_e64 s4, v6
	s_cbranch_execz .LBB454_388
; %bb.387:
	v_lshlrev_b32_e32 v4, 2, v0
	global_load_b32 v4, v4, s[2:3] offset:4096
	s_wait_loadcnt 0x0
	v_cmp_neq_f32_e32 vcc_lo, 0, v4
	s_wait_alu 0xfffd
	v_cndmask_b32_e64 v4, 0, 1, vcc_lo
.LBB454_388:
	s_wait_alu 0xfffe
	;; [unrolled: 32-line block ×31, first 2 shown]
	s_or_b32 exec_lo, exec_lo, s5
	v_or_b32_e32 v64, 0x3f00, v0
	s_delay_alu instid0(VALU_DEP_1)
	v_cmp_gt_u32_e32 vcc_lo, s4, v64
	v_mov_b32_e32 v64, 0
	s_and_saveexec_b32 s5, vcc_lo
	s_cbranch_execz .LBB454_506
; %bb.505:
	v_lshlrev_b32_e32 v64, 2, v0
	global_load_b32 v64, v64, s[2:3] offset:64512
	s_wait_loadcnt 0x0
	v_cmp_neq_f32_e32 vcc_lo, 0, v64
	s_wait_alu 0xfffd
	v_cndmask_b32_e64 v64, 0, 1, vcc_lo
.LBB454_506:
	s_wait_alu 0xfffe
	s_or_b32 exec_lo, exec_lo, s5
	v_add_nc_u32_e32 v1, v3, v1
	s_min_u32 s2, s4, 0x100
	s_mov_b32 s3, exec_lo
	s_delay_alu instid0(VALU_DEP_1) | instskip(SKIP_1) | instid1(VALU_DEP_2)
	v_add3_u32 v1, v1, v2, v5
	v_mbcnt_lo_u32_b32 v2, -1, 0
	v_add3_u32 v1, v1, v4, v7
	s_delay_alu instid0(VALU_DEP_2) | instskip(SKIP_1) | instid1(VALU_DEP_3)
	v_cmp_ne_u32_e32 vcc_lo, 31, v2
	v_add_nc_u32_e32 v5, 1, v2
	v_add3_u32 v1, v1, v6, v9
	s_wait_alu 0xfffd
	v_add_co_ci_u32_e64 v3, null, 0, v2, vcc_lo
	v_cmp_gt_u32_e32 vcc_lo, 30, v2
	s_delay_alu instid0(VALU_DEP_3) | instskip(NEXT) | instid1(VALU_DEP_3)
	v_add3_u32 v1, v1, v8, v11
	v_lshlrev_b32_e32 v3, 2, v3
	s_wait_alu 0xfffd
	v_cndmask_b32_e64 v6, 0, 2, vcc_lo
	s_delay_alu instid0(VALU_DEP_3) | instskip(NEXT) | instid1(VALU_DEP_1)
	v_add3_u32 v1, v1, v10, v13
	v_add3_u32 v1, v1, v12, v15
	s_delay_alu instid0(VALU_DEP_1) | instskip(NEXT) | instid1(VALU_DEP_1)
	v_add3_u32 v1, v1, v14, v17
	v_add3_u32 v1, v1, v16, v19
	s_delay_alu instid0(VALU_DEP_1) | instskip(NEXT) | instid1(VALU_DEP_1)
	;; [unrolled: 3-line block ×12, first 2 shown]
	v_add3_u32 v1, v1, v58, v61
	v_add3_u32 v1, v1, v60, v63
	s_delay_alu instid0(VALU_DEP_1) | instskip(SKIP_3) | instid1(VALU_DEP_1)
	v_add3_u32 v1, v1, v62, v64
	ds_bpermute_b32 v3, v3, v1
	v_and_b32_e32 v4, 0xe0, v0
	s_wait_alu 0xfffe
	v_sub_nc_u32_e64 v4, s2, v4 clamp
	s_delay_alu instid0(VALU_DEP_1)
	v_cmp_lt_u32_e32 vcc_lo, v5, v4
	v_add_lshl_u32 v5, v6, v2, 2
	s_wait_dscnt 0x0
	s_wait_alu 0xfffd
	v_cndmask_b32_e32 v3, 0, v3, vcc_lo
	v_cmp_gt_u32_e32 vcc_lo, 28, v2
	s_delay_alu instid0(VALU_DEP_2) | instskip(SKIP_4) | instid1(VALU_DEP_1)
	v_add_nc_u32_e32 v1, v3, v1
	s_wait_alu 0xfffd
	v_cndmask_b32_e64 v6, 0, 4, vcc_lo
	ds_bpermute_b32 v3, v5, v1
	v_add_nc_u32_e32 v5, 2, v2
	v_cmp_lt_u32_e32 vcc_lo, v5, v4
	v_add_lshl_u32 v5, v6, v2, 2
	s_wait_dscnt 0x0
	s_wait_alu 0xfffd
	v_cndmask_b32_e32 v3, 0, v3, vcc_lo
	v_cmp_gt_u32_e32 vcc_lo, 24, v2
	s_delay_alu instid0(VALU_DEP_2) | instskip(SKIP_4) | instid1(VALU_DEP_1)
	v_add_nc_u32_e32 v1, v1, v3
	s_wait_alu 0xfffd
	v_cndmask_b32_e64 v6, 0, 8, vcc_lo
	ds_bpermute_b32 v3, v5, v1
	v_add_nc_u32_e32 v5, 4, v2
	v_cmp_lt_u32_e32 vcc_lo, v5, v4
	v_add_lshl_u32 v5, v6, v2, 2
	s_wait_dscnt 0x0
	s_wait_alu 0xfffd
	v_dual_cndmask_b32 v3, 0, v3 :: v_dual_add_nc_u32 v6, 8, v2
	s_delay_alu instid0(VALU_DEP_1) | instskip(NEXT) | instid1(VALU_DEP_2)
	v_cmp_lt_u32_e32 vcc_lo, v6, v4
	v_add_nc_u32_e32 v1, v1, v3
	v_lshlrev_b32_e32 v3, 2, v2
	ds_bpermute_b32 v5, v5, v1
	v_or_b32_e32 v6, 64, v3
	s_wait_dscnt 0x0
	s_wait_alu 0xfffd
	v_cndmask_b32_e32 v5, 0, v5, vcc_lo
	s_delay_alu instid0(VALU_DEP_1) | instskip(SKIP_2) | instid1(VALU_DEP_1)
	v_add_nc_u32_e32 v1, v1, v5
	ds_bpermute_b32 v5, v6, v1
	v_add_nc_u32_e32 v6, 16, v2
	v_cmp_lt_u32_e32 vcc_lo, v6, v4
	s_wait_dscnt 0x0
	s_wait_alu 0xfffd
	v_cndmask_b32_e32 v4, 0, v5, vcc_lo
	s_delay_alu instid0(VALU_DEP_1)
	v_add_nc_u32_e32 v1, v1, v4
	v_cmpx_eq_u32_e32 0, v2
; %bb.507:
	v_lshrrev_b32_e32 v4, 3, v0
	s_delay_alu instid0(VALU_DEP_1)
	v_and_b32_e32 v4, 28, v4
	ds_store_b32 v4, v1 offset:256
; %bb.508:
	s_or_b32 exec_lo, exec_lo, s3
	s_delay_alu instid0(SALU_CYCLE_1)
	s_mov_b32 s3, exec_lo
	s_wait_loadcnt_dscnt 0x0
	s_barrier_signal -1
	s_barrier_wait -1
	global_inv scope:SCOPE_SE
	v_cmpx_gt_u32_e32 8, v0
	s_cbranch_execz .LBB454_510
; %bb.509:
	ds_load_b32 v1, v3 offset:256
	v_and_b32_e32 v4, 7, v2
	s_add_co_i32 s2, s2, 31
	s_wait_alu 0xfffe
	s_lshr_b32 s2, s2, 5
	s_delay_alu instid0(VALU_DEP_1) | instskip(SKIP_4) | instid1(VALU_DEP_2)
	v_cmp_ne_u32_e32 vcc_lo, 7, v4
	v_add_nc_u32_e32 v6, 1, v4
	s_wait_alu 0xfffd
	v_add_co_ci_u32_e64 v5, null, 0, v2, vcc_lo
	v_cmp_gt_u32_e32 vcc_lo, 6, v4
	v_lshlrev_b32_e32 v5, 2, v5
	s_wait_alu 0xfffd
	v_cndmask_b32_e64 v7, 0, 2, vcc_lo
	s_wait_alu 0xfffe
	v_cmp_gt_u32_e32 vcc_lo, s2, v6
	s_wait_dscnt 0x0
	ds_bpermute_b32 v5, v5, v1
	v_add_lshl_u32 v2, v7, v2, 2
	s_wait_dscnt 0x0
	s_wait_alu 0xfffd
	v_cndmask_b32_e32 v5, 0, v5, vcc_lo
	s_delay_alu instid0(VALU_DEP_1)
	v_add_nc_u32_e32 v1, v5, v1
	v_add_nc_u32_e32 v5, 2, v4
	ds_bpermute_b32 v2, v2, v1
	v_cmp_gt_u32_e32 vcc_lo, s2, v5
	s_wait_dscnt 0x0
	s_wait_alu 0xfffd
	v_cndmask_b32_e32 v2, 0, v2, vcc_lo
	s_delay_alu instid0(VALU_DEP_1)
	v_add_nc_u32_e32 v1, v1, v2
	v_or_b32_e32 v2, 16, v3
	v_add_nc_u32_e32 v3, 4, v4
	ds_bpermute_b32 v2, v2, v1
	v_cmp_gt_u32_e32 vcc_lo, s2, v3
	s_wait_dscnt 0x0
	s_wait_alu 0xfffd
	v_cndmask_b32_e32 v2, 0, v2, vcc_lo
	s_delay_alu instid0(VALU_DEP_1)
	v_add_nc_u32_e32 v1, v1, v2
.LBB454_510:
	s_wait_alu 0xfffe
	s_or_b32 exec_lo, exec_lo, s3
.LBB454_511:
	v_cmp_eq_u32_e64 s2, 0, v0
.LBB454_512:
	s_branch .LBB454_623
.LBB454_513:
	s_cmp_gt_i32 s44, 3
	s_cbranch_scc0 .LBB454_522
; %bb.514:
	s_cmp_gt_i32 s44, 7
	s_cbranch_scc0 .LBB454_523
; %bb.515:
	s_cmp_eq_u32 s44, 8
	s_cbranch_scc0 .LBB454_531
; %bb.516:
	s_mov_b32 s35, 0
	s_lshl_b32 s2, s34, 11
	s_mov_b32 s3, s35
	s_lshr_b64 s[4:5], s[36:37], 11
	s_lshl_b64 s[6:7], s[2:3], 2
	s_cmp_lg_u64 s[4:5], s[34:35]
	s_add_nc_u64 s[8:9], s[40:41], s[6:7]
	s_cbranch_scc0 .LBB454_573
; %bb.517:
	v_lshlrev_b32_e32 v1, 2, v0
	s_mov_b32 s3, exec_lo
	s_clause 0x7
	global_load_b32 v2, v1, s[8:9]
	global_load_b32 v3, v1, s[8:9] offset:2048
	global_load_b32 v4, v1, s[8:9] offset:1024
	;; [unrolled: 1-line block ×7, first 2 shown]
	s_wait_loadcnt 0x7
	v_cmp_neq_f32_e32 vcc_lo, 0, v2
	v_cndmask_b32_e64 v2, 0, 1, vcc_lo
	s_wait_loadcnt 0x6
	v_cmp_neq_f32_e32 vcc_lo, 0, v3
	s_wait_alu 0xfffd
	v_cndmask_b32_e64 v3, 0, 1, vcc_lo
	s_wait_loadcnt 0x5
	v_cmp_neq_f32_e32 vcc_lo, 0, v4
	s_wait_alu 0xfffd
	v_add_co_ci_u32_e64 v2, null, 0, v2, vcc_lo
	s_wait_loadcnt 0x4
	v_cmp_neq_f32_e32 vcc_lo, 0, v5
	s_wait_alu 0xfffd
	v_cndmask_b32_e64 v4, 0, 1, vcc_lo
	s_wait_loadcnt 0x3
	v_cmp_neq_f32_e32 vcc_lo, 0, v6
	s_wait_alu 0xfffd
	v_add_co_ci_u32_e64 v2, null, v2, v3, vcc_lo
	;; [unrolled: 8-line block ×3, first 2 shown]
	s_wait_loadcnt 0x0
	v_cmp_neq_f32_e32 vcc_lo, 0, v1
	s_wait_alu 0xfffd
	s_delay_alu instid0(VALU_DEP_2) | instskip(NEXT) | instid1(VALU_DEP_1)
	v_add_co_ci_u32_e64 v1, null, v2, v3, vcc_lo
	v_mov_b32_dpp v2, v1 quad_perm:[1,0,3,2] row_mask:0xf bank_mask:0xf
	s_delay_alu instid0(VALU_DEP_1) | instskip(NEXT) | instid1(VALU_DEP_1)
	v_add_nc_u32_e32 v1, v1, v2
	v_mov_b32_dpp v2, v1 quad_perm:[2,3,0,1] row_mask:0xf bank_mask:0xf
	s_delay_alu instid0(VALU_DEP_1) | instskip(NEXT) | instid1(VALU_DEP_1)
	v_add_nc_u32_e32 v1, v1, v2
	v_mov_b32_dpp v2, v1 row_ror:4 row_mask:0xf bank_mask:0xf
	s_delay_alu instid0(VALU_DEP_1) | instskip(NEXT) | instid1(VALU_DEP_1)
	v_add_nc_u32_e32 v1, v1, v2
	v_mov_b32_dpp v2, v1 row_ror:8 row_mask:0xf bank_mask:0xf
	s_delay_alu instid0(VALU_DEP_1)
	v_add_nc_u32_e32 v1, v1, v2
	ds_swizzle_b32 v2, v1 offset:swizzle(BROADCAST,32,15)
	s_wait_dscnt 0x0
	v_dual_mov_b32 v2, 0 :: v_dual_add_nc_u32 v1, v1, v2
	ds_bpermute_b32 v1, v2, v1 offset:124
	v_mbcnt_lo_u32_b32 v2, -1, 0
	s_delay_alu instid0(VALU_DEP_1)
	v_cmpx_eq_u32_e32 0, v2
	s_cbranch_execz .LBB454_519
; %bb.518:
	v_lshrrev_b32_e32 v3, 3, v0
	s_delay_alu instid0(VALU_DEP_1)
	v_and_b32_e32 v3, 28, v3
	s_wait_dscnt 0x0
	ds_store_b32 v3, v1 offset:224
.LBB454_519:
	s_or_b32 exec_lo, exec_lo, s3
	s_delay_alu instid0(SALU_CYCLE_1)
	s_mov_b32 s3, exec_lo
	s_wait_dscnt 0x0
	s_barrier_signal -1
	s_barrier_wait -1
	global_inv scope:SCOPE_SE
	v_cmpx_gt_u32_e32 32, v0
	s_cbranch_execz .LBB454_521
; %bb.520:
	v_lshl_or_b32 v1, v2, 2, 0xe0
	v_and_b32_e32 v3, 7, v2
	ds_load_b32 v1, v1
	v_cmp_ne_u32_e32 vcc_lo, 7, v3
	s_wait_alu 0xfffd
	v_add_co_ci_u32_e64 v4, null, 0, v2, vcc_lo
	v_cmp_gt_u32_e32 vcc_lo, 6, v3
	s_delay_alu instid0(VALU_DEP_2) | instskip(SKIP_2) | instid1(VALU_DEP_1)
	v_lshlrev_b32_e32 v4, 2, v4
	s_wait_alu 0xfffd
	v_cndmask_b32_e64 v3, 0, 2, vcc_lo
	v_add_lshl_u32 v3, v3, v2, 2
	v_lshlrev_b32_e32 v2, 2, v2
	s_wait_dscnt 0x0
	ds_bpermute_b32 v4, v4, v1
	v_or_b32_e32 v2, 16, v2
	s_wait_dscnt 0x0
	v_add_nc_u32_e32 v1, v4, v1
	ds_bpermute_b32 v3, v3, v1
	s_wait_dscnt 0x0
	v_add_nc_u32_e32 v1, v3, v1
	ds_bpermute_b32 v2, v2, v1
	s_wait_dscnt 0x0
	v_add_nc_u32_e32 v1, v2, v1
.LBB454_521:
	s_or_b32 exec_lo, exec_lo, s3
	s_mov_b32 s3, 0
	s_branch .LBB454_574
.LBB454_522:
                                        ; implicit-def: $vgpr1
	s_cbranch_execnz .LBB454_614
	s_branch .LBB454_623
.LBB454_523:
                                        ; implicit-def: $vgpr1
	s_cbranch_execz .LBB454_597
; %bb.524:
	s_cmp_eq_u32 s44, 4
	s_cbranch_scc0 .LBB454_532
; %bb.525:
	s_mov_b32 s35, 0
	s_lshl_b32 s2, s34, 10
	s_mov_b32 s3, s35
	s_lshr_b64 s[4:5], s[36:37], 10
	s_lshl_b64 s[6:7], s[2:3], 2
	s_cmp_lg_u64 s[4:5], s[34:35]
	s_add_nc_u64 s[4:5], s[40:41], s[6:7]
	s_cbranch_scc0 .LBB454_598
; %bb.526:
	v_lshlrev_b32_e32 v1, 2, v0
	s_mov_b32 s3, exec_lo
	s_clause 0x3
	global_load_b32 v2, v1, s[4:5]
	global_load_b32 v3, v1, s[4:5] offset:2048
	global_load_b32 v4, v1, s[4:5] offset:1024
	;; [unrolled: 1-line block ×3, first 2 shown]
	s_wait_loadcnt 0x3
	v_cmp_neq_f32_e32 vcc_lo, 0, v2
	v_cndmask_b32_e64 v2, 0, 1, vcc_lo
	s_wait_loadcnt 0x2
	v_cmp_neq_f32_e32 vcc_lo, 0, v3
	s_wait_alu 0xfffd
	v_cndmask_b32_e64 v3, 0, 1, vcc_lo
	s_wait_loadcnt 0x1
	v_cmp_neq_f32_e32 vcc_lo, 0, v4
	s_wait_alu 0xfffd
	v_add_co_ci_u32_e64 v2, null, 0, v2, vcc_lo
	s_wait_loadcnt 0x0
	v_cmp_neq_f32_e32 vcc_lo, 0, v1
	s_wait_alu 0xfffd
	s_delay_alu instid0(VALU_DEP_2) | instskip(NEXT) | instid1(VALU_DEP_1)
	v_add_co_ci_u32_e64 v1, null, v2, v3, vcc_lo
	v_mov_b32_dpp v2, v1 quad_perm:[1,0,3,2] row_mask:0xf bank_mask:0xf
	s_delay_alu instid0(VALU_DEP_1) | instskip(NEXT) | instid1(VALU_DEP_1)
	v_add_nc_u32_e32 v1, v1, v2
	v_mov_b32_dpp v2, v1 quad_perm:[2,3,0,1] row_mask:0xf bank_mask:0xf
	s_delay_alu instid0(VALU_DEP_1) | instskip(NEXT) | instid1(VALU_DEP_1)
	v_add_nc_u32_e32 v1, v1, v2
	v_mov_b32_dpp v2, v1 row_ror:4 row_mask:0xf bank_mask:0xf
	s_delay_alu instid0(VALU_DEP_1) | instskip(NEXT) | instid1(VALU_DEP_1)
	v_add_nc_u32_e32 v1, v1, v2
	v_mov_b32_dpp v2, v1 row_ror:8 row_mask:0xf bank_mask:0xf
	s_delay_alu instid0(VALU_DEP_1)
	v_add_nc_u32_e32 v1, v1, v2
	ds_swizzle_b32 v2, v1 offset:swizzle(BROADCAST,32,15)
	s_wait_dscnt 0x0
	v_dual_mov_b32 v2, 0 :: v_dual_add_nc_u32 v1, v1, v2
	ds_bpermute_b32 v1, v2, v1 offset:124
	v_mbcnt_lo_u32_b32 v2, -1, 0
	s_delay_alu instid0(VALU_DEP_1)
	v_cmpx_eq_u32_e32 0, v2
	s_cbranch_execz .LBB454_528
; %bb.527:
	v_lshrrev_b32_e32 v3, 3, v0
	s_delay_alu instid0(VALU_DEP_1)
	v_and_b32_e32 v3, 28, v3
	s_wait_dscnt 0x0
	ds_store_b32 v3, v1 offset:160
.LBB454_528:
	s_or_b32 exec_lo, exec_lo, s3
	s_delay_alu instid0(SALU_CYCLE_1)
	s_mov_b32 s3, exec_lo
	s_wait_dscnt 0x0
	s_barrier_signal -1
	s_barrier_wait -1
	global_inv scope:SCOPE_SE
	v_cmpx_gt_u32_e32 32, v0
	s_cbranch_execz .LBB454_530
; %bb.529:
	v_and_b32_e32 v1, 7, v2
	s_delay_alu instid0(VALU_DEP_1)
	v_lshlrev_b32_e32 v3, 2, v1
	v_cmp_ne_u32_e32 vcc_lo, 7, v1
	ds_load_b32 v3, v3 offset:160
	s_wait_alu 0xfffd
	v_add_co_ci_u32_e64 v4, null, 0, v2, vcc_lo
	v_cmp_gt_u32_e32 vcc_lo, 6, v1
	s_delay_alu instid0(VALU_DEP_2) | instskip(SKIP_2) | instid1(VALU_DEP_1)
	v_lshlrev_b32_e32 v4, 2, v4
	s_wait_alu 0xfffd
	v_cndmask_b32_e64 v1, 0, 2, vcc_lo
	v_add_lshl_u32 v1, v1, v2, 2
	v_lshlrev_b32_e32 v2, 2, v2
	s_delay_alu instid0(VALU_DEP_1)
	v_or_b32_e32 v2, 16, v2
	s_wait_dscnt 0x0
	ds_bpermute_b32 v4, v4, v3
	s_wait_dscnt 0x0
	v_add_nc_u32_e32 v3, v4, v3
	ds_bpermute_b32 v1, v1, v3
	s_wait_dscnt 0x0
	v_add_nc_u32_e32 v1, v1, v3
	;; [unrolled: 3-line block ×3, first 2 shown]
.LBB454_530:
	s_or_b32 exec_lo, exec_lo, s3
	s_mov_b32 s3, 0
	s_branch .LBB454_599
.LBB454_531:
                                        ; implicit-def: $vgpr1
	s_branch .LBB454_597
.LBB454_532:
                                        ; implicit-def: $vgpr1
	s_branch .LBB454_623
.LBB454_533:
	s_mov_b32 s3, -1
                                        ; implicit-def: $vgpr1
.LBB454_534:
	s_delay_alu instid0(SALU_CYCLE_1)
	s_and_b32 vcc_lo, exec_lo, s3
	s_wait_alu 0xfffe
	s_cbranch_vccz .LBB454_572
; %bb.535:
	v_mov_b32_e32 v1, 0
	s_sub_co_i32 s18, s36, s2
	s_mov_b32 s2, exec_lo
	s_delay_alu instid0(VALU_DEP_1)
	v_dual_mov_b32 v2, v1 :: v_dual_mov_b32 v3, v1
	v_dual_mov_b32 v4, v1 :: v_dual_mov_b32 v5, v1
	;; [unrolled: 1-line block ×7, first 2 shown]
	v_mov_b32_e32 v16, v1
	v_cmpx_gt_u32_e64 s18, v0
	s_cbranch_execz .LBB454_537
; %bb.536:
	v_dual_mov_b32 v3, v1 :: v_dual_lshlrev_b32 v2, 2, v0
	v_dual_mov_b32 v16, v1 :: v_dual_mov_b32 v17, v1
	v_dual_mov_b32 v4, v1 :: v_dual_mov_b32 v5, v1
	global_load_b32 v2, v2, s[16:17]
	v_dual_mov_b32 v6, v1 :: v_dual_mov_b32 v7, v1
	v_dual_mov_b32 v8, v1 :: v_dual_mov_b32 v9, v1
	;; [unrolled: 1-line block ×5, first 2 shown]
	s_wait_loadcnt 0x0
	v_cmp_neq_f32_e32 vcc_lo, 0, v2
	s_wait_alu 0xfffd
	v_cndmask_b32_e64 v2, 0, 1, vcc_lo
	s_delay_alu instid0(VALU_DEP_1) | instskip(NEXT) | instid1(VALU_DEP_1)
	v_and_b32_e32 v2, 0xffff, v2
	v_mov_b32_e32 v1, v2
	v_mov_b32_e32 v2, v3
	;; [unrolled: 1-line block ×16, first 2 shown]
.LBB454_537:
	s_or_b32 exec_lo, exec_lo, s2
	v_or_b32_e32 v17, 0x100, v0
	s_delay_alu instid0(VALU_DEP_1)
	v_cmp_gt_u32_e32 vcc_lo, s18, v17
	s_and_saveexec_b32 s3, vcc_lo
	s_cbranch_execz .LBB454_539
; %bb.538:
	v_lshlrev_b32_e32 v2, 2, v0
	global_load_b32 v2, v2, s[16:17] offset:1024
	s_wait_loadcnt 0x0
	v_cmp_neq_f32_e64 s2, 0, v2
	s_delay_alu instid0(VALU_DEP_1)
	v_cndmask_b32_e64 v2, 0, 1, s2
.LBB454_539:
	s_or_b32 exec_lo, exec_lo, s3
	v_or_b32_e32 v17, 0x200, v0
	s_delay_alu instid0(VALU_DEP_1)
	v_cmp_gt_u32_e64 s2, s18, v17
	s_and_saveexec_b32 s4, s2
	s_cbranch_execz .LBB454_541
; %bb.540:
	v_lshlrev_b32_e32 v3, 2, v0
	global_load_b32 v3, v3, s[16:17] offset:2048
	s_wait_loadcnt 0x0
	v_cmp_neq_f32_e64 s3, 0, v3
	s_wait_alu 0xf1ff
	s_delay_alu instid0(VALU_DEP_1)
	v_cndmask_b32_e64 v3, 0, 1, s3
.LBB454_541:
	s_or_b32 exec_lo, exec_lo, s4
	v_or_b32_e32 v17, 0x300, v0
	s_delay_alu instid0(VALU_DEP_1)
	v_cmp_gt_u32_e64 s3, s18, v17
	s_and_saveexec_b32 s5, s3
	s_cbranch_execz .LBB454_543
; %bb.542:
	v_lshlrev_b32_e32 v4, 2, v0
	global_load_b32 v4, v4, s[16:17] offset:3072
	s_wait_loadcnt 0x0
	v_cmp_neq_f32_e64 s4, 0, v4
	s_delay_alu instid0(VALU_DEP_1)
	v_cndmask_b32_e64 v4, 0, 1, s4
.LBB454_543:
	s_or_b32 exec_lo, exec_lo, s5
	v_or_b32_e32 v17, 0x400, v0
	s_delay_alu instid0(VALU_DEP_1)
	v_cmp_gt_u32_e64 s4, s18, v17
	s_and_saveexec_b32 s6, s4
	s_cbranch_execz .LBB454_545
; %bb.544:
	v_lshlrev_b32_e32 v5, 2, v0
	global_load_b32 v5, v5, s[16:17] offset:4096
	s_wait_loadcnt 0x0
	v_cmp_neq_f32_e64 s5, 0, v5
	s_wait_alu 0xf1ff
	s_delay_alu instid0(VALU_DEP_1)
	v_cndmask_b32_e64 v5, 0, 1, s5
.LBB454_545:
	s_or_b32 exec_lo, exec_lo, s6
	v_or_b32_e32 v17, 0x500, v0
	s_delay_alu instid0(VALU_DEP_1)
	v_cmp_gt_u32_e64 s5, s18, v17
	s_and_saveexec_b32 s7, s5
	;; [unrolled: 29-line block ×6, first 2 shown]
	s_cbranch_execz .LBB454_563
; %bb.562:
	v_lshlrev_b32_e32 v14, 2, v0
	global_load_b32 v14, v14, s[16:17] offset:13312
	s_wait_loadcnt 0x0
	v_cmp_neq_f32_e64 s14, 0, v14
	s_delay_alu instid0(VALU_DEP_1)
	v_cndmask_b32_e64 v14, 0, 1, s14
.LBB454_563:
	s_or_b32 exec_lo, exec_lo, s15
	v_or_b32_e32 v17, 0xe00, v0
	s_delay_alu instid0(VALU_DEP_1)
	v_cmp_gt_u32_e64 s14, s18, v17
	s_and_saveexec_b32 s19, s14
	s_cbranch_execz .LBB454_565
; %bb.564:
	v_lshlrev_b32_e32 v15, 2, v0
	global_load_b32 v15, v15, s[16:17] offset:14336
	s_wait_loadcnt 0x0
	v_cmp_neq_f32_e64 s15, 0, v15
	s_wait_alu 0xf1ff
	s_delay_alu instid0(VALU_DEP_1)
	v_cndmask_b32_e64 v15, 0, 1, s15
.LBB454_565:
	s_wait_alu 0xfffe
	s_or_b32 exec_lo, exec_lo, s19
	v_or_b32_e32 v17, 0xf00, v0
	s_delay_alu instid0(VALU_DEP_1)
	v_cmp_gt_u32_e64 s15, s18, v17
	s_and_saveexec_b32 s19, s15
	s_cbranch_execz .LBB454_567
; %bb.566:
	v_lshlrev_b32_e32 v16, 2, v0
	global_load_b32 v16, v16, s[16:17] offset:15360
	s_wait_loadcnt 0x0
	v_cmp_neq_f32_e64 s16, 0, v16
	s_delay_alu instid0(VALU_DEP_1)
	v_cndmask_b32_e64 v16, 0, 1, s16
.LBB454_567:
	s_wait_alu 0xfffe
	s_or_b32 exec_lo, exec_lo, s19
	v_cndmask_b32_e32 v2, 0, v2, vcc_lo
	v_cndmask_b32_e64 v3, 0, v3, s2
	v_cndmask_b32_e64 v4, 0, v4, s3
	s_min_u32 s2, s18, 0x100
	s_mov_b32 s3, exec_lo
	v_add_nc_u32_e32 v1, v2, v1
	v_cndmask_b32_e64 v2, 0, v5, s4
	v_cndmask_b32_e64 v5, 0, v6, s5
	;; [unrolled: 1-line block ×3, first 2 shown]
	s_delay_alu instid0(VALU_DEP_4) | instskip(SKIP_3) | instid1(VALU_DEP_4)
	v_add3_u32 v1, v1, v3, v4
	v_cndmask_b32_e64 v3, 0, v7, s6
	v_cndmask_b32_e64 v4, 0, v8, s7
	;; [unrolled: 1-line block ×3, first 2 shown]
	v_add3_u32 v1, v1, v2, v5
	v_cndmask_b32_e64 v2, 0, v9, s8
	v_cndmask_b32_e64 v5, 0, v10, s9
	s_delay_alu instid0(VALU_DEP_3) | instskip(SKIP_2) | instid1(VALU_DEP_3)
	v_add3_u32 v1, v1, v3, v4
	v_cndmask_b32_e64 v3, 0, v11, s10
	v_cndmask_b32_e64 v4, 0, v12, s11
	v_add3_u32 v1, v1, v2, v5
	v_mbcnt_lo_u32_b32 v2, -1, 0
	v_cndmask_b32_e64 v5, 0, v13, s12
	s_delay_alu instid0(VALU_DEP_3) | instskip(NEXT) | instid1(VALU_DEP_3)
	v_add3_u32 v1, v1, v3, v4
	v_cmp_ne_u32_e32 vcc_lo, 31, v2
	v_cndmask_b32_e64 v3, 0, v16, s15
	s_delay_alu instid0(VALU_DEP_3)
	v_add3_u32 v1, v1, v5, v6
	s_wait_alu 0xfffd
	v_add_co_ci_u32_e64 v4, null, 0, v2, vcc_lo
	v_add_nc_u32_e32 v5, 1, v2
	v_cmp_gt_u32_e32 vcc_lo, 30, v2
	v_add3_u32 v1, v1, v7, v3
	s_delay_alu instid0(VALU_DEP_4)
	v_lshlrev_b32_e32 v4, 2, v4
	s_wait_alu 0xfffd
	v_cndmask_b32_e64 v6, 0, 2, vcc_lo
	ds_bpermute_b32 v3, v4, v1
	v_and_b32_e32 v4, 0xe0, v0
	s_wait_alu 0xfffe
	s_delay_alu instid0(VALU_DEP_1) | instskip(NEXT) | instid1(VALU_DEP_1)
	v_sub_nc_u32_e64 v4, s2, v4 clamp
	v_cmp_lt_u32_e32 vcc_lo, v5, v4
	v_add_lshl_u32 v5, v6, v2, 2
	s_wait_dscnt 0x0
	s_wait_alu 0xfffd
	v_cndmask_b32_e32 v3, 0, v3, vcc_lo
	v_cmp_gt_u32_e32 vcc_lo, 28, v2
	s_delay_alu instid0(VALU_DEP_2) | instskip(SKIP_4) | instid1(VALU_DEP_1)
	v_add_nc_u32_e32 v1, v1, v3
	s_wait_alu 0xfffd
	v_cndmask_b32_e64 v6, 0, 4, vcc_lo
	ds_bpermute_b32 v3, v5, v1
	v_add_nc_u32_e32 v5, 2, v2
	v_cmp_lt_u32_e32 vcc_lo, v5, v4
	v_add_lshl_u32 v5, v6, v2, 2
	s_wait_dscnt 0x0
	s_wait_alu 0xfffd
	v_cndmask_b32_e32 v3, 0, v3, vcc_lo
	v_cmp_gt_u32_e32 vcc_lo, 24, v2
	s_delay_alu instid0(VALU_DEP_2) | instskip(SKIP_4) | instid1(VALU_DEP_1)
	v_add_nc_u32_e32 v1, v1, v3
	s_wait_alu 0xfffd
	v_cndmask_b32_e64 v6, 0, 8, vcc_lo
	ds_bpermute_b32 v3, v5, v1
	v_add_nc_u32_e32 v5, 4, v2
	v_cmp_lt_u32_e32 vcc_lo, v5, v4
	v_add_lshl_u32 v5, v6, v2, 2
	s_wait_dscnt 0x0
	s_wait_alu 0xfffd
	v_cndmask_b32_e32 v3, 0, v3, vcc_lo
	s_delay_alu instid0(VALU_DEP_1) | instskip(SKIP_3) | instid1(VALU_DEP_1)
	v_add_nc_u32_e32 v1, v1, v3
	v_lshlrev_b32_e32 v3, 2, v2
	ds_bpermute_b32 v5, v5, v1
	v_add_nc_u32_e32 v6, 8, v2
	v_cmp_lt_u32_e32 vcc_lo, v6, v4
	v_or_b32_e32 v6, 64, v3
	s_wait_dscnt 0x0
	s_wait_alu 0xfffd
	v_cndmask_b32_e32 v5, 0, v5, vcc_lo
	s_delay_alu instid0(VALU_DEP_1) | instskip(SKIP_2) | instid1(VALU_DEP_1)
	v_add_nc_u32_e32 v1, v1, v5
	ds_bpermute_b32 v5, v6, v1
	v_add_nc_u32_e32 v6, 16, v2
	v_cmp_lt_u32_e32 vcc_lo, v6, v4
	s_wait_dscnt 0x0
	s_wait_alu 0xfffd
	v_cndmask_b32_e32 v4, 0, v5, vcc_lo
	s_delay_alu instid0(VALU_DEP_1)
	v_add_nc_u32_e32 v1, v1, v4
	v_cmpx_eq_u32_e32 0, v2
; %bb.568:
	v_lshrrev_b32_e32 v4, 3, v0
	s_delay_alu instid0(VALU_DEP_1)
	v_and_b32_e32 v4, 28, v4
	ds_store_b32 v4, v1 offset:256
; %bb.569:
	s_or_b32 exec_lo, exec_lo, s3
	s_delay_alu instid0(SALU_CYCLE_1)
	s_mov_b32 s3, exec_lo
	s_wait_loadcnt_dscnt 0x0
	s_barrier_signal -1
	s_barrier_wait -1
	global_inv scope:SCOPE_SE
	v_cmpx_gt_u32_e32 8, v0
	s_cbranch_execz .LBB454_571
; %bb.570:
	ds_load_b32 v1, v3 offset:256
	v_and_b32_e32 v4, 7, v2
	s_add_co_i32 s2, s2, 31
	s_wait_alu 0xfffe
	s_lshr_b32 s2, s2, 5
	s_delay_alu instid0(VALU_DEP_1) | instskip(SKIP_4) | instid1(VALU_DEP_2)
	v_cmp_ne_u32_e32 vcc_lo, 7, v4
	v_add_nc_u32_e32 v6, 1, v4
	s_wait_alu 0xfffd
	v_add_co_ci_u32_e64 v5, null, 0, v2, vcc_lo
	v_cmp_gt_u32_e32 vcc_lo, 6, v4
	v_lshlrev_b32_e32 v5, 2, v5
	s_wait_alu 0xfffd
	v_cndmask_b32_e64 v7, 0, 2, vcc_lo
	s_wait_alu 0xfffe
	v_cmp_gt_u32_e32 vcc_lo, s2, v6
	s_wait_dscnt 0x0
	ds_bpermute_b32 v5, v5, v1
	v_add_lshl_u32 v2, v7, v2, 2
	s_wait_dscnt 0x0
	s_wait_alu 0xfffd
	v_cndmask_b32_e32 v5, 0, v5, vcc_lo
	s_delay_alu instid0(VALU_DEP_1)
	v_add_nc_u32_e32 v1, v5, v1
	v_add_nc_u32_e32 v5, 2, v4
	ds_bpermute_b32 v2, v2, v1
	v_cmp_gt_u32_e32 vcc_lo, s2, v5
	s_wait_dscnt 0x0
	s_wait_alu 0xfffd
	v_cndmask_b32_e32 v2, 0, v2, vcc_lo
	s_delay_alu instid0(VALU_DEP_1)
	v_add_nc_u32_e32 v1, v1, v2
	v_or_b32_e32 v2, 16, v3
	v_add_nc_u32_e32 v3, 4, v4
	ds_bpermute_b32 v2, v2, v1
	v_cmp_gt_u32_e32 vcc_lo, s2, v3
	s_wait_dscnt 0x0
	s_wait_alu 0xfffd
	v_cndmask_b32_e32 v2, 0, v2, vcc_lo
	s_delay_alu instid0(VALU_DEP_1)
	v_add_nc_u32_e32 v1, v1, v2
.LBB454_571:
	s_wait_alu 0xfffe
	s_or_b32 exec_lo, exec_lo, s3
.LBB454_572:
	v_cmp_eq_u32_e64 s2, 0, v0
	s_branch .LBB454_623
.LBB454_573:
	s_mov_b32 s3, -1
                                        ; implicit-def: $vgpr1
.LBB454_574:
	s_delay_alu instid0(SALU_CYCLE_1)
	s_and_b32 vcc_lo, exec_lo, s3
	s_wait_alu 0xfffe
	s_cbranch_vccz .LBB454_596
; %bb.575:
	v_mov_b32_e32 v1, 0
	s_sub_co_i32 s10, s36, s2
	s_mov_b32 s2, exec_lo
	s_delay_alu instid0(VALU_DEP_1)
	v_dual_mov_b32 v2, v1 :: v_dual_mov_b32 v3, v1
	v_dual_mov_b32 v4, v1 :: v_dual_mov_b32 v5, v1
	;; [unrolled: 1-line block ×3, first 2 shown]
	v_mov_b32_e32 v8, v1
	v_cmpx_gt_u32_e64 s10, v0
	s_cbranch_execz .LBB454_577
; %bb.576:
	v_dual_mov_b32 v3, v1 :: v_dual_lshlrev_b32 v2, 2, v0
	v_dual_mov_b32 v8, v1 :: v_dual_mov_b32 v9, v1
	v_dual_mov_b32 v4, v1 :: v_dual_mov_b32 v5, v1
	global_load_b32 v2, v2, s[8:9]
	v_dual_mov_b32 v6, v1 :: v_dual_mov_b32 v7, v1
	s_wait_loadcnt 0x0
	v_cmp_neq_f32_e32 vcc_lo, 0, v2
	s_wait_alu 0xfffd
	v_cndmask_b32_e64 v2, 0, 1, vcc_lo
	s_delay_alu instid0(VALU_DEP_1) | instskip(NEXT) | instid1(VALU_DEP_1)
	v_and_b32_e32 v2, 0xffff, v2
	v_mov_b32_e32 v1, v2
	v_mov_b32_e32 v2, v3
	;; [unrolled: 1-line block ×8, first 2 shown]
.LBB454_577:
	s_or_b32 exec_lo, exec_lo, s2
	v_or_b32_e32 v9, 0x100, v0
	s_delay_alu instid0(VALU_DEP_1)
	v_cmp_gt_u32_e32 vcc_lo, s10, v9
	s_and_saveexec_b32 s3, vcc_lo
	s_cbranch_execz .LBB454_579
; %bb.578:
	v_lshlrev_b32_e32 v2, 2, v0
	global_load_b32 v2, v2, s[8:9] offset:1024
	s_wait_loadcnt 0x0
	v_cmp_neq_f32_e64 s2, 0, v2
	s_delay_alu instid0(VALU_DEP_1)
	v_cndmask_b32_e64 v2, 0, 1, s2
.LBB454_579:
	s_or_b32 exec_lo, exec_lo, s3
	v_or_b32_e32 v9, 0x200, v0
	s_delay_alu instid0(VALU_DEP_1)
	v_cmp_gt_u32_e64 s2, s10, v9
	s_and_saveexec_b32 s4, s2
	s_cbranch_execz .LBB454_581
; %bb.580:
	v_lshlrev_b32_e32 v3, 2, v0
	global_load_b32 v3, v3, s[8:9] offset:2048
	s_wait_loadcnt 0x0
	v_cmp_neq_f32_e64 s3, 0, v3
	s_wait_alu 0xf1ff
	s_delay_alu instid0(VALU_DEP_1)
	v_cndmask_b32_e64 v3, 0, 1, s3
.LBB454_581:
	s_or_b32 exec_lo, exec_lo, s4
	v_or_b32_e32 v9, 0x300, v0
	s_delay_alu instid0(VALU_DEP_1)
	v_cmp_gt_u32_e64 s3, s10, v9
	s_and_saveexec_b32 s5, s3
	s_cbranch_execz .LBB454_583
; %bb.582:
	v_lshlrev_b32_e32 v4, 2, v0
	global_load_b32 v4, v4, s[8:9] offset:3072
	s_wait_loadcnt 0x0
	v_cmp_neq_f32_e64 s4, 0, v4
	s_delay_alu instid0(VALU_DEP_1)
	v_cndmask_b32_e64 v4, 0, 1, s4
.LBB454_583:
	s_or_b32 exec_lo, exec_lo, s5
	v_or_b32_e32 v9, 0x400, v0
	s_delay_alu instid0(VALU_DEP_1)
	v_cmp_gt_u32_e64 s4, s10, v9
	s_and_saveexec_b32 s6, s4
	s_cbranch_execz .LBB454_585
; %bb.584:
	v_lshlrev_b32_e32 v5, 2, v0
	global_load_b32 v5, v5, s[8:9] offset:4096
	s_wait_loadcnt 0x0
	v_cmp_neq_f32_e64 s5, 0, v5
	s_wait_alu 0xf1ff
	s_delay_alu instid0(VALU_DEP_1)
	v_cndmask_b32_e64 v5, 0, 1, s5
.LBB454_585:
	s_or_b32 exec_lo, exec_lo, s6
	v_or_b32_e32 v9, 0x500, v0
	s_delay_alu instid0(VALU_DEP_1)
	v_cmp_gt_u32_e64 s5, s10, v9
	s_and_saveexec_b32 s7, s5
	s_cbranch_execz .LBB454_587
; %bb.586:
	v_lshlrev_b32_e32 v6, 2, v0
	global_load_b32 v6, v6, s[8:9] offset:5120
	s_wait_loadcnt 0x0
	v_cmp_neq_f32_e64 s6, 0, v6
	s_delay_alu instid0(VALU_DEP_1)
	v_cndmask_b32_e64 v6, 0, 1, s6
.LBB454_587:
	s_or_b32 exec_lo, exec_lo, s7
	v_or_b32_e32 v9, 0x600, v0
	s_delay_alu instid0(VALU_DEP_1)
	v_cmp_gt_u32_e64 s6, s10, v9
	s_and_saveexec_b32 s11, s6
	s_cbranch_execz .LBB454_589
; %bb.588:
	v_lshlrev_b32_e32 v7, 2, v0
	global_load_b32 v7, v7, s[8:9] offset:6144
	s_wait_loadcnt 0x0
	v_cmp_neq_f32_e64 s7, 0, v7
	s_wait_alu 0xf1ff
	s_delay_alu instid0(VALU_DEP_1)
	v_cndmask_b32_e64 v7, 0, 1, s7
.LBB454_589:
	s_wait_alu 0xfffe
	s_or_b32 exec_lo, exec_lo, s11
	v_or_b32_e32 v9, 0x700, v0
	s_delay_alu instid0(VALU_DEP_1)
	v_cmp_gt_u32_e64 s7, s10, v9
	s_and_saveexec_b32 s11, s7
	s_cbranch_execz .LBB454_591
; %bb.590:
	v_lshlrev_b32_e32 v8, 2, v0
	global_load_b32 v8, v8, s[8:9] offset:7168
	s_wait_loadcnt 0x0
	v_cmp_neq_f32_e64 s8, 0, v8
	s_delay_alu instid0(VALU_DEP_1)
	v_cndmask_b32_e64 v8, 0, 1, s8
.LBB454_591:
	s_wait_alu 0xfffe
	s_or_b32 exec_lo, exec_lo, s11
	v_cndmask_b32_e32 v2, 0, v2, vcc_lo
	v_cndmask_b32_e64 v3, 0, v3, s2
	v_cndmask_b32_e64 v4, 0, v4, s3
	;; [unrolled: 1-line block ×4, first 2 shown]
	v_add_nc_u32_e32 v1, v2, v1
	v_mbcnt_lo_u32_b32 v2, -1, 0
	v_cndmask_b32_e64 v7, 0, v7, s6
	s_min_u32 s2, s10, 0x100
	s_mov_b32 s3, exec_lo
	v_add3_u32 v1, v1, v3, v4
	v_cmp_ne_u32_e32 vcc_lo, 31, v2
	v_cndmask_b32_e64 v3, 0, v8, s7
	s_delay_alu instid0(VALU_DEP_3)
	v_add3_u32 v1, v1, v5, v6
	s_wait_alu 0xfffd
	v_add_co_ci_u32_e64 v4, null, 0, v2, vcc_lo
	v_add_nc_u32_e32 v5, 1, v2
	v_cmp_gt_u32_e32 vcc_lo, 30, v2
	v_add3_u32 v1, v1, v7, v3
	s_delay_alu instid0(VALU_DEP_4)
	v_lshlrev_b32_e32 v4, 2, v4
	s_wait_alu 0xfffd
	v_cndmask_b32_e64 v6, 0, 2, vcc_lo
	ds_bpermute_b32 v3, v4, v1
	v_and_b32_e32 v4, 0xe0, v0
	s_wait_alu 0xfffe
	s_delay_alu instid0(VALU_DEP_1) | instskip(NEXT) | instid1(VALU_DEP_1)
	v_sub_nc_u32_e64 v4, s2, v4 clamp
	v_cmp_lt_u32_e32 vcc_lo, v5, v4
	v_add_lshl_u32 v5, v6, v2, 2
	s_wait_dscnt 0x0
	s_wait_alu 0xfffd
	v_cndmask_b32_e32 v3, 0, v3, vcc_lo
	v_cmp_gt_u32_e32 vcc_lo, 28, v2
	s_delay_alu instid0(VALU_DEP_2) | instskip(SKIP_4) | instid1(VALU_DEP_1)
	v_add_nc_u32_e32 v1, v1, v3
	s_wait_alu 0xfffd
	v_cndmask_b32_e64 v6, 0, 4, vcc_lo
	ds_bpermute_b32 v3, v5, v1
	v_add_nc_u32_e32 v5, 2, v2
	v_cmp_lt_u32_e32 vcc_lo, v5, v4
	v_add_lshl_u32 v5, v6, v2, 2
	s_wait_dscnt 0x0
	s_wait_alu 0xfffd
	v_cndmask_b32_e32 v3, 0, v3, vcc_lo
	v_cmp_gt_u32_e32 vcc_lo, 24, v2
	s_delay_alu instid0(VALU_DEP_2) | instskip(SKIP_4) | instid1(VALU_DEP_1)
	v_add_nc_u32_e32 v1, v1, v3
	s_wait_alu 0xfffd
	v_cndmask_b32_e64 v6, 0, 8, vcc_lo
	ds_bpermute_b32 v3, v5, v1
	v_add_nc_u32_e32 v5, 4, v2
	v_cmp_lt_u32_e32 vcc_lo, v5, v4
	v_add_lshl_u32 v5, v6, v2, 2
	s_wait_dscnt 0x0
	s_wait_alu 0xfffd
	v_cndmask_b32_e32 v3, 0, v3, vcc_lo
	s_delay_alu instid0(VALU_DEP_1) | instskip(SKIP_3) | instid1(VALU_DEP_1)
	v_add_nc_u32_e32 v1, v1, v3
	v_lshlrev_b32_e32 v3, 2, v2
	ds_bpermute_b32 v5, v5, v1
	v_add_nc_u32_e32 v6, 8, v2
	v_cmp_lt_u32_e32 vcc_lo, v6, v4
	v_or_b32_e32 v6, 64, v3
	s_wait_dscnt 0x0
	s_wait_alu 0xfffd
	v_cndmask_b32_e32 v5, 0, v5, vcc_lo
	s_delay_alu instid0(VALU_DEP_1) | instskip(SKIP_2) | instid1(VALU_DEP_1)
	v_add_nc_u32_e32 v1, v1, v5
	ds_bpermute_b32 v5, v6, v1
	v_add_nc_u32_e32 v6, 16, v2
	v_cmp_lt_u32_e32 vcc_lo, v6, v4
	s_wait_dscnt 0x0
	s_wait_alu 0xfffd
	v_cndmask_b32_e32 v4, 0, v5, vcc_lo
	s_delay_alu instid0(VALU_DEP_1)
	v_add_nc_u32_e32 v1, v1, v4
	v_cmpx_eq_u32_e32 0, v2
; %bb.592:
	v_lshrrev_b32_e32 v4, 3, v0
	s_delay_alu instid0(VALU_DEP_1)
	v_and_b32_e32 v4, 28, v4
	ds_store_b32 v4, v1 offset:256
; %bb.593:
	s_or_b32 exec_lo, exec_lo, s3
	s_delay_alu instid0(SALU_CYCLE_1)
	s_mov_b32 s3, exec_lo
	s_wait_loadcnt_dscnt 0x0
	s_barrier_signal -1
	s_barrier_wait -1
	global_inv scope:SCOPE_SE
	v_cmpx_gt_u32_e32 8, v0
	s_cbranch_execz .LBB454_595
; %bb.594:
	ds_load_b32 v1, v3 offset:256
	v_and_b32_e32 v4, 7, v2
	s_add_co_i32 s2, s2, 31
	s_wait_alu 0xfffe
	s_lshr_b32 s2, s2, 5
	s_delay_alu instid0(VALU_DEP_1) | instskip(SKIP_4) | instid1(VALU_DEP_2)
	v_cmp_ne_u32_e32 vcc_lo, 7, v4
	v_add_nc_u32_e32 v6, 1, v4
	s_wait_alu 0xfffd
	v_add_co_ci_u32_e64 v5, null, 0, v2, vcc_lo
	v_cmp_gt_u32_e32 vcc_lo, 6, v4
	v_lshlrev_b32_e32 v5, 2, v5
	s_wait_alu 0xfffd
	v_cndmask_b32_e64 v7, 0, 2, vcc_lo
	s_wait_alu 0xfffe
	v_cmp_gt_u32_e32 vcc_lo, s2, v6
	s_wait_dscnt 0x0
	ds_bpermute_b32 v5, v5, v1
	v_add_lshl_u32 v2, v7, v2, 2
	s_wait_dscnt 0x0
	s_wait_alu 0xfffd
	v_cndmask_b32_e32 v5, 0, v5, vcc_lo
	s_delay_alu instid0(VALU_DEP_1)
	v_add_nc_u32_e32 v1, v5, v1
	v_add_nc_u32_e32 v5, 2, v4
	ds_bpermute_b32 v2, v2, v1
	v_cmp_gt_u32_e32 vcc_lo, s2, v5
	s_wait_dscnt 0x0
	s_wait_alu 0xfffd
	v_cndmask_b32_e32 v2, 0, v2, vcc_lo
	s_delay_alu instid0(VALU_DEP_1)
	v_add_nc_u32_e32 v1, v1, v2
	v_or_b32_e32 v2, 16, v3
	v_add_nc_u32_e32 v3, 4, v4
	ds_bpermute_b32 v2, v2, v1
	v_cmp_gt_u32_e32 vcc_lo, s2, v3
	s_wait_dscnt 0x0
	s_wait_alu 0xfffd
	v_cndmask_b32_e32 v2, 0, v2, vcc_lo
	s_delay_alu instid0(VALU_DEP_1)
	v_add_nc_u32_e32 v1, v1, v2
.LBB454_595:
	s_wait_alu 0xfffe
	s_or_b32 exec_lo, exec_lo, s3
.LBB454_596:
	v_cmp_eq_u32_e64 s2, 0, v0
.LBB454_597:
	s_branch .LBB454_623
.LBB454_598:
	s_mov_b32 s3, -1
                                        ; implicit-def: $vgpr1
.LBB454_599:
	s_delay_alu instid0(SALU_CYCLE_1)
	s_and_b32 vcc_lo, exec_lo, s3
	s_wait_alu 0xfffe
	s_cbranch_vccz .LBB454_613
; %bb.600:
	v_mov_b32_e32 v1, 0
	s_sub_co_i32 s6, s36, s2
	s_mov_b32 s2, exec_lo
	s_delay_alu instid0(VALU_DEP_1)
	v_dual_mov_b32 v2, v1 :: v_dual_mov_b32 v3, v1
	v_mov_b32_e32 v4, v1
	v_cmpx_gt_u32_e64 s6, v0
	s_cbranch_execz .LBB454_602
; %bb.601:
	v_dual_mov_b32 v3, v1 :: v_dual_lshlrev_b32 v2, 2, v0
	v_dual_mov_b32 v4, v1 :: v_dual_mov_b32 v5, v1
	global_load_b32 v2, v2, s[4:5]
	s_wait_loadcnt 0x0
	v_cmp_neq_f32_e32 vcc_lo, 0, v2
	s_wait_alu 0xfffd
	v_cndmask_b32_e64 v2, 0, 1, vcc_lo
	s_delay_alu instid0(VALU_DEP_1) | instskip(NEXT) | instid1(VALU_DEP_1)
	v_and_b32_e32 v2, 0xffff, v2
	v_mov_b32_e32 v1, v2
	v_mov_b32_e32 v2, v3
	;; [unrolled: 1-line block ×4, first 2 shown]
.LBB454_602:
	s_or_b32 exec_lo, exec_lo, s2
	v_or_b32_e32 v5, 0x100, v0
	s_delay_alu instid0(VALU_DEP_1)
	v_cmp_gt_u32_e32 vcc_lo, s6, v5
	s_and_saveexec_b32 s3, vcc_lo
	s_cbranch_execz .LBB454_604
; %bb.603:
	v_lshlrev_b32_e32 v2, 2, v0
	global_load_b32 v2, v2, s[4:5] offset:1024
	s_wait_loadcnt 0x0
	v_cmp_neq_f32_e64 s2, 0, v2
	s_delay_alu instid0(VALU_DEP_1)
	v_cndmask_b32_e64 v2, 0, 1, s2
.LBB454_604:
	s_or_b32 exec_lo, exec_lo, s3
	v_or_b32_e32 v5, 0x200, v0
	s_delay_alu instid0(VALU_DEP_1)
	v_cmp_gt_u32_e64 s2, s6, v5
	s_and_saveexec_b32 s7, s2
	s_cbranch_execz .LBB454_606
; %bb.605:
	v_lshlrev_b32_e32 v3, 2, v0
	global_load_b32 v3, v3, s[4:5] offset:2048
	s_wait_loadcnt 0x0
	v_cmp_neq_f32_e64 s3, 0, v3
	s_wait_alu 0xf1ff
	s_delay_alu instid0(VALU_DEP_1)
	v_cndmask_b32_e64 v3, 0, 1, s3
.LBB454_606:
	s_wait_alu 0xfffe
	s_or_b32 exec_lo, exec_lo, s7
	v_or_b32_e32 v5, 0x300, v0
	s_delay_alu instid0(VALU_DEP_1)
	v_cmp_gt_u32_e64 s3, s6, v5
	s_and_saveexec_b32 s7, s3
	s_cbranch_execz .LBB454_608
; %bb.607:
	v_lshlrev_b32_e32 v4, 2, v0
	global_load_b32 v4, v4, s[4:5] offset:3072
	s_wait_loadcnt 0x0
	v_cmp_neq_f32_e64 s4, 0, v4
	s_delay_alu instid0(VALU_DEP_1)
	v_cndmask_b32_e64 v4, 0, 1, s4
.LBB454_608:
	s_wait_alu 0xfffe
	s_or_b32 exec_lo, exec_lo, s7
	v_cndmask_b32_e32 v5, 0, v2, vcc_lo
	v_mbcnt_lo_u32_b32 v2, -1, 0
	v_cndmask_b32_e64 v3, 0, v3, s2
	v_cndmask_b32_e64 v4, 0, v4, s3
	s_min_u32 s2, s6, 0x100
	v_add_nc_u32_e32 v1, v5, v1
	v_cmp_ne_u32_e32 vcc_lo, 31, v2
	s_mov_b32 s3, exec_lo
	s_delay_alu instid0(VALU_DEP_2) | instskip(SKIP_4) | instid1(VALU_DEP_3)
	v_add3_u32 v1, v1, v3, v4
	s_wait_alu 0xfffd
	v_add_co_ci_u32_e64 v5, null, 0, v2, vcc_lo
	v_and_b32_e32 v4, 0xe0, v0
	v_cmp_gt_u32_e32 vcc_lo, 30, v2
	v_lshlrev_b32_e32 v3, 2, v5
	v_add_nc_u32_e32 v5, 1, v2
	s_wait_alu 0xfffe
	v_sub_nc_u32_e64 v4, s2, v4 clamp
	s_wait_alu 0xfffd
	v_cndmask_b32_e64 v6, 0, 2, vcc_lo
	ds_bpermute_b32 v3, v3, v1
	v_cmp_lt_u32_e32 vcc_lo, v5, v4
	v_add_lshl_u32 v5, v6, v2, 2
	s_wait_dscnt 0x0
	s_wait_alu 0xfffd
	v_cndmask_b32_e32 v3, 0, v3, vcc_lo
	v_cmp_gt_u32_e32 vcc_lo, 28, v2
	s_delay_alu instid0(VALU_DEP_2) | instskip(SKIP_4) | instid1(VALU_DEP_1)
	v_add_nc_u32_e32 v1, v3, v1
	s_wait_alu 0xfffd
	v_cndmask_b32_e64 v6, 0, 4, vcc_lo
	ds_bpermute_b32 v3, v5, v1
	v_add_nc_u32_e32 v5, 2, v2
	v_cmp_lt_u32_e32 vcc_lo, v5, v4
	v_add_lshl_u32 v5, v6, v2, 2
	s_wait_dscnt 0x0
	s_wait_alu 0xfffd
	v_cndmask_b32_e32 v3, 0, v3, vcc_lo
	v_cmp_gt_u32_e32 vcc_lo, 24, v2
	s_delay_alu instid0(VALU_DEP_2) | instskip(SKIP_4) | instid1(VALU_DEP_1)
	v_add_nc_u32_e32 v1, v1, v3
	s_wait_alu 0xfffd
	v_cndmask_b32_e64 v6, 0, 8, vcc_lo
	ds_bpermute_b32 v3, v5, v1
	v_add_nc_u32_e32 v5, 4, v2
	v_cmp_lt_u32_e32 vcc_lo, v5, v4
	v_add_lshl_u32 v5, v6, v2, 2
	s_wait_dscnt 0x0
	s_wait_alu 0xfffd
	v_dual_cndmask_b32 v3, 0, v3 :: v_dual_add_nc_u32 v6, 8, v2
	s_delay_alu instid0(VALU_DEP_1) | instskip(NEXT) | instid1(VALU_DEP_2)
	v_cmp_lt_u32_e32 vcc_lo, v6, v4
	v_add_nc_u32_e32 v1, v1, v3
	v_lshlrev_b32_e32 v3, 2, v2
	ds_bpermute_b32 v5, v5, v1
	v_or_b32_e32 v6, 64, v3
	s_wait_dscnt 0x0
	s_wait_alu 0xfffd
	v_cndmask_b32_e32 v5, 0, v5, vcc_lo
	s_delay_alu instid0(VALU_DEP_1) | instskip(SKIP_2) | instid1(VALU_DEP_1)
	v_add_nc_u32_e32 v1, v1, v5
	ds_bpermute_b32 v5, v6, v1
	v_add_nc_u32_e32 v6, 16, v2
	v_cmp_lt_u32_e32 vcc_lo, v6, v4
	s_wait_dscnt 0x0
	s_wait_alu 0xfffd
	v_cndmask_b32_e32 v4, 0, v5, vcc_lo
	s_delay_alu instid0(VALU_DEP_1)
	v_add_nc_u32_e32 v1, v1, v4
	v_cmpx_eq_u32_e32 0, v2
; %bb.609:
	v_lshrrev_b32_e32 v4, 3, v0
	s_delay_alu instid0(VALU_DEP_1)
	v_and_b32_e32 v4, 28, v4
	ds_store_b32 v4, v1 offset:256
; %bb.610:
	s_or_b32 exec_lo, exec_lo, s3
	s_delay_alu instid0(SALU_CYCLE_1)
	s_mov_b32 s3, exec_lo
	s_wait_loadcnt_dscnt 0x0
	s_barrier_signal -1
	s_barrier_wait -1
	global_inv scope:SCOPE_SE
	v_cmpx_gt_u32_e32 8, v0
	s_cbranch_execz .LBB454_612
; %bb.611:
	ds_load_b32 v1, v3 offset:256
	v_and_b32_e32 v4, 7, v2
	s_add_co_i32 s2, s2, 31
	s_wait_alu 0xfffe
	s_lshr_b32 s2, s2, 5
	s_delay_alu instid0(VALU_DEP_1) | instskip(SKIP_4) | instid1(VALU_DEP_2)
	v_cmp_ne_u32_e32 vcc_lo, 7, v4
	v_add_nc_u32_e32 v6, 1, v4
	s_wait_alu 0xfffd
	v_add_co_ci_u32_e64 v5, null, 0, v2, vcc_lo
	v_cmp_gt_u32_e32 vcc_lo, 6, v4
	v_lshlrev_b32_e32 v5, 2, v5
	s_wait_alu 0xfffd
	v_cndmask_b32_e64 v7, 0, 2, vcc_lo
	s_wait_alu 0xfffe
	v_cmp_gt_u32_e32 vcc_lo, s2, v6
	s_wait_dscnt 0x0
	ds_bpermute_b32 v5, v5, v1
	v_add_lshl_u32 v2, v7, v2, 2
	s_wait_dscnt 0x0
	s_wait_alu 0xfffd
	v_cndmask_b32_e32 v5, 0, v5, vcc_lo
	s_delay_alu instid0(VALU_DEP_1)
	v_add_nc_u32_e32 v1, v5, v1
	v_add_nc_u32_e32 v5, 2, v4
	ds_bpermute_b32 v2, v2, v1
	v_cmp_gt_u32_e32 vcc_lo, s2, v5
	s_wait_dscnt 0x0
	s_wait_alu 0xfffd
	v_cndmask_b32_e32 v2, 0, v2, vcc_lo
	s_delay_alu instid0(VALU_DEP_1)
	v_add_nc_u32_e32 v1, v1, v2
	v_or_b32_e32 v2, 16, v3
	v_add_nc_u32_e32 v3, 4, v4
	ds_bpermute_b32 v2, v2, v1
	v_cmp_gt_u32_e32 vcc_lo, s2, v3
	s_wait_dscnt 0x0
	s_wait_alu 0xfffd
	v_cndmask_b32_e32 v2, 0, v2, vcc_lo
	s_delay_alu instid0(VALU_DEP_1)
	v_add_nc_u32_e32 v1, v1, v2
.LBB454_612:
	s_wait_alu 0xfffe
	s_or_b32 exec_lo, exec_lo, s3
.LBB454_613:
	v_cmp_eq_u32_e64 s2, 0, v0
	s_branch .LBB454_623
.LBB454_614:
	s_cmp_gt_i32 s44, 1
	s_cbranch_scc0 .LBB454_622
; %bb.615:
	s_cmp_eq_u32 s44, 2
	s_cbranch_scc0 .LBB454_626
; %bb.616:
	s_mov_b32 s35, 0
	s_lshl_b32 s4, s34, 9
	s_mov_b32 s5, s35
	s_lshr_b64 s[2:3], s[36:37], 9
	s_lshl_b64 s[6:7], s[4:5], 2
	s_cmp_lg_u64 s[2:3], s[34:35]
	s_add_nc_u64 s[2:3], s[40:41], s[6:7]
	s_cbranch_scc0 .LBB454_627
; %bb.617:
	v_lshlrev_b32_e32 v1, 2, v0
	s_mov_b32 s5, exec_lo
	s_clause 0x1
	global_load_b32 v2, v1, s[2:3]
	global_load_b32 v1, v1, s[2:3] offset:1024
	s_wait_loadcnt 0x1
	v_cmp_neq_f32_e32 vcc_lo, 0, v2
	v_cndmask_b32_e64 v2, 0, 1, vcc_lo
	s_wait_loadcnt 0x0
	v_cmp_neq_f32_e32 vcc_lo, 0, v1
	s_wait_alu 0xfffd
	s_delay_alu instid0(VALU_DEP_2) | instskip(NEXT) | instid1(VALU_DEP_1)
	v_add_co_ci_u32_e64 v1, null, 0, v2, vcc_lo
	v_mov_b32_dpp v1, v1 quad_perm:[1,0,3,2] row_mask:0xf bank_mask:0xf
	s_delay_alu instid0(VALU_DEP_1) | instskip(NEXT) | instid1(VALU_DEP_1)
	v_add_co_ci_u32_e64 v1, null, v1, v2, vcc_lo
	v_mov_b32_dpp v2, v1 quad_perm:[2,3,0,1] row_mask:0xf bank_mask:0xf
	s_delay_alu instid0(VALU_DEP_1) | instskip(NEXT) | instid1(VALU_DEP_1)
	v_add_nc_u32_e32 v1, v1, v2
	v_mov_b32_dpp v2, v1 row_ror:4 row_mask:0xf bank_mask:0xf
	s_delay_alu instid0(VALU_DEP_1) | instskip(NEXT) | instid1(VALU_DEP_1)
	v_add_nc_u32_e32 v1, v1, v2
	v_mov_b32_dpp v2, v1 row_ror:8 row_mask:0xf bank_mask:0xf
	s_delay_alu instid0(VALU_DEP_1)
	v_add_nc_u32_e32 v1, v1, v2
	ds_swizzle_b32 v2, v1 offset:swizzle(BROADCAST,32,15)
	s_wait_dscnt 0x0
	v_dual_mov_b32 v2, 0 :: v_dual_add_nc_u32 v1, v1, v2
	ds_bpermute_b32 v1, v2, v1 offset:124
	v_mbcnt_lo_u32_b32 v2, -1, 0
	s_delay_alu instid0(VALU_DEP_1)
	v_cmpx_eq_u32_e32 0, v2
	s_cbranch_execz .LBB454_619
; %bb.618:
	v_lshrrev_b32_e32 v3, 3, v0
	s_delay_alu instid0(VALU_DEP_1)
	v_and_b32_e32 v3, 28, v3
	s_wait_dscnt 0x0
	ds_store_b32 v3, v1 offset:96
.LBB454_619:
	s_or_b32 exec_lo, exec_lo, s5
	s_delay_alu instid0(SALU_CYCLE_1)
	s_mov_b32 s5, exec_lo
	s_wait_dscnt 0x0
	s_barrier_signal -1
	s_barrier_wait -1
	global_inv scope:SCOPE_SE
	v_cmpx_gt_u32_e32 32, v0
	s_cbranch_execz .LBB454_621
; %bb.620:
	v_lshl_or_b32 v1, v2, 2, 0x60
	v_and_b32_e32 v3, 7, v2
	ds_load_b32 v1, v1
	v_cmp_ne_u32_e32 vcc_lo, 7, v3
	s_wait_alu 0xfffd
	v_add_co_ci_u32_e64 v4, null, 0, v2, vcc_lo
	v_cmp_gt_u32_e32 vcc_lo, 6, v3
	s_delay_alu instid0(VALU_DEP_2) | instskip(SKIP_2) | instid1(VALU_DEP_1)
	v_lshlrev_b32_e32 v4, 2, v4
	s_wait_alu 0xfffd
	v_cndmask_b32_e64 v3, 0, 2, vcc_lo
	v_add_lshl_u32 v3, v3, v2, 2
	v_lshlrev_b32_e32 v2, 2, v2
	s_wait_dscnt 0x0
	ds_bpermute_b32 v4, v4, v1
	v_or_b32_e32 v2, 16, v2
	s_wait_dscnt 0x0
	v_add_nc_u32_e32 v1, v4, v1
	ds_bpermute_b32 v3, v3, v1
	s_wait_dscnt 0x0
	v_add_nc_u32_e32 v1, v3, v1
	ds_bpermute_b32 v2, v2, v1
	s_wait_dscnt 0x0
	v_add_nc_u32_e32 v1, v2, v1
.LBB454_621:
	s_or_b32 exec_lo, exec_lo, s5
	s_mov_b32 s5, 0
	s_branch .LBB454_628
.LBB454_622:
                                        ; implicit-def: $vgpr1
	s_cbranch_execnz .LBB454_639
.LBB454_623:
	s_delay_alu instid0(VALU_DEP_1)
	s_and_saveexec_b32 s3, s2
	s_cbranch_execz .LBB454_625
.LBB454_624:
	s_load_b32 s2, s[0:1], 0x28
	s_lshl_b64 s[0:1], s[34:35], 2
	s_cmp_lg_u64 s[36:37], 0
	s_add_nc_u64 s[0:1], s[38:39], s[0:1]
	s_cselect_b32 vcc_lo, -1, 0
	s_wait_alu 0xfffe
	v_dual_cndmask_b32 v0, 0, v1 :: v_dual_mov_b32 v1, 0
	s_wait_kmcnt 0x0
	s_delay_alu instid0(VALU_DEP_1)
	v_add_nc_u32_e32 v0, s2, v0
	global_store_b32 v1, v0, s[0:1]
.LBB454_625:
	s_nop 0
	s_sendmsg sendmsg(MSG_DEALLOC_VGPRS)
	s_endpgm
.LBB454_626:
                                        ; implicit-def: $vgpr1
	s_branch .LBB454_623
.LBB454_627:
	s_mov_b32 s5, -1
                                        ; implicit-def: $vgpr1
.LBB454_628:
	s_delay_alu instid0(SALU_CYCLE_1)
	s_and_b32 vcc_lo, exec_lo, s5
	s_wait_alu 0xfffe
	s_cbranch_vccz .LBB454_638
; %bb.629:
	v_mov_b32_e32 v1, 0
	s_sub_co_i32 s4, s36, s4
	s_mov_b32 s5, exec_lo
	s_delay_alu instid0(VALU_DEP_1)
	v_mov_b32_e32 v2, v1
	v_cmpx_gt_u32_e64 s4, v0
	s_cbranch_execz .LBB454_631
; %bb.630:
	v_dual_mov_b32 v3, v1 :: v_dual_lshlrev_b32 v2, 2, v0
	global_load_b32 v2, v2, s[2:3]
	s_wait_loadcnt 0x0
	v_cmp_neq_f32_e32 vcc_lo, 0, v2
	s_wait_alu 0xfffd
	v_cndmask_b32_e64 v2, 0, 1, vcc_lo
	s_delay_alu instid0(VALU_DEP_1) | instskip(NEXT) | instid1(VALU_DEP_1)
	v_and_b32_e32 v2, 0xffff, v2
	v_mov_b32_e32 v1, v2
	v_mov_b32_e32 v2, v3
.LBB454_631:
	s_or_b32 exec_lo, exec_lo, s5
	v_or_b32_e32 v3, 0x100, v0
	s_delay_alu instid0(VALU_DEP_1)
	v_cmp_gt_u32_e32 vcc_lo, s4, v3
	s_and_saveexec_b32 s5, vcc_lo
	s_cbranch_execz .LBB454_633
; %bb.632:
	v_lshlrev_b32_e32 v2, 2, v0
	global_load_b32 v2, v2, s[2:3] offset:1024
	s_wait_loadcnt 0x0
	v_cmp_neq_f32_e64 s2, 0, v2
	s_delay_alu instid0(VALU_DEP_1)
	v_cndmask_b32_e64 v2, 0, 1, s2
.LBB454_633:
	s_wait_alu 0xfffe
	s_or_b32 exec_lo, exec_lo, s5
	v_mbcnt_lo_u32_b32 v3, -1, 0
	s_delay_alu instid0(VALU_DEP_2) | instskip(SKIP_2) | instid1(VALU_DEP_2)
	v_cndmask_b32_e32 v2, 0, v2, vcc_lo
	s_min_u32 s2, s4, 0x100
	s_mov_b32 s3, exec_lo
	v_cmp_ne_u32_e32 vcc_lo, 31, v3
	v_add_nc_u32_e32 v5, 1, v3
	v_add_nc_u32_e32 v1, v2, v1
	s_wait_alu 0xfffd
	v_add_co_ci_u32_e64 v4, null, 0, v3, vcc_lo
	v_cmp_gt_u32_e32 vcc_lo, 30, v3
	s_delay_alu instid0(VALU_DEP_2)
	v_lshlrev_b32_e32 v2, 2, v4
	v_and_b32_e32 v4, 0xe0, v0
	s_wait_alu 0xfffd
	v_cndmask_b32_e64 v6, 0, 2, vcc_lo
	ds_bpermute_b32 v2, v2, v1
	s_wait_alu 0xfffe
	v_sub_nc_u32_e64 v4, s2, v4 clamp
	s_delay_alu instid0(VALU_DEP_1)
	v_cmp_lt_u32_e32 vcc_lo, v5, v4
	v_add_lshl_u32 v5, v6, v3, 2
	s_wait_dscnt 0x0
	s_wait_alu 0xfffd
	v_cndmask_b32_e32 v2, 0, v2, vcc_lo
	v_cmp_gt_u32_e32 vcc_lo, 28, v3
	s_delay_alu instid0(VALU_DEP_2) | instskip(SKIP_4) | instid1(VALU_DEP_1)
	v_add_nc_u32_e32 v1, v2, v1
	s_wait_alu 0xfffd
	v_cndmask_b32_e64 v6, 0, 4, vcc_lo
	ds_bpermute_b32 v2, v5, v1
	v_add_nc_u32_e32 v5, 2, v3
	v_cmp_lt_u32_e32 vcc_lo, v5, v4
	v_add_lshl_u32 v5, v6, v3, 2
	s_wait_dscnt 0x0
	s_wait_alu 0xfffd
	v_cndmask_b32_e32 v2, 0, v2, vcc_lo
	v_cmp_gt_u32_e32 vcc_lo, 24, v3
	s_delay_alu instid0(VALU_DEP_2) | instskip(SKIP_4) | instid1(VALU_DEP_1)
	v_add_nc_u32_e32 v1, v1, v2
	s_wait_alu 0xfffd
	v_cndmask_b32_e64 v6, 0, 8, vcc_lo
	ds_bpermute_b32 v2, v5, v1
	v_add_nc_u32_e32 v5, 4, v3
	v_cmp_lt_u32_e32 vcc_lo, v5, v4
	v_add_lshl_u32 v5, v6, v3, 2
	v_add_nc_u32_e32 v6, 8, v3
	s_wait_dscnt 0x0
	s_wait_alu 0xfffd
	v_cndmask_b32_e32 v2, 0, v2, vcc_lo
	s_delay_alu instid0(VALU_DEP_2) | instskip(NEXT) | instid1(VALU_DEP_2)
	v_cmp_lt_u32_e32 vcc_lo, v6, v4
	v_add_nc_u32_e32 v1, v1, v2
	v_lshlrev_b32_e32 v2, 2, v3
	ds_bpermute_b32 v5, v5, v1
	v_or_b32_e32 v6, 64, v2
	s_wait_dscnt 0x0
	s_wait_alu 0xfffd
	v_cndmask_b32_e32 v5, 0, v5, vcc_lo
	s_delay_alu instid0(VALU_DEP_1) | instskip(SKIP_2) | instid1(VALU_DEP_1)
	v_add_nc_u32_e32 v1, v1, v5
	ds_bpermute_b32 v5, v6, v1
	v_add_nc_u32_e32 v6, 16, v3
	v_cmp_lt_u32_e32 vcc_lo, v6, v4
	s_wait_dscnt 0x0
	s_wait_alu 0xfffd
	v_cndmask_b32_e32 v4, 0, v5, vcc_lo
	s_delay_alu instid0(VALU_DEP_1)
	v_add_nc_u32_e32 v1, v1, v4
	v_cmpx_eq_u32_e32 0, v3
; %bb.634:
	v_lshrrev_b32_e32 v4, 3, v0
	s_delay_alu instid0(VALU_DEP_1)
	v_and_b32_e32 v4, 28, v4
	ds_store_b32 v4, v1 offset:256
; %bb.635:
	s_or_b32 exec_lo, exec_lo, s3
	s_delay_alu instid0(SALU_CYCLE_1)
	s_mov_b32 s3, exec_lo
	s_wait_loadcnt_dscnt 0x0
	s_barrier_signal -1
	s_barrier_wait -1
	global_inv scope:SCOPE_SE
	v_cmpx_gt_u32_e32 8, v0
	s_cbranch_execz .LBB454_637
; %bb.636:
	ds_load_b32 v1, v2 offset:256
	v_and_b32_e32 v4, 7, v3
	s_add_co_i32 s2, s2, 31
	v_or_b32_e32 v2, 16, v2
	s_wait_alu 0xfffe
	s_lshr_b32 s2, s2, 5
	v_cmp_ne_u32_e32 vcc_lo, 7, v4
	v_add_nc_u32_e32 v6, 1, v4
	s_wait_alu 0xfffd
	v_add_co_ci_u32_e64 v5, null, 0, v3, vcc_lo
	v_cmp_gt_u32_e32 vcc_lo, 6, v4
	s_delay_alu instid0(VALU_DEP_2)
	v_lshlrev_b32_e32 v5, 2, v5
	s_wait_alu 0xfffd
	v_cndmask_b32_e64 v7, 0, 2, vcc_lo
	s_wait_alu 0xfffe
	v_cmp_gt_u32_e32 vcc_lo, s2, v6
	s_wait_dscnt 0x0
	ds_bpermute_b32 v5, v5, v1
	v_add_lshl_u32 v3, v7, v3, 2
	s_wait_dscnt 0x0
	s_wait_alu 0xfffd
	v_cndmask_b32_e32 v5, 0, v5, vcc_lo
	s_delay_alu instid0(VALU_DEP_1)
	v_add_nc_u32_e32 v1, v5, v1
	v_add_nc_u32_e32 v5, 2, v4
	ds_bpermute_b32 v3, v3, v1
	v_cmp_gt_u32_e32 vcc_lo, s2, v5
	s_wait_dscnt 0x0
	s_wait_alu 0xfffd
	v_cndmask_b32_e32 v3, 0, v3, vcc_lo
	s_delay_alu instid0(VALU_DEP_1)
	v_add_nc_u32_e32 v1, v1, v3
	v_add_nc_u32_e32 v3, 4, v4
	ds_bpermute_b32 v2, v2, v1
	v_cmp_gt_u32_e32 vcc_lo, s2, v3
	s_wait_dscnt 0x0
	s_wait_alu 0xfffd
	v_cndmask_b32_e32 v2, 0, v2, vcc_lo
	s_delay_alu instid0(VALU_DEP_1)
	v_add_nc_u32_e32 v1, v1, v2
.LBB454_637:
	s_wait_alu 0xfffe
	s_or_b32 exec_lo, exec_lo, s3
.LBB454_638:
	v_cmp_eq_u32_e64 s2, 0, v0
	s_branch .LBB454_623
.LBB454_639:
	s_cmp_eq_u32 s44, 1
	s_cbranch_scc0 .LBB454_647
; %bb.640:
	s_mov_b32 s3, 0
	v_mbcnt_lo_u32_b32 v2, -1, 0
	s_lshr_b64 s[4:5], s[36:37], 8
	s_mov_b32 s35, s3
	s_lshl_b32 s2, s34, 8
	s_cmp_lg_u64 s[4:5], s[34:35]
	s_cbranch_scc0 .LBB454_648
; %bb.641:
	v_lshlrev_b32_e32 v1, 2, v0
	s_lshl_b64 s[4:5], s[2:3], 2
	s_delay_alu instid0(SALU_CYCLE_1)
	s_add_nc_u64 s[4:5], s[40:41], s[4:5]
	global_load_b32 v1, v1, s[4:5]
	s_mov_b32 s4, exec_lo
	s_wait_loadcnt 0x0
	v_cmp_neq_f32_e32 vcc_lo, 0, v1
	v_cndmask_b32_e64 v1, 0, 1, vcc_lo
	s_delay_alu instid0(VALU_DEP_1) | instskip(NEXT) | instid1(VALU_DEP_1)
	v_mov_b32_dpp v1, v1 quad_perm:[1,0,3,2] row_mask:0xf bank_mask:0xf
	v_add_co_ci_u32_e64 v3, null, 0, v1, vcc_lo
	s_delay_alu instid0(VALU_DEP_1) | instskip(NEXT) | instid1(VALU_DEP_1)
	v_mov_b32_dpp v3, v3 quad_perm:[2,3,0,1] row_mask:0xf bank_mask:0xf
	v_add_co_ci_u32_e64 v1, null, v3, v1, vcc_lo
	s_delay_alu instid0(VALU_DEP_1) | instskip(NEXT) | instid1(VALU_DEP_1)
	v_mov_b32_dpp v3, v1 row_ror:4 row_mask:0xf bank_mask:0xf
	v_add_nc_u32_e32 v1, v1, v3
	s_delay_alu instid0(VALU_DEP_1) | instskip(NEXT) | instid1(VALU_DEP_1)
	v_mov_b32_dpp v3, v1 row_ror:8 row_mask:0xf bank_mask:0xf
	v_add_nc_u32_e32 v1, v1, v3
	ds_swizzle_b32 v3, v1 offset:swizzle(BROADCAST,32,15)
	s_wait_dscnt 0x0
	v_add_nc_u32_e32 v1, v1, v3
	v_mov_b32_e32 v3, 0
	ds_bpermute_b32 v1, v3, v1 offset:124
	v_cmpx_eq_u32_e32 0, v2
	s_cbranch_execz .LBB454_643
; %bb.642:
	v_lshrrev_b32_e32 v3, 3, v0
	s_delay_alu instid0(VALU_DEP_1)
	v_and_b32_e32 v3, 28, v3
	s_wait_dscnt 0x0
	ds_store_b32 v3, v1 offset:64
.LBB454_643:
	s_or_b32 exec_lo, exec_lo, s4
	s_delay_alu instid0(SALU_CYCLE_1)
	s_mov_b32 s4, exec_lo
	s_wait_dscnt 0x0
	s_barrier_signal -1
	s_barrier_wait -1
	global_inv scope:SCOPE_SE
	v_cmpx_gt_u32_e32 32, v0
	s_cbranch_execz .LBB454_645
; %bb.644:
	v_and_b32_e32 v1, 7, v2
	s_delay_alu instid0(VALU_DEP_1)
	v_lshlrev_b32_e32 v3, 2, v1
	v_cmp_ne_u32_e32 vcc_lo, 7, v1
	ds_load_b32 v3, v3 offset:64
	s_wait_alu 0xfffd
	v_add_co_ci_u32_e64 v4, null, 0, v2, vcc_lo
	v_cmp_gt_u32_e32 vcc_lo, 6, v1
	s_delay_alu instid0(VALU_DEP_2) | instskip(SKIP_2) | instid1(VALU_DEP_1)
	v_lshlrev_b32_e32 v4, 2, v4
	s_wait_alu 0xfffd
	v_cndmask_b32_e64 v1, 0, 2, vcc_lo
	v_add_lshl_u32 v1, v1, v2, 2
	s_wait_dscnt 0x0
	ds_bpermute_b32 v4, v4, v3
	s_wait_dscnt 0x0
	v_add_nc_u32_e32 v3, v4, v3
	v_lshlrev_b32_e32 v4, 2, v2
	ds_bpermute_b32 v1, v1, v3
	s_wait_dscnt 0x0
	v_add_nc_u32_e32 v1, v1, v3
	v_or_b32_e32 v3, 16, v4
	ds_bpermute_b32 v3, v3, v1
	s_wait_dscnt 0x0
	v_add_nc_u32_e32 v1, v3, v1
.LBB454_645:
	s_or_b32 exec_lo, exec_lo, s4
.LBB454_646:
	v_cmp_eq_u32_e64 s2, 0, v0
	s_and_saveexec_b32 s3, s2
	s_cbranch_execnz .LBB454_624
	s_branch .LBB454_625
.LBB454_647:
                                        ; implicit-def: $vgpr1
                                        ; implicit-def: $sgpr34_sgpr35
	s_and_saveexec_b32 s3, s2
	s_cbranch_execz .LBB454_625
	s_branch .LBB454_624
.LBB454_648:
                                        ; implicit-def: $vgpr1
	s_cbranch_execz .LBB454_646
; %bb.649:
	s_sub_co_i32 s4, s36, s2
	s_mov_b32 s5, exec_lo
                                        ; implicit-def: $vgpr1
	v_cmpx_gt_u32_e64 s4, v0
	s_cbranch_execz .LBB454_651
; %bb.650:
	v_lshlrev_b32_e32 v1, 2, v0
	s_lshl_b64 s[2:3], s[2:3], 2
	s_delay_alu instid0(SALU_CYCLE_1)
	s_add_nc_u64 s[2:3], s[40:41], s[2:3]
	global_load_b32 v1, v1, s[2:3]
	s_wait_loadcnt 0x0
	v_cmp_neq_f32_e32 vcc_lo, 0, v1
	v_cndmask_b32_e64 v1, 0, 1, vcc_lo
.LBB454_651:
	s_or_b32 exec_lo, exec_lo, s5
	v_cmp_ne_u32_e32 vcc_lo, 31, v2
	s_min_u32 s2, s4, 0x100
	v_add_nc_u32_e32 v5, 1, v2
	s_mov_b32 s3, exec_lo
	s_wait_alu 0xfffd
	v_add_co_ci_u32_e64 v3, null, 0, v2, vcc_lo
	v_cmp_gt_u32_e32 vcc_lo, 30, v2
	s_delay_alu instid0(VALU_DEP_2) | instskip(SKIP_4) | instid1(VALU_DEP_1)
	v_lshlrev_b32_e32 v3, 2, v3
	s_wait_alu 0xfffd
	v_cndmask_b32_e64 v6, 0, 2, vcc_lo
	ds_bpermute_b32 v3, v3, v1
	v_and_b32_e32 v4, 0xe0, v0
	v_sub_nc_u32_e64 v4, s2, v4 clamp
	s_delay_alu instid0(VALU_DEP_1)
	v_cmp_lt_u32_e32 vcc_lo, v5, v4
	v_add_lshl_u32 v5, v6, v2, 2
	s_wait_dscnt 0x0
	s_wait_alu 0xfffd
	v_cndmask_b32_e32 v3, 0, v3, vcc_lo
	v_cmp_gt_u32_e32 vcc_lo, 28, v2
	s_delay_alu instid0(VALU_DEP_2) | instskip(SKIP_4) | instid1(VALU_DEP_1)
	v_add_nc_u32_e32 v1, v3, v1
	s_wait_alu 0xfffd
	v_cndmask_b32_e64 v6, 0, 4, vcc_lo
	ds_bpermute_b32 v3, v5, v1
	v_add_nc_u32_e32 v5, 2, v2
	v_cmp_lt_u32_e32 vcc_lo, v5, v4
	v_add_lshl_u32 v5, v6, v2, 2
	s_wait_dscnt 0x0
	s_wait_alu 0xfffd
	v_cndmask_b32_e32 v3, 0, v3, vcc_lo
	v_cmp_gt_u32_e32 vcc_lo, 24, v2
	s_delay_alu instid0(VALU_DEP_2) | instskip(SKIP_4) | instid1(VALU_DEP_1)
	v_add_nc_u32_e32 v1, v1, v3
	s_wait_alu 0xfffd
	v_cndmask_b32_e64 v6, 0, 8, vcc_lo
	ds_bpermute_b32 v3, v5, v1
	v_add_nc_u32_e32 v5, 4, v2
	v_cmp_lt_u32_e32 vcc_lo, v5, v4
	v_add_lshl_u32 v5, v6, v2, 2
	s_wait_dscnt 0x0
	s_wait_alu 0xfffd
	v_dual_cndmask_b32 v3, 0, v3 :: v_dual_add_nc_u32 v6, 8, v2
	s_delay_alu instid0(VALU_DEP_1) | instskip(NEXT) | instid1(VALU_DEP_2)
	v_cmp_lt_u32_e32 vcc_lo, v6, v4
	v_add_nc_u32_e32 v1, v1, v3
	v_lshlrev_b32_e32 v3, 2, v2
	ds_bpermute_b32 v5, v5, v1
	v_or_b32_e32 v6, 64, v3
	s_wait_dscnt 0x0
	s_wait_alu 0xfffd
	v_cndmask_b32_e32 v5, 0, v5, vcc_lo
	s_delay_alu instid0(VALU_DEP_1) | instskip(SKIP_2) | instid1(VALU_DEP_1)
	v_add_nc_u32_e32 v1, v1, v5
	ds_bpermute_b32 v5, v6, v1
	v_add_nc_u32_e32 v6, 16, v2
	v_cmp_lt_u32_e32 vcc_lo, v6, v4
	s_wait_dscnt 0x0
	s_wait_alu 0xfffd
	v_cndmask_b32_e32 v4, 0, v5, vcc_lo
	s_delay_alu instid0(VALU_DEP_1)
	v_add_nc_u32_e32 v1, v1, v4
	v_cmpx_eq_u32_e32 0, v2
; %bb.652:
	v_lshrrev_b32_e32 v4, 3, v0
	s_delay_alu instid0(VALU_DEP_1)
	v_and_b32_e32 v4, 28, v4
	ds_store_b32 v4, v1 offset:256
; %bb.653:
	s_or_b32 exec_lo, exec_lo, s3
	s_delay_alu instid0(SALU_CYCLE_1)
	s_mov_b32 s3, exec_lo
	s_wait_loadcnt_dscnt 0x0
	s_barrier_signal -1
	s_barrier_wait -1
	global_inv scope:SCOPE_SE
	v_cmpx_gt_u32_e32 8, v0
	s_cbranch_execz .LBB454_655
; %bb.654:
	ds_load_b32 v1, v3 offset:256
	v_and_b32_e32 v4, 7, v2
	s_add_co_i32 s2, s2, 31
	s_wait_alu 0xfffe
	s_lshr_b32 s2, s2, 5
	s_delay_alu instid0(VALU_DEP_1) | instskip(SKIP_4) | instid1(VALU_DEP_2)
	v_cmp_ne_u32_e32 vcc_lo, 7, v4
	v_add_nc_u32_e32 v6, 1, v4
	s_wait_alu 0xfffd
	v_add_co_ci_u32_e64 v5, null, 0, v2, vcc_lo
	v_cmp_gt_u32_e32 vcc_lo, 6, v4
	v_lshlrev_b32_e32 v5, 2, v5
	s_wait_alu 0xfffd
	v_cndmask_b32_e64 v7, 0, 2, vcc_lo
	s_wait_alu 0xfffe
	v_cmp_gt_u32_e32 vcc_lo, s2, v6
	s_wait_dscnt 0x0
	ds_bpermute_b32 v5, v5, v1
	v_add_lshl_u32 v2, v7, v2, 2
	s_wait_dscnt 0x0
	s_wait_alu 0xfffd
	v_cndmask_b32_e32 v5, 0, v5, vcc_lo
	s_delay_alu instid0(VALU_DEP_1)
	v_add_nc_u32_e32 v1, v5, v1
	v_add_nc_u32_e32 v5, 2, v4
	ds_bpermute_b32 v2, v2, v1
	v_cmp_gt_u32_e32 vcc_lo, s2, v5
	s_wait_dscnt 0x0
	s_wait_alu 0xfffd
	v_cndmask_b32_e32 v2, 0, v2, vcc_lo
	s_delay_alu instid0(VALU_DEP_1)
	v_add_nc_u32_e32 v1, v1, v2
	v_or_b32_e32 v2, 16, v3
	v_add_nc_u32_e32 v3, 4, v4
	ds_bpermute_b32 v2, v2, v1
	v_cmp_gt_u32_e32 vcc_lo, s2, v3
	s_wait_dscnt 0x0
	s_wait_alu 0xfffd
	v_cndmask_b32_e32 v2, 0, v2, vcc_lo
	s_delay_alu instid0(VALU_DEP_1)
	v_add_nc_u32_e32 v1, v1, v2
.LBB454_655:
	s_wait_alu 0xfffe
	s_or_b32 exec_lo, exec_lo, s3
	v_cmp_eq_u32_e64 s2, 0, v0
	s_and_saveexec_b32 s3, s2
	s_cbranch_execnz .LBB454_624
	s_branch .LBB454_625
	.section	.rodata,"a",@progbits
	.p2align	6, 0x0
	.amdhsa_kernel _ZN7rocprim17ROCPRIM_400000_NS6detail17trampoline_kernelINS0_14default_configENS1_22reduce_config_selectorIbEEZNS1_11reduce_implILb1ES3_N6hipcub16HIPCUB_304000_NS22TransformInputIteratorIbN2at6native12_GLOBAL__N_19NonZeroOpIfEEPKflEEPiiNS8_6detail34convert_binary_result_type_wrapperINS8_3SumESH_iEEEE10hipError_tPvRmT1_T2_T3_mT4_P12ihipStream_tbEUlT_E1_NS1_11comp_targetILNS1_3genE10ELNS1_11target_archE1201ELNS1_3gpuE5ELNS1_3repE0EEENS1_30default_config_static_selectorELNS0_4arch9wavefront6targetE0EEEvSQ_
		.amdhsa_group_segment_fixed_size 288
		.amdhsa_private_segment_fixed_size 0
		.amdhsa_kernarg_size 48
		.amdhsa_user_sgpr_count 2
		.amdhsa_user_sgpr_dispatch_ptr 0
		.amdhsa_user_sgpr_queue_ptr 0
		.amdhsa_user_sgpr_kernarg_segment_ptr 1
		.amdhsa_user_sgpr_dispatch_id 0
		.amdhsa_user_sgpr_private_segment_size 0
		.amdhsa_wavefront_size32 1
		.amdhsa_uses_dynamic_stack 0
		.amdhsa_enable_private_segment 0
		.amdhsa_system_sgpr_workgroup_id_x 1
		.amdhsa_system_sgpr_workgroup_id_y 0
		.amdhsa_system_sgpr_workgroup_id_z 0
		.amdhsa_system_sgpr_workgroup_info 0
		.amdhsa_system_vgpr_workitem_id 0
		.amdhsa_next_free_vgpr 129
		.amdhsa_next_free_sgpr 47
		.amdhsa_reserve_vcc 1
		.amdhsa_float_round_mode_32 0
		.amdhsa_float_round_mode_16_64 0
		.amdhsa_float_denorm_mode_32 3
		.amdhsa_float_denorm_mode_16_64 3
		.amdhsa_fp16_overflow 0
		.amdhsa_workgroup_processor_mode 1
		.amdhsa_memory_ordered 1
		.amdhsa_forward_progress 1
		.amdhsa_inst_pref_size 255
		.amdhsa_round_robin_scheduling 0
		.amdhsa_exception_fp_ieee_invalid_op 0
		.amdhsa_exception_fp_denorm_src 0
		.amdhsa_exception_fp_ieee_div_zero 0
		.amdhsa_exception_fp_ieee_overflow 0
		.amdhsa_exception_fp_ieee_underflow 0
		.amdhsa_exception_fp_ieee_inexact 0
		.amdhsa_exception_int_div_zero 0
	.end_amdhsa_kernel
	.section	.text._ZN7rocprim17ROCPRIM_400000_NS6detail17trampoline_kernelINS0_14default_configENS1_22reduce_config_selectorIbEEZNS1_11reduce_implILb1ES3_N6hipcub16HIPCUB_304000_NS22TransformInputIteratorIbN2at6native12_GLOBAL__N_19NonZeroOpIfEEPKflEEPiiNS8_6detail34convert_binary_result_type_wrapperINS8_3SumESH_iEEEE10hipError_tPvRmT1_T2_T3_mT4_P12ihipStream_tbEUlT_E1_NS1_11comp_targetILNS1_3genE10ELNS1_11target_archE1201ELNS1_3gpuE5ELNS1_3repE0EEENS1_30default_config_static_selectorELNS0_4arch9wavefront6targetE0EEEvSQ_,"axG",@progbits,_ZN7rocprim17ROCPRIM_400000_NS6detail17trampoline_kernelINS0_14default_configENS1_22reduce_config_selectorIbEEZNS1_11reduce_implILb1ES3_N6hipcub16HIPCUB_304000_NS22TransformInputIteratorIbN2at6native12_GLOBAL__N_19NonZeroOpIfEEPKflEEPiiNS8_6detail34convert_binary_result_type_wrapperINS8_3SumESH_iEEEE10hipError_tPvRmT1_T2_T3_mT4_P12ihipStream_tbEUlT_E1_NS1_11comp_targetILNS1_3genE10ELNS1_11target_archE1201ELNS1_3gpuE5ELNS1_3repE0EEENS1_30default_config_static_selectorELNS0_4arch9wavefront6targetE0EEEvSQ_,comdat
.Lfunc_end454:
	.size	_ZN7rocprim17ROCPRIM_400000_NS6detail17trampoline_kernelINS0_14default_configENS1_22reduce_config_selectorIbEEZNS1_11reduce_implILb1ES3_N6hipcub16HIPCUB_304000_NS22TransformInputIteratorIbN2at6native12_GLOBAL__N_19NonZeroOpIfEEPKflEEPiiNS8_6detail34convert_binary_result_type_wrapperINS8_3SumESH_iEEEE10hipError_tPvRmT1_T2_T3_mT4_P12ihipStream_tbEUlT_E1_NS1_11comp_targetILNS1_3genE10ELNS1_11target_archE1201ELNS1_3gpuE5ELNS1_3repE0EEENS1_30default_config_static_selectorELNS0_4arch9wavefront6targetE0EEEvSQ_, .Lfunc_end454-_ZN7rocprim17ROCPRIM_400000_NS6detail17trampoline_kernelINS0_14default_configENS1_22reduce_config_selectorIbEEZNS1_11reduce_implILb1ES3_N6hipcub16HIPCUB_304000_NS22TransformInputIteratorIbN2at6native12_GLOBAL__N_19NonZeroOpIfEEPKflEEPiiNS8_6detail34convert_binary_result_type_wrapperINS8_3SumESH_iEEEE10hipError_tPvRmT1_T2_T3_mT4_P12ihipStream_tbEUlT_E1_NS1_11comp_targetILNS1_3genE10ELNS1_11target_archE1201ELNS1_3gpuE5ELNS1_3repE0EEENS1_30default_config_static_selectorELNS0_4arch9wavefront6targetE0EEEvSQ_
                                        ; -- End function
	.set _ZN7rocprim17ROCPRIM_400000_NS6detail17trampoline_kernelINS0_14default_configENS1_22reduce_config_selectorIbEEZNS1_11reduce_implILb1ES3_N6hipcub16HIPCUB_304000_NS22TransformInputIteratorIbN2at6native12_GLOBAL__N_19NonZeroOpIfEEPKflEEPiiNS8_6detail34convert_binary_result_type_wrapperINS8_3SumESH_iEEEE10hipError_tPvRmT1_T2_T3_mT4_P12ihipStream_tbEUlT_E1_NS1_11comp_targetILNS1_3genE10ELNS1_11target_archE1201ELNS1_3gpuE5ELNS1_3repE0EEENS1_30default_config_static_selectorELNS0_4arch9wavefront6targetE0EEEvSQ_.num_vgpr, 129
	.set _ZN7rocprim17ROCPRIM_400000_NS6detail17trampoline_kernelINS0_14default_configENS1_22reduce_config_selectorIbEEZNS1_11reduce_implILb1ES3_N6hipcub16HIPCUB_304000_NS22TransformInputIteratorIbN2at6native12_GLOBAL__N_19NonZeroOpIfEEPKflEEPiiNS8_6detail34convert_binary_result_type_wrapperINS8_3SumESH_iEEEE10hipError_tPvRmT1_T2_T3_mT4_P12ihipStream_tbEUlT_E1_NS1_11comp_targetILNS1_3genE10ELNS1_11target_archE1201ELNS1_3gpuE5ELNS1_3repE0EEENS1_30default_config_static_selectorELNS0_4arch9wavefront6targetE0EEEvSQ_.num_agpr, 0
	.set _ZN7rocprim17ROCPRIM_400000_NS6detail17trampoline_kernelINS0_14default_configENS1_22reduce_config_selectorIbEEZNS1_11reduce_implILb1ES3_N6hipcub16HIPCUB_304000_NS22TransformInputIteratorIbN2at6native12_GLOBAL__N_19NonZeroOpIfEEPKflEEPiiNS8_6detail34convert_binary_result_type_wrapperINS8_3SumESH_iEEEE10hipError_tPvRmT1_T2_T3_mT4_P12ihipStream_tbEUlT_E1_NS1_11comp_targetILNS1_3genE10ELNS1_11target_archE1201ELNS1_3gpuE5ELNS1_3repE0EEENS1_30default_config_static_selectorELNS0_4arch9wavefront6targetE0EEEvSQ_.numbered_sgpr, 47
	.set _ZN7rocprim17ROCPRIM_400000_NS6detail17trampoline_kernelINS0_14default_configENS1_22reduce_config_selectorIbEEZNS1_11reduce_implILb1ES3_N6hipcub16HIPCUB_304000_NS22TransformInputIteratorIbN2at6native12_GLOBAL__N_19NonZeroOpIfEEPKflEEPiiNS8_6detail34convert_binary_result_type_wrapperINS8_3SumESH_iEEEE10hipError_tPvRmT1_T2_T3_mT4_P12ihipStream_tbEUlT_E1_NS1_11comp_targetILNS1_3genE10ELNS1_11target_archE1201ELNS1_3gpuE5ELNS1_3repE0EEENS1_30default_config_static_selectorELNS0_4arch9wavefront6targetE0EEEvSQ_.num_named_barrier, 0
	.set _ZN7rocprim17ROCPRIM_400000_NS6detail17trampoline_kernelINS0_14default_configENS1_22reduce_config_selectorIbEEZNS1_11reduce_implILb1ES3_N6hipcub16HIPCUB_304000_NS22TransformInputIteratorIbN2at6native12_GLOBAL__N_19NonZeroOpIfEEPKflEEPiiNS8_6detail34convert_binary_result_type_wrapperINS8_3SumESH_iEEEE10hipError_tPvRmT1_T2_T3_mT4_P12ihipStream_tbEUlT_E1_NS1_11comp_targetILNS1_3genE10ELNS1_11target_archE1201ELNS1_3gpuE5ELNS1_3repE0EEENS1_30default_config_static_selectorELNS0_4arch9wavefront6targetE0EEEvSQ_.private_seg_size, 0
	.set _ZN7rocprim17ROCPRIM_400000_NS6detail17trampoline_kernelINS0_14default_configENS1_22reduce_config_selectorIbEEZNS1_11reduce_implILb1ES3_N6hipcub16HIPCUB_304000_NS22TransformInputIteratorIbN2at6native12_GLOBAL__N_19NonZeroOpIfEEPKflEEPiiNS8_6detail34convert_binary_result_type_wrapperINS8_3SumESH_iEEEE10hipError_tPvRmT1_T2_T3_mT4_P12ihipStream_tbEUlT_E1_NS1_11comp_targetILNS1_3genE10ELNS1_11target_archE1201ELNS1_3gpuE5ELNS1_3repE0EEENS1_30default_config_static_selectorELNS0_4arch9wavefront6targetE0EEEvSQ_.uses_vcc, 1
	.set _ZN7rocprim17ROCPRIM_400000_NS6detail17trampoline_kernelINS0_14default_configENS1_22reduce_config_selectorIbEEZNS1_11reduce_implILb1ES3_N6hipcub16HIPCUB_304000_NS22TransformInputIteratorIbN2at6native12_GLOBAL__N_19NonZeroOpIfEEPKflEEPiiNS8_6detail34convert_binary_result_type_wrapperINS8_3SumESH_iEEEE10hipError_tPvRmT1_T2_T3_mT4_P12ihipStream_tbEUlT_E1_NS1_11comp_targetILNS1_3genE10ELNS1_11target_archE1201ELNS1_3gpuE5ELNS1_3repE0EEENS1_30default_config_static_selectorELNS0_4arch9wavefront6targetE0EEEvSQ_.uses_flat_scratch, 0
	.set _ZN7rocprim17ROCPRIM_400000_NS6detail17trampoline_kernelINS0_14default_configENS1_22reduce_config_selectorIbEEZNS1_11reduce_implILb1ES3_N6hipcub16HIPCUB_304000_NS22TransformInputIteratorIbN2at6native12_GLOBAL__N_19NonZeroOpIfEEPKflEEPiiNS8_6detail34convert_binary_result_type_wrapperINS8_3SumESH_iEEEE10hipError_tPvRmT1_T2_T3_mT4_P12ihipStream_tbEUlT_E1_NS1_11comp_targetILNS1_3genE10ELNS1_11target_archE1201ELNS1_3gpuE5ELNS1_3repE0EEENS1_30default_config_static_selectorELNS0_4arch9wavefront6targetE0EEEvSQ_.has_dyn_sized_stack, 0
	.set _ZN7rocprim17ROCPRIM_400000_NS6detail17trampoline_kernelINS0_14default_configENS1_22reduce_config_selectorIbEEZNS1_11reduce_implILb1ES3_N6hipcub16HIPCUB_304000_NS22TransformInputIteratorIbN2at6native12_GLOBAL__N_19NonZeroOpIfEEPKflEEPiiNS8_6detail34convert_binary_result_type_wrapperINS8_3SumESH_iEEEE10hipError_tPvRmT1_T2_T3_mT4_P12ihipStream_tbEUlT_E1_NS1_11comp_targetILNS1_3genE10ELNS1_11target_archE1201ELNS1_3gpuE5ELNS1_3repE0EEENS1_30default_config_static_selectorELNS0_4arch9wavefront6targetE0EEEvSQ_.has_recursion, 0
	.set _ZN7rocprim17ROCPRIM_400000_NS6detail17trampoline_kernelINS0_14default_configENS1_22reduce_config_selectorIbEEZNS1_11reduce_implILb1ES3_N6hipcub16HIPCUB_304000_NS22TransformInputIteratorIbN2at6native12_GLOBAL__N_19NonZeroOpIfEEPKflEEPiiNS8_6detail34convert_binary_result_type_wrapperINS8_3SumESH_iEEEE10hipError_tPvRmT1_T2_T3_mT4_P12ihipStream_tbEUlT_E1_NS1_11comp_targetILNS1_3genE10ELNS1_11target_archE1201ELNS1_3gpuE5ELNS1_3repE0EEENS1_30default_config_static_selectorELNS0_4arch9wavefront6targetE0EEEvSQ_.has_indirect_call, 0
	.section	.AMDGPU.csdata,"",@progbits
; Kernel info:
; codeLenInByte = 37464
; TotalNumSgprs: 49
; NumVgprs: 129
; ScratchSize: 0
; MemoryBound: 0
; FloatMode: 240
; IeeeMode: 1
; LDSByteSize: 288 bytes/workgroup (compile time only)
; SGPRBlocks: 0
; VGPRBlocks: 16
; NumSGPRsForWavesPerEU: 49
; NumVGPRsForWavesPerEU: 129
; Occupancy: 10
; WaveLimiterHint : 1
; COMPUTE_PGM_RSRC2:SCRATCH_EN: 0
; COMPUTE_PGM_RSRC2:USER_SGPR: 2
; COMPUTE_PGM_RSRC2:TRAP_HANDLER: 0
; COMPUTE_PGM_RSRC2:TGID_X_EN: 1
; COMPUTE_PGM_RSRC2:TGID_Y_EN: 0
; COMPUTE_PGM_RSRC2:TGID_Z_EN: 0
; COMPUTE_PGM_RSRC2:TIDIG_COMP_CNT: 0
	.section	.text._ZN7rocprim17ROCPRIM_400000_NS6detail17trampoline_kernelINS0_14default_configENS1_22reduce_config_selectorIbEEZNS1_11reduce_implILb1ES3_N6hipcub16HIPCUB_304000_NS22TransformInputIteratorIbN2at6native12_GLOBAL__N_19NonZeroOpIfEEPKflEEPiiNS8_6detail34convert_binary_result_type_wrapperINS8_3SumESH_iEEEE10hipError_tPvRmT1_T2_T3_mT4_P12ihipStream_tbEUlT_E1_NS1_11comp_targetILNS1_3genE10ELNS1_11target_archE1200ELNS1_3gpuE4ELNS1_3repE0EEENS1_30default_config_static_selectorELNS0_4arch9wavefront6targetE0EEEvSQ_,"axG",@progbits,_ZN7rocprim17ROCPRIM_400000_NS6detail17trampoline_kernelINS0_14default_configENS1_22reduce_config_selectorIbEEZNS1_11reduce_implILb1ES3_N6hipcub16HIPCUB_304000_NS22TransformInputIteratorIbN2at6native12_GLOBAL__N_19NonZeroOpIfEEPKflEEPiiNS8_6detail34convert_binary_result_type_wrapperINS8_3SumESH_iEEEE10hipError_tPvRmT1_T2_T3_mT4_P12ihipStream_tbEUlT_E1_NS1_11comp_targetILNS1_3genE10ELNS1_11target_archE1200ELNS1_3gpuE4ELNS1_3repE0EEENS1_30default_config_static_selectorELNS0_4arch9wavefront6targetE0EEEvSQ_,comdat
	.globl	_ZN7rocprim17ROCPRIM_400000_NS6detail17trampoline_kernelINS0_14default_configENS1_22reduce_config_selectorIbEEZNS1_11reduce_implILb1ES3_N6hipcub16HIPCUB_304000_NS22TransformInputIteratorIbN2at6native12_GLOBAL__N_19NonZeroOpIfEEPKflEEPiiNS8_6detail34convert_binary_result_type_wrapperINS8_3SumESH_iEEEE10hipError_tPvRmT1_T2_T3_mT4_P12ihipStream_tbEUlT_E1_NS1_11comp_targetILNS1_3genE10ELNS1_11target_archE1200ELNS1_3gpuE4ELNS1_3repE0EEENS1_30default_config_static_selectorELNS0_4arch9wavefront6targetE0EEEvSQ_ ; -- Begin function _ZN7rocprim17ROCPRIM_400000_NS6detail17trampoline_kernelINS0_14default_configENS1_22reduce_config_selectorIbEEZNS1_11reduce_implILb1ES3_N6hipcub16HIPCUB_304000_NS22TransformInputIteratorIbN2at6native12_GLOBAL__N_19NonZeroOpIfEEPKflEEPiiNS8_6detail34convert_binary_result_type_wrapperINS8_3SumESH_iEEEE10hipError_tPvRmT1_T2_T3_mT4_P12ihipStream_tbEUlT_E1_NS1_11comp_targetILNS1_3genE10ELNS1_11target_archE1200ELNS1_3gpuE4ELNS1_3repE0EEENS1_30default_config_static_selectorELNS0_4arch9wavefront6targetE0EEEvSQ_
	.p2align	8
	.type	_ZN7rocprim17ROCPRIM_400000_NS6detail17trampoline_kernelINS0_14default_configENS1_22reduce_config_selectorIbEEZNS1_11reduce_implILb1ES3_N6hipcub16HIPCUB_304000_NS22TransformInputIteratorIbN2at6native12_GLOBAL__N_19NonZeroOpIfEEPKflEEPiiNS8_6detail34convert_binary_result_type_wrapperINS8_3SumESH_iEEEE10hipError_tPvRmT1_T2_T3_mT4_P12ihipStream_tbEUlT_E1_NS1_11comp_targetILNS1_3genE10ELNS1_11target_archE1200ELNS1_3gpuE4ELNS1_3repE0EEENS1_30default_config_static_selectorELNS0_4arch9wavefront6targetE0EEEvSQ_,@function
_ZN7rocprim17ROCPRIM_400000_NS6detail17trampoline_kernelINS0_14default_configENS1_22reduce_config_selectorIbEEZNS1_11reduce_implILb1ES3_N6hipcub16HIPCUB_304000_NS22TransformInputIteratorIbN2at6native12_GLOBAL__N_19NonZeroOpIfEEPKflEEPiiNS8_6detail34convert_binary_result_type_wrapperINS8_3SumESH_iEEEE10hipError_tPvRmT1_T2_T3_mT4_P12ihipStream_tbEUlT_E1_NS1_11comp_targetILNS1_3genE10ELNS1_11target_archE1200ELNS1_3gpuE4ELNS1_3repE0EEENS1_30default_config_static_selectorELNS0_4arch9wavefront6targetE0EEEvSQ_: ; @_ZN7rocprim17ROCPRIM_400000_NS6detail17trampoline_kernelINS0_14default_configENS1_22reduce_config_selectorIbEEZNS1_11reduce_implILb1ES3_N6hipcub16HIPCUB_304000_NS22TransformInputIteratorIbN2at6native12_GLOBAL__N_19NonZeroOpIfEEPKflEEPiiNS8_6detail34convert_binary_result_type_wrapperINS8_3SumESH_iEEEE10hipError_tPvRmT1_T2_T3_mT4_P12ihipStream_tbEUlT_E1_NS1_11comp_targetILNS1_3genE10ELNS1_11target_archE1200ELNS1_3gpuE4ELNS1_3repE0EEENS1_30default_config_static_selectorELNS0_4arch9wavefront6targetE0EEEvSQ_
; %bb.0:
	.section	.rodata,"a",@progbits
	.p2align	6, 0x0
	.amdhsa_kernel _ZN7rocprim17ROCPRIM_400000_NS6detail17trampoline_kernelINS0_14default_configENS1_22reduce_config_selectorIbEEZNS1_11reduce_implILb1ES3_N6hipcub16HIPCUB_304000_NS22TransformInputIteratorIbN2at6native12_GLOBAL__N_19NonZeroOpIfEEPKflEEPiiNS8_6detail34convert_binary_result_type_wrapperINS8_3SumESH_iEEEE10hipError_tPvRmT1_T2_T3_mT4_P12ihipStream_tbEUlT_E1_NS1_11comp_targetILNS1_3genE10ELNS1_11target_archE1200ELNS1_3gpuE4ELNS1_3repE0EEENS1_30default_config_static_selectorELNS0_4arch9wavefront6targetE0EEEvSQ_
		.amdhsa_group_segment_fixed_size 0
		.amdhsa_private_segment_fixed_size 0
		.amdhsa_kernarg_size 48
		.amdhsa_user_sgpr_count 2
		.amdhsa_user_sgpr_dispatch_ptr 0
		.amdhsa_user_sgpr_queue_ptr 0
		.amdhsa_user_sgpr_kernarg_segment_ptr 1
		.amdhsa_user_sgpr_dispatch_id 0
		.amdhsa_user_sgpr_private_segment_size 0
		.amdhsa_wavefront_size32 1
		.amdhsa_uses_dynamic_stack 0
		.amdhsa_enable_private_segment 0
		.amdhsa_system_sgpr_workgroup_id_x 1
		.amdhsa_system_sgpr_workgroup_id_y 0
		.amdhsa_system_sgpr_workgroup_id_z 0
		.amdhsa_system_sgpr_workgroup_info 0
		.amdhsa_system_vgpr_workitem_id 0
		.amdhsa_next_free_vgpr 1
		.amdhsa_next_free_sgpr 1
		.amdhsa_reserve_vcc 0
		.amdhsa_float_round_mode_32 0
		.amdhsa_float_round_mode_16_64 0
		.amdhsa_float_denorm_mode_32 3
		.amdhsa_float_denorm_mode_16_64 3
		.amdhsa_fp16_overflow 0
		.amdhsa_workgroup_processor_mode 1
		.amdhsa_memory_ordered 1
		.amdhsa_forward_progress 1
		.amdhsa_inst_pref_size 0
		.amdhsa_round_robin_scheduling 0
		.amdhsa_exception_fp_ieee_invalid_op 0
		.amdhsa_exception_fp_denorm_src 0
		.amdhsa_exception_fp_ieee_div_zero 0
		.amdhsa_exception_fp_ieee_overflow 0
		.amdhsa_exception_fp_ieee_underflow 0
		.amdhsa_exception_fp_ieee_inexact 0
		.amdhsa_exception_int_div_zero 0
	.end_amdhsa_kernel
	.section	.text._ZN7rocprim17ROCPRIM_400000_NS6detail17trampoline_kernelINS0_14default_configENS1_22reduce_config_selectorIbEEZNS1_11reduce_implILb1ES3_N6hipcub16HIPCUB_304000_NS22TransformInputIteratorIbN2at6native12_GLOBAL__N_19NonZeroOpIfEEPKflEEPiiNS8_6detail34convert_binary_result_type_wrapperINS8_3SumESH_iEEEE10hipError_tPvRmT1_T2_T3_mT4_P12ihipStream_tbEUlT_E1_NS1_11comp_targetILNS1_3genE10ELNS1_11target_archE1200ELNS1_3gpuE4ELNS1_3repE0EEENS1_30default_config_static_selectorELNS0_4arch9wavefront6targetE0EEEvSQ_,"axG",@progbits,_ZN7rocprim17ROCPRIM_400000_NS6detail17trampoline_kernelINS0_14default_configENS1_22reduce_config_selectorIbEEZNS1_11reduce_implILb1ES3_N6hipcub16HIPCUB_304000_NS22TransformInputIteratorIbN2at6native12_GLOBAL__N_19NonZeroOpIfEEPKflEEPiiNS8_6detail34convert_binary_result_type_wrapperINS8_3SumESH_iEEEE10hipError_tPvRmT1_T2_T3_mT4_P12ihipStream_tbEUlT_E1_NS1_11comp_targetILNS1_3genE10ELNS1_11target_archE1200ELNS1_3gpuE4ELNS1_3repE0EEENS1_30default_config_static_selectorELNS0_4arch9wavefront6targetE0EEEvSQ_,comdat
.Lfunc_end455:
	.size	_ZN7rocprim17ROCPRIM_400000_NS6detail17trampoline_kernelINS0_14default_configENS1_22reduce_config_selectorIbEEZNS1_11reduce_implILb1ES3_N6hipcub16HIPCUB_304000_NS22TransformInputIteratorIbN2at6native12_GLOBAL__N_19NonZeroOpIfEEPKflEEPiiNS8_6detail34convert_binary_result_type_wrapperINS8_3SumESH_iEEEE10hipError_tPvRmT1_T2_T3_mT4_P12ihipStream_tbEUlT_E1_NS1_11comp_targetILNS1_3genE10ELNS1_11target_archE1200ELNS1_3gpuE4ELNS1_3repE0EEENS1_30default_config_static_selectorELNS0_4arch9wavefront6targetE0EEEvSQ_, .Lfunc_end455-_ZN7rocprim17ROCPRIM_400000_NS6detail17trampoline_kernelINS0_14default_configENS1_22reduce_config_selectorIbEEZNS1_11reduce_implILb1ES3_N6hipcub16HIPCUB_304000_NS22TransformInputIteratorIbN2at6native12_GLOBAL__N_19NonZeroOpIfEEPKflEEPiiNS8_6detail34convert_binary_result_type_wrapperINS8_3SumESH_iEEEE10hipError_tPvRmT1_T2_T3_mT4_P12ihipStream_tbEUlT_E1_NS1_11comp_targetILNS1_3genE10ELNS1_11target_archE1200ELNS1_3gpuE4ELNS1_3repE0EEENS1_30default_config_static_selectorELNS0_4arch9wavefront6targetE0EEEvSQ_
                                        ; -- End function
	.set _ZN7rocprim17ROCPRIM_400000_NS6detail17trampoline_kernelINS0_14default_configENS1_22reduce_config_selectorIbEEZNS1_11reduce_implILb1ES3_N6hipcub16HIPCUB_304000_NS22TransformInputIteratorIbN2at6native12_GLOBAL__N_19NonZeroOpIfEEPKflEEPiiNS8_6detail34convert_binary_result_type_wrapperINS8_3SumESH_iEEEE10hipError_tPvRmT1_T2_T3_mT4_P12ihipStream_tbEUlT_E1_NS1_11comp_targetILNS1_3genE10ELNS1_11target_archE1200ELNS1_3gpuE4ELNS1_3repE0EEENS1_30default_config_static_selectorELNS0_4arch9wavefront6targetE0EEEvSQ_.num_vgpr, 0
	.set _ZN7rocprim17ROCPRIM_400000_NS6detail17trampoline_kernelINS0_14default_configENS1_22reduce_config_selectorIbEEZNS1_11reduce_implILb1ES3_N6hipcub16HIPCUB_304000_NS22TransformInputIteratorIbN2at6native12_GLOBAL__N_19NonZeroOpIfEEPKflEEPiiNS8_6detail34convert_binary_result_type_wrapperINS8_3SumESH_iEEEE10hipError_tPvRmT1_T2_T3_mT4_P12ihipStream_tbEUlT_E1_NS1_11comp_targetILNS1_3genE10ELNS1_11target_archE1200ELNS1_3gpuE4ELNS1_3repE0EEENS1_30default_config_static_selectorELNS0_4arch9wavefront6targetE0EEEvSQ_.num_agpr, 0
	.set _ZN7rocprim17ROCPRIM_400000_NS6detail17trampoline_kernelINS0_14default_configENS1_22reduce_config_selectorIbEEZNS1_11reduce_implILb1ES3_N6hipcub16HIPCUB_304000_NS22TransformInputIteratorIbN2at6native12_GLOBAL__N_19NonZeroOpIfEEPKflEEPiiNS8_6detail34convert_binary_result_type_wrapperINS8_3SumESH_iEEEE10hipError_tPvRmT1_T2_T3_mT4_P12ihipStream_tbEUlT_E1_NS1_11comp_targetILNS1_3genE10ELNS1_11target_archE1200ELNS1_3gpuE4ELNS1_3repE0EEENS1_30default_config_static_selectorELNS0_4arch9wavefront6targetE0EEEvSQ_.numbered_sgpr, 0
	.set _ZN7rocprim17ROCPRIM_400000_NS6detail17trampoline_kernelINS0_14default_configENS1_22reduce_config_selectorIbEEZNS1_11reduce_implILb1ES3_N6hipcub16HIPCUB_304000_NS22TransformInputIteratorIbN2at6native12_GLOBAL__N_19NonZeroOpIfEEPKflEEPiiNS8_6detail34convert_binary_result_type_wrapperINS8_3SumESH_iEEEE10hipError_tPvRmT1_T2_T3_mT4_P12ihipStream_tbEUlT_E1_NS1_11comp_targetILNS1_3genE10ELNS1_11target_archE1200ELNS1_3gpuE4ELNS1_3repE0EEENS1_30default_config_static_selectorELNS0_4arch9wavefront6targetE0EEEvSQ_.num_named_barrier, 0
	.set _ZN7rocprim17ROCPRIM_400000_NS6detail17trampoline_kernelINS0_14default_configENS1_22reduce_config_selectorIbEEZNS1_11reduce_implILb1ES3_N6hipcub16HIPCUB_304000_NS22TransformInputIteratorIbN2at6native12_GLOBAL__N_19NonZeroOpIfEEPKflEEPiiNS8_6detail34convert_binary_result_type_wrapperINS8_3SumESH_iEEEE10hipError_tPvRmT1_T2_T3_mT4_P12ihipStream_tbEUlT_E1_NS1_11comp_targetILNS1_3genE10ELNS1_11target_archE1200ELNS1_3gpuE4ELNS1_3repE0EEENS1_30default_config_static_selectorELNS0_4arch9wavefront6targetE0EEEvSQ_.private_seg_size, 0
	.set _ZN7rocprim17ROCPRIM_400000_NS6detail17trampoline_kernelINS0_14default_configENS1_22reduce_config_selectorIbEEZNS1_11reduce_implILb1ES3_N6hipcub16HIPCUB_304000_NS22TransformInputIteratorIbN2at6native12_GLOBAL__N_19NonZeroOpIfEEPKflEEPiiNS8_6detail34convert_binary_result_type_wrapperINS8_3SumESH_iEEEE10hipError_tPvRmT1_T2_T3_mT4_P12ihipStream_tbEUlT_E1_NS1_11comp_targetILNS1_3genE10ELNS1_11target_archE1200ELNS1_3gpuE4ELNS1_3repE0EEENS1_30default_config_static_selectorELNS0_4arch9wavefront6targetE0EEEvSQ_.uses_vcc, 0
	.set _ZN7rocprim17ROCPRIM_400000_NS6detail17trampoline_kernelINS0_14default_configENS1_22reduce_config_selectorIbEEZNS1_11reduce_implILb1ES3_N6hipcub16HIPCUB_304000_NS22TransformInputIteratorIbN2at6native12_GLOBAL__N_19NonZeroOpIfEEPKflEEPiiNS8_6detail34convert_binary_result_type_wrapperINS8_3SumESH_iEEEE10hipError_tPvRmT1_T2_T3_mT4_P12ihipStream_tbEUlT_E1_NS1_11comp_targetILNS1_3genE10ELNS1_11target_archE1200ELNS1_3gpuE4ELNS1_3repE0EEENS1_30default_config_static_selectorELNS0_4arch9wavefront6targetE0EEEvSQ_.uses_flat_scratch, 0
	.set _ZN7rocprim17ROCPRIM_400000_NS6detail17trampoline_kernelINS0_14default_configENS1_22reduce_config_selectorIbEEZNS1_11reduce_implILb1ES3_N6hipcub16HIPCUB_304000_NS22TransformInputIteratorIbN2at6native12_GLOBAL__N_19NonZeroOpIfEEPKflEEPiiNS8_6detail34convert_binary_result_type_wrapperINS8_3SumESH_iEEEE10hipError_tPvRmT1_T2_T3_mT4_P12ihipStream_tbEUlT_E1_NS1_11comp_targetILNS1_3genE10ELNS1_11target_archE1200ELNS1_3gpuE4ELNS1_3repE0EEENS1_30default_config_static_selectorELNS0_4arch9wavefront6targetE0EEEvSQ_.has_dyn_sized_stack, 0
	.set _ZN7rocprim17ROCPRIM_400000_NS6detail17trampoline_kernelINS0_14default_configENS1_22reduce_config_selectorIbEEZNS1_11reduce_implILb1ES3_N6hipcub16HIPCUB_304000_NS22TransformInputIteratorIbN2at6native12_GLOBAL__N_19NonZeroOpIfEEPKflEEPiiNS8_6detail34convert_binary_result_type_wrapperINS8_3SumESH_iEEEE10hipError_tPvRmT1_T2_T3_mT4_P12ihipStream_tbEUlT_E1_NS1_11comp_targetILNS1_3genE10ELNS1_11target_archE1200ELNS1_3gpuE4ELNS1_3repE0EEENS1_30default_config_static_selectorELNS0_4arch9wavefront6targetE0EEEvSQ_.has_recursion, 0
	.set _ZN7rocprim17ROCPRIM_400000_NS6detail17trampoline_kernelINS0_14default_configENS1_22reduce_config_selectorIbEEZNS1_11reduce_implILb1ES3_N6hipcub16HIPCUB_304000_NS22TransformInputIteratorIbN2at6native12_GLOBAL__N_19NonZeroOpIfEEPKflEEPiiNS8_6detail34convert_binary_result_type_wrapperINS8_3SumESH_iEEEE10hipError_tPvRmT1_T2_T3_mT4_P12ihipStream_tbEUlT_E1_NS1_11comp_targetILNS1_3genE10ELNS1_11target_archE1200ELNS1_3gpuE4ELNS1_3repE0EEENS1_30default_config_static_selectorELNS0_4arch9wavefront6targetE0EEEvSQ_.has_indirect_call, 0
	.section	.AMDGPU.csdata,"",@progbits
; Kernel info:
; codeLenInByte = 0
; TotalNumSgprs: 0
; NumVgprs: 0
; ScratchSize: 0
; MemoryBound: 0
; FloatMode: 240
; IeeeMode: 1
; LDSByteSize: 0 bytes/workgroup (compile time only)
; SGPRBlocks: 0
; VGPRBlocks: 0
; NumSGPRsForWavesPerEU: 1
; NumVGPRsForWavesPerEU: 1
; Occupancy: 16
; WaveLimiterHint : 0
; COMPUTE_PGM_RSRC2:SCRATCH_EN: 0
; COMPUTE_PGM_RSRC2:USER_SGPR: 2
; COMPUTE_PGM_RSRC2:TRAP_HANDLER: 0
; COMPUTE_PGM_RSRC2:TGID_X_EN: 1
; COMPUTE_PGM_RSRC2:TGID_Y_EN: 0
; COMPUTE_PGM_RSRC2:TGID_Z_EN: 0
; COMPUTE_PGM_RSRC2:TIDIG_COMP_CNT: 0
	.section	.text._ZN7rocprim17ROCPRIM_400000_NS6detail17trampoline_kernelINS0_14default_configENS1_22reduce_config_selectorIbEEZNS1_11reduce_implILb1ES3_N6hipcub16HIPCUB_304000_NS22TransformInputIteratorIbN2at6native12_GLOBAL__N_19NonZeroOpIfEEPKflEEPiiNS8_6detail34convert_binary_result_type_wrapperINS8_3SumESH_iEEEE10hipError_tPvRmT1_T2_T3_mT4_P12ihipStream_tbEUlT_E1_NS1_11comp_targetILNS1_3genE9ELNS1_11target_archE1100ELNS1_3gpuE3ELNS1_3repE0EEENS1_30default_config_static_selectorELNS0_4arch9wavefront6targetE0EEEvSQ_,"axG",@progbits,_ZN7rocprim17ROCPRIM_400000_NS6detail17trampoline_kernelINS0_14default_configENS1_22reduce_config_selectorIbEEZNS1_11reduce_implILb1ES3_N6hipcub16HIPCUB_304000_NS22TransformInputIteratorIbN2at6native12_GLOBAL__N_19NonZeroOpIfEEPKflEEPiiNS8_6detail34convert_binary_result_type_wrapperINS8_3SumESH_iEEEE10hipError_tPvRmT1_T2_T3_mT4_P12ihipStream_tbEUlT_E1_NS1_11comp_targetILNS1_3genE9ELNS1_11target_archE1100ELNS1_3gpuE3ELNS1_3repE0EEENS1_30default_config_static_selectorELNS0_4arch9wavefront6targetE0EEEvSQ_,comdat
	.globl	_ZN7rocprim17ROCPRIM_400000_NS6detail17trampoline_kernelINS0_14default_configENS1_22reduce_config_selectorIbEEZNS1_11reduce_implILb1ES3_N6hipcub16HIPCUB_304000_NS22TransformInputIteratorIbN2at6native12_GLOBAL__N_19NonZeroOpIfEEPKflEEPiiNS8_6detail34convert_binary_result_type_wrapperINS8_3SumESH_iEEEE10hipError_tPvRmT1_T2_T3_mT4_P12ihipStream_tbEUlT_E1_NS1_11comp_targetILNS1_3genE9ELNS1_11target_archE1100ELNS1_3gpuE3ELNS1_3repE0EEENS1_30default_config_static_selectorELNS0_4arch9wavefront6targetE0EEEvSQ_ ; -- Begin function _ZN7rocprim17ROCPRIM_400000_NS6detail17trampoline_kernelINS0_14default_configENS1_22reduce_config_selectorIbEEZNS1_11reduce_implILb1ES3_N6hipcub16HIPCUB_304000_NS22TransformInputIteratorIbN2at6native12_GLOBAL__N_19NonZeroOpIfEEPKflEEPiiNS8_6detail34convert_binary_result_type_wrapperINS8_3SumESH_iEEEE10hipError_tPvRmT1_T2_T3_mT4_P12ihipStream_tbEUlT_E1_NS1_11comp_targetILNS1_3genE9ELNS1_11target_archE1100ELNS1_3gpuE3ELNS1_3repE0EEENS1_30default_config_static_selectorELNS0_4arch9wavefront6targetE0EEEvSQ_
	.p2align	8
	.type	_ZN7rocprim17ROCPRIM_400000_NS6detail17trampoline_kernelINS0_14default_configENS1_22reduce_config_selectorIbEEZNS1_11reduce_implILb1ES3_N6hipcub16HIPCUB_304000_NS22TransformInputIteratorIbN2at6native12_GLOBAL__N_19NonZeroOpIfEEPKflEEPiiNS8_6detail34convert_binary_result_type_wrapperINS8_3SumESH_iEEEE10hipError_tPvRmT1_T2_T3_mT4_P12ihipStream_tbEUlT_E1_NS1_11comp_targetILNS1_3genE9ELNS1_11target_archE1100ELNS1_3gpuE3ELNS1_3repE0EEENS1_30default_config_static_selectorELNS0_4arch9wavefront6targetE0EEEvSQ_,@function
_ZN7rocprim17ROCPRIM_400000_NS6detail17trampoline_kernelINS0_14default_configENS1_22reduce_config_selectorIbEEZNS1_11reduce_implILb1ES3_N6hipcub16HIPCUB_304000_NS22TransformInputIteratorIbN2at6native12_GLOBAL__N_19NonZeroOpIfEEPKflEEPiiNS8_6detail34convert_binary_result_type_wrapperINS8_3SumESH_iEEEE10hipError_tPvRmT1_T2_T3_mT4_P12ihipStream_tbEUlT_E1_NS1_11comp_targetILNS1_3genE9ELNS1_11target_archE1100ELNS1_3gpuE3ELNS1_3repE0EEENS1_30default_config_static_selectorELNS0_4arch9wavefront6targetE0EEEvSQ_: ; @_ZN7rocprim17ROCPRIM_400000_NS6detail17trampoline_kernelINS0_14default_configENS1_22reduce_config_selectorIbEEZNS1_11reduce_implILb1ES3_N6hipcub16HIPCUB_304000_NS22TransformInputIteratorIbN2at6native12_GLOBAL__N_19NonZeroOpIfEEPKflEEPiiNS8_6detail34convert_binary_result_type_wrapperINS8_3SumESH_iEEEE10hipError_tPvRmT1_T2_T3_mT4_P12ihipStream_tbEUlT_E1_NS1_11comp_targetILNS1_3genE9ELNS1_11target_archE1100ELNS1_3gpuE3ELNS1_3repE0EEENS1_30default_config_static_selectorELNS0_4arch9wavefront6targetE0EEEvSQ_
; %bb.0:
	.section	.rodata,"a",@progbits
	.p2align	6, 0x0
	.amdhsa_kernel _ZN7rocprim17ROCPRIM_400000_NS6detail17trampoline_kernelINS0_14default_configENS1_22reduce_config_selectorIbEEZNS1_11reduce_implILb1ES3_N6hipcub16HIPCUB_304000_NS22TransformInputIteratorIbN2at6native12_GLOBAL__N_19NonZeroOpIfEEPKflEEPiiNS8_6detail34convert_binary_result_type_wrapperINS8_3SumESH_iEEEE10hipError_tPvRmT1_T2_T3_mT4_P12ihipStream_tbEUlT_E1_NS1_11comp_targetILNS1_3genE9ELNS1_11target_archE1100ELNS1_3gpuE3ELNS1_3repE0EEENS1_30default_config_static_selectorELNS0_4arch9wavefront6targetE0EEEvSQ_
		.amdhsa_group_segment_fixed_size 0
		.amdhsa_private_segment_fixed_size 0
		.amdhsa_kernarg_size 48
		.amdhsa_user_sgpr_count 2
		.amdhsa_user_sgpr_dispatch_ptr 0
		.amdhsa_user_sgpr_queue_ptr 0
		.amdhsa_user_sgpr_kernarg_segment_ptr 1
		.amdhsa_user_sgpr_dispatch_id 0
		.amdhsa_user_sgpr_private_segment_size 0
		.amdhsa_wavefront_size32 1
		.amdhsa_uses_dynamic_stack 0
		.amdhsa_enable_private_segment 0
		.amdhsa_system_sgpr_workgroup_id_x 1
		.amdhsa_system_sgpr_workgroup_id_y 0
		.amdhsa_system_sgpr_workgroup_id_z 0
		.amdhsa_system_sgpr_workgroup_info 0
		.amdhsa_system_vgpr_workitem_id 0
		.amdhsa_next_free_vgpr 1
		.amdhsa_next_free_sgpr 1
		.amdhsa_reserve_vcc 0
		.amdhsa_float_round_mode_32 0
		.amdhsa_float_round_mode_16_64 0
		.amdhsa_float_denorm_mode_32 3
		.amdhsa_float_denorm_mode_16_64 3
		.amdhsa_fp16_overflow 0
		.amdhsa_workgroup_processor_mode 1
		.amdhsa_memory_ordered 1
		.amdhsa_forward_progress 1
		.amdhsa_inst_pref_size 0
		.amdhsa_round_robin_scheduling 0
		.amdhsa_exception_fp_ieee_invalid_op 0
		.amdhsa_exception_fp_denorm_src 0
		.amdhsa_exception_fp_ieee_div_zero 0
		.amdhsa_exception_fp_ieee_overflow 0
		.amdhsa_exception_fp_ieee_underflow 0
		.amdhsa_exception_fp_ieee_inexact 0
		.amdhsa_exception_int_div_zero 0
	.end_amdhsa_kernel
	.section	.text._ZN7rocprim17ROCPRIM_400000_NS6detail17trampoline_kernelINS0_14default_configENS1_22reduce_config_selectorIbEEZNS1_11reduce_implILb1ES3_N6hipcub16HIPCUB_304000_NS22TransformInputIteratorIbN2at6native12_GLOBAL__N_19NonZeroOpIfEEPKflEEPiiNS8_6detail34convert_binary_result_type_wrapperINS8_3SumESH_iEEEE10hipError_tPvRmT1_T2_T3_mT4_P12ihipStream_tbEUlT_E1_NS1_11comp_targetILNS1_3genE9ELNS1_11target_archE1100ELNS1_3gpuE3ELNS1_3repE0EEENS1_30default_config_static_selectorELNS0_4arch9wavefront6targetE0EEEvSQ_,"axG",@progbits,_ZN7rocprim17ROCPRIM_400000_NS6detail17trampoline_kernelINS0_14default_configENS1_22reduce_config_selectorIbEEZNS1_11reduce_implILb1ES3_N6hipcub16HIPCUB_304000_NS22TransformInputIteratorIbN2at6native12_GLOBAL__N_19NonZeroOpIfEEPKflEEPiiNS8_6detail34convert_binary_result_type_wrapperINS8_3SumESH_iEEEE10hipError_tPvRmT1_T2_T3_mT4_P12ihipStream_tbEUlT_E1_NS1_11comp_targetILNS1_3genE9ELNS1_11target_archE1100ELNS1_3gpuE3ELNS1_3repE0EEENS1_30default_config_static_selectorELNS0_4arch9wavefront6targetE0EEEvSQ_,comdat
.Lfunc_end456:
	.size	_ZN7rocprim17ROCPRIM_400000_NS6detail17trampoline_kernelINS0_14default_configENS1_22reduce_config_selectorIbEEZNS1_11reduce_implILb1ES3_N6hipcub16HIPCUB_304000_NS22TransformInputIteratorIbN2at6native12_GLOBAL__N_19NonZeroOpIfEEPKflEEPiiNS8_6detail34convert_binary_result_type_wrapperINS8_3SumESH_iEEEE10hipError_tPvRmT1_T2_T3_mT4_P12ihipStream_tbEUlT_E1_NS1_11comp_targetILNS1_3genE9ELNS1_11target_archE1100ELNS1_3gpuE3ELNS1_3repE0EEENS1_30default_config_static_selectorELNS0_4arch9wavefront6targetE0EEEvSQ_, .Lfunc_end456-_ZN7rocprim17ROCPRIM_400000_NS6detail17trampoline_kernelINS0_14default_configENS1_22reduce_config_selectorIbEEZNS1_11reduce_implILb1ES3_N6hipcub16HIPCUB_304000_NS22TransformInputIteratorIbN2at6native12_GLOBAL__N_19NonZeroOpIfEEPKflEEPiiNS8_6detail34convert_binary_result_type_wrapperINS8_3SumESH_iEEEE10hipError_tPvRmT1_T2_T3_mT4_P12ihipStream_tbEUlT_E1_NS1_11comp_targetILNS1_3genE9ELNS1_11target_archE1100ELNS1_3gpuE3ELNS1_3repE0EEENS1_30default_config_static_selectorELNS0_4arch9wavefront6targetE0EEEvSQ_
                                        ; -- End function
	.set _ZN7rocprim17ROCPRIM_400000_NS6detail17trampoline_kernelINS0_14default_configENS1_22reduce_config_selectorIbEEZNS1_11reduce_implILb1ES3_N6hipcub16HIPCUB_304000_NS22TransformInputIteratorIbN2at6native12_GLOBAL__N_19NonZeroOpIfEEPKflEEPiiNS8_6detail34convert_binary_result_type_wrapperINS8_3SumESH_iEEEE10hipError_tPvRmT1_T2_T3_mT4_P12ihipStream_tbEUlT_E1_NS1_11comp_targetILNS1_3genE9ELNS1_11target_archE1100ELNS1_3gpuE3ELNS1_3repE0EEENS1_30default_config_static_selectorELNS0_4arch9wavefront6targetE0EEEvSQ_.num_vgpr, 0
	.set _ZN7rocprim17ROCPRIM_400000_NS6detail17trampoline_kernelINS0_14default_configENS1_22reduce_config_selectorIbEEZNS1_11reduce_implILb1ES3_N6hipcub16HIPCUB_304000_NS22TransformInputIteratorIbN2at6native12_GLOBAL__N_19NonZeroOpIfEEPKflEEPiiNS8_6detail34convert_binary_result_type_wrapperINS8_3SumESH_iEEEE10hipError_tPvRmT1_T2_T3_mT4_P12ihipStream_tbEUlT_E1_NS1_11comp_targetILNS1_3genE9ELNS1_11target_archE1100ELNS1_3gpuE3ELNS1_3repE0EEENS1_30default_config_static_selectorELNS0_4arch9wavefront6targetE0EEEvSQ_.num_agpr, 0
	.set _ZN7rocprim17ROCPRIM_400000_NS6detail17trampoline_kernelINS0_14default_configENS1_22reduce_config_selectorIbEEZNS1_11reduce_implILb1ES3_N6hipcub16HIPCUB_304000_NS22TransformInputIteratorIbN2at6native12_GLOBAL__N_19NonZeroOpIfEEPKflEEPiiNS8_6detail34convert_binary_result_type_wrapperINS8_3SumESH_iEEEE10hipError_tPvRmT1_T2_T3_mT4_P12ihipStream_tbEUlT_E1_NS1_11comp_targetILNS1_3genE9ELNS1_11target_archE1100ELNS1_3gpuE3ELNS1_3repE0EEENS1_30default_config_static_selectorELNS0_4arch9wavefront6targetE0EEEvSQ_.numbered_sgpr, 0
	.set _ZN7rocprim17ROCPRIM_400000_NS6detail17trampoline_kernelINS0_14default_configENS1_22reduce_config_selectorIbEEZNS1_11reduce_implILb1ES3_N6hipcub16HIPCUB_304000_NS22TransformInputIteratorIbN2at6native12_GLOBAL__N_19NonZeroOpIfEEPKflEEPiiNS8_6detail34convert_binary_result_type_wrapperINS8_3SumESH_iEEEE10hipError_tPvRmT1_T2_T3_mT4_P12ihipStream_tbEUlT_E1_NS1_11comp_targetILNS1_3genE9ELNS1_11target_archE1100ELNS1_3gpuE3ELNS1_3repE0EEENS1_30default_config_static_selectorELNS0_4arch9wavefront6targetE0EEEvSQ_.num_named_barrier, 0
	.set _ZN7rocprim17ROCPRIM_400000_NS6detail17trampoline_kernelINS0_14default_configENS1_22reduce_config_selectorIbEEZNS1_11reduce_implILb1ES3_N6hipcub16HIPCUB_304000_NS22TransformInputIteratorIbN2at6native12_GLOBAL__N_19NonZeroOpIfEEPKflEEPiiNS8_6detail34convert_binary_result_type_wrapperINS8_3SumESH_iEEEE10hipError_tPvRmT1_T2_T3_mT4_P12ihipStream_tbEUlT_E1_NS1_11comp_targetILNS1_3genE9ELNS1_11target_archE1100ELNS1_3gpuE3ELNS1_3repE0EEENS1_30default_config_static_selectorELNS0_4arch9wavefront6targetE0EEEvSQ_.private_seg_size, 0
	.set _ZN7rocprim17ROCPRIM_400000_NS6detail17trampoline_kernelINS0_14default_configENS1_22reduce_config_selectorIbEEZNS1_11reduce_implILb1ES3_N6hipcub16HIPCUB_304000_NS22TransformInputIteratorIbN2at6native12_GLOBAL__N_19NonZeroOpIfEEPKflEEPiiNS8_6detail34convert_binary_result_type_wrapperINS8_3SumESH_iEEEE10hipError_tPvRmT1_T2_T3_mT4_P12ihipStream_tbEUlT_E1_NS1_11comp_targetILNS1_3genE9ELNS1_11target_archE1100ELNS1_3gpuE3ELNS1_3repE0EEENS1_30default_config_static_selectorELNS0_4arch9wavefront6targetE0EEEvSQ_.uses_vcc, 0
	.set _ZN7rocprim17ROCPRIM_400000_NS6detail17trampoline_kernelINS0_14default_configENS1_22reduce_config_selectorIbEEZNS1_11reduce_implILb1ES3_N6hipcub16HIPCUB_304000_NS22TransformInputIteratorIbN2at6native12_GLOBAL__N_19NonZeroOpIfEEPKflEEPiiNS8_6detail34convert_binary_result_type_wrapperINS8_3SumESH_iEEEE10hipError_tPvRmT1_T2_T3_mT4_P12ihipStream_tbEUlT_E1_NS1_11comp_targetILNS1_3genE9ELNS1_11target_archE1100ELNS1_3gpuE3ELNS1_3repE0EEENS1_30default_config_static_selectorELNS0_4arch9wavefront6targetE0EEEvSQ_.uses_flat_scratch, 0
	.set _ZN7rocprim17ROCPRIM_400000_NS6detail17trampoline_kernelINS0_14default_configENS1_22reduce_config_selectorIbEEZNS1_11reduce_implILb1ES3_N6hipcub16HIPCUB_304000_NS22TransformInputIteratorIbN2at6native12_GLOBAL__N_19NonZeroOpIfEEPKflEEPiiNS8_6detail34convert_binary_result_type_wrapperINS8_3SumESH_iEEEE10hipError_tPvRmT1_T2_T3_mT4_P12ihipStream_tbEUlT_E1_NS1_11comp_targetILNS1_3genE9ELNS1_11target_archE1100ELNS1_3gpuE3ELNS1_3repE0EEENS1_30default_config_static_selectorELNS0_4arch9wavefront6targetE0EEEvSQ_.has_dyn_sized_stack, 0
	.set _ZN7rocprim17ROCPRIM_400000_NS6detail17trampoline_kernelINS0_14default_configENS1_22reduce_config_selectorIbEEZNS1_11reduce_implILb1ES3_N6hipcub16HIPCUB_304000_NS22TransformInputIteratorIbN2at6native12_GLOBAL__N_19NonZeroOpIfEEPKflEEPiiNS8_6detail34convert_binary_result_type_wrapperINS8_3SumESH_iEEEE10hipError_tPvRmT1_T2_T3_mT4_P12ihipStream_tbEUlT_E1_NS1_11comp_targetILNS1_3genE9ELNS1_11target_archE1100ELNS1_3gpuE3ELNS1_3repE0EEENS1_30default_config_static_selectorELNS0_4arch9wavefront6targetE0EEEvSQ_.has_recursion, 0
	.set _ZN7rocprim17ROCPRIM_400000_NS6detail17trampoline_kernelINS0_14default_configENS1_22reduce_config_selectorIbEEZNS1_11reduce_implILb1ES3_N6hipcub16HIPCUB_304000_NS22TransformInputIteratorIbN2at6native12_GLOBAL__N_19NonZeroOpIfEEPKflEEPiiNS8_6detail34convert_binary_result_type_wrapperINS8_3SumESH_iEEEE10hipError_tPvRmT1_T2_T3_mT4_P12ihipStream_tbEUlT_E1_NS1_11comp_targetILNS1_3genE9ELNS1_11target_archE1100ELNS1_3gpuE3ELNS1_3repE0EEENS1_30default_config_static_selectorELNS0_4arch9wavefront6targetE0EEEvSQ_.has_indirect_call, 0
	.section	.AMDGPU.csdata,"",@progbits
; Kernel info:
; codeLenInByte = 0
; TotalNumSgprs: 0
; NumVgprs: 0
; ScratchSize: 0
; MemoryBound: 0
; FloatMode: 240
; IeeeMode: 1
; LDSByteSize: 0 bytes/workgroup (compile time only)
; SGPRBlocks: 0
; VGPRBlocks: 0
; NumSGPRsForWavesPerEU: 1
; NumVGPRsForWavesPerEU: 1
; Occupancy: 16
; WaveLimiterHint : 0
; COMPUTE_PGM_RSRC2:SCRATCH_EN: 0
; COMPUTE_PGM_RSRC2:USER_SGPR: 2
; COMPUTE_PGM_RSRC2:TRAP_HANDLER: 0
; COMPUTE_PGM_RSRC2:TGID_X_EN: 1
; COMPUTE_PGM_RSRC2:TGID_Y_EN: 0
; COMPUTE_PGM_RSRC2:TGID_Z_EN: 0
; COMPUTE_PGM_RSRC2:TIDIG_COMP_CNT: 0
	.section	.text._ZN7rocprim17ROCPRIM_400000_NS6detail17trampoline_kernelINS0_14default_configENS1_22reduce_config_selectorIbEEZNS1_11reduce_implILb1ES3_N6hipcub16HIPCUB_304000_NS22TransformInputIteratorIbN2at6native12_GLOBAL__N_19NonZeroOpIfEEPKflEEPiiNS8_6detail34convert_binary_result_type_wrapperINS8_3SumESH_iEEEE10hipError_tPvRmT1_T2_T3_mT4_P12ihipStream_tbEUlT_E1_NS1_11comp_targetILNS1_3genE8ELNS1_11target_archE1030ELNS1_3gpuE2ELNS1_3repE0EEENS1_30default_config_static_selectorELNS0_4arch9wavefront6targetE0EEEvSQ_,"axG",@progbits,_ZN7rocprim17ROCPRIM_400000_NS6detail17trampoline_kernelINS0_14default_configENS1_22reduce_config_selectorIbEEZNS1_11reduce_implILb1ES3_N6hipcub16HIPCUB_304000_NS22TransformInputIteratorIbN2at6native12_GLOBAL__N_19NonZeroOpIfEEPKflEEPiiNS8_6detail34convert_binary_result_type_wrapperINS8_3SumESH_iEEEE10hipError_tPvRmT1_T2_T3_mT4_P12ihipStream_tbEUlT_E1_NS1_11comp_targetILNS1_3genE8ELNS1_11target_archE1030ELNS1_3gpuE2ELNS1_3repE0EEENS1_30default_config_static_selectorELNS0_4arch9wavefront6targetE0EEEvSQ_,comdat
	.globl	_ZN7rocprim17ROCPRIM_400000_NS6detail17trampoline_kernelINS0_14default_configENS1_22reduce_config_selectorIbEEZNS1_11reduce_implILb1ES3_N6hipcub16HIPCUB_304000_NS22TransformInputIteratorIbN2at6native12_GLOBAL__N_19NonZeroOpIfEEPKflEEPiiNS8_6detail34convert_binary_result_type_wrapperINS8_3SumESH_iEEEE10hipError_tPvRmT1_T2_T3_mT4_P12ihipStream_tbEUlT_E1_NS1_11comp_targetILNS1_3genE8ELNS1_11target_archE1030ELNS1_3gpuE2ELNS1_3repE0EEENS1_30default_config_static_selectorELNS0_4arch9wavefront6targetE0EEEvSQ_ ; -- Begin function _ZN7rocprim17ROCPRIM_400000_NS6detail17trampoline_kernelINS0_14default_configENS1_22reduce_config_selectorIbEEZNS1_11reduce_implILb1ES3_N6hipcub16HIPCUB_304000_NS22TransformInputIteratorIbN2at6native12_GLOBAL__N_19NonZeroOpIfEEPKflEEPiiNS8_6detail34convert_binary_result_type_wrapperINS8_3SumESH_iEEEE10hipError_tPvRmT1_T2_T3_mT4_P12ihipStream_tbEUlT_E1_NS1_11comp_targetILNS1_3genE8ELNS1_11target_archE1030ELNS1_3gpuE2ELNS1_3repE0EEENS1_30default_config_static_selectorELNS0_4arch9wavefront6targetE0EEEvSQ_
	.p2align	8
	.type	_ZN7rocprim17ROCPRIM_400000_NS6detail17trampoline_kernelINS0_14default_configENS1_22reduce_config_selectorIbEEZNS1_11reduce_implILb1ES3_N6hipcub16HIPCUB_304000_NS22TransformInputIteratorIbN2at6native12_GLOBAL__N_19NonZeroOpIfEEPKflEEPiiNS8_6detail34convert_binary_result_type_wrapperINS8_3SumESH_iEEEE10hipError_tPvRmT1_T2_T3_mT4_P12ihipStream_tbEUlT_E1_NS1_11comp_targetILNS1_3genE8ELNS1_11target_archE1030ELNS1_3gpuE2ELNS1_3repE0EEENS1_30default_config_static_selectorELNS0_4arch9wavefront6targetE0EEEvSQ_,@function
_ZN7rocprim17ROCPRIM_400000_NS6detail17trampoline_kernelINS0_14default_configENS1_22reduce_config_selectorIbEEZNS1_11reduce_implILb1ES3_N6hipcub16HIPCUB_304000_NS22TransformInputIteratorIbN2at6native12_GLOBAL__N_19NonZeroOpIfEEPKflEEPiiNS8_6detail34convert_binary_result_type_wrapperINS8_3SumESH_iEEEE10hipError_tPvRmT1_T2_T3_mT4_P12ihipStream_tbEUlT_E1_NS1_11comp_targetILNS1_3genE8ELNS1_11target_archE1030ELNS1_3gpuE2ELNS1_3repE0EEENS1_30default_config_static_selectorELNS0_4arch9wavefront6targetE0EEEvSQ_: ; @_ZN7rocprim17ROCPRIM_400000_NS6detail17trampoline_kernelINS0_14default_configENS1_22reduce_config_selectorIbEEZNS1_11reduce_implILb1ES3_N6hipcub16HIPCUB_304000_NS22TransformInputIteratorIbN2at6native12_GLOBAL__N_19NonZeroOpIfEEPKflEEPiiNS8_6detail34convert_binary_result_type_wrapperINS8_3SumESH_iEEEE10hipError_tPvRmT1_T2_T3_mT4_P12ihipStream_tbEUlT_E1_NS1_11comp_targetILNS1_3genE8ELNS1_11target_archE1030ELNS1_3gpuE2ELNS1_3repE0EEENS1_30default_config_static_selectorELNS0_4arch9wavefront6targetE0EEEvSQ_
; %bb.0:
	.section	.rodata,"a",@progbits
	.p2align	6, 0x0
	.amdhsa_kernel _ZN7rocprim17ROCPRIM_400000_NS6detail17trampoline_kernelINS0_14default_configENS1_22reduce_config_selectorIbEEZNS1_11reduce_implILb1ES3_N6hipcub16HIPCUB_304000_NS22TransformInputIteratorIbN2at6native12_GLOBAL__N_19NonZeroOpIfEEPKflEEPiiNS8_6detail34convert_binary_result_type_wrapperINS8_3SumESH_iEEEE10hipError_tPvRmT1_T2_T3_mT4_P12ihipStream_tbEUlT_E1_NS1_11comp_targetILNS1_3genE8ELNS1_11target_archE1030ELNS1_3gpuE2ELNS1_3repE0EEENS1_30default_config_static_selectorELNS0_4arch9wavefront6targetE0EEEvSQ_
		.amdhsa_group_segment_fixed_size 0
		.amdhsa_private_segment_fixed_size 0
		.amdhsa_kernarg_size 48
		.amdhsa_user_sgpr_count 2
		.amdhsa_user_sgpr_dispatch_ptr 0
		.amdhsa_user_sgpr_queue_ptr 0
		.amdhsa_user_sgpr_kernarg_segment_ptr 1
		.amdhsa_user_sgpr_dispatch_id 0
		.amdhsa_user_sgpr_private_segment_size 0
		.amdhsa_wavefront_size32 1
		.amdhsa_uses_dynamic_stack 0
		.amdhsa_enable_private_segment 0
		.amdhsa_system_sgpr_workgroup_id_x 1
		.amdhsa_system_sgpr_workgroup_id_y 0
		.amdhsa_system_sgpr_workgroup_id_z 0
		.amdhsa_system_sgpr_workgroup_info 0
		.amdhsa_system_vgpr_workitem_id 0
		.amdhsa_next_free_vgpr 1
		.amdhsa_next_free_sgpr 1
		.amdhsa_reserve_vcc 0
		.amdhsa_float_round_mode_32 0
		.amdhsa_float_round_mode_16_64 0
		.amdhsa_float_denorm_mode_32 3
		.amdhsa_float_denorm_mode_16_64 3
		.amdhsa_fp16_overflow 0
		.amdhsa_workgroup_processor_mode 1
		.amdhsa_memory_ordered 1
		.amdhsa_forward_progress 1
		.amdhsa_inst_pref_size 0
		.amdhsa_round_robin_scheduling 0
		.amdhsa_exception_fp_ieee_invalid_op 0
		.amdhsa_exception_fp_denorm_src 0
		.amdhsa_exception_fp_ieee_div_zero 0
		.amdhsa_exception_fp_ieee_overflow 0
		.amdhsa_exception_fp_ieee_underflow 0
		.amdhsa_exception_fp_ieee_inexact 0
		.amdhsa_exception_int_div_zero 0
	.end_amdhsa_kernel
	.section	.text._ZN7rocprim17ROCPRIM_400000_NS6detail17trampoline_kernelINS0_14default_configENS1_22reduce_config_selectorIbEEZNS1_11reduce_implILb1ES3_N6hipcub16HIPCUB_304000_NS22TransformInputIteratorIbN2at6native12_GLOBAL__N_19NonZeroOpIfEEPKflEEPiiNS8_6detail34convert_binary_result_type_wrapperINS8_3SumESH_iEEEE10hipError_tPvRmT1_T2_T3_mT4_P12ihipStream_tbEUlT_E1_NS1_11comp_targetILNS1_3genE8ELNS1_11target_archE1030ELNS1_3gpuE2ELNS1_3repE0EEENS1_30default_config_static_selectorELNS0_4arch9wavefront6targetE0EEEvSQ_,"axG",@progbits,_ZN7rocprim17ROCPRIM_400000_NS6detail17trampoline_kernelINS0_14default_configENS1_22reduce_config_selectorIbEEZNS1_11reduce_implILb1ES3_N6hipcub16HIPCUB_304000_NS22TransformInputIteratorIbN2at6native12_GLOBAL__N_19NonZeroOpIfEEPKflEEPiiNS8_6detail34convert_binary_result_type_wrapperINS8_3SumESH_iEEEE10hipError_tPvRmT1_T2_T3_mT4_P12ihipStream_tbEUlT_E1_NS1_11comp_targetILNS1_3genE8ELNS1_11target_archE1030ELNS1_3gpuE2ELNS1_3repE0EEENS1_30default_config_static_selectorELNS0_4arch9wavefront6targetE0EEEvSQ_,comdat
.Lfunc_end457:
	.size	_ZN7rocprim17ROCPRIM_400000_NS6detail17trampoline_kernelINS0_14default_configENS1_22reduce_config_selectorIbEEZNS1_11reduce_implILb1ES3_N6hipcub16HIPCUB_304000_NS22TransformInputIteratorIbN2at6native12_GLOBAL__N_19NonZeroOpIfEEPKflEEPiiNS8_6detail34convert_binary_result_type_wrapperINS8_3SumESH_iEEEE10hipError_tPvRmT1_T2_T3_mT4_P12ihipStream_tbEUlT_E1_NS1_11comp_targetILNS1_3genE8ELNS1_11target_archE1030ELNS1_3gpuE2ELNS1_3repE0EEENS1_30default_config_static_selectorELNS0_4arch9wavefront6targetE0EEEvSQ_, .Lfunc_end457-_ZN7rocprim17ROCPRIM_400000_NS6detail17trampoline_kernelINS0_14default_configENS1_22reduce_config_selectorIbEEZNS1_11reduce_implILb1ES3_N6hipcub16HIPCUB_304000_NS22TransformInputIteratorIbN2at6native12_GLOBAL__N_19NonZeroOpIfEEPKflEEPiiNS8_6detail34convert_binary_result_type_wrapperINS8_3SumESH_iEEEE10hipError_tPvRmT1_T2_T3_mT4_P12ihipStream_tbEUlT_E1_NS1_11comp_targetILNS1_3genE8ELNS1_11target_archE1030ELNS1_3gpuE2ELNS1_3repE0EEENS1_30default_config_static_selectorELNS0_4arch9wavefront6targetE0EEEvSQ_
                                        ; -- End function
	.set _ZN7rocprim17ROCPRIM_400000_NS6detail17trampoline_kernelINS0_14default_configENS1_22reduce_config_selectorIbEEZNS1_11reduce_implILb1ES3_N6hipcub16HIPCUB_304000_NS22TransformInputIteratorIbN2at6native12_GLOBAL__N_19NonZeroOpIfEEPKflEEPiiNS8_6detail34convert_binary_result_type_wrapperINS8_3SumESH_iEEEE10hipError_tPvRmT1_T2_T3_mT4_P12ihipStream_tbEUlT_E1_NS1_11comp_targetILNS1_3genE8ELNS1_11target_archE1030ELNS1_3gpuE2ELNS1_3repE0EEENS1_30default_config_static_selectorELNS0_4arch9wavefront6targetE0EEEvSQ_.num_vgpr, 0
	.set _ZN7rocprim17ROCPRIM_400000_NS6detail17trampoline_kernelINS0_14default_configENS1_22reduce_config_selectorIbEEZNS1_11reduce_implILb1ES3_N6hipcub16HIPCUB_304000_NS22TransformInputIteratorIbN2at6native12_GLOBAL__N_19NonZeroOpIfEEPKflEEPiiNS8_6detail34convert_binary_result_type_wrapperINS8_3SumESH_iEEEE10hipError_tPvRmT1_T2_T3_mT4_P12ihipStream_tbEUlT_E1_NS1_11comp_targetILNS1_3genE8ELNS1_11target_archE1030ELNS1_3gpuE2ELNS1_3repE0EEENS1_30default_config_static_selectorELNS0_4arch9wavefront6targetE0EEEvSQ_.num_agpr, 0
	.set _ZN7rocprim17ROCPRIM_400000_NS6detail17trampoline_kernelINS0_14default_configENS1_22reduce_config_selectorIbEEZNS1_11reduce_implILb1ES3_N6hipcub16HIPCUB_304000_NS22TransformInputIteratorIbN2at6native12_GLOBAL__N_19NonZeroOpIfEEPKflEEPiiNS8_6detail34convert_binary_result_type_wrapperINS8_3SumESH_iEEEE10hipError_tPvRmT1_T2_T3_mT4_P12ihipStream_tbEUlT_E1_NS1_11comp_targetILNS1_3genE8ELNS1_11target_archE1030ELNS1_3gpuE2ELNS1_3repE0EEENS1_30default_config_static_selectorELNS0_4arch9wavefront6targetE0EEEvSQ_.numbered_sgpr, 0
	.set _ZN7rocprim17ROCPRIM_400000_NS6detail17trampoline_kernelINS0_14default_configENS1_22reduce_config_selectorIbEEZNS1_11reduce_implILb1ES3_N6hipcub16HIPCUB_304000_NS22TransformInputIteratorIbN2at6native12_GLOBAL__N_19NonZeroOpIfEEPKflEEPiiNS8_6detail34convert_binary_result_type_wrapperINS8_3SumESH_iEEEE10hipError_tPvRmT1_T2_T3_mT4_P12ihipStream_tbEUlT_E1_NS1_11comp_targetILNS1_3genE8ELNS1_11target_archE1030ELNS1_3gpuE2ELNS1_3repE0EEENS1_30default_config_static_selectorELNS0_4arch9wavefront6targetE0EEEvSQ_.num_named_barrier, 0
	.set _ZN7rocprim17ROCPRIM_400000_NS6detail17trampoline_kernelINS0_14default_configENS1_22reduce_config_selectorIbEEZNS1_11reduce_implILb1ES3_N6hipcub16HIPCUB_304000_NS22TransformInputIteratorIbN2at6native12_GLOBAL__N_19NonZeroOpIfEEPKflEEPiiNS8_6detail34convert_binary_result_type_wrapperINS8_3SumESH_iEEEE10hipError_tPvRmT1_T2_T3_mT4_P12ihipStream_tbEUlT_E1_NS1_11comp_targetILNS1_3genE8ELNS1_11target_archE1030ELNS1_3gpuE2ELNS1_3repE0EEENS1_30default_config_static_selectorELNS0_4arch9wavefront6targetE0EEEvSQ_.private_seg_size, 0
	.set _ZN7rocprim17ROCPRIM_400000_NS6detail17trampoline_kernelINS0_14default_configENS1_22reduce_config_selectorIbEEZNS1_11reduce_implILb1ES3_N6hipcub16HIPCUB_304000_NS22TransformInputIteratorIbN2at6native12_GLOBAL__N_19NonZeroOpIfEEPKflEEPiiNS8_6detail34convert_binary_result_type_wrapperINS8_3SumESH_iEEEE10hipError_tPvRmT1_T2_T3_mT4_P12ihipStream_tbEUlT_E1_NS1_11comp_targetILNS1_3genE8ELNS1_11target_archE1030ELNS1_3gpuE2ELNS1_3repE0EEENS1_30default_config_static_selectorELNS0_4arch9wavefront6targetE0EEEvSQ_.uses_vcc, 0
	.set _ZN7rocprim17ROCPRIM_400000_NS6detail17trampoline_kernelINS0_14default_configENS1_22reduce_config_selectorIbEEZNS1_11reduce_implILb1ES3_N6hipcub16HIPCUB_304000_NS22TransformInputIteratorIbN2at6native12_GLOBAL__N_19NonZeroOpIfEEPKflEEPiiNS8_6detail34convert_binary_result_type_wrapperINS8_3SumESH_iEEEE10hipError_tPvRmT1_T2_T3_mT4_P12ihipStream_tbEUlT_E1_NS1_11comp_targetILNS1_3genE8ELNS1_11target_archE1030ELNS1_3gpuE2ELNS1_3repE0EEENS1_30default_config_static_selectorELNS0_4arch9wavefront6targetE0EEEvSQ_.uses_flat_scratch, 0
	.set _ZN7rocprim17ROCPRIM_400000_NS6detail17trampoline_kernelINS0_14default_configENS1_22reduce_config_selectorIbEEZNS1_11reduce_implILb1ES3_N6hipcub16HIPCUB_304000_NS22TransformInputIteratorIbN2at6native12_GLOBAL__N_19NonZeroOpIfEEPKflEEPiiNS8_6detail34convert_binary_result_type_wrapperINS8_3SumESH_iEEEE10hipError_tPvRmT1_T2_T3_mT4_P12ihipStream_tbEUlT_E1_NS1_11comp_targetILNS1_3genE8ELNS1_11target_archE1030ELNS1_3gpuE2ELNS1_3repE0EEENS1_30default_config_static_selectorELNS0_4arch9wavefront6targetE0EEEvSQ_.has_dyn_sized_stack, 0
	.set _ZN7rocprim17ROCPRIM_400000_NS6detail17trampoline_kernelINS0_14default_configENS1_22reduce_config_selectorIbEEZNS1_11reduce_implILb1ES3_N6hipcub16HIPCUB_304000_NS22TransformInputIteratorIbN2at6native12_GLOBAL__N_19NonZeroOpIfEEPKflEEPiiNS8_6detail34convert_binary_result_type_wrapperINS8_3SumESH_iEEEE10hipError_tPvRmT1_T2_T3_mT4_P12ihipStream_tbEUlT_E1_NS1_11comp_targetILNS1_3genE8ELNS1_11target_archE1030ELNS1_3gpuE2ELNS1_3repE0EEENS1_30default_config_static_selectorELNS0_4arch9wavefront6targetE0EEEvSQ_.has_recursion, 0
	.set _ZN7rocprim17ROCPRIM_400000_NS6detail17trampoline_kernelINS0_14default_configENS1_22reduce_config_selectorIbEEZNS1_11reduce_implILb1ES3_N6hipcub16HIPCUB_304000_NS22TransformInputIteratorIbN2at6native12_GLOBAL__N_19NonZeroOpIfEEPKflEEPiiNS8_6detail34convert_binary_result_type_wrapperINS8_3SumESH_iEEEE10hipError_tPvRmT1_T2_T3_mT4_P12ihipStream_tbEUlT_E1_NS1_11comp_targetILNS1_3genE8ELNS1_11target_archE1030ELNS1_3gpuE2ELNS1_3repE0EEENS1_30default_config_static_selectorELNS0_4arch9wavefront6targetE0EEEvSQ_.has_indirect_call, 0
	.section	.AMDGPU.csdata,"",@progbits
; Kernel info:
; codeLenInByte = 0
; TotalNumSgprs: 0
; NumVgprs: 0
; ScratchSize: 0
; MemoryBound: 0
; FloatMode: 240
; IeeeMode: 1
; LDSByteSize: 0 bytes/workgroup (compile time only)
; SGPRBlocks: 0
; VGPRBlocks: 0
; NumSGPRsForWavesPerEU: 1
; NumVGPRsForWavesPerEU: 1
; Occupancy: 16
; WaveLimiterHint : 0
; COMPUTE_PGM_RSRC2:SCRATCH_EN: 0
; COMPUTE_PGM_RSRC2:USER_SGPR: 2
; COMPUTE_PGM_RSRC2:TRAP_HANDLER: 0
; COMPUTE_PGM_RSRC2:TGID_X_EN: 1
; COMPUTE_PGM_RSRC2:TGID_Y_EN: 0
; COMPUTE_PGM_RSRC2:TGID_Z_EN: 0
; COMPUTE_PGM_RSRC2:TIDIG_COMP_CNT: 0
	.section	.text._ZN7rocprim17ROCPRIM_400000_NS6detail17trampoline_kernelINS0_14default_configENS1_25partition_config_selectorILNS1_17partition_subalgoE5ElNS0_10empty_typeEbEEZZNS1_14partition_implILS5_5ELb0ES3_mN6hipcub16HIPCUB_304000_NS21CountingInputIteratorIllEEPS6_NSA_22TransformInputIteratorIbN2at6native12_GLOBAL__N_19NonZeroOpIfEEPKflEENS0_5tupleIJPlS6_EEENSN_IJSD_SD_EEES6_PiJS6_EEE10hipError_tPvRmT3_T4_T5_T6_T7_T9_mT8_P12ihipStream_tbDpT10_ENKUlT_T0_E_clISt17integral_constantIbLb0EES1B_EEDaS16_S17_EUlS16_E_NS1_11comp_targetILNS1_3genE0ELNS1_11target_archE4294967295ELNS1_3gpuE0ELNS1_3repE0EEENS1_30default_config_static_selectorELNS0_4arch9wavefront6targetE0EEEvT1_,"axG",@progbits,_ZN7rocprim17ROCPRIM_400000_NS6detail17trampoline_kernelINS0_14default_configENS1_25partition_config_selectorILNS1_17partition_subalgoE5ElNS0_10empty_typeEbEEZZNS1_14partition_implILS5_5ELb0ES3_mN6hipcub16HIPCUB_304000_NS21CountingInputIteratorIllEEPS6_NSA_22TransformInputIteratorIbN2at6native12_GLOBAL__N_19NonZeroOpIfEEPKflEENS0_5tupleIJPlS6_EEENSN_IJSD_SD_EEES6_PiJS6_EEE10hipError_tPvRmT3_T4_T5_T6_T7_T9_mT8_P12ihipStream_tbDpT10_ENKUlT_T0_E_clISt17integral_constantIbLb0EES1B_EEDaS16_S17_EUlS16_E_NS1_11comp_targetILNS1_3genE0ELNS1_11target_archE4294967295ELNS1_3gpuE0ELNS1_3repE0EEENS1_30default_config_static_selectorELNS0_4arch9wavefront6targetE0EEEvT1_,comdat
	.globl	_ZN7rocprim17ROCPRIM_400000_NS6detail17trampoline_kernelINS0_14default_configENS1_25partition_config_selectorILNS1_17partition_subalgoE5ElNS0_10empty_typeEbEEZZNS1_14partition_implILS5_5ELb0ES3_mN6hipcub16HIPCUB_304000_NS21CountingInputIteratorIllEEPS6_NSA_22TransformInputIteratorIbN2at6native12_GLOBAL__N_19NonZeroOpIfEEPKflEENS0_5tupleIJPlS6_EEENSN_IJSD_SD_EEES6_PiJS6_EEE10hipError_tPvRmT3_T4_T5_T6_T7_T9_mT8_P12ihipStream_tbDpT10_ENKUlT_T0_E_clISt17integral_constantIbLb0EES1B_EEDaS16_S17_EUlS16_E_NS1_11comp_targetILNS1_3genE0ELNS1_11target_archE4294967295ELNS1_3gpuE0ELNS1_3repE0EEENS1_30default_config_static_selectorELNS0_4arch9wavefront6targetE0EEEvT1_ ; -- Begin function _ZN7rocprim17ROCPRIM_400000_NS6detail17trampoline_kernelINS0_14default_configENS1_25partition_config_selectorILNS1_17partition_subalgoE5ElNS0_10empty_typeEbEEZZNS1_14partition_implILS5_5ELb0ES3_mN6hipcub16HIPCUB_304000_NS21CountingInputIteratorIllEEPS6_NSA_22TransformInputIteratorIbN2at6native12_GLOBAL__N_19NonZeroOpIfEEPKflEENS0_5tupleIJPlS6_EEENSN_IJSD_SD_EEES6_PiJS6_EEE10hipError_tPvRmT3_T4_T5_T6_T7_T9_mT8_P12ihipStream_tbDpT10_ENKUlT_T0_E_clISt17integral_constantIbLb0EES1B_EEDaS16_S17_EUlS16_E_NS1_11comp_targetILNS1_3genE0ELNS1_11target_archE4294967295ELNS1_3gpuE0ELNS1_3repE0EEENS1_30default_config_static_selectorELNS0_4arch9wavefront6targetE0EEEvT1_
	.p2align	8
	.type	_ZN7rocprim17ROCPRIM_400000_NS6detail17trampoline_kernelINS0_14default_configENS1_25partition_config_selectorILNS1_17partition_subalgoE5ElNS0_10empty_typeEbEEZZNS1_14partition_implILS5_5ELb0ES3_mN6hipcub16HIPCUB_304000_NS21CountingInputIteratorIllEEPS6_NSA_22TransformInputIteratorIbN2at6native12_GLOBAL__N_19NonZeroOpIfEEPKflEENS0_5tupleIJPlS6_EEENSN_IJSD_SD_EEES6_PiJS6_EEE10hipError_tPvRmT3_T4_T5_T6_T7_T9_mT8_P12ihipStream_tbDpT10_ENKUlT_T0_E_clISt17integral_constantIbLb0EES1B_EEDaS16_S17_EUlS16_E_NS1_11comp_targetILNS1_3genE0ELNS1_11target_archE4294967295ELNS1_3gpuE0ELNS1_3repE0EEENS1_30default_config_static_selectorELNS0_4arch9wavefront6targetE0EEEvT1_,@function
_ZN7rocprim17ROCPRIM_400000_NS6detail17trampoline_kernelINS0_14default_configENS1_25partition_config_selectorILNS1_17partition_subalgoE5ElNS0_10empty_typeEbEEZZNS1_14partition_implILS5_5ELb0ES3_mN6hipcub16HIPCUB_304000_NS21CountingInputIteratorIllEEPS6_NSA_22TransformInputIteratorIbN2at6native12_GLOBAL__N_19NonZeroOpIfEEPKflEENS0_5tupleIJPlS6_EEENSN_IJSD_SD_EEES6_PiJS6_EEE10hipError_tPvRmT3_T4_T5_T6_T7_T9_mT8_P12ihipStream_tbDpT10_ENKUlT_T0_E_clISt17integral_constantIbLb0EES1B_EEDaS16_S17_EUlS16_E_NS1_11comp_targetILNS1_3genE0ELNS1_11target_archE4294967295ELNS1_3gpuE0ELNS1_3repE0EEENS1_30default_config_static_selectorELNS0_4arch9wavefront6targetE0EEEvT1_: ; @_ZN7rocprim17ROCPRIM_400000_NS6detail17trampoline_kernelINS0_14default_configENS1_25partition_config_selectorILNS1_17partition_subalgoE5ElNS0_10empty_typeEbEEZZNS1_14partition_implILS5_5ELb0ES3_mN6hipcub16HIPCUB_304000_NS21CountingInputIteratorIllEEPS6_NSA_22TransformInputIteratorIbN2at6native12_GLOBAL__N_19NonZeroOpIfEEPKflEENS0_5tupleIJPlS6_EEENSN_IJSD_SD_EEES6_PiJS6_EEE10hipError_tPvRmT3_T4_T5_T6_T7_T9_mT8_P12ihipStream_tbDpT10_ENKUlT_T0_E_clISt17integral_constantIbLb0EES1B_EEDaS16_S17_EUlS16_E_NS1_11comp_targetILNS1_3genE0ELNS1_11target_archE4294967295ELNS1_3gpuE0ELNS1_3repE0EEENS1_30default_config_static_selectorELNS0_4arch9wavefront6targetE0EEEvT1_
; %bb.0:
	.section	.rodata,"a",@progbits
	.p2align	6, 0x0
	.amdhsa_kernel _ZN7rocprim17ROCPRIM_400000_NS6detail17trampoline_kernelINS0_14default_configENS1_25partition_config_selectorILNS1_17partition_subalgoE5ElNS0_10empty_typeEbEEZZNS1_14partition_implILS5_5ELb0ES3_mN6hipcub16HIPCUB_304000_NS21CountingInputIteratorIllEEPS6_NSA_22TransformInputIteratorIbN2at6native12_GLOBAL__N_19NonZeroOpIfEEPKflEENS0_5tupleIJPlS6_EEENSN_IJSD_SD_EEES6_PiJS6_EEE10hipError_tPvRmT3_T4_T5_T6_T7_T9_mT8_P12ihipStream_tbDpT10_ENKUlT_T0_E_clISt17integral_constantIbLb0EES1B_EEDaS16_S17_EUlS16_E_NS1_11comp_targetILNS1_3genE0ELNS1_11target_archE4294967295ELNS1_3gpuE0ELNS1_3repE0EEENS1_30default_config_static_selectorELNS0_4arch9wavefront6targetE0EEEvT1_
		.amdhsa_group_segment_fixed_size 0
		.amdhsa_private_segment_fixed_size 0
		.amdhsa_kernarg_size 120
		.amdhsa_user_sgpr_count 2
		.amdhsa_user_sgpr_dispatch_ptr 0
		.amdhsa_user_sgpr_queue_ptr 0
		.amdhsa_user_sgpr_kernarg_segment_ptr 1
		.amdhsa_user_sgpr_dispatch_id 0
		.amdhsa_user_sgpr_private_segment_size 0
		.amdhsa_wavefront_size32 1
		.amdhsa_uses_dynamic_stack 0
		.amdhsa_enable_private_segment 0
		.amdhsa_system_sgpr_workgroup_id_x 1
		.amdhsa_system_sgpr_workgroup_id_y 0
		.amdhsa_system_sgpr_workgroup_id_z 0
		.amdhsa_system_sgpr_workgroup_info 0
		.amdhsa_system_vgpr_workitem_id 0
		.amdhsa_next_free_vgpr 1
		.amdhsa_next_free_sgpr 1
		.amdhsa_reserve_vcc 0
		.amdhsa_float_round_mode_32 0
		.amdhsa_float_round_mode_16_64 0
		.amdhsa_float_denorm_mode_32 3
		.amdhsa_float_denorm_mode_16_64 3
		.amdhsa_fp16_overflow 0
		.amdhsa_workgroup_processor_mode 1
		.amdhsa_memory_ordered 1
		.amdhsa_forward_progress 1
		.amdhsa_inst_pref_size 0
		.amdhsa_round_robin_scheduling 0
		.amdhsa_exception_fp_ieee_invalid_op 0
		.amdhsa_exception_fp_denorm_src 0
		.amdhsa_exception_fp_ieee_div_zero 0
		.amdhsa_exception_fp_ieee_overflow 0
		.amdhsa_exception_fp_ieee_underflow 0
		.amdhsa_exception_fp_ieee_inexact 0
		.amdhsa_exception_int_div_zero 0
	.end_amdhsa_kernel
	.section	.text._ZN7rocprim17ROCPRIM_400000_NS6detail17trampoline_kernelINS0_14default_configENS1_25partition_config_selectorILNS1_17partition_subalgoE5ElNS0_10empty_typeEbEEZZNS1_14partition_implILS5_5ELb0ES3_mN6hipcub16HIPCUB_304000_NS21CountingInputIteratorIllEEPS6_NSA_22TransformInputIteratorIbN2at6native12_GLOBAL__N_19NonZeroOpIfEEPKflEENS0_5tupleIJPlS6_EEENSN_IJSD_SD_EEES6_PiJS6_EEE10hipError_tPvRmT3_T4_T5_T6_T7_T9_mT8_P12ihipStream_tbDpT10_ENKUlT_T0_E_clISt17integral_constantIbLb0EES1B_EEDaS16_S17_EUlS16_E_NS1_11comp_targetILNS1_3genE0ELNS1_11target_archE4294967295ELNS1_3gpuE0ELNS1_3repE0EEENS1_30default_config_static_selectorELNS0_4arch9wavefront6targetE0EEEvT1_,"axG",@progbits,_ZN7rocprim17ROCPRIM_400000_NS6detail17trampoline_kernelINS0_14default_configENS1_25partition_config_selectorILNS1_17partition_subalgoE5ElNS0_10empty_typeEbEEZZNS1_14partition_implILS5_5ELb0ES3_mN6hipcub16HIPCUB_304000_NS21CountingInputIteratorIllEEPS6_NSA_22TransformInputIteratorIbN2at6native12_GLOBAL__N_19NonZeroOpIfEEPKflEENS0_5tupleIJPlS6_EEENSN_IJSD_SD_EEES6_PiJS6_EEE10hipError_tPvRmT3_T4_T5_T6_T7_T9_mT8_P12ihipStream_tbDpT10_ENKUlT_T0_E_clISt17integral_constantIbLb0EES1B_EEDaS16_S17_EUlS16_E_NS1_11comp_targetILNS1_3genE0ELNS1_11target_archE4294967295ELNS1_3gpuE0ELNS1_3repE0EEENS1_30default_config_static_selectorELNS0_4arch9wavefront6targetE0EEEvT1_,comdat
.Lfunc_end458:
	.size	_ZN7rocprim17ROCPRIM_400000_NS6detail17trampoline_kernelINS0_14default_configENS1_25partition_config_selectorILNS1_17partition_subalgoE5ElNS0_10empty_typeEbEEZZNS1_14partition_implILS5_5ELb0ES3_mN6hipcub16HIPCUB_304000_NS21CountingInputIteratorIllEEPS6_NSA_22TransformInputIteratorIbN2at6native12_GLOBAL__N_19NonZeroOpIfEEPKflEENS0_5tupleIJPlS6_EEENSN_IJSD_SD_EEES6_PiJS6_EEE10hipError_tPvRmT3_T4_T5_T6_T7_T9_mT8_P12ihipStream_tbDpT10_ENKUlT_T0_E_clISt17integral_constantIbLb0EES1B_EEDaS16_S17_EUlS16_E_NS1_11comp_targetILNS1_3genE0ELNS1_11target_archE4294967295ELNS1_3gpuE0ELNS1_3repE0EEENS1_30default_config_static_selectorELNS0_4arch9wavefront6targetE0EEEvT1_, .Lfunc_end458-_ZN7rocprim17ROCPRIM_400000_NS6detail17trampoline_kernelINS0_14default_configENS1_25partition_config_selectorILNS1_17partition_subalgoE5ElNS0_10empty_typeEbEEZZNS1_14partition_implILS5_5ELb0ES3_mN6hipcub16HIPCUB_304000_NS21CountingInputIteratorIllEEPS6_NSA_22TransformInputIteratorIbN2at6native12_GLOBAL__N_19NonZeroOpIfEEPKflEENS0_5tupleIJPlS6_EEENSN_IJSD_SD_EEES6_PiJS6_EEE10hipError_tPvRmT3_T4_T5_T6_T7_T9_mT8_P12ihipStream_tbDpT10_ENKUlT_T0_E_clISt17integral_constantIbLb0EES1B_EEDaS16_S17_EUlS16_E_NS1_11comp_targetILNS1_3genE0ELNS1_11target_archE4294967295ELNS1_3gpuE0ELNS1_3repE0EEENS1_30default_config_static_selectorELNS0_4arch9wavefront6targetE0EEEvT1_
                                        ; -- End function
	.set _ZN7rocprim17ROCPRIM_400000_NS6detail17trampoline_kernelINS0_14default_configENS1_25partition_config_selectorILNS1_17partition_subalgoE5ElNS0_10empty_typeEbEEZZNS1_14partition_implILS5_5ELb0ES3_mN6hipcub16HIPCUB_304000_NS21CountingInputIteratorIllEEPS6_NSA_22TransformInputIteratorIbN2at6native12_GLOBAL__N_19NonZeroOpIfEEPKflEENS0_5tupleIJPlS6_EEENSN_IJSD_SD_EEES6_PiJS6_EEE10hipError_tPvRmT3_T4_T5_T6_T7_T9_mT8_P12ihipStream_tbDpT10_ENKUlT_T0_E_clISt17integral_constantIbLb0EES1B_EEDaS16_S17_EUlS16_E_NS1_11comp_targetILNS1_3genE0ELNS1_11target_archE4294967295ELNS1_3gpuE0ELNS1_3repE0EEENS1_30default_config_static_selectorELNS0_4arch9wavefront6targetE0EEEvT1_.num_vgpr, 0
	.set _ZN7rocprim17ROCPRIM_400000_NS6detail17trampoline_kernelINS0_14default_configENS1_25partition_config_selectorILNS1_17partition_subalgoE5ElNS0_10empty_typeEbEEZZNS1_14partition_implILS5_5ELb0ES3_mN6hipcub16HIPCUB_304000_NS21CountingInputIteratorIllEEPS6_NSA_22TransformInputIteratorIbN2at6native12_GLOBAL__N_19NonZeroOpIfEEPKflEENS0_5tupleIJPlS6_EEENSN_IJSD_SD_EEES6_PiJS6_EEE10hipError_tPvRmT3_T4_T5_T6_T7_T9_mT8_P12ihipStream_tbDpT10_ENKUlT_T0_E_clISt17integral_constantIbLb0EES1B_EEDaS16_S17_EUlS16_E_NS1_11comp_targetILNS1_3genE0ELNS1_11target_archE4294967295ELNS1_3gpuE0ELNS1_3repE0EEENS1_30default_config_static_selectorELNS0_4arch9wavefront6targetE0EEEvT1_.num_agpr, 0
	.set _ZN7rocprim17ROCPRIM_400000_NS6detail17trampoline_kernelINS0_14default_configENS1_25partition_config_selectorILNS1_17partition_subalgoE5ElNS0_10empty_typeEbEEZZNS1_14partition_implILS5_5ELb0ES3_mN6hipcub16HIPCUB_304000_NS21CountingInputIteratorIllEEPS6_NSA_22TransformInputIteratorIbN2at6native12_GLOBAL__N_19NonZeroOpIfEEPKflEENS0_5tupleIJPlS6_EEENSN_IJSD_SD_EEES6_PiJS6_EEE10hipError_tPvRmT3_T4_T5_T6_T7_T9_mT8_P12ihipStream_tbDpT10_ENKUlT_T0_E_clISt17integral_constantIbLb0EES1B_EEDaS16_S17_EUlS16_E_NS1_11comp_targetILNS1_3genE0ELNS1_11target_archE4294967295ELNS1_3gpuE0ELNS1_3repE0EEENS1_30default_config_static_selectorELNS0_4arch9wavefront6targetE0EEEvT1_.numbered_sgpr, 0
	.set _ZN7rocprim17ROCPRIM_400000_NS6detail17trampoline_kernelINS0_14default_configENS1_25partition_config_selectorILNS1_17partition_subalgoE5ElNS0_10empty_typeEbEEZZNS1_14partition_implILS5_5ELb0ES3_mN6hipcub16HIPCUB_304000_NS21CountingInputIteratorIllEEPS6_NSA_22TransformInputIteratorIbN2at6native12_GLOBAL__N_19NonZeroOpIfEEPKflEENS0_5tupleIJPlS6_EEENSN_IJSD_SD_EEES6_PiJS6_EEE10hipError_tPvRmT3_T4_T5_T6_T7_T9_mT8_P12ihipStream_tbDpT10_ENKUlT_T0_E_clISt17integral_constantIbLb0EES1B_EEDaS16_S17_EUlS16_E_NS1_11comp_targetILNS1_3genE0ELNS1_11target_archE4294967295ELNS1_3gpuE0ELNS1_3repE0EEENS1_30default_config_static_selectorELNS0_4arch9wavefront6targetE0EEEvT1_.num_named_barrier, 0
	.set _ZN7rocprim17ROCPRIM_400000_NS6detail17trampoline_kernelINS0_14default_configENS1_25partition_config_selectorILNS1_17partition_subalgoE5ElNS0_10empty_typeEbEEZZNS1_14partition_implILS5_5ELb0ES3_mN6hipcub16HIPCUB_304000_NS21CountingInputIteratorIllEEPS6_NSA_22TransformInputIteratorIbN2at6native12_GLOBAL__N_19NonZeroOpIfEEPKflEENS0_5tupleIJPlS6_EEENSN_IJSD_SD_EEES6_PiJS6_EEE10hipError_tPvRmT3_T4_T5_T6_T7_T9_mT8_P12ihipStream_tbDpT10_ENKUlT_T0_E_clISt17integral_constantIbLb0EES1B_EEDaS16_S17_EUlS16_E_NS1_11comp_targetILNS1_3genE0ELNS1_11target_archE4294967295ELNS1_3gpuE0ELNS1_3repE0EEENS1_30default_config_static_selectorELNS0_4arch9wavefront6targetE0EEEvT1_.private_seg_size, 0
	.set _ZN7rocprim17ROCPRIM_400000_NS6detail17trampoline_kernelINS0_14default_configENS1_25partition_config_selectorILNS1_17partition_subalgoE5ElNS0_10empty_typeEbEEZZNS1_14partition_implILS5_5ELb0ES3_mN6hipcub16HIPCUB_304000_NS21CountingInputIteratorIllEEPS6_NSA_22TransformInputIteratorIbN2at6native12_GLOBAL__N_19NonZeroOpIfEEPKflEENS0_5tupleIJPlS6_EEENSN_IJSD_SD_EEES6_PiJS6_EEE10hipError_tPvRmT3_T4_T5_T6_T7_T9_mT8_P12ihipStream_tbDpT10_ENKUlT_T0_E_clISt17integral_constantIbLb0EES1B_EEDaS16_S17_EUlS16_E_NS1_11comp_targetILNS1_3genE0ELNS1_11target_archE4294967295ELNS1_3gpuE0ELNS1_3repE0EEENS1_30default_config_static_selectorELNS0_4arch9wavefront6targetE0EEEvT1_.uses_vcc, 0
	.set _ZN7rocprim17ROCPRIM_400000_NS6detail17trampoline_kernelINS0_14default_configENS1_25partition_config_selectorILNS1_17partition_subalgoE5ElNS0_10empty_typeEbEEZZNS1_14partition_implILS5_5ELb0ES3_mN6hipcub16HIPCUB_304000_NS21CountingInputIteratorIllEEPS6_NSA_22TransformInputIteratorIbN2at6native12_GLOBAL__N_19NonZeroOpIfEEPKflEENS0_5tupleIJPlS6_EEENSN_IJSD_SD_EEES6_PiJS6_EEE10hipError_tPvRmT3_T4_T5_T6_T7_T9_mT8_P12ihipStream_tbDpT10_ENKUlT_T0_E_clISt17integral_constantIbLb0EES1B_EEDaS16_S17_EUlS16_E_NS1_11comp_targetILNS1_3genE0ELNS1_11target_archE4294967295ELNS1_3gpuE0ELNS1_3repE0EEENS1_30default_config_static_selectorELNS0_4arch9wavefront6targetE0EEEvT1_.uses_flat_scratch, 0
	.set _ZN7rocprim17ROCPRIM_400000_NS6detail17trampoline_kernelINS0_14default_configENS1_25partition_config_selectorILNS1_17partition_subalgoE5ElNS0_10empty_typeEbEEZZNS1_14partition_implILS5_5ELb0ES3_mN6hipcub16HIPCUB_304000_NS21CountingInputIteratorIllEEPS6_NSA_22TransformInputIteratorIbN2at6native12_GLOBAL__N_19NonZeroOpIfEEPKflEENS0_5tupleIJPlS6_EEENSN_IJSD_SD_EEES6_PiJS6_EEE10hipError_tPvRmT3_T4_T5_T6_T7_T9_mT8_P12ihipStream_tbDpT10_ENKUlT_T0_E_clISt17integral_constantIbLb0EES1B_EEDaS16_S17_EUlS16_E_NS1_11comp_targetILNS1_3genE0ELNS1_11target_archE4294967295ELNS1_3gpuE0ELNS1_3repE0EEENS1_30default_config_static_selectorELNS0_4arch9wavefront6targetE0EEEvT1_.has_dyn_sized_stack, 0
	.set _ZN7rocprim17ROCPRIM_400000_NS6detail17trampoline_kernelINS0_14default_configENS1_25partition_config_selectorILNS1_17partition_subalgoE5ElNS0_10empty_typeEbEEZZNS1_14partition_implILS5_5ELb0ES3_mN6hipcub16HIPCUB_304000_NS21CountingInputIteratorIllEEPS6_NSA_22TransformInputIteratorIbN2at6native12_GLOBAL__N_19NonZeroOpIfEEPKflEENS0_5tupleIJPlS6_EEENSN_IJSD_SD_EEES6_PiJS6_EEE10hipError_tPvRmT3_T4_T5_T6_T7_T9_mT8_P12ihipStream_tbDpT10_ENKUlT_T0_E_clISt17integral_constantIbLb0EES1B_EEDaS16_S17_EUlS16_E_NS1_11comp_targetILNS1_3genE0ELNS1_11target_archE4294967295ELNS1_3gpuE0ELNS1_3repE0EEENS1_30default_config_static_selectorELNS0_4arch9wavefront6targetE0EEEvT1_.has_recursion, 0
	.set _ZN7rocprim17ROCPRIM_400000_NS6detail17trampoline_kernelINS0_14default_configENS1_25partition_config_selectorILNS1_17partition_subalgoE5ElNS0_10empty_typeEbEEZZNS1_14partition_implILS5_5ELb0ES3_mN6hipcub16HIPCUB_304000_NS21CountingInputIteratorIllEEPS6_NSA_22TransformInputIteratorIbN2at6native12_GLOBAL__N_19NonZeroOpIfEEPKflEENS0_5tupleIJPlS6_EEENSN_IJSD_SD_EEES6_PiJS6_EEE10hipError_tPvRmT3_T4_T5_T6_T7_T9_mT8_P12ihipStream_tbDpT10_ENKUlT_T0_E_clISt17integral_constantIbLb0EES1B_EEDaS16_S17_EUlS16_E_NS1_11comp_targetILNS1_3genE0ELNS1_11target_archE4294967295ELNS1_3gpuE0ELNS1_3repE0EEENS1_30default_config_static_selectorELNS0_4arch9wavefront6targetE0EEEvT1_.has_indirect_call, 0
	.section	.AMDGPU.csdata,"",@progbits
; Kernel info:
; codeLenInByte = 0
; TotalNumSgprs: 0
; NumVgprs: 0
; ScratchSize: 0
; MemoryBound: 0
; FloatMode: 240
; IeeeMode: 1
; LDSByteSize: 0 bytes/workgroup (compile time only)
; SGPRBlocks: 0
; VGPRBlocks: 0
; NumSGPRsForWavesPerEU: 1
; NumVGPRsForWavesPerEU: 1
; Occupancy: 16
; WaveLimiterHint : 0
; COMPUTE_PGM_RSRC2:SCRATCH_EN: 0
; COMPUTE_PGM_RSRC2:USER_SGPR: 2
; COMPUTE_PGM_RSRC2:TRAP_HANDLER: 0
; COMPUTE_PGM_RSRC2:TGID_X_EN: 1
; COMPUTE_PGM_RSRC2:TGID_Y_EN: 0
; COMPUTE_PGM_RSRC2:TGID_Z_EN: 0
; COMPUTE_PGM_RSRC2:TIDIG_COMP_CNT: 0
	.section	.text._ZN7rocprim17ROCPRIM_400000_NS6detail17trampoline_kernelINS0_14default_configENS1_25partition_config_selectorILNS1_17partition_subalgoE5ElNS0_10empty_typeEbEEZZNS1_14partition_implILS5_5ELb0ES3_mN6hipcub16HIPCUB_304000_NS21CountingInputIteratorIllEEPS6_NSA_22TransformInputIteratorIbN2at6native12_GLOBAL__N_19NonZeroOpIfEEPKflEENS0_5tupleIJPlS6_EEENSN_IJSD_SD_EEES6_PiJS6_EEE10hipError_tPvRmT3_T4_T5_T6_T7_T9_mT8_P12ihipStream_tbDpT10_ENKUlT_T0_E_clISt17integral_constantIbLb0EES1B_EEDaS16_S17_EUlS16_E_NS1_11comp_targetILNS1_3genE5ELNS1_11target_archE942ELNS1_3gpuE9ELNS1_3repE0EEENS1_30default_config_static_selectorELNS0_4arch9wavefront6targetE0EEEvT1_,"axG",@progbits,_ZN7rocprim17ROCPRIM_400000_NS6detail17trampoline_kernelINS0_14default_configENS1_25partition_config_selectorILNS1_17partition_subalgoE5ElNS0_10empty_typeEbEEZZNS1_14partition_implILS5_5ELb0ES3_mN6hipcub16HIPCUB_304000_NS21CountingInputIteratorIllEEPS6_NSA_22TransformInputIteratorIbN2at6native12_GLOBAL__N_19NonZeroOpIfEEPKflEENS0_5tupleIJPlS6_EEENSN_IJSD_SD_EEES6_PiJS6_EEE10hipError_tPvRmT3_T4_T5_T6_T7_T9_mT8_P12ihipStream_tbDpT10_ENKUlT_T0_E_clISt17integral_constantIbLb0EES1B_EEDaS16_S17_EUlS16_E_NS1_11comp_targetILNS1_3genE5ELNS1_11target_archE942ELNS1_3gpuE9ELNS1_3repE0EEENS1_30default_config_static_selectorELNS0_4arch9wavefront6targetE0EEEvT1_,comdat
	.globl	_ZN7rocprim17ROCPRIM_400000_NS6detail17trampoline_kernelINS0_14default_configENS1_25partition_config_selectorILNS1_17partition_subalgoE5ElNS0_10empty_typeEbEEZZNS1_14partition_implILS5_5ELb0ES3_mN6hipcub16HIPCUB_304000_NS21CountingInputIteratorIllEEPS6_NSA_22TransformInputIteratorIbN2at6native12_GLOBAL__N_19NonZeroOpIfEEPKflEENS0_5tupleIJPlS6_EEENSN_IJSD_SD_EEES6_PiJS6_EEE10hipError_tPvRmT3_T4_T5_T6_T7_T9_mT8_P12ihipStream_tbDpT10_ENKUlT_T0_E_clISt17integral_constantIbLb0EES1B_EEDaS16_S17_EUlS16_E_NS1_11comp_targetILNS1_3genE5ELNS1_11target_archE942ELNS1_3gpuE9ELNS1_3repE0EEENS1_30default_config_static_selectorELNS0_4arch9wavefront6targetE0EEEvT1_ ; -- Begin function _ZN7rocprim17ROCPRIM_400000_NS6detail17trampoline_kernelINS0_14default_configENS1_25partition_config_selectorILNS1_17partition_subalgoE5ElNS0_10empty_typeEbEEZZNS1_14partition_implILS5_5ELb0ES3_mN6hipcub16HIPCUB_304000_NS21CountingInputIteratorIllEEPS6_NSA_22TransformInputIteratorIbN2at6native12_GLOBAL__N_19NonZeroOpIfEEPKflEENS0_5tupleIJPlS6_EEENSN_IJSD_SD_EEES6_PiJS6_EEE10hipError_tPvRmT3_T4_T5_T6_T7_T9_mT8_P12ihipStream_tbDpT10_ENKUlT_T0_E_clISt17integral_constantIbLb0EES1B_EEDaS16_S17_EUlS16_E_NS1_11comp_targetILNS1_3genE5ELNS1_11target_archE942ELNS1_3gpuE9ELNS1_3repE0EEENS1_30default_config_static_selectorELNS0_4arch9wavefront6targetE0EEEvT1_
	.p2align	8
	.type	_ZN7rocprim17ROCPRIM_400000_NS6detail17trampoline_kernelINS0_14default_configENS1_25partition_config_selectorILNS1_17partition_subalgoE5ElNS0_10empty_typeEbEEZZNS1_14partition_implILS5_5ELb0ES3_mN6hipcub16HIPCUB_304000_NS21CountingInputIteratorIllEEPS6_NSA_22TransformInputIteratorIbN2at6native12_GLOBAL__N_19NonZeroOpIfEEPKflEENS0_5tupleIJPlS6_EEENSN_IJSD_SD_EEES6_PiJS6_EEE10hipError_tPvRmT3_T4_T5_T6_T7_T9_mT8_P12ihipStream_tbDpT10_ENKUlT_T0_E_clISt17integral_constantIbLb0EES1B_EEDaS16_S17_EUlS16_E_NS1_11comp_targetILNS1_3genE5ELNS1_11target_archE942ELNS1_3gpuE9ELNS1_3repE0EEENS1_30default_config_static_selectorELNS0_4arch9wavefront6targetE0EEEvT1_,@function
_ZN7rocprim17ROCPRIM_400000_NS6detail17trampoline_kernelINS0_14default_configENS1_25partition_config_selectorILNS1_17partition_subalgoE5ElNS0_10empty_typeEbEEZZNS1_14partition_implILS5_5ELb0ES3_mN6hipcub16HIPCUB_304000_NS21CountingInputIteratorIllEEPS6_NSA_22TransformInputIteratorIbN2at6native12_GLOBAL__N_19NonZeroOpIfEEPKflEENS0_5tupleIJPlS6_EEENSN_IJSD_SD_EEES6_PiJS6_EEE10hipError_tPvRmT3_T4_T5_T6_T7_T9_mT8_P12ihipStream_tbDpT10_ENKUlT_T0_E_clISt17integral_constantIbLb0EES1B_EEDaS16_S17_EUlS16_E_NS1_11comp_targetILNS1_3genE5ELNS1_11target_archE942ELNS1_3gpuE9ELNS1_3repE0EEENS1_30default_config_static_selectorELNS0_4arch9wavefront6targetE0EEEvT1_: ; @_ZN7rocprim17ROCPRIM_400000_NS6detail17trampoline_kernelINS0_14default_configENS1_25partition_config_selectorILNS1_17partition_subalgoE5ElNS0_10empty_typeEbEEZZNS1_14partition_implILS5_5ELb0ES3_mN6hipcub16HIPCUB_304000_NS21CountingInputIteratorIllEEPS6_NSA_22TransformInputIteratorIbN2at6native12_GLOBAL__N_19NonZeroOpIfEEPKflEENS0_5tupleIJPlS6_EEENSN_IJSD_SD_EEES6_PiJS6_EEE10hipError_tPvRmT3_T4_T5_T6_T7_T9_mT8_P12ihipStream_tbDpT10_ENKUlT_T0_E_clISt17integral_constantIbLb0EES1B_EEDaS16_S17_EUlS16_E_NS1_11comp_targetILNS1_3genE5ELNS1_11target_archE942ELNS1_3gpuE9ELNS1_3repE0EEENS1_30default_config_static_selectorELNS0_4arch9wavefront6targetE0EEEvT1_
; %bb.0:
	.section	.rodata,"a",@progbits
	.p2align	6, 0x0
	.amdhsa_kernel _ZN7rocprim17ROCPRIM_400000_NS6detail17trampoline_kernelINS0_14default_configENS1_25partition_config_selectorILNS1_17partition_subalgoE5ElNS0_10empty_typeEbEEZZNS1_14partition_implILS5_5ELb0ES3_mN6hipcub16HIPCUB_304000_NS21CountingInputIteratorIllEEPS6_NSA_22TransformInputIteratorIbN2at6native12_GLOBAL__N_19NonZeroOpIfEEPKflEENS0_5tupleIJPlS6_EEENSN_IJSD_SD_EEES6_PiJS6_EEE10hipError_tPvRmT3_T4_T5_T6_T7_T9_mT8_P12ihipStream_tbDpT10_ENKUlT_T0_E_clISt17integral_constantIbLb0EES1B_EEDaS16_S17_EUlS16_E_NS1_11comp_targetILNS1_3genE5ELNS1_11target_archE942ELNS1_3gpuE9ELNS1_3repE0EEENS1_30default_config_static_selectorELNS0_4arch9wavefront6targetE0EEEvT1_
		.amdhsa_group_segment_fixed_size 0
		.amdhsa_private_segment_fixed_size 0
		.amdhsa_kernarg_size 120
		.amdhsa_user_sgpr_count 2
		.amdhsa_user_sgpr_dispatch_ptr 0
		.amdhsa_user_sgpr_queue_ptr 0
		.amdhsa_user_sgpr_kernarg_segment_ptr 1
		.amdhsa_user_sgpr_dispatch_id 0
		.amdhsa_user_sgpr_private_segment_size 0
		.amdhsa_wavefront_size32 1
		.amdhsa_uses_dynamic_stack 0
		.amdhsa_enable_private_segment 0
		.amdhsa_system_sgpr_workgroup_id_x 1
		.amdhsa_system_sgpr_workgroup_id_y 0
		.amdhsa_system_sgpr_workgroup_id_z 0
		.amdhsa_system_sgpr_workgroup_info 0
		.amdhsa_system_vgpr_workitem_id 0
		.amdhsa_next_free_vgpr 1
		.amdhsa_next_free_sgpr 1
		.amdhsa_reserve_vcc 0
		.amdhsa_float_round_mode_32 0
		.amdhsa_float_round_mode_16_64 0
		.amdhsa_float_denorm_mode_32 3
		.amdhsa_float_denorm_mode_16_64 3
		.amdhsa_fp16_overflow 0
		.amdhsa_workgroup_processor_mode 1
		.amdhsa_memory_ordered 1
		.amdhsa_forward_progress 1
		.amdhsa_inst_pref_size 0
		.amdhsa_round_robin_scheduling 0
		.amdhsa_exception_fp_ieee_invalid_op 0
		.amdhsa_exception_fp_denorm_src 0
		.amdhsa_exception_fp_ieee_div_zero 0
		.amdhsa_exception_fp_ieee_overflow 0
		.amdhsa_exception_fp_ieee_underflow 0
		.amdhsa_exception_fp_ieee_inexact 0
		.amdhsa_exception_int_div_zero 0
	.end_amdhsa_kernel
	.section	.text._ZN7rocprim17ROCPRIM_400000_NS6detail17trampoline_kernelINS0_14default_configENS1_25partition_config_selectorILNS1_17partition_subalgoE5ElNS0_10empty_typeEbEEZZNS1_14partition_implILS5_5ELb0ES3_mN6hipcub16HIPCUB_304000_NS21CountingInputIteratorIllEEPS6_NSA_22TransformInputIteratorIbN2at6native12_GLOBAL__N_19NonZeroOpIfEEPKflEENS0_5tupleIJPlS6_EEENSN_IJSD_SD_EEES6_PiJS6_EEE10hipError_tPvRmT3_T4_T5_T6_T7_T9_mT8_P12ihipStream_tbDpT10_ENKUlT_T0_E_clISt17integral_constantIbLb0EES1B_EEDaS16_S17_EUlS16_E_NS1_11comp_targetILNS1_3genE5ELNS1_11target_archE942ELNS1_3gpuE9ELNS1_3repE0EEENS1_30default_config_static_selectorELNS0_4arch9wavefront6targetE0EEEvT1_,"axG",@progbits,_ZN7rocprim17ROCPRIM_400000_NS6detail17trampoline_kernelINS0_14default_configENS1_25partition_config_selectorILNS1_17partition_subalgoE5ElNS0_10empty_typeEbEEZZNS1_14partition_implILS5_5ELb0ES3_mN6hipcub16HIPCUB_304000_NS21CountingInputIteratorIllEEPS6_NSA_22TransformInputIteratorIbN2at6native12_GLOBAL__N_19NonZeroOpIfEEPKflEENS0_5tupleIJPlS6_EEENSN_IJSD_SD_EEES6_PiJS6_EEE10hipError_tPvRmT3_T4_T5_T6_T7_T9_mT8_P12ihipStream_tbDpT10_ENKUlT_T0_E_clISt17integral_constantIbLb0EES1B_EEDaS16_S17_EUlS16_E_NS1_11comp_targetILNS1_3genE5ELNS1_11target_archE942ELNS1_3gpuE9ELNS1_3repE0EEENS1_30default_config_static_selectorELNS0_4arch9wavefront6targetE0EEEvT1_,comdat
.Lfunc_end459:
	.size	_ZN7rocprim17ROCPRIM_400000_NS6detail17trampoline_kernelINS0_14default_configENS1_25partition_config_selectorILNS1_17partition_subalgoE5ElNS0_10empty_typeEbEEZZNS1_14partition_implILS5_5ELb0ES3_mN6hipcub16HIPCUB_304000_NS21CountingInputIteratorIllEEPS6_NSA_22TransformInputIteratorIbN2at6native12_GLOBAL__N_19NonZeroOpIfEEPKflEENS0_5tupleIJPlS6_EEENSN_IJSD_SD_EEES6_PiJS6_EEE10hipError_tPvRmT3_T4_T5_T6_T7_T9_mT8_P12ihipStream_tbDpT10_ENKUlT_T0_E_clISt17integral_constantIbLb0EES1B_EEDaS16_S17_EUlS16_E_NS1_11comp_targetILNS1_3genE5ELNS1_11target_archE942ELNS1_3gpuE9ELNS1_3repE0EEENS1_30default_config_static_selectorELNS0_4arch9wavefront6targetE0EEEvT1_, .Lfunc_end459-_ZN7rocprim17ROCPRIM_400000_NS6detail17trampoline_kernelINS0_14default_configENS1_25partition_config_selectorILNS1_17partition_subalgoE5ElNS0_10empty_typeEbEEZZNS1_14partition_implILS5_5ELb0ES3_mN6hipcub16HIPCUB_304000_NS21CountingInputIteratorIllEEPS6_NSA_22TransformInputIteratorIbN2at6native12_GLOBAL__N_19NonZeroOpIfEEPKflEENS0_5tupleIJPlS6_EEENSN_IJSD_SD_EEES6_PiJS6_EEE10hipError_tPvRmT3_T4_T5_T6_T7_T9_mT8_P12ihipStream_tbDpT10_ENKUlT_T0_E_clISt17integral_constantIbLb0EES1B_EEDaS16_S17_EUlS16_E_NS1_11comp_targetILNS1_3genE5ELNS1_11target_archE942ELNS1_3gpuE9ELNS1_3repE0EEENS1_30default_config_static_selectorELNS0_4arch9wavefront6targetE0EEEvT1_
                                        ; -- End function
	.set _ZN7rocprim17ROCPRIM_400000_NS6detail17trampoline_kernelINS0_14default_configENS1_25partition_config_selectorILNS1_17partition_subalgoE5ElNS0_10empty_typeEbEEZZNS1_14partition_implILS5_5ELb0ES3_mN6hipcub16HIPCUB_304000_NS21CountingInputIteratorIllEEPS6_NSA_22TransformInputIteratorIbN2at6native12_GLOBAL__N_19NonZeroOpIfEEPKflEENS0_5tupleIJPlS6_EEENSN_IJSD_SD_EEES6_PiJS6_EEE10hipError_tPvRmT3_T4_T5_T6_T7_T9_mT8_P12ihipStream_tbDpT10_ENKUlT_T0_E_clISt17integral_constantIbLb0EES1B_EEDaS16_S17_EUlS16_E_NS1_11comp_targetILNS1_3genE5ELNS1_11target_archE942ELNS1_3gpuE9ELNS1_3repE0EEENS1_30default_config_static_selectorELNS0_4arch9wavefront6targetE0EEEvT1_.num_vgpr, 0
	.set _ZN7rocprim17ROCPRIM_400000_NS6detail17trampoline_kernelINS0_14default_configENS1_25partition_config_selectorILNS1_17partition_subalgoE5ElNS0_10empty_typeEbEEZZNS1_14partition_implILS5_5ELb0ES3_mN6hipcub16HIPCUB_304000_NS21CountingInputIteratorIllEEPS6_NSA_22TransformInputIteratorIbN2at6native12_GLOBAL__N_19NonZeroOpIfEEPKflEENS0_5tupleIJPlS6_EEENSN_IJSD_SD_EEES6_PiJS6_EEE10hipError_tPvRmT3_T4_T5_T6_T7_T9_mT8_P12ihipStream_tbDpT10_ENKUlT_T0_E_clISt17integral_constantIbLb0EES1B_EEDaS16_S17_EUlS16_E_NS1_11comp_targetILNS1_3genE5ELNS1_11target_archE942ELNS1_3gpuE9ELNS1_3repE0EEENS1_30default_config_static_selectorELNS0_4arch9wavefront6targetE0EEEvT1_.num_agpr, 0
	.set _ZN7rocprim17ROCPRIM_400000_NS6detail17trampoline_kernelINS0_14default_configENS1_25partition_config_selectorILNS1_17partition_subalgoE5ElNS0_10empty_typeEbEEZZNS1_14partition_implILS5_5ELb0ES3_mN6hipcub16HIPCUB_304000_NS21CountingInputIteratorIllEEPS6_NSA_22TransformInputIteratorIbN2at6native12_GLOBAL__N_19NonZeroOpIfEEPKflEENS0_5tupleIJPlS6_EEENSN_IJSD_SD_EEES6_PiJS6_EEE10hipError_tPvRmT3_T4_T5_T6_T7_T9_mT8_P12ihipStream_tbDpT10_ENKUlT_T0_E_clISt17integral_constantIbLb0EES1B_EEDaS16_S17_EUlS16_E_NS1_11comp_targetILNS1_3genE5ELNS1_11target_archE942ELNS1_3gpuE9ELNS1_3repE0EEENS1_30default_config_static_selectorELNS0_4arch9wavefront6targetE0EEEvT1_.numbered_sgpr, 0
	.set _ZN7rocprim17ROCPRIM_400000_NS6detail17trampoline_kernelINS0_14default_configENS1_25partition_config_selectorILNS1_17partition_subalgoE5ElNS0_10empty_typeEbEEZZNS1_14partition_implILS5_5ELb0ES3_mN6hipcub16HIPCUB_304000_NS21CountingInputIteratorIllEEPS6_NSA_22TransformInputIteratorIbN2at6native12_GLOBAL__N_19NonZeroOpIfEEPKflEENS0_5tupleIJPlS6_EEENSN_IJSD_SD_EEES6_PiJS6_EEE10hipError_tPvRmT3_T4_T5_T6_T7_T9_mT8_P12ihipStream_tbDpT10_ENKUlT_T0_E_clISt17integral_constantIbLb0EES1B_EEDaS16_S17_EUlS16_E_NS1_11comp_targetILNS1_3genE5ELNS1_11target_archE942ELNS1_3gpuE9ELNS1_3repE0EEENS1_30default_config_static_selectorELNS0_4arch9wavefront6targetE0EEEvT1_.num_named_barrier, 0
	.set _ZN7rocprim17ROCPRIM_400000_NS6detail17trampoline_kernelINS0_14default_configENS1_25partition_config_selectorILNS1_17partition_subalgoE5ElNS0_10empty_typeEbEEZZNS1_14partition_implILS5_5ELb0ES3_mN6hipcub16HIPCUB_304000_NS21CountingInputIteratorIllEEPS6_NSA_22TransformInputIteratorIbN2at6native12_GLOBAL__N_19NonZeroOpIfEEPKflEENS0_5tupleIJPlS6_EEENSN_IJSD_SD_EEES6_PiJS6_EEE10hipError_tPvRmT3_T4_T5_T6_T7_T9_mT8_P12ihipStream_tbDpT10_ENKUlT_T0_E_clISt17integral_constantIbLb0EES1B_EEDaS16_S17_EUlS16_E_NS1_11comp_targetILNS1_3genE5ELNS1_11target_archE942ELNS1_3gpuE9ELNS1_3repE0EEENS1_30default_config_static_selectorELNS0_4arch9wavefront6targetE0EEEvT1_.private_seg_size, 0
	.set _ZN7rocprim17ROCPRIM_400000_NS6detail17trampoline_kernelINS0_14default_configENS1_25partition_config_selectorILNS1_17partition_subalgoE5ElNS0_10empty_typeEbEEZZNS1_14partition_implILS5_5ELb0ES3_mN6hipcub16HIPCUB_304000_NS21CountingInputIteratorIllEEPS6_NSA_22TransformInputIteratorIbN2at6native12_GLOBAL__N_19NonZeroOpIfEEPKflEENS0_5tupleIJPlS6_EEENSN_IJSD_SD_EEES6_PiJS6_EEE10hipError_tPvRmT3_T4_T5_T6_T7_T9_mT8_P12ihipStream_tbDpT10_ENKUlT_T0_E_clISt17integral_constantIbLb0EES1B_EEDaS16_S17_EUlS16_E_NS1_11comp_targetILNS1_3genE5ELNS1_11target_archE942ELNS1_3gpuE9ELNS1_3repE0EEENS1_30default_config_static_selectorELNS0_4arch9wavefront6targetE0EEEvT1_.uses_vcc, 0
	.set _ZN7rocprim17ROCPRIM_400000_NS6detail17trampoline_kernelINS0_14default_configENS1_25partition_config_selectorILNS1_17partition_subalgoE5ElNS0_10empty_typeEbEEZZNS1_14partition_implILS5_5ELb0ES3_mN6hipcub16HIPCUB_304000_NS21CountingInputIteratorIllEEPS6_NSA_22TransformInputIteratorIbN2at6native12_GLOBAL__N_19NonZeroOpIfEEPKflEENS0_5tupleIJPlS6_EEENSN_IJSD_SD_EEES6_PiJS6_EEE10hipError_tPvRmT3_T4_T5_T6_T7_T9_mT8_P12ihipStream_tbDpT10_ENKUlT_T0_E_clISt17integral_constantIbLb0EES1B_EEDaS16_S17_EUlS16_E_NS1_11comp_targetILNS1_3genE5ELNS1_11target_archE942ELNS1_3gpuE9ELNS1_3repE0EEENS1_30default_config_static_selectorELNS0_4arch9wavefront6targetE0EEEvT1_.uses_flat_scratch, 0
	.set _ZN7rocprim17ROCPRIM_400000_NS6detail17trampoline_kernelINS0_14default_configENS1_25partition_config_selectorILNS1_17partition_subalgoE5ElNS0_10empty_typeEbEEZZNS1_14partition_implILS5_5ELb0ES3_mN6hipcub16HIPCUB_304000_NS21CountingInputIteratorIllEEPS6_NSA_22TransformInputIteratorIbN2at6native12_GLOBAL__N_19NonZeroOpIfEEPKflEENS0_5tupleIJPlS6_EEENSN_IJSD_SD_EEES6_PiJS6_EEE10hipError_tPvRmT3_T4_T5_T6_T7_T9_mT8_P12ihipStream_tbDpT10_ENKUlT_T0_E_clISt17integral_constantIbLb0EES1B_EEDaS16_S17_EUlS16_E_NS1_11comp_targetILNS1_3genE5ELNS1_11target_archE942ELNS1_3gpuE9ELNS1_3repE0EEENS1_30default_config_static_selectorELNS0_4arch9wavefront6targetE0EEEvT1_.has_dyn_sized_stack, 0
	.set _ZN7rocprim17ROCPRIM_400000_NS6detail17trampoline_kernelINS0_14default_configENS1_25partition_config_selectorILNS1_17partition_subalgoE5ElNS0_10empty_typeEbEEZZNS1_14partition_implILS5_5ELb0ES3_mN6hipcub16HIPCUB_304000_NS21CountingInputIteratorIllEEPS6_NSA_22TransformInputIteratorIbN2at6native12_GLOBAL__N_19NonZeroOpIfEEPKflEENS0_5tupleIJPlS6_EEENSN_IJSD_SD_EEES6_PiJS6_EEE10hipError_tPvRmT3_T4_T5_T6_T7_T9_mT8_P12ihipStream_tbDpT10_ENKUlT_T0_E_clISt17integral_constantIbLb0EES1B_EEDaS16_S17_EUlS16_E_NS1_11comp_targetILNS1_3genE5ELNS1_11target_archE942ELNS1_3gpuE9ELNS1_3repE0EEENS1_30default_config_static_selectorELNS0_4arch9wavefront6targetE0EEEvT1_.has_recursion, 0
	.set _ZN7rocprim17ROCPRIM_400000_NS6detail17trampoline_kernelINS0_14default_configENS1_25partition_config_selectorILNS1_17partition_subalgoE5ElNS0_10empty_typeEbEEZZNS1_14partition_implILS5_5ELb0ES3_mN6hipcub16HIPCUB_304000_NS21CountingInputIteratorIllEEPS6_NSA_22TransformInputIteratorIbN2at6native12_GLOBAL__N_19NonZeroOpIfEEPKflEENS0_5tupleIJPlS6_EEENSN_IJSD_SD_EEES6_PiJS6_EEE10hipError_tPvRmT3_T4_T5_T6_T7_T9_mT8_P12ihipStream_tbDpT10_ENKUlT_T0_E_clISt17integral_constantIbLb0EES1B_EEDaS16_S17_EUlS16_E_NS1_11comp_targetILNS1_3genE5ELNS1_11target_archE942ELNS1_3gpuE9ELNS1_3repE0EEENS1_30default_config_static_selectorELNS0_4arch9wavefront6targetE0EEEvT1_.has_indirect_call, 0
	.section	.AMDGPU.csdata,"",@progbits
; Kernel info:
; codeLenInByte = 0
; TotalNumSgprs: 0
; NumVgprs: 0
; ScratchSize: 0
; MemoryBound: 0
; FloatMode: 240
; IeeeMode: 1
; LDSByteSize: 0 bytes/workgroup (compile time only)
; SGPRBlocks: 0
; VGPRBlocks: 0
; NumSGPRsForWavesPerEU: 1
; NumVGPRsForWavesPerEU: 1
; Occupancy: 16
; WaveLimiterHint : 0
; COMPUTE_PGM_RSRC2:SCRATCH_EN: 0
; COMPUTE_PGM_RSRC2:USER_SGPR: 2
; COMPUTE_PGM_RSRC2:TRAP_HANDLER: 0
; COMPUTE_PGM_RSRC2:TGID_X_EN: 1
; COMPUTE_PGM_RSRC2:TGID_Y_EN: 0
; COMPUTE_PGM_RSRC2:TGID_Z_EN: 0
; COMPUTE_PGM_RSRC2:TIDIG_COMP_CNT: 0
	.section	.text._ZN7rocprim17ROCPRIM_400000_NS6detail17trampoline_kernelINS0_14default_configENS1_25partition_config_selectorILNS1_17partition_subalgoE5ElNS0_10empty_typeEbEEZZNS1_14partition_implILS5_5ELb0ES3_mN6hipcub16HIPCUB_304000_NS21CountingInputIteratorIllEEPS6_NSA_22TransformInputIteratorIbN2at6native12_GLOBAL__N_19NonZeroOpIfEEPKflEENS0_5tupleIJPlS6_EEENSN_IJSD_SD_EEES6_PiJS6_EEE10hipError_tPvRmT3_T4_T5_T6_T7_T9_mT8_P12ihipStream_tbDpT10_ENKUlT_T0_E_clISt17integral_constantIbLb0EES1B_EEDaS16_S17_EUlS16_E_NS1_11comp_targetILNS1_3genE4ELNS1_11target_archE910ELNS1_3gpuE8ELNS1_3repE0EEENS1_30default_config_static_selectorELNS0_4arch9wavefront6targetE0EEEvT1_,"axG",@progbits,_ZN7rocprim17ROCPRIM_400000_NS6detail17trampoline_kernelINS0_14default_configENS1_25partition_config_selectorILNS1_17partition_subalgoE5ElNS0_10empty_typeEbEEZZNS1_14partition_implILS5_5ELb0ES3_mN6hipcub16HIPCUB_304000_NS21CountingInputIteratorIllEEPS6_NSA_22TransformInputIteratorIbN2at6native12_GLOBAL__N_19NonZeroOpIfEEPKflEENS0_5tupleIJPlS6_EEENSN_IJSD_SD_EEES6_PiJS6_EEE10hipError_tPvRmT3_T4_T5_T6_T7_T9_mT8_P12ihipStream_tbDpT10_ENKUlT_T0_E_clISt17integral_constantIbLb0EES1B_EEDaS16_S17_EUlS16_E_NS1_11comp_targetILNS1_3genE4ELNS1_11target_archE910ELNS1_3gpuE8ELNS1_3repE0EEENS1_30default_config_static_selectorELNS0_4arch9wavefront6targetE0EEEvT1_,comdat
	.globl	_ZN7rocprim17ROCPRIM_400000_NS6detail17trampoline_kernelINS0_14default_configENS1_25partition_config_selectorILNS1_17partition_subalgoE5ElNS0_10empty_typeEbEEZZNS1_14partition_implILS5_5ELb0ES3_mN6hipcub16HIPCUB_304000_NS21CountingInputIteratorIllEEPS6_NSA_22TransformInputIteratorIbN2at6native12_GLOBAL__N_19NonZeroOpIfEEPKflEENS0_5tupleIJPlS6_EEENSN_IJSD_SD_EEES6_PiJS6_EEE10hipError_tPvRmT3_T4_T5_T6_T7_T9_mT8_P12ihipStream_tbDpT10_ENKUlT_T0_E_clISt17integral_constantIbLb0EES1B_EEDaS16_S17_EUlS16_E_NS1_11comp_targetILNS1_3genE4ELNS1_11target_archE910ELNS1_3gpuE8ELNS1_3repE0EEENS1_30default_config_static_selectorELNS0_4arch9wavefront6targetE0EEEvT1_ ; -- Begin function _ZN7rocprim17ROCPRIM_400000_NS6detail17trampoline_kernelINS0_14default_configENS1_25partition_config_selectorILNS1_17partition_subalgoE5ElNS0_10empty_typeEbEEZZNS1_14partition_implILS5_5ELb0ES3_mN6hipcub16HIPCUB_304000_NS21CountingInputIteratorIllEEPS6_NSA_22TransformInputIteratorIbN2at6native12_GLOBAL__N_19NonZeroOpIfEEPKflEENS0_5tupleIJPlS6_EEENSN_IJSD_SD_EEES6_PiJS6_EEE10hipError_tPvRmT3_T4_T5_T6_T7_T9_mT8_P12ihipStream_tbDpT10_ENKUlT_T0_E_clISt17integral_constantIbLb0EES1B_EEDaS16_S17_EUlS16_E_NS1_11comp_targetILNS1_3genE4ELNS1_11target_archE910ELNS1_3gpuE8ELNS1_3repE0EEENS1_30default_config_static_selectorELNS0_4arch9wavefront6targetE0EEEvT1_
	.p2align	8
	.type	_ZN7rocprim17ROCPRIM_400000_NS6detail17trampoline_kernelINS0_14default_configENS1_25partition_config_selectorILNS1_17partition_subalgoE5ElNS0_10empty_typeEbEEZZNS1_14partition_implILS5_5ELb0ES3_mN6hipcub16HIPCUB_304000_NS21CountingInputIteratorIllEEPS6_NSA_22TransformInputIteratorIbN2at6native12_GLOBAL__N_19NonZeroOpIfEEPKflEENS0_5tupleIJPlS6_EEENSN_IJSD_SD_EEES6_PiJS6_EEE10hipError_tPvRmT3_T4_T5_T6_T7_T9_mT8_P12ihipStream_tbDpT10_ENKUlT_T0_E_clISt17integral_constantIbLb0EES1B_EEDaS16_S17_EUlS16_E_NS1_11comp_targetILNS1_3genE4ELNS1_11target_archE910ELNS1_3gpuE8ELNS1_3repE0EEENS1_30default_config_static_selectorELNS0_4arch9wavefront6targetE0EEEvT1_,@function
_ZN7rocprim17ROCPRIM_400000_NS6detail17trampoline_kernelINS0_14default_configENS1_25partition_config_selectorILNS1_17partition_subalgoE5ElNS0_10empty_typeEbEEZZNS1_14partition_implILS5_5ELb0ES3_mN6hipcub16HIPCUB_304000_NS21CountingInputIteratorIllEEPS6_NSA_22TransformInputIteratorIbN2at6native12_GLOBAL__N_19NonZeroOpIfEEPKflEENS0_5tupleIJPlS6_EEENSN_IJSD_SD_EEES6_PiJS6_EEE10hipError_tPvRmT3_T4_T5_T6_T7_T9_mT8_P12ihipStream_tbDpT10_ENKUlT_T0_E_clISt17integral_constantIbLb0EES1B_EEDaS16_S17_EUlS16_E_NS1_11comp_targetILNS1_3genE4ELNS1_11target_archE910ELNS1_3gpuE8ELNS1_3repE0EEENS1_30default_config_static_selectorELNS0_4arch9wavefront6targetE0EEEvT1_: ; @_ZN7rocprim17ROCPRIM_400000_NS6detail17trampoline_kernelINS0_14default_configENS1_25partition_config_selectorILNS1_17partition_subalgoE5ElNS0_10empty_typeEbEEZZNS1_14partition_implILS5_5ELb0ES3_mN6hipcub16HIPCUB_304000_NS21CountingInputIteratorIllEEPS6_NSA_22TransformInputIteratorIbN2at6native12_GLOBAL__N_19NonZeroOpIfEEPKflEENS0_5tupleIJPlS6_EEENSN_IJSD_SD_EEES6_PiJS6_EEE10hipError_tPvRmT3_T4_T5_T6_T7_T9_mT8_P12ihipStream_tbDpT10_ENKUlT_T0_E_clISt17integral_constantIbLb0EES1B_EEDaS16_S17_EUlS16_E_NS1_11comp_targetILNS1_3genE4ELNS1_11target_archE910ELNS1_3gpuE8ELNS1_3repE0EEENS1_30default_config_static_selectorELNS0_4arch9wavefront6targetE0EEEvT1_
; %bb.0:
	.section	.rodata,"a",@progbits
	.p2align	6, 0x0
	.amdhsa_kernel _ZN7rocprim17ROCPRIM_400000_NS6detail17trampoline_kernelINS0_14default_configENS1_25partition_config_selectorILNS1_17partition_subalgoE5ElNS0_10empty_typeEbEEZZNS1_14partition_implILS5_5ELb0ES3_mN6hipcub16HIPCUB_304000_NS21CountingInputIteratorIllEEPS6_NSA_22TransformInputIteratorIbN2at6native12_GLOBAL__N_19NonZeroOpIfEEPKflEENS0_5tupleIJPlS6_EEENSN_IJSD_SD_EEES6_PiJS6_EEE10hipError_tPvRmT3_T4_T5_T6_T7_T9_mT8_P12ihipStream_tbDpT10_ENKUlT_T0_E_clISt17integral_constantIbLb0EES1B_EEDaS16_S17_EUlS16_E_NS1_11comp_targetILNS1_3genE4ELNS1_11target_archE910ELNS1_3gpuE8ELNS1_3repE0EEENS1_30default_config_static_selectorELNS0_4arch9wavefront6targetE0EEEvT1_
		.amdhsa_group_segment_fixed_size 0
		.amdhsa_private_segment_fixed_size 0
		.amdhsa_kernarg_size 120
		.amdhsa_user_sgpr_count 2
		.amdhsa_user_sgpr_dispatch_ptr 0
		.amdhsa_user_sgpr_queue_ptr 0
		.amdhsa_user_sgpr_kernarg_segment_ptr 1
		.amdhsa_user_sgpr_dispatch_id 0
		.amdhsa_user_sgpr_private_segment_size 0
		.amdhsa_wavefront_size32 1
		.amdhsa_uses_dynamic_stack 0
		.amdhsa_enable_private_segment 0
		.amdhsa_system_sgpr_workgroup_id_x 1
		.amdhsa_system_sgpr_workgroup_id_y 0
		.amdhsa_system_sgpr_workgroup_id_z 0
		.amdhsa_system_sgpr_workgroup_info 0
		.amdhsa_system_vgpr_workitem_id 0
		.amdhsa_next_free_vgpr 1
		.amdhsa_next_free_sgpr 1
		.amdhsa_reserve_vcc 0
		.amdhsa_float_round_mode_32 0
		.amdhsa_float_round_mode_16_64 0
		.amdhsa_float_denorm_mode_32 3
		.amdhsa_float_denorm_mode_16_64 3
		.amdhsa_fp16_overflow 0
		.amdhsa_workgroup_processor_mode 1
		.amdhsa_memory_ordered 1
		.amdhsa_forward_progress 1
		.amdhsa_inst_pref_size 0
		.amdhsa_round_robin_scheduling 0
		.amdhsa_exception_fp_ieee_invalid_op 0
		.amdhsa_exception_fp_denorm_src 0
		.amdhsa_exception_fp_ieee_div_zero 0
		.amdhsa_exception_fp_ieee_overflow 0
		.amdhsa_exception_fp_ieee_underflow 0
		.amdhsa_exception_fp_ieee_inexact 0
		.amdhsa_exception_int_div_zero 0
	.end_amdhsa_kernel
	.section	.text._ZN7rocprim17ROCPRIM_400000_NS6detail17trampoline_kernelINS0_14default_configENS1_25partition_config_selectorILNS1_17partition_subalgoE5ElNS0_10empty_typeEbEEZZNS1_14partition_implILS5_5ELb0ES3_mN6hipcub16HIPCUB_304000_NS21CountingInputIteratorIllEEPS6_NSA_22TransformInputIteratorIbN2at6native12_GLOBAL__N_19NonZeroOpIfEEPKflEENS0_5tupleIJPlS6_EEENSN_IJSD_SD_EEES6_PiJS6_EEE10hipError_tPvRmT3_T4_T5_T6_T7_T9_mT8_P12ihipStream_tbDpT10_ENKUlT_T0_E_clISt17integral_constantIbLb0EES1B_EEDaS16_S17_EUlS16_E_NS1_11comp_targetILNS1_3genE4ELNS1_11target_archE910ELNS1_3gpuE8ELNS1_3repE0EEENS1_30default_config_static_selectorELNS0_4arch9wavefront6targetE0EEEvT1_,"axG",@progbits,_ZN7rocprim17ROCPRIM_400000_NS6detail17trampoline_kernelINS0_14default_configENS1_25partition_config_selectorILNS1_17partition_subalgoE5ElNS0_10empty_typeEbEEZZNS1_14partition_implILS5_5ELb0ES3_mN6hipcub16HIPCUB_304000_NS21CountingInputIteratorIllEEPS6_NSA_22TransformInputIteratorIbN2at6native12_GLOBAL__N_19NonZeroOpIfEEPKflEENS0_5tupleIJPlS6_EEENSN_IJSD_SD_EEES6_PiJS6_EEE10hipError_tPvRmT3_T4_T5_T6_T7_T9_mT8_P12ihipStream_tbDpT10_ENKUlT_T0_E_clISt17integral_constantIbLb0EES1B_EEDaS16_S17_EUlS16_E_NS1_11comp_targetILNS1_3genE4ELNS1_11target_archE910ELNS1_3gpuE8ELNS1_3repE0EEENS1_30default_config_static_selectorELNS0_4arch9wavefront6targetE0EEEvT1_,comdat
.Lfunc_end460:
	.size	_ZN7rocprim17ROCPRIM_400000_NS6detail17trampoline_kernelINS0_14default_configENS1_25partition_config_selectorILNS1_17partition_subalgoE5ElNS0_10empty_typeEbEEZZNS1_14partition_implILS5_5ELb0ES3_mN6hipcub16HIPCUB_304000_NS21CountingInputIteratorIllEEPS6_NSA_22TransformInputIteratorIbN2at6native12_GLOBAL__N_19NonZeroOpIfEEPKflEENS0_5tupleIJPlS6_EEENSN_IJSD_SD_EEES6_PiJS6_EEE10hipError_tPvRmT3_T4_T5_T6_T7_T9_mT8_P12ihipStream_tbDpT10_ENKUlT_T0_E_clISt17integral_constantIbLb0EES1B_EEDaS16_S17_EUlS16_E_NS1_11comp_targetILNS1_3genE4ELNS1_11target_archE910ELNS1_3gpuE8ELNS1_3repE0EEENS1_30default_config_static_selectorELNS0_4arch9wavefront6targetE0EEEvT1_, .Lfunc_end460-_ZN7rocprim17ROCPRIM_400000_NS6detail17trampoline_kernelINS0_14default_configENS1_25partition_config_selectorILNS1_17partition_subalgoE5ElNS0_10empty_typeEbEEZZNS1_14partition_implILS5_5ELb0ES3_mN6hipcub16HIPCUB_304000_NS21CountingInputIteratorIllEEPS6_NSA_22TransformInputIteratorIbN2at6native12_GLOBAL__N_19NonZeroOpIfEEPKflEENS0_5tupleIJPlS6_EEENSN_IJSD_SD_EEES6_PiJS6_EEE10hipError_tPvRmT3_T4_T5_T6_T7_T9_mT8_P12ihipStream_tbDpT10_ENKUlT_T0_E_clISt17integral_constantIbLb0EES1B_EEDaS16_S17_EUlS16_E_NS1_11comp_targetILNS1_3genE4ELNS1_11target_archE910ELNS1_3gpuE8ELNS1_3repE0EEENS1_30default_config_static_selectorELNS0_4arch9wavefront6targetE0EEEvT1_
                                        ; -- End function
	.set _ZN7rocprim17ROCPRIM_400000_NS6detail17trampoline_kernelINS0_14default_configENS1_25partition_config_selectorILNS1_17partition_subalgoE5ElNS0_10empty_typeEbEEZZNS1_14partition_implILS5_5ELb0ES3_mN6hipcub16HIPCUB_304000_NS21CountingInputIteratorIllEEPS6_NSA_22TransformInputIteratorIbN2at6native12_GLOBAL__N_19NonZeroOpIfEEPKflEENS0_5tupleIJPlS6_EEENSN_IJSD_SD_EEES6_PiJS6_EEE10hipError_tPvRmT3_T4_T5_T6_T7_T9_mT8_P12ihipStream_tbDpT10_ENKUlT_T0_E_clISt17integral_constantIbLb0EES1B_EEDaS16_S17_EUlS16_E_NS1_11comp_targetILNS1_3genE4ELNS1_11target_archE910ELNS1_3gpuE8ELNS1_3repE0EEENS1_30default_config_static_selectorELNS0_4arch9wavefront6targetE0EEEvT1_.num_vgpr, 0
	.set _ZN7rocprim17ROCPRIM_400000_NS6detail17trampoline_kernelINS0_14default_configENS1_25partition_config_selectorILNS1_17partition_subalgoE5ElNS0_10empty_typeEbEEZZNS1_14partition_implILS5_5ELb0ES3_mN6hipcub16HIPCUB_304000_NS21CountingInputIteratorIllEEPS6_NSA_22TransformInputIteratorIbN2at6native12_GLOBAL__N_19NonZeroOpIfEEPKflEENS0_5tupleIJPlS6_EEENSN_IJSD_SD_EEES6_PiJS6_EEE10hipError_tPvRmT3_T4_T5_T6_T7_T9_mT8_P12ihipStream_tbDpT10_ENKUlT_T0_E_clISt17integral_constantIbLb0EES1B_EEDaS16_S17_EUlS16_E_NS1_11comp_targetILNS1_3genE4ELNS1_11target_archE910ELNS1_3gpuE8ELNS1_3repE0EEENS1_30default_config_static_selectorELNS0_4arch9wavefront6targetE0EEEvT1_.num_agpr, 0
	.set _ZN7rocprim17ROCPRIM_400000_NS6detail17trampoline_kernelINS0_14default_configENS1_25partition_config_selectorILNS1_17partition_subalgoE5ElNS0_10empty_typeEbEEZZNS1_14partition_implILS5_5ELb0ES3_mN6hipcub16HIPCUB_304000_NS21CountingInputIteratorIllEEPS6_NSA_22TransformInputIteratorIbN2at6native12_GLOBAL__N_19NonZeroOpIfEEPKflEENS0_5tupleIJPlS6_EEENSN_IJSD_SD_EEES6_PiJS6_EEE10hipError_tPvRmT3_T4_T5_T6_T7_T9_mT8_P12ihipStream_tbDpT10_ENKUlT_T0_E_clISt17integral_constantIbLb0EES1B_EEDaS16_S17_EUlS16_E_NS1_11comp_targetILNS1_3genE4ELNS1_11target_archE910ELNS1_3gpuE8ELNS1_3repE0EEENS1_30default_config_static_selectorELNS0_4arch9wavefront6targetE0EEEvT1_.numbered_sgpr, 0
	.set _ZN7rocprim17ROCPRIM_400000_NS6detail17trampoline_kernelINS0_14default_configENS1_25partition_config_selectorILNS1_17partition_subalgoE5ElNS0_10empty_typeEbEEZZNS1_14partition_implILS5_5ELb0ES3_mN6hipcub16HIPCUB_304000_NS21CountingInputIteratorIllEEPS6_NSA_22TransformInputIteratorIbN2at6native12_GLOBAL__N_19NonZeroOpIfEEPKflEENS0_5tupleIJPlS6_EEENSN_IJSD_SD_EEES6_PiJS6_EEE10hipError_tPvRmT3_T4_T5_T6_T7_T9_mT8_P12ihipStream_tbDpT10_ENKUlT_T0_E_clISt17integral_constantIbLb0EES1B_EEDaS16_S17_EUlS16_E_NS1_11comp_targetILNS1_3genE4ELNS1_11target_archE910ELNS1_3gpuE8ELNS1_3repE0EEENS1_30default_config_static_selectorELNS0_4arch9wavefront6targetE0EEEvT1_.num_named_barrier, 0
	.set _ZN7rocprim17ROCPRIM_400000_NS6detail17trampoline_kernelINS0_14default_configENS1_25partition_config_selectorILNS1_17partition_subalgoE5ElNS0_10empty_typeEbEEZZNS1_14partition_implILS5_5ELb0ES3_mN6hipcub16HIPCUB_304000_NS21CountingInputIteratorIllEEPS6_NSA_22TransformInputIteratorIbN2at6native12_GLOBAL__N_19NonZeroOpIfEEPKflEENS0_5tupleIJPlS6_EEENSN_IJSD_SD_EEES6_PiJS6_EEE10hipError_tPvRmT3_T4_T5_T6_T7_T9_mT8_P12ihipStream_tbDpT10_ENKUlT_T0_E_clISt17integral_constantIbLb0EES1B_EEDaS16_S17_EUlS16_E_NS1_11comp_targetILNS1_3genE4ELNS1_11target_archE910ELNS1_3gpuE8ELNS1_3repE0EEENS1_30default_config_static_selectorELNS0_4arch9wavefront6targetE0EEEvT1_.private_seg_size, 0
	.set _ZN7rocprim17ROCPRIM_400000_NS6detail17trampoline_kernelINS0_14default_configENS1_25partition_config_selectorILNS1_17partition_subalgoE5ElNS0_10empty_typeEbEEZZNS1_14partition_implILS5_5ELb0ES3_mN6hipcub16HIPCUB_304000_NS21CountingInputIteratorIllEEPS6_NSA_22TransformInputIteratorIbN2at6native12_GLOBAL__N_19NonZeroOpIfEEPKflEENS0_5tupleIJPlS6_EEENSN_IJSD_SD_EEES6_PiJS6_EEE10hipError_tPvRmT3_T4_T5_T6_T7_T9_mT8_P12ihipStream_tbDpT10_ENKUlT_T0_E_clISt17integral_constantIbLb0EES1B_EEDaS16_S17_EUlS16_E_NS1_11comp_targetILNS1_3genE4ELNS1_11target_archE910ELNS1_3gpuE8ELNS1_3repE0EEENS1_30default_config_static_selectorELNS0_4arch9wavefront6targetE0EEEvT1_.uses_vcc, 0
	.set _ZN7rocprim17ROCPRIM_400000_NS6detail17trampoline_kernelINS0_14default_configENS1_25partition_config_selectorILNS1_17partition_subalgoE5ElNS0_10empty_typeEbEEZZNS1_14partition_implILS5_5ELb0ES3_mN6hipcub16HIPCUB_304000_NS21CountingInputIteratorIllEEPS6_NSA_22TransformInputIteratorIbN2at6native12_GLOBAL__N_19NonZeroOpIfEEPKflEENS0_5tupleIJPlS6_EEENSN_IJSD_SD_EEES6_PiJS6_EEE10hipError_tPvRmT3_T4_T5_T6_T7_T9_mT8_P12ihipStream_tbDpT10_ENKUlT_T0_E_clISt17integral_constantIbLb0EES1B_EEDaS16_S17_EUlS16_E_NS1_11comp_targetILNS1_3genE4ELNS1_11target_archE910ELNS1_3gpuE8ELNS1_3repE0EEENS1_30default_config_static_selectorELNS0_4arch9wavefront6targetE0EEEvT1_.uses_flat_scratch, 0
	.set _ZN7rocprim17ROCPRIM_400000_NS6detail17trampoline_kernelINS0_14default_configENS1_25partition_config_selectorILNS1_17partition_subalgoE5ElNS0_10empty_typeEbEEZZNS1_14partition_implILS5_5ELb0ES3_mN6hipcub16HIPCUB_304000_NS21CountingInputIteratorIllEEPS6_NSA_22TransformInputIteratorIbN2at6native12_GLOBAL__N_19NonZeroOpIfEEPKflEENS0_5tupleIJPlS6_EEENSN_IJSD_SD_EEES6_PiJS6_EEE10hipError_tPvRmT3_T4_T5_T6_T7_T9_mT8_P12ihipStream_tbDpT10_ENKUlT_T0_E_clISt17integral_constantIbLb0EES1B_EEDaS16_S17_EUlS16_E_NS1_11comp_targetILNS1_3genE4ELNS1_11target_archE910ELNS1_3gpuE8ELNS1_3repE0EEENS1_30default_config_static_selectorELNS0_4arch9wavefront6targetE0EEEvT1_.has_dyn_sized_stack, 0
	.set _ZN7rocprim17ROCPRIM_400000_NS6detail17trampoline_kernelINS0_14default_configENS1_25partition_config_selectorILNS1_17partition_subalgoE5ElNS0_10empty_typeEbEEZZNS1_14partition_implILS5_5ELb0ES3_mN6hipcub16HIPCUB_304000_NS21CountingInputIteratorIllEEPS6_NSA_22TransformInputIteratorIbN2at6native12_GLOBAL__N_19NonZeroOpIfEEPKflEENS0_5tupleIJPlS6_EEENSN_IJSD_SD_EEES6_PiJS6_EEE10hipError_tPvRmT3_T4_T5_T6_T7_T9_mT8_P12ihipStream_tbDpT10_ENKUlT_T0_E_clISt17integral_constantIbLb0EES1B_EEDaS16_S17_EUlS16_E_NS1_11comp_targetILNS1_3genE4ELNS1_11target_archE910ELNS1_3gpuE8ELNS1_3repE0EEENS1_30default_config_static_selectorELNS0_4arch9wavefront6targetE0EEEvT1_.has_recursion, 0
	.set _ZN7rocprim17ROCPRIM_400000_NS6detail17trampoline_kernelINS0_14default_configENS1_25partition_config_selectorILNS1_17partition_subalgoE5ElNS0_10empty_typeEbEEZZNS1_14partition_implILS5_5ELb0ES3_mN6hipcub16HIPCUB_304000_NS21CountingInputIteratorIllEEPS6_NSA_22TransformInputIteratorIbN2at6native12_GLOBAL__N_19NonZeroOpIfEEPKflEENS0_5tupleIJPlS6_EEENSN_IJSD_SD_EEES6_PiJS6_EEE10hipError_tPvRmT3_T4_T5_T6_T7_T9_mT8_P12ihipStream_tbDpT10_ENKUlT_T0_E_clISt17integral_constantIbLb0EES1B_EEDaS16_S17_EUlS16_E_NS1_11comp_targetILNS1_3genE4ELNS1_11target_archE910ELNS1_3gpuE8ELNS1_3repE0EEENS1_30default_config_static_selectorELNS0_4arch9wavefront6targetE0EEEvT1_.has_indirect_call, 0
	.section	.AMDGPU.csdata,"",@progbits
; Kernel info:
; codeLenInByte = 0
; TotalNumSgprs: 0
; NumVgprs: 0
; ScratchSize: 0
; MemoryBound: 0
; FloatMode: 240
; IeeeMode: 1
; LDSByteSize: 0 bytes/workgroup (compile time only)
; SGPRBlocks: 0
; VGPRBlocks: 0
; NumSGPRsForWavesPerEU: 1
; NumVGPRsForWavesPerEU: 1
; Occupancy: 16
; WaveLimiterHint : 0
; COMPUTE_PGM_RSRC2:SCRATCH_EN: 0
; COMPUTE_PGM_RSRC2:USER_SGPR: 2
; COMPUTE_PGM_RSRC2:TRAP_HANDLER: 0
; COMPUTE_PGM_RSRC2:TGID_X_EN: 1
; COMPUTE_PGM_RSRC2:TGID_Y_EN: 0
; COMPUTE_PGM_RSRC2:TGID_Z_EN: 0
; COMPUTE_PGM_RSRC2:TIDIG_COMP_CNT: 0
	.section	.text._ZN7rocprim17ROCPRIM_400000_NS6detail17trampoline_kernelINS0_14default_configENS1_25partition_config_selectorILNS1_17partition_subalgoE5ElNS0_10empty_typeEbEEZZNS1_14partition_implILS5_5ELb0ES3_mN6hipcub16HIPCUB_304000_NS21CountingInputIteratorIllEEPS6_NSA_22TransformInputIteratorIbN2at6native12_GLOBAL__N_19NonZeroOpIfEEPKflEENS0_5tupleIJPlS6_EEENSN_IJSD_SD_EEES6_PiJS6_EEE10hipError_tPvRmT3_T4_T5_T6_T7_T9_mT8_P12ihipStream_tbDpT10_ENKUlT_T0_E_clISt17integral_constantIbLb0EES1B_EEDaS16_S17_EUlS16_E_NS1_11comp_targetILNS1_3genE3ELNS1_11target_archE908ELNS1_3gpuE7ELNS1_3repE0EEENS1_30default_config_static_selectorELNS0_4arch9wavefront6targetE0EEEvT1_,"axG",@progbits,_ZN7rocprim17ROCPRIM_400000_NS6detail17trampoline_kernelINS0_14default_configENS1_25partition_config_selectorILNS1_17partition_subalgoE5ElNS0_10empty_typeEbEEZZNS1_14partition_implILS5_5ELb0ES3_mN6hipcub16HIPCUB_304000_NS21CountingInputIteratorIllEEPS6_NSA_22TransformInputIteratorIbN2at6native12_GLOBAL__N_19NonZeroOpIfEEPKflEENS0_5tupleIJPlS6_EEENSN_IJSD_SD_EEES6_PiJS6_EEE10hipError_tPvRmT3_T4_T5_T6_T7_T9_mT8_P12ihipStream_tbDpT10_ENKUlT_T0_E_clISt17integral_constantIbLb0EES1B_EEDaS16_S17_EUlS16_E_NS1_11comp_targetILNS1_3genE3ELNS1_11target_archE908ELNS1_3gpuE7ELNS1_3repE0EEENS1_30default_config_static_selectorELNS0_4arch9wavefront6targetE0EEEvT1_,comdat
	.globl	_ZN7rocprim17ROCPRIM_400000_NS6detail17trampoline_kernelINS0_14default_configENS1_25partition_config_selectorILNS1_17partition_subalgoE5ElNS0_10empty_typeEbEEZZNS1_14partition_implILS5_5ELb0ES3_mN6hipcub16HIPCUB_304000_NS21CountingInputIteratorIllEEPS6_NSA_22TransformInputIteratorIbN2at6native12_GLOBAL__N_19NonZeroOpIfEEPKflEENS0_5tupleIJPlS6_EEENSN_IJSD_SD_EEES6_PiJS6_EEE10hipError_tPvRmT3_T4_T5_T6_T7_T9_mT8_P12ihipStream_tbDpT10_ENKUlT_T0_E_clISt17integral_constantIbLb0EES1B_EEDaS16_S17_EUlS16_E_NS1_11comp_targetILNS1_3genE3ELNS1_11target_archE908ELNS1_3gpuE7ELNS1_3repE0EEENS1_30default_config_static_selectorELNS0_4arch9wavefront6targetE0EEEvT1_ ; -- Begin function _ZN7rocprim17ROCPRIM_400000_NS6detail17trampoline_kernelINS0_14default_configENS1_25partition_config_selectorILNS1_17partition_subalgoE5ElNS0_10empty_typeEbEEZZNS1_14partition_implILS5_5ELb0ES3_mN6hipcub16HIPCUB_304000_NS21CountingInputIteratorIllEEPS6_NSA_22TransformInputIteratorIbN2at6native12_GLOBAL__N_19NonZeroOpIfEEPKflEENS0_5tupleIJPlS6_EEENSN_IJSD_SD_EEES6_PiJS6_EEE10hipError_tPvRmT3_T4_T5_T6_T7_T9_mT8_P12ihipStream_tbDpT10_ENKUlT_T0_E_clISt17integral_constantIbLb0EES1B_EEDaS16_S17_EUlS16_E_NS1_11comp_targetILNS1_3genE3ELNS1_11target_archE908ELNS1_3gpuE7ELNS1_3repE0EEENS1_30default_config_static_selectorELNS0_4arch9wavefront6targetE0EEEvT1_
	.p2align	8
	.type	_ZN7rocprim17ROCPRIM_400000_NS6detail17trampoline_kernelINS0_14default_configENS1_25partition_config_selectorILNS1_17partition_subalgoE5ElNS0_10empty_typeEbEEZZNS1_14partition_implILS5_5ELb0ES3_mN6hipcub16HIPCUB_304000_NS21CountingInputIteratorIllEEPS6_NSA_22TransformInputIteratorIbN2at6native12_GLOBAL__N_19NonZeroOpIfEEPKflEENS0_5tupleIJPlS6_EEENSN_IJSD_SD_EEES6_PiJS6_EEE10hipError_tPvRmT3_T4_T5_T6_T7_T9_mT8_P12ihipStream_tbDpT10_ENKUlT_T0_E_clISt17integral_constantIbLb0EES1B_EEDaS16_S17_EUlS16_E_NS1_11comp_targetILNS1_3genE3ELNS1_11target_archE908ELNS1_3gpuE7ELNS1_3repE0EEENS1_30default_config_static_selectorELNS0_4arch9wavefront6targetE0EEEvT1_,@function
_ZN7rocprim17ROCPRIM_400000_NS6detail17trampoline_kernelINS0_14default_configENS1_25partition_config_selectorILNS1_17partition_subalgoE5ElNS0_10empty_typeEbEEZZNS1_14partition_implILS5_5ELb0ES3_mN6hipcub16HIPCUB_304000_NS21CountingInputIteratorIllEEPS6_NSA_22TransformInputIteratorIbN2at6native12_GLOBAL__N_19NonZeroOpIfEEPKflEENS0_5tupleIJPlS6_EEENSN_IJSD_SD_EEES6_PiJS6_EEE10hipError_tPvRmT3_T4_T5_T6_T7_T9_mT8_P12ihipStream_tbDpT10_ENKUlT_T0_E_clISt17integral_constantIbLb0EES1B_EEDaS16_S17_EUlS16_E_NS1_11comp_targetILNS1_3genE3ELNS1_11target_archE908ELNS1_3gpuE7ELNS1_3repE0EEENS1_30default_config_static_selectorELNS0_4arch9wavefront6targetE0EEEvT1_: ; @_ZN7rocprim17ROCPRIM_400000_NS6detail17trampoline_kernelINS0_14default_configENS1_25partition_config_selectorILNS1_17partition_subalgoE5ElNS0_10empty_typeEbEEZZNS1_14partition_implILS5_5ELb0ES3_mN6hipcub16HIPCUB_304000_NS21CountingInputIteratorIllEEPS6_NSA_22TransformInputIteratorIbN2at6native12_GLOBAL__N_19NonZeroOpIfEEPKflEENS0_5tupleIJPlS6_EEENSN_IJSD_SD_EEES6_PiJS6_EEE10hipError_tPvRmT3_T4_T5_T6_T7_T9_mT8_P12ihipStream_tbDpT10_ENKUlT_T0_E_clISt17integral_constantIbLb0EES1B_EEDaS16_S17_EUlS16_E_NS1_11comp_targetILNS1_3genE3ELNS1_11target_archE908ELNS1_3gpuE7ELNS1_3repE0EEENS1_30default_config_static_selectorELNS0_4arch9wavefront6targetE0EEEvT1_
; %bb.0:
	.section	.rodata,"a",@progbits
	.p2align	6, 0x0
	.amdhsa_kernel _ZN7rocprim17ROCPRIM_400000_NS6detail17trampoline_kernelINS0_14default_configENS1_25partition_config_selectorILNS1_17partition_subalgoE5ElNS0_10empty_typeEbEEZZNS1_14partition_implILS5_5ELb0ES3_mN6hipcub16HIPCUB_304000_NS21CountingInputIteratorIllEEPS6_NSA_22TransformInputIteratorIbN2at6native12_GLOBAL__N_19NonZeroOpIfEEPKflEENS0_5tupleIJPlS6_EEENSN_IJSD_SD_EEES6_PiJS6_EEE10hipError_tPvRmT3_T4_T5_T6_T7_T9_mT8_P12ihipStream_tbDpT10_ENKUlT_T0_E_clISt17integral_constantIbLb0EES1B_EEDaS16_S17_EUlS16_E_NS1_11comp_targetILNS1_3genE3ELNS1_11target_archE908ELNS1_3gpuE7ELNS1_3repE0EEENS1_30default_config_static_selectorELNS0_4arch9wavefront6targetE0EEEvT1_
		.amdhsa_group_segment_fixed_size 0
		.amdhsa_private_segment_fixed_size 0
		.amdhsa_kernarg_size 120
		.amdhsa_user_sgpr_count 2
		.amdhsa_user_sgpr_dispatch_ptr 0
		.amdhsa_user_sgpr_queue_ptr 0
		.amdhsa_user_sgpr_kernarg_segment_ptr 1
		.amdhsa_user_sgpr_dispatch_id 0
		.amdhsa_user_sgpr_private_segment_size 0
		.amdhsa_wavefront_size32 1
		.amdhsa_uses_dynamic_stack 0
		.amdhsa_enable_private_segment 0
		.amdhsa_system_sgpr_workgroup_id_x 1
		.amdhsa_system_sgpr_workgroup_id_y 0
		.amdhsa_system_sgpr_workgroup_id_z 0
		.amdhsa_system_sgpr_workgroup_info 0
		.amdhsa_system_vgpr_workitem_id 0
		.amdhsa_next_free_vgpr 1
		.amdhsa_next_free_sgpr 1
		.amdhsa_reserve_vcc 0
		.amdhsa_float_round_mode_32 0
		.amdhsa_float_round_mode_16_64 0
		.amdhsa_float_denorm_mode_32 3
		.amdhsa_float_denorm_mode_16_64 3
		.amdhsa_fp16_overflow 0
		.amdhsa_workgroup_processor_mode 1
		.amdhsa_memory_ordered 1
		.amdhsa_forward_progress 1
		.amdhsa_inst_pref_size 0
		.amdhsa_round_robin_scheduling 0
		.amdhsa_exception_fp_ieee_invalid_op 0
		.amdhsa_exception_fp_denorm_src 0
		.amdhsa_exception_fp_ieee_div_zero 0
		.amdhsa_exception_fp_ieee_overflow 0
		.amdhsa_exception_fp_ieee_underflow 0
		.amdhsa_exception_fp_ieee_inexact 0
		.amdhsa_exception_int_div_zero 0
	.end_amdhsa_kernel
	.section	.text._ZN7rocprim17ROCPRIM_400000_NS6detail17trampoline_kernelINS0_14default_configENS1_25partition_config_selectorILNS1_17partition_subalgoE5ElNS0_10empty_typeEbEEZZNS1_14partition_implILS5_5ELb0ES3_mN6hipcub16HIPCUB_304000_NS21CountingInputIteratorIllEEPS6_NSA_22TransformInputIteratorIbN2at6native12_GLOBAL__N_19NonZeroOpIfEEPKflEENS0_5tupleIJPlS6_EEENSN_IJSD_SD_EEES6_PiJS6_EEE10hipError_tPvRmT3_T4_T5_T6_T7_T9_mT8_P12ihipStream_tbDpT10_ENKUlT_T0_E_clISt17integral_constantIbLb0EES1B_EEDaS16_S17_EUlS16_E_NS1_11comp_targetILNS1_3genE3ELNS1_11target_archE908ELNS1_3gpuE7ELNS1_3repE0EEENS1_30default_config_static_selectorELNS0_4arch9wavefront6targetE0EEEvT1_,"axG",@progbits,_ZN7rocprim17ROCPRIM_400000_NS6detail17trampoline_kernelINS0_14default_configENS1_25partition_config_selectorILNS1_17partition_subalgoE5ElNS0_10empty_typeEbEEZZNS1_14partition_implILS5_5ELb0ES3_mN6hipcub16HIPCUB_304000_NS21CountingInputIteratorIllEEPS6_NSA_22TransformInputIteratorIbN2at6native12_GLOBAL__N_19NonZeroOpIfEEPKflEENS0_5tupleIJPlS6_EEENSN_IJSD_SD_EEES6_PiJS6_EEE10hipError_tPvRmT3_T4_T5_T6_T7_T9_mT8_P12ihipStream_tbDpT10_ENKUlT_T0_E_clISt17integral_constantIbLb0EES1B_EEDaS16_S17_EUlS16_E_NS1_11comp_targetILNS1_3genE3ELNS1_11target_archE908ELNS1_3gpuE7ELNS1_3repE0EEENS1_30default_config_static_selectorELNS0_4arch9wavefront6targetE0EEEvT1_,comdat
.Lfunc_end461:
	.size	_ZN7rocprim17ROCPRIM_400000_NS6detail17trampoline_kernelINS0_14default_configENS1_25partition_config_selectorILNS1_17partition_subalgoE5ElNS0_10empty_typeEbEEZZNS1_14partition_implILS5_5ELb0ES3_mN6hipcub16HIPCUB_304000_NS21CountingInputIteratorIllEEPS6_NSA_22TransformInputIteratorIbN2at6native12_GLOBAL__N_19NonZeroOpIfEEPKflEENS0_5tupleIJPlS6_EEENSN_IJSD_SD_EEES6_PiJS6_EEE10hipError_tPvRmT3_T4_T5_T6_T7_T9_mT8_P12ihipStream_tbDpT10_ENKUlT_T0_E_clISt17integral_constantIbLb0EES1B_EEDaS16_S17_EUlS16_E_NS1_11comp_targetILNS1_3genE3ELNS1_11target_archE908ELNS1_3gpuE7ELNS1_3repE0EEENS1_30default_config_static_selectorELNS0_4arch9wavefront6targetE0EEEvT1_, .Lfunc_end461-_ZN7rocprim17ROCPRIM_400000_NS6detail17trampoline_kernelINS0_14default_configENS1_25partition_config_selectorILNS1_17partition_subalgoE5ElNS0_10empty_typeEbEEZZNS1_14partition_implILS5_5ELb0ES3_mN6hipcub16HIPCUB_304000_NS21CountingInputIteratorIllEEPS6_NSA_22TransformInputIteratorIbN2at6native12_GLOBAL__N_19NonZeroOpIfEEPKflEENS0_5tupleIJPlS6_EEENSN_IJSD_SD_EEES6_PiJS6_EEE10hipError_tPvRmT3_T4_T5_T6_T7_T9_mT8_P12ihipStream_tbDpT10_ENKUlT_T0_E_clISt17integral_constantIbLb0EES1B_EEDaS16_S17_EUlS16_E_NS1_11comp_targetILNS1_3genE3ELNS1_11target_archE908ELNS1_3gpuE7ELNS1_3repE0EEENS1_30default_config_static_selectorELNS0_4arch9wavefront6targetE0EEEvT1_
                                        ; -- End function
	.set _ZN7rocprim17ROCPRIM_400000_NS6detail17trampoline_kernelINS0_14default_configENS1_25partition_config_selectorILNS1_17partition_subalgoE5ElNS0_10empty_typeEbEEZZNS1_14partition_implILS5_5ELb0ES3_mN6hipcub16HIPCUB_304000_NS21CountingInputIteratorIllEEPS6_NSA_22TransformInputIteratorIbN2at6native12_GLOBAL__N_19NonZeroOpIfEEPKflEENS0_5tupleIJPlS6_EEENSN_IJSD_SD_EEES6_PiJS6_EEE10hipError_tPvRmT3_T4_T5_T6_T7_T9_mT8_P12ihipStream_tbDpT10_ENKUlT_T0_E_clISt17integral_constantIbLb0EES1B_EEDaS16_S17_EUlS16_E_NS1_11comp_targetILNS1_3genE3ELNS1_11target_archE908ELNS1_3gpuE7ELNS1_3repE0EEENS1_30default_config_static_selectorELNS0_4arch9wavefront6targetE0EEEvT1_.num_vgpr, 0
	.set _ZN7rocprim17ROCPRIM_400000_NS6detail17trampoline_kernelINS0_14default_configENS1_25partition_config_selectorILNS1_17partition_subalgoE5ElNS0_10empty_typeEbEEZZNS1_14partition_implILS5_5ELb0ES3_mN6hipcub16HIPCUB_304000_NS21CountingInputIteratorIllEEPS6_NSA_22TransformInputIteratorIbN2at6native12_GLOBAL__N_19NonZeroOpIfEEPKflEENS0_5tupleIJPlS6_EEENSN_IJSD_SD_EEES6_PiJS6_EEE10hipError_tPvRmT3_T4_T5_T6_T7_T9_mT8_P12ihipStream_tbDpT10_ENKUlT_T0_E_clISt17integral_constantIbLb0EES1B_EEDaS16_S17_EUlS16_E_NS1_11comp_targetILNS1_3genE3ELNS1_11target_archE908ELNS1_3gpuE7ELNS1_3repE0EEENS1_30default_config_static_selectorELNS0_4arch9wavefront6targetE0EEEvT1_.num_agpr, 0
	.set _ZN7rocprim17ROCPRIM_400000_NS6detail17trampoline_kernelINS0_14default_configENS1_25partition_config_selectorILNS1_17partition_subalgoE5ElNS0_10empty_typeEbEEZZNS1_14partition_implILS5_5ELb0ES3_mN6hipcub16HIPCUB_304000_NS21CountingInputIteratorIllEEPS6_NSA_22TransformInputIteratorIbN2at6native12_GLOBAL__N_19NonZeroOpIfEEPKflEENS0_5tupleIJPlS6_EEENSN_IJSD_SD_EEES6_PiJS6_EEE10hipError_tPvRmT3_T4_T5_T6_T7_T9_mT8_P12ihipStream_tbDpT10_ENKUlT_T0_E_clISt17integral_constantIbLb0EES1B_EEDaS16_S17_EUlS16_E_NS1_11comp_targetILNS1_3genE3ELNS1_11target_archE908ELNS1_3gpuE7ELNS1_3repE0EEENS1_30default_config_static_selectorELNS0_4arch9wavefront6targetE0EEEvT1_.numbered_sgpr, 0
	.set _ZN7rocprim17ROCPRIM_400000_NS6detail17trampoline_kernelINS0_14default_configENS1_25partition_config_selectorILNS1_17partition_subalgoE5ElNS0_10empty_typeEbEEZZNS1_14partition_implILS5_5ELb0ES3_mN6hipcub16HIPCUB_304000_NS21CountingInputIteratorIllEEPS6_NSA_22TransformInputIteratorIbN2at6native12_GLOBAL__N_19NonZeroOpIfEEPKflEENS0_5tupleIJPlS6_EEENSN_IJSD_SD_EEES6_PiJS6_EEE10hipError_tPvRmT3_T4_T5_T6_T7_T9_mT8_P12ihipStream_tbDpT10_ENKUlT_T0_E_clISt17integral_constantIbLb0EES1B_EEDaS16_S17_EUlS16_E_NS1_11comp_targetILNS1_3genE3ELNS1_11target_archE908ELNS1_3gpuE7ELNS1_3repE0EEENS1_30default_config_static_selectorELNS0_4arch9wavefront6targetE0EEEvT1_.num_named_barrier, 0
	.set _ZN7rocprim17ROCPRIM_400000_NS6detail17trampoline_kernelINS0_14default_configENS1_25partition_config_selectorILNS1_17partition_subalgoE5ElNS0_10empty_typeEbEEZZNS1_14partition_implILS5_5ELb0ES3_mN6hipcub16HIPCUB_304000_NS21CountingInputIteratorIllEEPS6_NSA_22TransformInputIteratorIbN2at6native12_GLOBAL__N_19NonZeroOpIfEEPKflEENS0_5tupleIJPlS6_EEENSN_IJSD_SD_EEES6_PiJS6_EEE10hipError_tPvRmT3_T4_T5_T6_T7_T9_mT8_P12ihipStream_tbDpT10_ENKUlT_T0_E_clISt17integral_constantIbLb0EES1B_EEDaS16_S17_EUlS16_E_NS1_11comp_targetILNS1_3genE3ELNS1_11target_archE908ELNS1_3gpuE7ELNS1_3repE0EEENS1_30default_config_static_selectorELNS0_4arch9wavefront6targetE0EEEvT1_.private_seg_size, 0
	.set _ZN7rocprim17ROCPRIM_400000_NS6detail17trampoline_kernelINS0_14default_configENS1_25partition_config_selectorILNS1_17partition_subalgoE5ElNS0_10empty_typeEbEEZZNS1_14partition_implILS5_5ELb0ES3_mN6hipcub16HIPCUB_304000_NS21CountingInputIteratorIllEEPS6_NSA_22TransformInputIteratorIbN2at6native12_GLOBAL__N_19NonZeroOpIfEEPKflEENS0_5tupleIJPlS6_EEENSN_IJSD_SD_EEES6_PiJS6_EEE10hipError_tPvRmT3_T4_T5_T6_T7_T9_mT8_P12ihipStream_tbDpT10_ENKUlT_T0_E_clISt17integral_constantIbLb0EES1B_EEDaS16_S17_EUlS16_E_NS1_11comp_targetILNS1_3genE3ELNS1_11target_archE908ELNS1_3gpuE7ELNS1_3repE0EEENS1_30default_config_static_selectorELNS0_4arch9wavefront6targetE0EEEvT1_.uses_vcc, 0
	.set _ZN7rocprim17ROCPRIM_400000_NS6detail17trampoline_kernelINS0_14default_configENS1_25partition_config_selectorILNS1_17partition_subalgoE5ElNS0_10empty_typeEbEEZZNS1_14partition_implILS5_5ELb0ES3_mN6hipcub16HIPCUB_304000_NS21CountingInputIteratorIllEEPS6_NSA_22TransformInputIteratorIbN2at6native12_GLOBAL__N_19NonZeroOpIfEEPKflEENS0_5tupleIJPlS6_EEENSN_IJSD_SD_EEES6_PiJS6_EEE10hipError_tPvRmT3_T4_T5_T6_T7_T9_mT8_P12ihipStream_tbDpT10_ENKUlT_T0_E_clISt17integral_constantIbLb0EES1B_EEDaS16_S17_EUlS16_E_NS1_11comp_targetILNS1_3genE3ELNS1_11target_archE908ELNS1_3gpuE7ELNS1_3repE0EEENS1_30default_config_static_selectorELNS0_4arch9wavefront6targetE0EEEvT1_.uses_flat_scratch, 0
	.set _ZN7rocprim17ROCPRIM_400000_NS6detail17trampoline_kernelINS0_14default_configENS1_25partition_config_selectorILNS1_17partition_subalgoE5ElNS0_10empty_typeEbEEZZNS1_14partition_implILS5_5ELb0ES3_mN6hipcub16HIPCUB_304000_NS21CountingInputIteratorIllEEPS6_NSA_22TransformInputIteratorIbN2at6native12_GLOBAL__N_19NonZeroOpIfEEPKflEENS0_5tupleIJPlS6_EEENSN_IJSD_SD_EEES6_PiJS6_EEE10hipError_tPvRmT3_T4_T5_T6_T7_T9_mT8_P12ihipStream_tbDpT10_ENKUlT_T0_E_clISt17integral_constantIbLb0EES1B_EEDaS16_S17_EUlS16_E_NS1_11comp_targetILNS1_3genE3ELNS1_11target_archE908ELNS1_3gpuE7ELNS1_3repE0EEENS1_30default_config_static_selectorELNS0_4arch9wavefront6targetE0EEEvT1_.has_dyn_sized_stack, 0
	.set _ZN7rocprim17ROCPRIM_400000_NS6detail17trampoline_kernelINS0_14default_configENS1_25partition_config_selectorILNS1_17partition_subalgoE5ElNS0_10empty_typeEbEEZZNS1_14partition_implILS5_5ELb0ES3_mN6hipcub16HIPCUB_304000_NS21CountingInputIteratorIllEEPS6_NSA_22TransformInputIteratorIbN2at6native12_GLOBAL__N_19NonZeroOpIfEEPKflEENS0_5tupleIJPlS6_EEENSN_IJSD_SD_EEES6_PiJS6_EEE10hipError_tPvRmT3_T4_T5_T6_T7_T9_mT8_P12ihipStream_tbDpT10_ENKUlT_T0_E_clISt17integral_constantIbLb0EES1B_EEDaS16_S17_EUlS16_E_NS1_11comp_targetILNS1_3genE3ELNS1_11target_archE908ELNS1_3gpuE7ELNS1_3repE0EEENS1_30default_config_static_selectorELNS0_4arch9wavefront6targetE0EEEvT1_.has_recursion, 0
	.set _ZN7rocprim17ROCPRIM_400000_NS6detail17trampoline_kernelINS0_14default_configENS1_25partition_config_selectorILNS1_17partition_subalgoE5ElNS0_10empty_typeEbEEZZNS1_14partition_implILS5_5ELb0ES3_mN6hipcub16HIPCUB_304000_NS21CountingInputIteratorIllEEPS6_NSA_22TransformInputIteratorIbN2at6native12_GLOBAL__N_19NonZeroOpIfEEPKflEENS0_5tupleIJPlS6_EEENSN_IJSD_SD_EEES6_PiJS6_EEE10hipError_tPvRmT3_T4_T5_T6_T7_T9_mT8_P12ihipStream_tbDpT10_ENKUlT_T0_E_clISt17integral_constantIbLb0EES1B_EEDaS16_S17_EUlS16_E_NS1_11comp_targetILNS1_3genE3ELNS1_11target_archE908ELNS1_3gpuE7ELNS1_3repE0EEENS1_30default_config_static_selectorELNS0_4arch9wavefront6targetE0EEEvT1_.has_indirect_call, 0
	.section	.AMDGPU.csdata,"",@progbits
; Kernel info:
; codeLenInByte = 0
; TotalNumSgprs: 0
; NumVgprs: 0
; ScratchSize: 0
; MemoryBound: 0
; FloatMode: 240
; IeeeMode: 1
; LDSByteSize: 0 bytes/workgroup (compile time only)
; SGPRBlocks: 0
; VGPRBlocks: 0
; NumSGPRsForWavesPerEU: 1
; NumVGPRsForWavesPerEU: 1
; Occupancy: 16
; WaveLimiterHint : 0
; COMPUTE_PGM_RSRC2:SCRATCH_EN: 0
; COMPUTE_PGM_RSRC2:USER_SGPR: 2
; COMPUTE_PGM_RSRC2:TRAP_HANDLER: 0
; COMPUTE_PGM_RSRC2:TGID_X_EN: 1
; COMPUTE_PGM_RSRC2:TGID_Y_EN: 0
; COMPUTE_PGM_RSRC2:TGID_Z_EN: 0
; COMPUTE_PGM_RSRC2:TIDIG_COMP_CNT: 0
	.section	.text._ZN7rocprim17ROCPRIM_400000_NS6detail17trampoline_kernelINS0_14default_configENS1_25partition_config_selectorILNS1_17partition_subalgoE5ElNS0_10empty_typeEbEEZZNS1_14partition_implILS5_5ELb0ES3_mN6hipcub16HIPCUB_304000_NS21CountingInputIteratorIllEEPS6_NSA_22TransformInputIteratorIbN2at6native12_GLOBAL__N_19NonZeroOpIfEEPKflEENS0_5tupleIJPlS6_EEENSN_IJSD_SD_EEES6_PiJS6_EEE10hipError_tPvRmT3_T4_T5_T6_T7_T9_mT8_P12ihipStream_tbDpT10_ENKUlT_T0_E_clISt17integral_constantIbLb0EES1B_EEDaS16_S17_EUlS16_E_NS1_11comp_targetILNS1_3genE2ELNS1_11target_archE906ELNS1_3gpuE6ELNS1_3repE0EEENS1_30default_config_static_selectorELNS0_4arch9wavefront6targetE0EEEvT1_,"axG",@progbits,_ZN7rocprim17ROCPRIM_400000_NS6detail17trampoline_kernelINS0_14default_configENS1_25partition_config_selectorILNS1_17partition_subalgoE5ElNS0_10empty_typeEbEEZZNS1_14partition_implILS5_5ELb0ES3_mN6hipcub16HIPCUB_304000_NS21CountingInputIteratorIllEEPS6_NSA_22TransformInputIteratorIbN2at6native12_GLOBAL__N_19NonZeroOpIfEEPKflEENS0_5tupleIJPlS6_EEENSN_IJSD_SD_EEES6_PiJS6_EEE10hipError_tPvRmT3_T4_T5_T6_T7_T9_mT8_P12ihipStream_tbDpT10_ENKUlT_T0_E_clISt17integral_constantIbLb0EES1B_EEDaS16_S17_EUlS16_E_NS1_11comp_targetILNS1_3genE2ELNS1_11target_archE906ELNS1_3gpuE6ELNS1_3repE0EEENS1_30default_config_static_selectorELNS0_4arch9wavefront6targetE0EEEvT1_,comdat
	.globl	_ZN7rocprim17ROCPRIM_400000_NS6detail17trampoline_kernelINS0_14default_configENS1_25partition_config_selectorILNS1_17partition_subalgoE5ElNS0_10empty_typeEbEEZZNS1_14partition_implILS5_5ELb0ES3_mN6hipcub16HIPCUB_304000_NS21CountingInputIteratorIllEEPS6_NSA_22TransformInputIteratorIbN2at6native12_GLOBAL__N_19NonZeroOpIfEEPKflEENS0_5tupleIJPlS6_EEENSN_IJSD_SD_EEES6_PiJS6_EEE10hipError_tPvRmT3_T4_T5_T6_T7_T9_mT8_P12ihipStream_tbDpT10_ENKUlT_T0_E_clISt17integral_constantIbLb0EES1B_EEDaS16_S17_EUlS16_E_NS1_11comp_targetILNS1_3genE2ELNS1_11target_archE906ELNS1_3gpuE6ELNS1_3repE0EEENS1_30default_config_static_selectorELNS0_4arch9wavefront6targetE0EEEvT1_ ; -- Begin function _ZN7rocprim17ROCPRIM_400000_NS6detail17trampoline_kernelINS0_14default_configENS1_25partition_config_selectorILNS1_17partition_subalgoE5ElNS0_10empty_typeEbEEZZNS1_14partition_implILS5_5ELb0ES3_mN6hipcub16HIPCUB_304000_NS21CountingInputIteratorIllEEPS6_NSA_22TransformInputIteratorIbN2at6native12_GLOBAL__N_19NonZeroOpIfEEPKflEENS0_5tupleIJPlS6_EEENSN_IJSD_SD_EEES6_PiJS6_EEE10hipError_tPvRmT3_T4_T5_T6_T7_T9_mT8_P12ihipStream_tbDpT10_ENKUlT_T0_E_clISt17integral_constantIbLb0EES1B_EEDaS16_S17_EUlS16_E_NS1_11comp_targetILNS1_3genE2ELNS1_11target_archE906ELNS1_3gpuE6ELNS1_3repE0EEENS1_30default_config_static_selectorELNS0_4arch9wavefront6targetE0EEEvT1_
	.p2align	8
	.type	_ZN7rocprim17ROCPRIM_400000_NS6detail17trampoline_kernelINS0_14default_configENS1_25partition_config_selectorILNS1_17partition_subalgoE5ElNS0_10empty_typeEbEEZZNS1_14partition_implILS5_5ELb0ES3_mN6hipcub16HIPCUB_304000_NS21CountingInputIteratorIllEEPS6_NSA_22TransformInputIteratorIbN2at6native12_GLOBAL__N_19NonZeroOpIfEEPKflEENS0_5tupleIJPlS6_EEENSN_IJSD_SD_EEES6_PiJS6_EEE10hipError_tPvRmT3_T4_T5_T6_T7_T9_mT8_P12ihipStream_tbDpT10_ENKUlT_T0_E_clISt17integral_constantIbLb0EES1B_EEDaS16_S17_EUlS16_E_NS1_11comp_targetILNS1_3genE2ELNS1_11target_archE906ELNS1_3gpuE6ELNS1_3repE0EEENS1_30default_config_static_selectorELNS0_4arch9wavefront6targetE0EEEvT1_,@function
_ZN7rocprim17ROCPRIM_400000_NS6detail17trampoline_kernelINS0_14default_configENS1_25partition_config_selectorILNS1_17partition_subalgoE5ElNS0_10empty_typeEbEEZZNS1_14partition_implILS5_5ELb0ES3_mN6hipcub16HIPCUB_304000_NS21CountingInputIteratorIllEEPS6_NSA_22TransformInputIteratorIbN2at6native12_GLOBAL__N_19NonZeroOpIfEEPKflEENS0_5tupleIJPlS6_EEENSN_IJSD_SD_EEES6_PiJS6_EEE10hipError_tPvRmT3_T4_T5_T6_T7_T9_mT8_P12ihipStream_tbDpT10_ENKUlT_T0_E_clISt17integral_constantIbLb0EES1B_EEDaS16_S17_EUlS16_E_NS1_11comp_targetILNS1_3genE2ELNS1_11target_archE906ELNS1_3gpuE6ELNS1_3repE0EEENS1_30default_config_static_selectorELNS0_4arch9wavefront6targetE0EEEvT1_: ; @_ZN7rocprim17ROCPRIM_400000_NS6detail17trampoline_kernelINS0_14default_configENS1_25partition_config_selectorILNS1_17partition_subalgoE5ElNS0_10empty_typeEbEEZZNS1_14partition_implILS5_5ELb0ES3_mN6hipcub16HIPCUB_304000_NS21CountingInputIteratorIllEEPS6_NSA_22TransformInputIteratorIbN2at6native12_GLOBAL__N_19NonZeroOpIfEEPKflEENS0_5tupleIJPlS6_EEENSN_IJSD_SD_EEES6_PiJS6_EEE10hipError_tPvRmT3_T4_T5_T6_T7_T9_mT8_P12ihipStream_tbDpT10_ENKUlT_T0_E_clISt17integral_constantIbLb0EES1B_EEDaS16_S17_EUlS16_E_NS1_11comp_targetILNS1_3genE2ELNS1_11target_archE906ELNS1_3gpuE6ELNS1_3repE0EEENS1_30default_config_static_selectorELNS0_4arch9wavefront6targetE0EEEvT1_
; %bb.0:
	.section	.rodata,"a",@progbits
	.p2align	6, 0x0
	.amdhsa_kernel _ZN7rocprim17ROCPRIM_400000_NS6detail17trampoline_kernelINS0_14default_configENS1_25partition_config_selectorILNS1_17partition_subalgoE5ElNS0_10empty_typeEbEEZZNS1_14partition_implILS5_5ELb0ES3_mN6hipcub16HIPCUB_304000_NS21CountingInputIteratorIllEEPS6_NSA_22TransformInputIteratorIbN2at6native12_GLOBAL__N_19NonZeroOpIfEEPKflEENS0_5tupleIJPlS6_EEENSN_IJSD_SD_EEES6_PiJS6_EEE10hipError_tPvRmT3_T4_T5_T6_T7_T9_mT8_P12ihipStream_tbDpT10_ENKUlT_T0_E_clISt17integral_constantIbLb0EES1B_EEDaS16_S17_EUlS16_E_NS1_11comp_targetILNS1_3genE2ELNS1_11target_archE906ELNS1_3gpuE6ELNS1_3repE0EEENS1_30default_config_static_selectorELNS0_4arch9wavefront6targetE0EEEvT1_
		.amdhsa_group_segment_fixed_size 0
		.amdhsa_private_segment_fixed_size 0
		.amdhsa_kernarg_size 120
		.amdhsa_user_sgpr_count 2
		.amdhsa_user_sgpr_dispatch_ptr 0
		.amdhsa_user_sgpr_queue_ptr 0
		.amdhsa_user_sgpr_kernarg_segment_ptr 1
		.amdhsa_user_sgpr_dispatch_id 0
		.amdhsa_user_sgpr_private_segment_size 0
		.amdhsa_wavefront_size32 1
		.amdhsa_uses_dynamic_stack 0
		.amdhsa_enable_private_segment 0
		.amdhsa_system_sgpr_workgroup_id_x 1
		.amdhsa_system_sgpr_workgroup_id_y 0
		.amdhsa_system_sgpr_workgroup_id_z 0
		.amdhsa_system_sgpr_workgroup_info 0
		.amdhsa_system_vgpr_workitem_id 0
		.amdhsa_next_free_vgpr 1
		.amdhsa_next_free_sgpr 1
		.amdhsa_reserve_vcc 0
		.amdhsa_float_round_mode_32 0
		.amdhsa_float_round_mode_16_64 0
		.amdhsa_float_denorm_mode_32 3
		.amdhsa_float_denorm_mode_16_64 3
		.amdhsa_fp16_overflow 0
		.amdhsa_workgroup_processor_mode 1
		.amdhsa_memory_ordered 1
		.amdhsa_forward_progress 1
		.amdhsa_inst_pref_size 0
		.amdhsa_round_robin_scheduling 0
		.amdhsa_exception_fp_ieee_invalid_op 0
		.amdhsa_exception_fp_denorm_src 0
		.amdhsa_exception_fp_ieee_div_zero 0
		.amdhsa_exception_fp_ieee_overflow 0
		.amdhsa_exception_fp_ieee_underflow 0
		.amdhsa_exception_fp_ieee_inexact 0
		.amdhsa_exception_int_div_zero 0
	.end_amdhsa_kernel
	.section	.text._ZN7rocprim17ROCPRIM_400000_NS6detail17trampoline_kernelINS0_14default_configENS1_25partition_config_selectorILNS1_17partition_subalgoE5ElNS0_10empty_typeEbEEZZNS1_14partition_implILS5_5ELb0ES3_mN6hipcub16HIPCUB_304000_NS21CountingInputIteratorIllEEPS6_NSA_22TransformInputIteratorIbN2at6native12_GLOBAL__N_19NonZeroOpIfEEPKflEENS0_5tupleIJPlS6_EEENSN_IJSD_SD_EEES6_PiJS6_EEE10hipError_tPvRmT3_T4_T5_T6_T7_T9_mT8_P12ihipStream_tbDpT10_ENKUlT_T0_E_clISt17integral_constantIbLb0EES1B_EEDaS16_S17_EUlS16_E_NS1_11comp_targetILNS1_3genE2ELNS1_11target_archE906ELNS1_3gpuE6ELNS1_3repE0EEENS1_30default_config_static_selectorELNS0_4arch9wavefront6targetE0EEEvT1_,"axG",@progbits,_ZN7rocprim17ROCPRIM_400000_NS6detail17trampoline_kernelINS0_14default_configENS1_25partition_config_selectorILNS1_17partition_subalgoE5ElNS0_10empty_typeEbEEZZNS1_14partition_implILS5_5ELb0ES3_mN6hipcub16HIPCUB_304000_NS21CountingInputIteratorIllEEPS6_NSA_22TransformInputIteratorIbN2at6native12_GLOBAL__N_19NonZeroOpIfEEPKflEENS0_5tupleIJPlS6_EEENSN_IJSD_SD_EEES6_PiJS6_EEE10hipError_tPvRmT3_T4_T5_T6_T7_T9_mT8_P12ihipStream_tbDpT10_ENKUlT_T0_E_clISt17integral_constantIbLb0EES1B_EEDaS16_S17_EUlS16_E_NS1_11comp_targetILNS1_3genE2ELNS1_11target_archE906ELNS1_3gpuE6ELNS1_3repE0EEENS1_30default_config_static_selectorELNS0_4arch9wavefront6targetE0EEEvT1_,comdat
.Lfunc_end462:
	.size	_ZN7rocprim17ROCPRIM_400000_NS6detail17trampoline_kernelINS0_14default_configENS1_25partition_config_selectorILNS1_17partition_subalgoE5ElNS0_10empty_typeEbEEZZNS1_14partition_implILS5_5ELb0ES3_mN6hipcub16HIPCUB_304000_NS21CountingInputIteratorIllEEPS6_NSA_22TransformInputIteratorIbN2at6native12_GLOBAL__N_19NonZeroOpIfEEPKflEENS0_5tupleIJPlS6_EEENSN_IJSD_SD_EEES6_PiJS6_EEE10hipError_tPvRmT3_T4_T5_T6_T7_T9_mT8_P12ihipStream_tbDpT10_ENKUlT_T0_E_clISt17integral_constantIbLb0EES1B_EEDaS16_S17_EUlS16_E_NS1_11comp_targetILNS1_3genE2ELNS1_11target_archE906ELNS1_3gpuE6ELNS1_3repE0EEENS1_30default_config_static_selectorELNS0_4arch9wavefront6targetE0EEEvT1_, .Lfunc_end462-_ZN7rocprim17ROCPRIM_400000_NS6detail17trampoline_kernelINS0_14default_configENS1_25partition_config_selectorILNS1_17partition_subalgoE5ElNS0_10empty_typeEbEEZZNS1_14partition_implILS5_5ELb0ES3_mN6hipcub16HIPCUB_304000_NS21CountingInputIteratorIllEEPS6_NSA_22TransformInputIteratorIbN2at6native12_GLOBAL__N_19NonZeroOpIfEEPKflEENS0_5tupleIJPlS6_EEENSN_IJSD_SD_EEES6_PiJS6_EEE10hipError_tPvRmT3_T4_T5_T6_T7_T9_mT8_P12ihipStream_tbDpT10_ENKUlT_T0_E_clISt17integral_constantIbLb0EES1B_EEDaS16_S17_EUlS16_E_NS1_11comp_targetILNS1_3genE2ELNS1_11target_archE906ELNS1_3gpuE6ELNS1_3repE0EEENS1_30default_config_static_selectorELNS0_4arch9wavefront6targetE0EEEvT1_
                                        ; -- End function
	.set _ZN7rocprim17ROCPRIM_400000_NS6detail17trampoline_kernelINS0_14default_configENS1_25partition_config_selectorILNS1_17partition_subalgoE5ElNS0_10empty_typeEbEEZZNS1_14partition_implILS5_5ELb0ES3_mN6hipcub16HIPCUB_304000_NS21CountingInputIteratorIllEEPS6_NSA_22TransformInputIteratorIbN2at6native12_GLOBAL__N_19NonZeroOpIfEEPKflEENS0_5tupleIJPlS6_EEENSN_IJSD_SD_EEES6_PiJS6_EEE10hipError_tPvRmT3_T4_T5_T6_T7_T9_mT8_P12ihipStream_tbDpT10_ENKUlT_T0_E_clISt17integral_constantIbLb0EES1B_EEDaS16_S17_EUlS16_E_NS1_11comp_targetILNS1_3genE2ELNS1_11target_archE906ELNS1_3gpuE6ELNS1_3repE0EEENS1_30default_config_static_selectorELNS0_4arch9wavefront6targetE0EEEvT1_.num_vgpr, 0
	.set _ZN7rocprim17ROCPRIM_400000_NS6detail17trampoline_kernelINS0_14default_configENS1_25partition_config_selectorILNS1_17partition_subalgoE5ElNS0_10empty_typeEbEEZZNS1_14partition_implILS5_5ELb0ES3_mN6hipcub16HIPCUB_304000_NS21CountingInputIteratorIllEEPS6_NSA_22TransformInputIteratorIbN2at6native12_GLOBAL__N_19NonZeroOpIfEEPKflEENS0_5tupleIJPlS6_EEENSN_IJSD_SD_EEES6_PiJS6_EEE10hipError_tPvRmT3_T4_T5_T6_T7_T9_mT8_P12ihipStream_tbDpT10_ENKUlT_T0_E_clISt17integral_constantIbLb0EES1B_EEDaS16_S17_EUlS16_E_NS1_11comp_targetILNS1_3genE2ELNS1_11target_archE906ELNS1_3gpuE6ELNS1_3repE0EEENS1_30default_config_static_selectorELNS0_4arch9wavefront6targetE0EEEvT1_.num_agpr, 0
	.set _ZN7rocprim17ROCPRIM_400000_NS6detail17trampoline_kernelINS0_14default_configENS1_25partition_config_selectorILNS1_17partition_subalgoE5ElNS0_10empty_typeEbEEZZNS1_14partition_implILS5_5ELb0ES3_mN6hipcub16HIPCUB_304000_NS21CountingInputIteratorIllEEPS6_NSA_22TransformInputIteratorIbN2at6native12_GLOBAL__N_19NonZeroOpIfEEPKflEENS0_5tupleIJPlS6_EEENSN_IJSD_SD_EEES6_PiJS6_EEE10hipError_tPvRmT3_T4_T5_T6_T7_T9_mT8_P12ihipStream_tbDpT10_ENKUlT_T0_E_clISt17integral_constantIbLb0EES1B_EEDaS16_S17_EUlS16_E_NS1_11comp_targetILNS1_3genE2ELNS1_11target_archE906ELNS1_3gpuE6ELNS1_3repE0EEENS1_30default_config_static_selectorELNS0_4arch9wavefront6targetE0EEEvT1_.numbered_sgpr, 0
	.set _ZN7rocprim17ROCPRIM_400000_NS6detail17trampoline_kernelINS0_14default_configENS1_25partition_config_selectorILNS1_17partition_subalgoE5ElNS0_10empty_typeEbEEZZNS1_14partition_implILS5_5ELb0ES3_mN6hipcub16HIPCUB_304000_NS21CountingInputIteratorIllEEPS6_NSA_22TransformInputIteratorIbN2at6native12_GLOBAL__N_19NonZeroOpIfEEPKflEENS0_5tupleIJPlS6_EEENSN_IJSD_SD_EEES6_PiJS6_EEE10hipError_tPvRmT3_T4_T5_T6_T7_T9_mT8_P12ihipStream_tbDpT10_ENKUlT_T0_E_clISt17integral_constantIbLb0EES1B_EEDaS16_S17_EUlS16_E_NS1_11comp_targetILNS1_3genE2ELNS1_11target_archE906ELNS1_3gpuE6ELNS1_3repE0EEENS1_30default_config_static_selectorELNS0_4arch9wavefront6targetE0EEEvT1_.num_named_barrier, 0
	.set _ZN7rocprim17ROCPRIM_400000_NS6detail17trampoline_kernelINS0_14default_configENS1_25partition_config_selectorILNS1_17partition_subalgoE5ElNS0_10empty_typeEbEEZZNS1_14partition_implILS5_5ELb0ES3_mN6hipcub16HIPCUB_304000_NS21CountingInputIteratorIllEEPS6_NSA_22TransformInputIteratorIbN2at6native12_GLOBAL__N_19NonZeroOpIfEEPKflEENS0_5tupleIJPlS6_EEENSN_IJSD_SD_EEES6_PiJS6_EEE10hipError_tPvRmT3_T4_T5_T6_T7_T9_mT8_P12ihipStream_tbDpT10_ENKUlT_T0_E_clISt17integral_constantIbLb0EES1B_EEDaS16_S17_EUlS16_E_NS1_11comp_targetILNS1_3genE2ELNS1_11target_archE906ELNS1_3gpuE6ELNS1_3repE0EEENS1_30default_config_static_selectorELNS0_4arch9wavefront6targetE0EEEvT1_.private_seg_size, 0
	.set _ZN7rocprim17ROCPRIM_400000_NS6detail17trampoline_kernelINS0_14default_configENS1_25partition_config_selectorILNS1_17partition_subalgoE5ElNS0_10empty_typeEbEEZZNS1_14partition_implILS5_5ELb0ES3_mN6hipcub16HIPCUB_304000_NS21CountingInputIteratorIllEEPS6_NSA_22TransformInputIteratorIbN2at6native12_GLOBAL__N_19NonZeroOpIfEEPKflEENS0_5tupleIJPlS6_EEENSN_IJSD_SD_EEES6_PiJS6_EEE10hipError_tPvRmT3_T4_T5_T6_T7_T9_mT8_P12ihipStream_tbDpT10_ENKUlT_T0_E_clISt17integral_constantIbLb0EES1B_EEDaS16_S17_EUlS16_E_NS1_11comp_targetILNS1_3genE2ELNS1_11target_archE906ELNS1_3gpuE6ELNS1_3repE0EEENS1_30default_config_static_selectorELNS0_4arch9wavefront6targetE0EEEvT1_.uses_vcc, 0
	.set _ZN7rocprim17ROCPRIM_400000_NS6detail17trampoline_kernelINS0_14default_configENS1_25partition_config_selectorILNS1_17partition_subalgoE5ElNS0_10empty_typeEbEEZZNS1_14partition_implILS5_5ELb0ES3_mN6hipcub16HIPCUB_304000_NS21CountingInputIteratorIllEEPS6_NSA_22TransformInputIteratorIbN2at6native12_GLOBAL__N_19NonZeroOpIfEEPKflEENS0_5tupleIJPlS6_EEENSN_IJSD_SD_EEES6_PiJS6_EEE10hipError_tPvRmT3_T4_T5_T6_T7_T9_mT8_P12ihipStream_tbDpT10_ENKUlT_T0_E_clISt17integral_constantIbLb0EES1B_EEDaS16_S17_EUlS16_E_NS1_11comp_targetILNS1_3genE2ELNS1_11target_archE906ELNS1_3gpuE6ELNS1_3repE0EEENS1_30default_config_static_selectorELNS0_4arch9wavefront6targetE0EEEvT1_.uses_flat_scratch, 0
	.set _ZN7rocprim17ROCPRIM_400000_NS6detail17trampoline_kernelINS0_14default_configENS1_25partition_config_selectorILNS1_17partition_subalgoE5ElNS0_10empty_typeEbEEZZNS1_14partition_implILS5_5ELb0ES3_mN6hipcub16HIPCUB_304000_NS21CountingInputIteratorIllEEPS6_NSA_22TransformInputIteratorIbN2at6native12_GLOBAL__N_19NonZeroOpIfEEPKflEENS0_5tupleIJPlS6_EEENSN_IJSD_SD_EEES6_PiJS6_EEE10hipError_tPvRmT3_T4_T5_T6_T7_T9_mT8_P12ihipStream_tbDpT10_ENKUlT_T0_E_clISt17integral_constantIbLb0EES1B_EEDaS16_S17_EUlS16_E_NS1_11comp_targetILNS1_3genE2ELNS1_11target_archE906ELNS1_3gpuE6ELNS1_3repE0EEENS1_30default_config_static_selectorELNS0_4arch9wavefront6targetE0EEEvT1_.has_dyn_sized_stack, 0
	.set _ZN7rocprim17ROCPRIM_400000_NS6detail17trampoline_kernelINS0_14default_configENS1_25partition_config_selectorILNS1_17partition_subalgoE5ElNS0_10empty_typeEbEEZZNS1_14partition_implILS5_5ELb0ES3_mN6hipcub16HIPCUB_304000_NS21CountingInputIteratorIllEEPS6_NSA_22TransformInputIteratorIbN2at6native12_GLOBAL__N_19NonZeroOpIfEEPKflEENS0_5tupleIJPlS6_EEENSN_IJSD_SD_EEES6_PiJS6_EEE10hipError_tPvRmT3_T4_T5_T6_T7_T9_mT8_P12ihipStream_tbDpT10_ENKUlT_T0_E_clISt17integral_constantIbLb0EES1B_EEDaS16_S17_EUlS16_E_NS1_11comp_targetILNS1_3genE2ELNS1_11target_archE906ELNS1_3gpuE6ELNS1_3repE0EEENS1_30default_config_static_selectorELNS0_4arch9wavefront6targetE0EEEvT1_.has_recursion, 0
	.set _ZN7rocprim17ROCPRIM_400000_NS6detail17trampoline_kernelINS0_14default_configENS1_25partition_config_selectorILNS1_17partition_subalgoE5ElNS0_10empty_typeEbEEZZNS1_14partition_implILS5_5ELb0ES3_mN6hipcub16HIPCUB_304000_NS21CountingInputIteratorIllEEPS6_NSA_22TransformInputIteratorIbN2at6native12_GLOBAL__N_19NonZeroOpIfEEPKflEENS0_5tupleIJPlS6_EEENSN_IJSD_SD_EEES6_PiJS6_EEE10hipError_tPvRmT3_T4_T5_T6_T7_T9_mT8_P12ihipStream_tbDpT10_ENKUlT_T0_E_clISt17integral_constantIbLb0EES1B_EEDaS16_S17_EUlS16_E_NS1_11comp_targetILNS1_3genE2ELNS1_11target_archE906ELNS1_3gpuE6ELNS1_3repE0EEENS1_30default_config_static_selectorELNS0_4arch9wavefront6targetE0EEEvT1_.has_indirect_call, 0
	.section	.AMDGPU.csdata,"",@progbits
; Kernel info:
; codeLenInByte = 0
; TotalNumSgprs: 0
; NumVgprs: 0
; ScratchSize: 0
; MemoryBound: 0
; FloatMode: 240
; IeeeMode: 1
; LDSByteSize: 0 bytes/workgroup (compile time only)
; SGPRBlocks: 0
; VGPRBlocks: 0
; NumSGPRsForWavesPerEU: 1
; NumVGPRsForWavesPerEU: 1
; Occupancy: 16
; WaveLimiterHint : 0
; COMPUTE_PGM_RSRC2:SCRATCH_EN: 0
; COMPUTE_PGM_RSRC2:USER_SGPR: 2
; COMPUTE_PGM_RSRC2:TRAP_HANDLER: 0
; COMPUTE_PGM_RSRC2:TGID_X_EN: 1
; COMPUTE_PGM_RSRC2:TGID_Y_EN: 0
; COMPUTE_PGM_RSRC2:TGID_Z_EN: 0
; COMPUTE_PGM_RSRC2:TIDIG_COMP_CNT: 0
	.section	.text._ZN7rocprim17ROCPRIM_400000_NS6detail17trampoline_kernelINS0_14default_configENS1_25partition_config_selectorILNS1_17partition_subalgoE5ElNS0_10empty_typeEbEEZZNS1_14partition_implILS5_5ELb0ES3_mN6hipcub16HIPCUB_304000_NS21CountingInputIteratorIllEEPS6_NSA_22TransformInputIteratorIbN2at6native12_GLOBAL__N_19NonZeroOpIfEEPKflEENS0_5tupleIJPlS6_EEENSN_IJSD_SD_EEES6_PiJS6_EEE10hipError_tPvRmT3_T4_T5_T6_T7_T9_mT8_P12ihipStream_tbDpT10_ENKUlT_T0_E_clISt17integral_constantIbLb0EES1B_EEDaS16_S17_EUlS16_E_NS1_11comp_targetILNS1_3genE10ELNS1_11target_archE1200ELNS1_3gpuE4ELNS1_3repE0EEENS1_30default_config_static_selectorELNS0_4arch9wavefront6targetE0EEEvT1_,"axG",@progbits,_ZN7rocprim17ROCPRIM_400000_NS6detail17trampoline_kernelINS0_14default_configENS1_25partition_config_selectorILNS1_17partition_subalgoE5ElNS0_10empty_typeEbEEZZNS1_14partition_implILS5_5ELb0ES3_mN6hipcub16HIPCUB_304000_NS21CountingInputIteratorIllEEPS6_NSA_22TransformInputIteratorIbN2at6native12_GLOBAL__N_19NonZeroOpIfEEPKflEENS0_5tupleIJPlS6_EEENSN_IJSD_SD_EEES6_PiJS6_EEE10hipError_tPvRmT3_T4_T5_T6_T7_T9_mT8_P12ihipStream_tbDpT10_ENKUlT_T0_E_clISt17integral_constantIbLb0EES1B_EEDaS16_S17_EUlS16_E_NS1_11comp_targetILNS1_3genE10ELNS1_11target_archE1200ELNS1_3gpuE4ELNS1_3repE0EEENS1_30default_config_static_selectorELNS0_4arch9wavefront6targetE0EEEvT1_,comdat
	.globl	_ZN7rocprim17ROCPRIM_400000_NS6detail17trampoline_kernelINS0_14default_configENS1_25partition_config_selectorILNS1_17partition_subalgoE5ElNS0_10empty_typeEbEEZZNS1_14partition_implILS5_5ELb0ES3_mN6hipcub16HIPCUB_304000_NS21CountingInputIteratorIllEEPS6_NSA_22TransformInputIteratorIbN2at6native12_GLOBAL__N_19NonZeroOpIfEEPKflEENS0_5tupleIJPlS6_EEENSN_IJSD_SD_EEES6_PiJS6_EEE10hipError_tPvRmT3_T4_T5_T6_T7_T9_mT8_P12ihipStream_tbDpT10_ENKUlT_T0_E_clISt17integral_constantIbLb0EES1B_EEDaS16_S17_EUlS16_E_NS1_11comp_targetILNS1_3genE10ELNS1_11target_archE1200ELNS1_3gpuE4ELNS1_3repE0EEENS1_30default_config_static_selectorELNS0_4arch9wavefront6targetE0EEEvT1_ ; -- Begin function _ZN7rocprim17ROCPRIM_400000_NS6detail17trampoline_kernelINS0_14default_configENS1_25partition_config_selectorILNS1_17partition_subalgoE5ElNS0_10empty_typeEbEEZZNS1_14partition_implILS5_5ELb0ES3_mN6hipcub16HIPCUB_304000_NS21CountingInputIteratorIllEEPS6_NSA_22TransformInputIteratorIbN2at6native12_GLOBAL__N_19NonZeroOpIfEEPKflEENS0_5tupleIJPlS6_EEENSN_IJSD_SD_EEES6_PiJS6_EEE10hipError_tPvRmT3_T4_T5_T6_T7_T9_mT8_P12ihipStream_tbDpT10_ENKUlT_T0_E_clISt17integral_constantIbLb0EES1B_EEDaS16_S17_EUlS16_E_NS1_11comp_targetILNS1_3genE10ELNS1_11target_archE1200ELNS1_3gpuE4ELNS1_3repE0EEENS1_30default_config_static_selectorELNS0_4arch9wavefront6targetE0EEEvT1_
	.p2align	8
	.type	_ZN7rocprim17ROCPRIM_400000_NS6detail17trampoline_kernelINS0_14default_configENS1_25partition_config_selectorILNS1_17partition_subalgoE5ElNS0_10empty_typeEbEEZZNS1_14partition_implILS5_5ELb0ES3_mN6hipcub16HIPCUB_304000_NS21CountingInputIteratorIllEEPS6_NSA_22TransformInputIteratorIbN2at6native12_GLOBAL__N_19NonZeroOpIfEEPKflEENS0_5tupleIJPlS6_EEENSN_IJSD_SD_EEES6_PiJS6_EEE10hipError_tPvRmT3_T4_T5_T6_T7_T9_mT8_P12ihipStream_tbDpT10_ENKUlT_T0_E_clISt17integral_constantIbLb0EES1B_EEDaS16_S17_EUlS16_E_NS1_11comp_targetILNS1_3genE10ELNS1_11target_archE1200ELNS1_3gpuE4ELNS1_3repE0EEENS1_30default_config_static_selectorELNS0_4arch9wavefront6targetE0EEEvT1_,@function
_ZN7rocprim17ROCPRIM_400000_NS6detail17trampoline_kernelINS0_14default_configENS1_25partition_config_selectorILNS1_17partition_subalgoE5ElNS0_10empty_typeEbEEZZNS1_14partition_implILS5_5ELb0ES3_mN6hipcub16HIPCUB_304000_NS21CountingInputIteratorIllEEPS6_NSA_22TransformInputIteratorIbN2at6native12_GLOBAL__N_19NonZeroOpIfEEPKflEENS0_5tupleIJPlS6_EEENSN_IJSD_SD_EEES6_PiJS6_EEE10hipError_tPvRmT3_T4_T5_T6_T7_T9_mT8_P12ihipStream_tbDpT10_ENKUlT_T0_E_clISt17integral_constantIbLb0EES1B_EEDaS16_S17_EUlS16_E_NS1_11comp_targetILNS1_3genE10ELNS1_11target_archE1200ELNS1_3gpuE4ELNS1_3repE0EEENS1_30default_config_static_selectorELNS0_4arch9wavefront6targetE0EEEvT1_: ; @_ZN7rocprim17ROCPRIM_400000_NS6detail17trampoline_kernelINS0_14default_configENS1_25partition_config_selectorILNS1_17partition_subalgoE5ElNS0_10empty_typeEbEEZZNS1_14partition_implILS5_5ELb0ES3_mN6hipcub16HIPCUB_304000_NS21CountingInputIteratorIllEEPS6_NSA_22TransformInputIteratorIbN2at6native12_GLOBAL__N_19NonZeroOpIfEEPKflEENS0_5tupleIJPlS6_EEENSN_IJSD_SD_EEES6_PiJS6_EEE10hipError_tPvRmT3_T4_T5_T6_T7_T9_mT8_P12ihipStream_tbDpT10_ENKUlT_T0_E_clISt17integral_constantIbLb0EES1B_EEDaS16_S17_EUlS16_E_NS1_11comp_targetILNS1_3genE10ELNS1_11target_archE1200ELNS1_3gpuE4ELNS1_3repE0EEENS1_30default_config_static_selectorELNS0_4arch9wavefront6targetE0EEEvT1_
; %bb.0:
	s_clause 0x3
	s_load_b128 s[8:11], s[0:1], 0x48
	s_load_b32 s16, s[0:1], 0x70
	s_load_b128 s[4:7], s[0:1], 0x8
	s_load_b64 s[2:3], s[0:1], 0x58
	s_mov_b32 s13, 0
	s_lshl_b32 s12, ttmp9, 10
	s_mov_b32 s15, s13
	v_lshrrev_b32_e32 v12, 2, v0
	v_or_b32_e32 v9, 0x200, v0
	v_or_b32_e32 v10, 0x300, v0
	v_and_b32_e32 v11, 0xf8, v0
	s_mov_b32 s19, -1
	s_wait_kmcnt 0x0
	s_load_b64 s[10:11], s[10:11], 0x0
	s_lshl_b32 s14, s16, 10
	s_add_co_i32 s16, s16, -1
	s_add_nc_u64 s[14:15], s[6:7], s[14:15]
	s_lshl_b32 s17, s16, 10
	v_cmp_le_u64_e64 s14, s[2:3], s[14:15]
	s_add_co_i32 s3, s6, s17
	s_cmp_eq_u32 ttmp9, s16
	s_add_nc_u64 s[4:5], s[6:7], s[4:5]
	s_cselect_b32 s16, -1, 0
	s_delay_alu instid0(SALU_CYCLE_1) | instskip(SKIP_2) | instid1(SALU_CYCLE_1)
	s_and_b32 s14, s16, s14
	s_wait_alu 0xfffe
	s_xor_b32 s17, s14, -1
	s_and_b32 vcc_lo, exec_lo, s17
	s_cbranch_vccz .LBB463_2
; %bb.1:
	v_or_b32_e32 v7, 0x100, v0
	v_or_b32_e32 v1, s12, v0
	v_lshrrev_b32_e32 v8, 2, v9
	v_lshrrev_b32_e32 v13, 2, v10
	v_and_b32_e32 v14, 56, v12
	v_lshrrev_b32_e32 v7, 2, v7
	v_add_co_u32 v1, s14, s4, v1
	s_wait_alu 0xf1ff
	v_add_co_ci_u32_e64 v2, null, s5, 0, s14
	v_lshlrev_b32_e32 v15, 3, v0
	v_and_b32_e32 v16, 0x78, v7
	v_add_co_u32 v3, vcc_lo, 0x100, v1
	v_and_b32_e32 v17, 0xb8, v8
	v_and_b32_e32 v13, 0xf8, v13
	v_add_co_ci_u32_e64 v4, null, 0, v2, vcc_lo
	v_add_co_u32 v5, vcc_lo, 0x200, v1
	v_add_nc_u32_e32 v14, v14, v15
	s_wait_alu 0xfffd
	v_add_co_ci_u32_e64 v6, null, 0, v2, vcc_lo
	v_add_co_u32 v7, vcc_lo, 0x300, v1
	v_add_nc_u32_e32 v16, v16, v15
	v_add_nc_u32_e32 v17, v17, v15
	s_wait_alu 0xfffd
	v_add_co_ci_u32_e64 v8, null, 0, v2, vcc_lo
	v_add_nc_u32_e32 v13, v13, v15
	ds_store_b64 v14, v[1:2]
	ds_store_b64 v16, v[3:4] offset:2048
	ds_store_b64 v17, v[5:6] offset:4096
	;; [unrolled: 1-line block ×3, first 2 shown]
	v_lshl_add_u32 v1, v0, 5, v11
	s_wait_dscnt 0x0
	s_barrier_signal -1
	s_barrier_wait -1
	global_inv scope:SCOPE_SE
	ds_load_2addr_b64 v[5:8], v1 offset1:1
	ds_load_2addr_b64 v[1:4], v1 offset0:2 offset1:3
	s_mov_b32 s19, s13
	s_branch .LBB463_3
.LBB463_2:
                                        ; implicit-def: $vgpr3_vgpr4
                                        ; implicit-def: $vgpr7_vgpr8
.LBB463_3:
	s_load_b64 s[14:15], s[0:1], 0x20
	s_sub_co_i32 s18, s2, s3
	s_and_not1_b32 vcc_lo, exec_lo, s19
	v_cmp_gt_u32_e64 s2, s18, v0
	s_wait_alu 0xfffe
	s_cbranch_vccnz .LBB463_5
; %bb.4:
	s_wait_dscnt 0x1
	v_or_b32_e32 v7, 0x100, v0
	s_add_nc_u64 s[4:5], s[4:5], s[12:13]
	v_lshrrev_b32_e32 v14, 2, v9
	s_wait_dscnt 0x0
	s_wait_alu 0xfffe
	v_add_co_u32 v1, s3, s4, v0
	s_wait_alu 0xf1ff
	v_add_co_ci_u32_e64 v2, null, s5, 0, s3
	v_add_co_u32 v3, s3, s4, v7
	s_wait_alu 0xf1ff
	v_add_co_ci_u32_e64 v4, null, s5, 0, s3
	v_cmp_gt_u32_e32 vcc_lo, s18, v7
	v_add_co_u32 v13, s3, s4, v10
	s_wait_alu 0xf1ff
	v_add_co_ci_u32_e64 v8, null, s5, 0, s3
	s_wait_alu 0xfffd
	v_dual_cndmask_b32 v4, 0, v4 :: v_dual_cndmask_b32 v3, 0, v3
	v_cmp_gt_u32_e32 vcc_lo, s18, v10
	v_lshrrev_b32_e32 v7, 2, v7
	v_lshrrev_b32_e32 v15, 2, v10
	v_cndmask_b32_e64 v2, 0, v2, s2
	v_cndmask_b32_e64 v1, 0, v1, s2
	v_add_co_u32 v5, s2, s4, v9
	v_and_b32_e32 v12, 56, v12
	v_lshlrev_b32_e32 v16, 3, v0
	s_wait_alu 0xfffd
	v_dual_cndmask_b32 v8, 0, v8 :: v_dual_and_b32 v17, 0x78, v7
	s_wait_alu 0xf1ff
	v_add_co_ci_u32_e64 v6, null, s5, 0, s2
	v_cmp_gt_u32_e64 s2, s18, v9
	v_and_b32_e32 v14, 0xb8, v14
	v_and_b32_e32 v15, 0xf8, v15
	v_dual_cndmask_b32 v7, 0, v13 :: v_dual_add_nc_u32 v12, v12, v16
	v_add_nc_u32_e32 v13, v17, v16
	s_wait_alu 0xf1ff
	v_cndmask_b32_e64 v6, 0, v6, s2
	v_cndmask_b32_e64 v5, 0, v5, s2
	v_add_nc_u32_e32 v14, v14, v16
	v_add_nc_u32_e32 v15, v15, v16
	ds_store_b64 v12, v[1:2]
	ds_store_b64 v13, v[3:4] offset:2048
	ds_store_b64 v14, v[5:6] offset:4096
	;; [unrolled: 1-line block ×3, first 2 shown]
	v_lshl_add_u32 v1, v0, 5, v11
	s_wait_loadcnt_dscnt 0x0
	s_barrier_signal -1
	s_barrier_wait -1
	global_inv scope:SCOPE_SE
	ds_load_2addr_b64 v[5:8], v1 offset1:1
	ds_load_2addr_b64 v[1:4], v1 offset0:2 offset1:3
.LBB463_5:
	s_lshl_b64 s[2:3], s[6:7], 2
	v_lshlrev_b32_e32 v11, 2, v0
	v_lshrrev_b32_e32 v26, 5, v0
	s_wait_kmcnt 0x0
	s_wait_alu 0xfffe
	s_add_nc_u64 s[2:3], s[14:15], s[2:3]
	s_lshl_b64 s[4:5], s[12:13], 2
	s_and_b32 vcc_lo, exec_lo, s17
	s_wait_alu 0xfffe
	s_add_nc_u64 s[2:3], s[2:3], s[4:5]
	s_mov_b32 s4, -1
	s_wait_loadcnt_dscnt 0x0
	s_barrier_signal -1
	s_barrier_wait -1
	global_inv scope:SCOPE_SE
	s_cbranch_vccz .LBB463_7
; %bb.6:
	s_clause 0x3
	global_load_b32 v12, v11, s[2:3]
	global_load_b32 v13, v11, s[2:3] offset:1024
	global_load_b32 v14, v11, s[2:3] offset:2048
	;; [unrolled: 1-line block ×3, first 2 shown]
	v_or_b32_e32 v16, 0x100, v0
	v_lshrrev_b32_e32 v17, 5, v9
	v_lshrrev_b32_e32 v18, 5, v10
	v_and_b32_e32 v19, 4, v26
	s_mov_b32 s4, 0
	v_lshrrev_b32_e32 v16, 5, v16
	v_and_b32_e32 v17, 20, v17
	v_and_b32_e32 v18, 28, v18
	v_add_nc_u32_e32 v19, v19, v0
	s_delay_alu instid0(VALU_DEP_4) | instskip(NEXT) | instid1(VALU_DEP_4)
	v_and_b32_e32 v16, 12, v16
	v_add_nc_u32_e32 v17, v17, v0
	s_delay_alu instid0(VALU_DEP_4) | instskip(NEXT) | instid1(VALU_DEP_3)
	v_add_nc_u32_e32 v18, v18, v0
	v_add_nc_u32_e32 v16, v16, v0
	s_wait_loadcnt 0x3
	v_cmp_neq_f32_e32 vcc_lo, 0, v12
	s_wait_alu 0xfffd
	v_cndmask_b32_e64 v12, 0, 1, vcc_lo
	s_wait_loadcnt 0x2
	v_cmp_neq_f32_e32 vcc_lo, 0, v13
	s_wait_alu 0xfffd
	v_cndmask_b32_e64 v13, 0, 1, vcc_lo
	;; [unrolled: 4-line block ×4, first 2 shown]
	ds_store_b8 v19, v12
	ds_store_b8 v16, v13 offset:256
	ds_store_b8 v17, v14 offset:512
	;; [unrolled: 1-line block ×3, first 2 shown]
	s_wait_dscnt 0x0
	s_barrier_signal -1
	s_barrier_wait -1
.LBB463_7:
	s_wait_alu 0xfffe
	s_and_not1_b32 vcc_lo, exec_lo, s4
	s_wait_alu 0xfffe
	s_cbranch_vccnz .LBB463_15
; %bb.8:
	v_dual_mov_b32 v12, 0 :: v_dual_mov_b32 v13, 0
	s_mov_b32 s4, exec_lo
	v_cmpx_gt_u32_e64 s18, v0
	s_cbranch_execz .LBB463_10
; %bb.9:
	global_load_b32 v12, v11, s[2:3]
	s_wait_loadcnt 0x0
	v_cmp_neq_f32_e32 vcc_lo, 0, v12
	s_wait_alu 0xfffd
	v_cndmask_b32_e64 v12, 0, 1, vcc_lo
	v_cndmask_b32_e64 v13, 0, 1, vcc_lo
.LBB463_10:
	s_wait_alu 0xfffe
	s_or_b32 exec_lo, exec_lo, s4
	v_or_b32_e32 v14, 0x100, v0
	s_mov_b32 s4, exec_lo
	s_delay_alu instid0(VALU_DEP_1)
	v_cmpx_gt_u32_e64 s18, v14
	s_cbranch_execnz .LBB463_129
; %bb.11:
	s_wait_alu 0xfffe
	s_or_b32 exec_lo, exec_lo, s4
	s_delay_alu instid0(SALU_CYCLE_1)
	s_mov_b32 s4, exec_lo
	v_cmpx_gt_u32_e64 s18, v9
	s_cbranch_execnz .LBB463_130
.LBB463_12:
	s_wait_alu 0xfffe
	s_or_b32 exec_lo, exec_lo, s4
	s_delay_alu instid0(SALU_CYCLE_1)
	s_mov_b32 s4, exec_lo
	v_cmpx_gt_u32_e64 s18, v10
	s_cbranch_execz .LBB463_14
.LBB463_13:
	global_load_b32 v11, v11, s[2:3] offset:3072
	v_lshrrev_b32_e32 v15, 16, v13
	s_wait_loadcnt 0x0
	v_cmp_neq_f32_e32 vcc_lo, 0, v11
	s_wait_alu 0xfffd
	v_cndmask_b32_e64 v11, 0, 1, vcc_lo
	s_delay_alu instid0(VALU_DEP_1) | instskip(NEXT) | instid1(VALU_DEP_1)
	v_lshlrev_b16 v11, 8, v11
	v_or_b32_e32 v11, v15, v11
	s_delay_alu instid0(VALU_DEP_1) | instskip(NEXT) | instid1(VALU_DEP_1)
	v_lshlrev_b32_e32 v11, 16, v11
	v_and_or_b32 v13, 0xffff, v13, v11
.LBB463_14:
	s_wait_alu 0xfffe
	s_or_b32 exec_lo, exec_lo, s4
	v_lshrrev_b32_e32 v11, 5, v14
	v_lshrrev_b32_e32 v9, 5, v9
	;; [unrolled: 1-line block ×3, first 2 shown]
	v_and_b32_e32 v14, 4, v26
	v_lshrrev_b32_e32 v15, 8, v13
	v_and_b32_e32 v11, 12, v11
	v_and_b32_e32 v9, 28, v9
	;; [unrolled: 1-line block ×3, first 2 shown]
	v_add_nc_u32_e32 v14, v14, v0
	v_lshrrev_b32_e32 v16, 24, v13
	v_add_nc_u32_e32 v11, v11, v0
	v_add_nc_u32_e32 v9, v9, v0
	;; [unrolled: 1-line block ×3, first 2 shown]
	ds_store_b8 v14, v12
	ds_store_b8 v11, v15 offset:256
	ds_store_b8_d16_hi v9, v13 offset:512
	ds_store_b8 v10, v16 offset:768
	s_wait_loadcnt_dscnt 0x0
	s_barrier_signal -1
	s_barrier_wait -1
.LBB463_15:
	v_lshrrev_b32_e32 v9, 3, v0
	s_wait_loadcnt 0x0
	global_inv scope:SCOPE_SE
	s_load_b64 s[6:7], s[0:1], 0x68
	v_mbcnt_lo_u32_b32 v31, -1, 0
	s_cmp_lg_u32 ttmp9, 0
	v_dual_mov_b32 v10, 0 :: v_dual_and_b32 v9, 28, v9
	s_mov_b32 s3, -1
	s_delay_alu instid0(VALU_DEP_2) | instskip(NEXT) | instid1(VALU_DEP_2)
	v_and_b32_e32 v32, 15, v31
	v_lshl_add_u32 v9, v0, 2, v9
	ds_load_b32 v27, v9
	s_wait_loadcnt_dscnt 0x0
	s_barrier_signal -1
	s_barrier_wait -1
	global_inv scope:SCOPE_SE
	v_and_b32_e32 v30, 0xff, v27
	v_bfe_u32 v29, v27, 8, 8
	v_bfe_u32 v28, v27, 16, 8
	v_lshrrev_b32_e32 v25, 24, v27
	s_delay_alu instid0(VALU_DEP_2) | instskip(NEXT) | instid1(VALU_DEP_1)
	v_add3_u32 v9, v29, v30, v28
	v_add_co_u32 v17, s2, v9, v25
	s_wait_alu 0xf1ff
	v_add_co_ci_u32_e64 v18, null, 0, 0, s2
	v_cmp_ne_u32_e64 s2, 0, v32
	s_cbranch_scc0 .LBB463_72
; %bb.16:
	v_mov_b32_e32 v11, v17
	v_mov_b32_dpp v9, v17 row_shr:1 row_mask:0xf bank_mask:0xf
	v_mov_b32_dpp v14, v10 row_shr:1 row_mask:0xf bank_mask:0xf
	v_dual_mov_b32 v13, v17 :: v_dual_mov_b32 v12, v18
	s_and_saveexec_b32 s3, s2
; %bb.17:
	s_delay_alu instid0(VALU_DEP_3) | instskip(SKIP_2) | instid1(VALU_DEP_2)
	v_add_co_u32 v13, vcc_lo, v17, v9
	s_wait_alu 0xfffd
	v_add_co_ci_u32_e64 v10, null, 0, v18, vcc_lo
	v_add_co_u32 v9, vcc_lo, 0, v13
	s_wait_alu 0xfffd
	s_delay_alu instid0(VALU_DEP_2) | instskip(NEXT) | instid1(VALU_DEP_1)
	v_add_co_ci_u32_e64 v10, null, v14, v10, vcc_lo
	v_dual_mov_b32 v12, v10 :: v_dual_mov_b32 v11, v9
; %bb.18:
	s_wait_alu 0xfffe
	s_or_b32 exec_lo, exec_lo, s3
	v_mov_b32_dpp v9, v13 row_shr:2 row_mask:0xf bank_mask:0xf
	v_mov_b32_dpp v14, v10 row_shr:2 row_mask:0xf bank_mask:0xf
	s_mov_b32 s3, exec_lo
	v_cmpx_lt_u32_e32 1, v32
; %bb.19:
	s_delay_alu instid0(VALU_DEP_3) | instskip(SKIP_2) | instid1(VALU_DEP_2)
	v_add_co_u32 v13, vcc_lo, v11, v9
	s_wait_alu 0xfffd
	v_add_co_ci_u32_e64 v10, null, 0, v12, vcc_lo
	v_add_co_u32 v9, vcc_lo, 0, v13
	s_wait_alu 0xfffd
	s_delay_alu instid0(VALU_DEP_2) | instskip(NEXT) | instid1(VALU_DEP_1)
	v_add_co_ci_u32_e64 v10, null, v14, v10, vcc_lo
	v_dual_mov_b32 v12, v10 :: v_dual_mov_b32 v11, v9
; %bb.20:
	s_wait_alu 0xfffe
	s_or_b32 exec_lo, exec_lo, s3
	v_mov_b32_dpp v9, v13 row_shr:4 row_mask:0xf bank_mask:0xf
	v_mov_b32_dpp v14, v10 row_shr:4 row_mask:0xf bank_mask:0xf
	s_mov_b32 s3, exec_lo
	v_cmpx_lt_u32_e32 3, v32
; %bb.21:
	s_delay_alu instid0(VALU_DEP_3) | instskip(SKIP_2) | instid1(VALU_DEP_2)
	v_add_co_u32 v13, vcc_lo, v11, v9
	s_wait_alu 0xfffd
	v_add_co_ci_u32_e64 v10, null, 0, v12, vcc_lo
	v_add_co_u32 v9, vcc_lo, 0, v13
	s_wait_alu 0xfffd
	s_delay_alu instid0(VALU_DEP_2) | instskip(NEXT) | instid1(VALU_DEP_1)
	v_add_co_ci_u32_e64 v10, null, v14, v10, vcc_lo
	v_dual_mov_b32 v12, v10 :: v_dual_mov_b32 v11, v9
; %bb.22:
	s_wait_alu 0xfffe
	s_or_b32 exec_lo, exec_lo, s3
	v_mov_b32_dpp v14, v13 row_shr:8 row_mask:0xf bank_mask:0xf
	v_mov_b32_dpp v9, v10 row_shr:8 row_mask:0xf bank_mask:0xf
	s_mov_b32 s3, exec_lo
	v_cmpx_lt_u32_e32 7, v32
; %bb.23:
	s_delay_alu instid0(VALU_DEP_3) | instskip(SKIP_2) | instid1(VALU_DEP_2)
	v_add_co_u32 v13, vcc_lo, v11, v14
	s_wait_alu 0xfffd
	v_add_co_ci_u32_e64 v10, null, 0, v12, vcc_lo
	v_add_co_u32 v11, vcc_lo, 0, v13
	s_wait_alu 0xfffd
	s_delay_alu instid0(VALU_DEP_2) | instskip(NEXT) | instid1(VALU_DEP_1)
	v_add_co_ci_u32_e64 v12, null, v9, v10, vcc_lo
	v_mov_b32_e32 v10, v12
; %bb.24:
	s_wait_alu 0xfffe
	s_or_b32 exec_lo, exec_lo, s3
	ds_swizzle_b32 v9, v13 offset:swizzle(BROADCAST,32,15)
	ds_swizzle_b32 v14, v10 offset:swizzle(BROADCAST,32,15)
	v_and_b32_e32 v15, 16, v31
	s_mov_b32 s3, exec_lo
	s_delay_alu instid0(VALU_DEP_1)
	v_cmpx_ne_u32_e32 0, v15
	s_cbranch_execz .LBB463_26
; %bb.25:
	s_wait_dscnt 0x1
	v_add_co_u32 v13, vcc_lo, v11, v9
	s_wait_alu 0xfffd
	v_add_co_ci_u32_e64 v10, null, 0, v12, vcc_lo
	s_delay_alu instid0(VALU_DEP_2) | instskip(SKIP_2) | instid1(VALU_DEP_2)
	v_add_co_u32 v9, vcc_lo, 0, v13
	s_wait_dscnt 0x0
	s_wait_alu 0xfffd
	v_add_co_ci_u32_e64 v10, null, v14, v10, vcc_lo
	s_delay_alu instid0(VALU_DEP_1)
	v_dual_mov_b32 v12, v10 :: v_dual_mov_b32 v11, v9
.LBB463_26:
	s_wait_alu 0xfffe
	s_or_b32 exec_lo, exec_lo, s3
	s_wait_dscnt 0x1
	v_or_b32_e32 v9, 31, v0
	s_mov_b32 s3, exec_lo
	s_delay_alu instid0(VALU_DEP_1)
	v_cmpx_eq_u32_e64 v0, v9
; %bb.27:
	v_lshlrev_b32_e32 v9, 3, v26
	ds_store_b64 v9, v[11:12]
; %bb.28:
	s_wait_alu 0xfffe
	s_or_b32 exec_lo, exec_lo, s3
	s_delay_alu instid0(SALU_CYCLE_1)
	s_mov_b32 s3, exec_lo
	s_wait_loadcnt_dscnt 0x0
	s_barrier_signal -1
	s_barrier_wait -1
	global_inv scope:SCOPE_SE
	v_cmpx_gt_u32_e32 8, v0
	s_cbranch_execz .LBB463_36
; %bb.29:
	v_lshlrev_b32_e32 v9, 3, v0
	s_mov_b32 s4, exec_lo
	ds_load_b64 v[11:12], v9
	s_wait_dscnt 0x0
	v_dual_mov_b32 v15, v11 :: v_dual_and_b32 v14, 7, v31
	v_mov_b32_dpp v19, v11 row_shr:1 row_mask:0xf bank_mask:0xf
	v_mov_b32_dpp v16, v12 row_shr:1 row_mask:0xf bank_mask:0xf
	s_delay_alu instid0(VALU_DEP_3)
	v_cmpx_ne_u32_e32 0, v14
; %bb.30:
	s_delay_alu instid0(VALU_DEP_3) | instskip(SKIP_2) | instid1(VALU_DEP_2)
	v_add_co_u32 v15, vcc_lo, v11, v19
	s_wait_alu 0xfffd
	v_add_co_ci_u32_e64 v12, null, 0, v12, vcc_lo
	v_add_co_u32 v11, vcc_lo, 0, v15
	s_wait_alu 0xfffd
	s_delay_alu instid0(VALU_DEP_2)
	v_add_co_ci_u32_e64 v12, null, v16, v12, vcc_lo
; %bb.31:
	s_wait_alu 0xfffe
	s_or_b32 exec_lo, exec_lo, s4
	v_mov_b32_dpp v19, v15 row_shr:2 row_mask:0xf bank_mask:0xf
	s_delay_alu instid0(VALU_DEP_2)
	v_mov_b32_dpp v16, v12 row_shr:2 row_mask:0xf bank_mask:0xf
	s_mov_b32 s4, exec_lo
	v_cmpx_lt_u32_e32 1, v14
; %bb.32:
	s_delay_alu instid0(VALU_DEP_3) | instskip(SKIP_2) | instid1(VALU_DEP_2)
	v_add_co_u32 v15, vcc_lo, v11, v19
	s_wait_alu 0xfffd
	v_add_co_ci_u32_e64 v12, null, 0, v12, vcc_lo
	v_add_co_u32 v11, vcc_lo, 0, v15
	s_wait_alu 0xfffd
	s_delay_alu instid0(VALU_DEP_2)
	v_add_co_ci_u32_e64 v12, null, v16, v12, vcc_lo
; %bb.33:
	s_wait_alu 0xfffe
	s_or_b32 exec_lo, exec_lo, s4
	v_mov_b32_dpp v16, v15 row_shr:4 row_mask:0xf bank_mask:0xf
	s_delay_alu instid0(VALU_DEP_2)
	v_mov_b32_dpp v15, v12 row_shr:4 row_mask:0xf bank_mask:0xf
	s_mov_b32 s4, exec_lo
	v_cmpx_lt_u32_e32 3, v14
; %bb.34:
	s_delay_alu instid0(VALU_DEP_3) | instskip(SKIP_2) | instid1(VALU_DEP_2)
	v_add_co_u32 v11, vcc_lo, v11, v16
	s_wait_alu 0xfffd
	v_add_co_ci_u32_e64 v12, null, 0, v12, vcc_lo
	v_add_co_u32 v11, vcc_lo, v11, 0
	s_wait_alu 0xfffd
	s_delay_alu instid0(VALU_DEP_2)
	v_add_co_ci_u32_e64 v12, null, v12, v15, vcc_lo
; %bb.35:
	s_wait_alu 0xfffe
	s_or_b32 exec_lo, exec_lo, s4
	ds_store_b64 v9, v[11:12]
.LBB463_36:
	s_wait_alu 0xfffe
	s_or_b32 exec_lo, exec_lo, s3
	s_delay_alu instid0(SALU_CYCLE_1)
	s_mov_b32 s4, exec_lo
	v_cmp_gt_u32_e32 vcc_lo, 32, v0
	s_wait_loadcnt_dscnt 0x0
	s_barrier_signal -1
	s_barrier_wait -1
	global_inv scope:SCOPE_SE
                                        ; implicit-def: $vgpr19_vgpr20
	v_cmpx_lt_u32_e32 31, v0
	s_cbranch_execz .LBB463_38
; %bb.37:
	v_lshl_add_u32 v9, v26, 3, -8
	ds_load_b64 v[19:20], v9
	s_wait_dscnt 0x0
	v_add_co_u32 v13, s3, v13, v19
	s_wait_alu 0xf1ff
	v_add_co_ci_u32_e64 v10, null, v10, v20, s3
.LBB463_38:
	s_wait_alu 0xfffe
	s_or_b32 exec_lo, exec_lo, s4
	v_sub_co_u32 v9, s3, v31, 1
	s_delay_alu instid0(VALU_DEP_1) | instskip(SKIP_1) | instid1(VALU_DEP_1)
	v_cmp_gt_i32_e64 s4, 0, v9
	s_wait_alu 0xf1ff
	v_cndmask_b32_e64 v9, v9, v31, s4
	s_delay_alu instid0(VALU_DEP_1)
	v_lshlrev_b32_e32 v9, 2, v9
	ds_bpermute_b32 v33, v9, v13
	ds_bpermute_b32 v34, v9, v10
	s_and_saveexec_b32 s4, vcc_lo
	s_cbranch_execz .LBB463_77
; %bb.39:
	v_mov_b32_e32 v12, 0
	ds_load_b64 v[9:10], v12 offset:56
	s_and_saveexec_b32 s5, s3
	s_cbranch_execz .LBB463_41
; %bb.40:
	s_add_co_i32 s12, ttmp9, 32
	s_wait_alu 0xfffe
	s_lshl_b64 s[12:13], s[12:13], 4
	s_wait_kmcnt 0x0
	s_wait_alu 0xfffe
	s_add_nc_u64 s[12:13], s[6:7], s[12:13]
	s_wait_alu 0xfffe
	v_dual_mov_b32 v11, 1 :: v_dual_mov_b32 v14, s13
	v_mov_b32_e32 v13, s12
	s_wait_dscnt 0x0
	;;#ASMSTART
	global_store_b128 v[13:14], v[9:12] off scope:SCOPE_DEV	
s_wait_storecnt 0x0
	;;#ASMEND
.LBB463_41:
	s_wait_alu 0xfffe
	s_or_b32 exec_lo, exec_lo, s5
	v_xad_u32 v21, v31, -1, ttmp9
	s_mov_b32 s12, 0
	s_mov_b32 s5, exec_lo
	s_delay_alu instid0(VALU_DEP_1) | instskip(NEXT) | instid1(VALU_DEP_1)
	v_add_nc_u32_e32 v11, 32, v21
	v_lshlrev_b64_e32 v[11:12], 4, v[11:12]
	s_wait_kmcnt 0x0
	s_delay_alu instid0(VALU_DEP_1) | instskip(SKIP_1) | instid1(VALU_DEP_2)
	v_add_co_u32 v11, vcc_lo, s6, v11
	s_wait_alu 0xfffd
	v_add_co_ci_u32_e64 v12, null, s7, v12, vcc_lo
	;;#ASMSTART
	global_load_b128 v[13:16], v[11:12] off scope:SCOPE_DEV	
s_wait_loadcnt 0x0
	;;#ASMEND
	v_and_b32_e32 v16, 0xff, v15
	s_delay_alu instid0(VALU_DEP_1)
	v_cmpx_eq_u16_e32 0, v16
	s_cbranch_execz .LBB463_44
.LBB463_42:                             ; =>This Inner Loop Header: Depth=1
	;;#ASMSTART
	global_load_b128 v[13:16], v[11:12] off scope:SCOPE_DEV	
s_wait_loadcnt 0x0
	;;#ASMEND
	v_and_b32_e32 v16, 0xff, v15
	s_delay_alu instid0(VALU_DEP_1)
	v_cmp_ne_u16_e32 vcc_lo, 0, v16
	s_wait_alu 0xfffe
	s_or_b32 s12, vcc_lo, s12
	s_wait_alu 0xfffe
	s_and_not1_b32 exec_lo, exec_lo, s12
	s_cbranch_execnz .LBB463_42
; %bb.43:
	s_or_b32 exec_lo, exec_lo, s12
.LBB463_44:
	s_wait_alu 0xfffe
	s_or_b32 exec_lo, exec_lo, s5
	v_cmp_ne_u32_e32 vcc_lo, 31, v31
	v_and_b32_e32 v12, 0xff, v15
	v_lshlrev_b32_e64 v36, v31, -1
	s_mov_b32 s5, exec_lo
	s_wait_alu 0xfffd
	v_add_co_ci_u32_e64 v11, null, 0, v31, vcc_lo
	v_cmp_eq_u16_e32 vcc_lo, 2, v12
	s_delay_alu instid0(VALU_DEP_2)
	v_dual_mov_b32 v12, v13 :: v_dual_lshlrev_b32 v35, 2, v11
	s_wait_alu 0xfffd
	v_and_or_b32 v11, vcc_lo, v36, 0x80000000
	ds_bpermute_b32 v22, v35, v13
	ds_bpermute_b32 v16, v35, v14
	v_ctz_i32_b32_e32 v11, v11
	s_delay_alu instid0(VALU_DEP_1)
	v_cmpx_lt_u32_e64 v31, v11
	s_cbranch_execz .LBB463_46
; %bb.45:
	s_wait_dscnt 0x1
	v_add_co_u32 v12, vcc_lo, v13, v22
	s_wait_alu 0xfffd
	v_add_co_ci_u32_e64 v14, null, 0, v14, vcc_lo
	s_delay_alu instid0(VALU_DEP_2) | instskip(SKIP_2) | instid1(VALU_DEP_2)
	v_add_co_u32 v13, vcc_lo, 0, v12
	s_wait_dscnt 0x0
	s_wait_alu 0xfffd
	v_add_co_ci_u32_e64 v14, null, v16, v14, vcc_lo
.LBB463_46:
	s_wait_alu 0xfffe
	s_or_b32 exec_lo, exec_lo, s5
	v_cmp_gt_u32_e32 vcc_lo, 30, v31
	v_add_nc_u32_e32 v38, 2, v31
	s_mov_b32 s5, exec_lo
	s_wait_dscnt 0x0
	s_wait_alu 0xfffd
	v_cndmask_b32_e64 v16, 0, 2, vcc_lo
	s_delay_alu instid0(VALU_DEP_1)
	v_add_lshl_u32 v37, v16, v31, 2
	ds_bpermute_b32 v22, v37, v12
	ds_bpermute_b32 v16, v37, v14
	v_cmpx_le_u32_e64 v38, v11
	s_cbranch_execz .LBB463_48
; %bb.47:
	s_wait_dscnt 0x1
	v_add_co_u32 v12, vcc_lo, v13, v22
	s_wait_alu 0xfffd
	v_add_co_ci_u32_e64 v14, null, 0, v14, vcc_lo
	s_delay_alu instid0(VALU_DEP_2) | instskip(SKIP_2) | instid1(VALU_DEP_2)
	v_add_co_u32 v13, vcc_lo, 0, v12
	s_wait_dscnt 0x0
	s_wait_alu 0xfffd
	v_add_co_ci_u32_e64 v14, null, v16, v14, vcc_lo
.LBB463_48:
	s_wait_alu 0xfffe
	s_or_b32 exec_lo, exec_lo, s5
	v_cmp_gt_u32_e32 vcc_lo, 28, v31
	v_add_nc_u32_e32 v40, 4, v31
	s_mov_b32 s5, exec_lo
	s_wait_dscnt 0x0
	s_wait_alu 0xfffd
	v_cndmask_b32_e64 v16, 0, 4, vcc_lo
	s_delay_alu instid0(VALU_DEP_1)
	v_add_lshl_u32 v39, v16, v31, 2
	ds_bpermute_b32 v22, v39, v12
	ds_bpermute_b32 v16, v39, v14
	v_cmpx_le_u32_e64 v40, v11
	;; [unrolled: 25-line block ×3, first 2 shown]
	s_cbranch_execz .LBB463_52
; %bb.51:
	s_wait_dscnt 0x1
	v_add_co_u32 v12, vcc_lo, v13, v22
	s_wait_alu 0xfffd
	v_add_co_ci_u32_e64 v14, null, 0, v14, vcc_lo
	s_delay_alu instid0(VALU_DEP_2) | instskip(SKIP_2) | instid1(VALU_DEP_2)
	v_add_co_u32 v13, vcc_lo, 0, v12
	s_wait_dscnt 0x0
	s_wait_alu 0xfffd
	v_add_co_ci_u32_e64 v14, null, v16, v14, vcc_lo
.LBB463_52:
	s_wait_alu 0xfffe
	s_or_b32 exec_lo, exec_lo, s5
	v_lshl_or_b32 v43, v31, 2, 64
	v_add_nc_u32_e32 v44, 16, v31
	s_mov_b32 s5, exec_lo
	s_wait_dscnt 0x0
	ds_bpermute_b32 v16, v43, v12
	ds_bpermute_b32 v12, v43, v14
	v_cmpx_le_u32_e64 v44, v11
	s_cbranch_execz .LBB463_54
; %bb.53:
	s_wait_dscnt 0x1
	v_add_co_u32 v11, vcc_lo, v13, v16
	s_wait_alu 0xfffd
	v_add_co_ci_u32_e64 v14, null, 0, v14, vcc_lo
	s_delay_alu instid0(VALU_DEP_2) | instskip(SKIP_2) | instid1(VALU_DEP_2)
	v_add_co_u32 v13, vcc_lo, v11, 0
	s_wait_dscnt 0x0
	s_wait_alu 0xfffd
	v_add_co_ci_u32_e64 v14, null, v14, v12, vcc_lo
.LBB463_54:
	s_wait_alu 0xfffe
	s_or_b32 exec_lo, exec_lo, s5
	v_mov_b32_e32 v22, 0
	s_branch .LBB463_57
.LBB463_55:                             ;   in Loop: Header=BB463_57 Depth=1
	s_wait_alu 0xfffe
	s_or_b32 exec_lo, exec_lo, s5
	v_add_co_u32 v13, vcc_lo, v13, v11
	v_subrev_nc_u32_e32 v21, 32, v21
	s_wait_alu 0xfffd
	v_add_co_ci_u32_e64 v14, null, v14, v12, vcc_lo
	s_mov_b32 s5, 0
.LBB463_56:                             ;   in Loop: Header=BB463_57 Depth=1
	s_wait_alu 0xfffe
	s_and_b32 vcc_lo, exec_lo, s5
	s_wait_alu 0xfffe
	s_cbranch_vccnz .LBB463_73
.LBB463_57:                             ; =>This Loop Header: Depth=1
                                        ;     Child Loop BB463_60 Depth 2
	v_and_b32_e32 v11, 0xff, v15
	s_mov_b32 s5, -1
	s_delay_alu instid0(VALU_DEP_1)
	v_cmp_ne_u16_e32 vcc_lo, 2, v11
	s_wait_dscnt 0x0
	v_dual_mov_b32 v11, v13 :: v_dual_mov_b32 v12, v14
                                        ; implicit-def: $vgpr13_vgpr14
	s_cmp_lg_u32 vcc_lo, exec_lo
	s_cbranch_scc1 .LBB463_56
; %bb.58:                               ;   in Loop: Header=BB463_57 Depth=1
	v_lshlrev_b64_e32 v[13:14], 4, v[21:22]
	s_mov_b32 s5, exec_lo
	s_delay_alu instid0(VALU_DEP_1) | instskip(SKIP_1) | instid1(VALU_DEP_2)
	v_add_co_u32 v23, vcc_lo, s6, v13
	s_wait_alu 0xfffd
	v_add_co_ci_u32_e64 v24, null, s7, v14, vcc_lo
	;;#ASMSTART
	global_load_b128 v[13:16], v[23:24] off scope:SCOPE_DEV	
s_wait_loadcnt 0x0
	;;#ASMEND
	v_and_b32_e32 v16, 0xff, v15
	s_delay_alu instid0(VALU_DEP_1)
	v_cmpx_eq_u16_e32 0, v16
	s_cbranch_execz .LBB463_62
; %bb.59:                               ;   in Loop: Header=BB463_57 Depth=1
	s_mov_b32 s12, 0
.LBB463_60:                             ;   Parent Loop BB463_57 Depth=1
                                        ; =>  This Inner Loop Header: Depth=2
	;;#ASMSTART
	global_load_b128 v[13:16], v[23:24] off scope:SCOPE_DEV	
s_wait_loadcnt 0x0
	;;#ASMEND
	v_and_b32_e32 v16, 0xff, v15
	s_delay_alu instid0(VALU_DEP_1)
	v_cmp_ne_u16_e32 vcc_lo, 0, v16
	s_wait_alu 0xfffe
	s_or_b32 s12, vcc_lo, s12
	s_wait_alu 0xfffe
	s_and_not1_b32 exec_lo, exec_lo, s12
	s_cbranch_execnz .LBB463_60
; %bb.61:                               ;   in Loop: Header=BB463_57 Depth=1
	s_or_b32 exec_lo, exec_lo, s12
.LBB463_62:                             ;   in Loop: Header=BB463_57 Depth=1
	s_wait_alu 0xfffe
	s_or_b32 exec_lo, exec_lo, s5
	v_dual_mov_b32 v23, v13 :: v_dual_and_b32 v16, 0xff, v15
	ds_bpermute_b32 v45, v35, v13
	ds_bpermute_b32 v24, v35, v14
	s_mov_b32 s5, exec_lo
	v_cmp_eq_u16_e32 vcc_lo, 2, v16
	s_wait_alu 0xfffd
	v_and_or_b32 v16, vcc_lo, v36, 0x80000000
	s_delay_alu instid0(VALU_DEP_1) | instskip(NEXT) | instid1(VALU_DEP_1)
	v_ctz_i32_b32_e32 v16, v16
	v_cmpx_lt_u32_e64 v31, v16
	s_cbranch_execz .LBB463_64
; %bb.63:                               ;   in Loop: Header=BB463_57 Depth=1
	s_wait_dscnt 0x1
	v_add_co_u32 v23, vcc_lo, v13, v45
	s_wait_alu 0xfffd
	v_add_co_ci_u32_e64 v14, null, 0, v14, vcc_lo
	s_delay_alu instid0(VALU_DEP_2) | instskip(SKIP_2) | instid1(VALU_DEP_2)
	v_add_co_u32 v13, vcc_lo, 0, v23
	s_wait_dscnt 0x0
	s_wait_alu 0xfffd
	v_add_co_ci_u32_e64 v14, null, v24, v14, vcc_lo
.LBB463_64:                             ;   in Loop: Header=BB463_57 Depth=1
	s_wait_alu 0xfffe
	s_or_b32 exec_lo, exec_lo, s5
	s_wait_dscnt 0x1
	ds_bpermute_b32 v45, v37, v23
	s_wait_dscnt 0x1
	ds_bpermute_b32 v24, v37, v14
	s_mov_b32 s5, exec_lo
	v_cmpx_le_u32_e64 v38, v16
	s_cbranch_execz .LBB463_66
; %bb.65:                               ;   in Loop: Header=BB463_57 Depth=1
	s_wait_dscnt 0x1
	v_add_co_u32 v23, vcc_lo, v13, v45
	s_wait_alu 0xfffd
	v_add_co_ci_u32_e64 v14, null, 0, v14, vcc_lo
	s_delay_alu instid0(VALU_DEP_2) | instskip(SKIP_2) | instid1(VALU_DEP_2)
	v_add_co_u32 v13, vcc_lo, 0, v23
	s_wait_dscnt 0x0
	s_wait_alu 0xfffd
	v_add_co_ci_u32_e64 v14, null, v24, v14, vcc_lo
.LBB463_66:                             ;   in Loop: Header=BB463_57 Depth=1
	s_wait_alu 0xfffe
	s_or_b32 exec_lo, exec_lo, s5
	s_wait_dscnt 0x1
	ds_bpermute_b32 v45, v39, v23
	s_wait_dscnt 0x1
	ds_bpermute_b32 v24, v39, v14
	s_mov_b32 s5, exec_lo
	v_cmpx_le_u32_e64 v40, v16
	;; [unrolled: 20-line block ×3, first 2 shown]
	s_cbranch_execz .LBB463_70
; %bb.69:                               ;   in Loop: Header=BB463_57 Depth=1
	s_wait_dscnt 0x1
	v_add_co_u32 v23, vcc_lo, v13, v45
	s_wait_alu 0xfffd
	v_add_co_ci_u32_e64 v14, null, 0, v14, vcc_lo
	s_delay_alu instid0(VALU_DEP_2) | instskip(SKIP_2) | instid1(VALU_DEP_2)
	v_add_co_u32 v13, vcc_lo, 0, v23
	s_wait_dscnt 0x0
	s_wait_alu 0xfffd
	v_add_co_ci_u32_e64 v14, null, v24, v14, vcc_lo
.LBB463_70:                             ;   in Loop: Header=BB463_57 Depth=1
	s_wait_alu 0xfffe
	s_or_b32 exec_lo, exec_lo, s5
	s_wait_dscnt 0x0
	ds_bpermute_b32 v24, v43, v23
	ds_bpermute_b32 v23, v43, v14
	s_mov_b32 s5, exec_lo
	v_cmpx_le_u32_e64 v44, v16
	s_cbranch_execz .LBB463_55
; %bb.71:                               ;   in Loop: Header=BB463_57 Depth=1
	s_wait_dscnt 0x1
	v_add_co_u32 v13, vcc_lo, v13, v24
	s_wait_alu 0xfffd
	v_add_co_ci_u32_e64 v14, null, 0, v14, vcc_lo
	s_delay_alu instid0(VALU_DEP_2) | instskip(SKIP_2) | instid1(VALU_DEP_2)
	v_add_co_u32 v13, vcc_lo, v13, 0
	s_wait_dscnt 0x0
	s_wait_alu 0xfffd
	v_add_co_ci_u32_e64 v14, null, v14, v23, vcc_lo
	s_branch .LBB463_55
.LBB463_72:
                                        ; implicit-def: $vgpr15_vgpr16
                                        ; implicit-def: $vgpr13_vgpr14
                                        ; implicit-def: $vgpr19_vgpr20
                                        ; implicit-def: $vgpr21_vgpr22
                                        ; implicit-def: $vgpr11_vgpr12
	s_load_b64 s[4:5], s[0:1], 0x30
	s_and_b32 vcc_lo, exec_lo, s3
	s_wait_alu 0xfffe
	s_cbranch_vccnz .LBB463_78
	s_branch .LBB463_103
.LBB463_73:
	s_and_saveexec_b32 s5, s3
	s_cbranch_execz .LBB463_75
; %bb.74:
	s_add_co_i32 s12, ttmp9, 32
	s_mov_b32 s13, 0
	v_add_co_u32 v13, vcc_lo, v11, v9
	s_wait_alu 0xfffe
	s_lshl_b64 s[12:13], s[12:13], 4
	v_dual_mov_b32 v15, 2 :: v_dual_mov_b32 v16, 0
	s_wait_alu 0xfffe
	s_add_nc_u64 s[12:13], s[6:7], s[12:13]
	s_wait_alu 0xfffd
	v_add_co_ci_u32_e64 v14, null, v12, v10, vcc_lo
	s_wait_alu 0xfffe
	v_dual_mov_b32 v22, s13 :: v_dual_mov_b32 v21, s12
	;;#ASMSTART
	global_store_b128 v[21:22], v[13:16] off scope:SCOPE_DEV	
s_wait_storecnt 0x0
	;;#ASMEND
	ds_store_b128 v16, v[9:12] offset:8448
.LBB463_75:
	s_wait_alu 0xfffe
	s_or_b32 exec_lo, exec_lo, s5
	v_cmp_eq_u32_e32 vcc_lo, 0, v0
	s_and_b32 exec_lo, exec_lo, vcc_lo
; %bb.76:
	v_mov_b32_e32 v9, 0
	ds_store_b64 v9, v[11:12] offset:56
.LBB463_77:
	s_wait_alu 0xfffe
	s_or_b32 exec_lo, exec_lo, s4
	s_wait_dscnt 0x1
	v_cndmask_b32_e64 v10, v33, v19, s3
	v_cmp_ne_u32_e32 vcc_lo, 0, v0
	v_mov_b32_e32 v9, 0
	s_wait_loadcnt_dscnt 0x0
	s_barrier_signal -1
	s_barrier_wait -1
	global_inv scope:SCOPE_SE
	s_wait_alu 0xfffd
	v_cndmask_b32_e32 v16, 0, v10, vcc_lo
	ds_load_b64 v[13:14], v9 offset:56
	v_cndmask_b32_e64 v11, v34, v20, s3
	s_wait_loadcnt_dscnt 0x0
	s_barrier_signal -1
	s_barrier_wait -1
	global_inv scope:SCOPE_SE
	v_cndmask_b32_e32 v15, 0, v11, vcc_lo
	ds_load_b128 v[9:12], v9 offset:8448
	v_add_co_u32 v21, vcc_lo, v13, v16
	s_wait_alu 0xfffd
	v_add_co_ci_u32_e64 v22, null, v14, v15, vcc_lo
	s_delay_alu instid0(VALU_DEP_2) | instskip(SKIP_1) | instid1(VALU_DEP_2)
	v_add_co_u32 v19, vcc_lo, v21, v30
	s_wait_alu 0xfffd
	v_add_co_ci_u32_e64 v20, null, 0, v22, vcc_lo
	s_delay_alu instid0(VALU_DEP_2) | instskip(SKIP_1) | instid1(VALU_DEP_2)
	;; [unrolled: 4-line block ×3, first 2 shown]
	v_add_co_u32 v15, vcc_lo, v13, v28
	s_wait_alu 0xfffd
	v_add_co_ci_u32_e64 v16, null, 0, v14, vcc_lo
	s_load_b64 s[4:5], s[0:1], 0x30
	s_branch .LBB463_103
.LBB463_78:
	s_wait_dscnt 0x0
	v_dual_mov_b32 v10, 0 :: v_dual_mov_b32 v11, v17
	v_mov_b32_dpp v12, v17 row_shr:1 row_mask:0xf bank_mask:0xf
	s_delay_alu instid0(VALU_DEP_2)
	v_mov_b32_dpp v9, v10 row_shr:1 row_mask:0xf bank_mask:0xf
	s_and_saveexec_b32 s0, s2
; %bb.79:
	s_delay_alu instid0(VALU_DEP_2) | instskip(SKIP_2) | instid1(VALU_DEP_2)
	v_add_co_u32 v11, vcc_lo, v17, v12
	s_wait_alu 0xfffd
	v_add_co_ci_u32_e64 v10, null, 0, v18, vcc_lo
	v_add_co_u32 v17, vcc_lo, 0, v11
	s_wait_alu 0xfffd
	s_delay_alu instid0(VALU_DEP_2) | instskip(NEXT) | instid1(VALU_DEP_1)
	v_add_co_ci_u32_e64 v18, null, v9, v10, vcc_lo
	v_mov_b32_e32 v10, v18
; %bb.80:
	s_or_b32 exec_lo, exec_lo, s0
	v_mov_b32_dpp v9, v11 row_shr:2 row_mask:0xf bank_mask:0xf
	s_delay_alu instid0(VALU_DEP_2)
	v_mov_b32_dpp v12, v10 row_shr:2 row_mask:0xf bank_mask:0xf
	s_mov_b32 s0, exec_lo
	v_cmpx_lt_u32_e32 1, v32
; %bb.81:
	s_delay_alu instid0(VALU_DEP_3) | instskip(SKIP_2) | instid1(VALU_DEP_2)
	v_add_co_u32 v11, vcc_lo, v17, v9
	s_wait_alu 0xfffd
	v_add_co_ci_u32_e64 v10, null, 0, v18, vcc_lo
	v_add_co_u32 v9, vcc_lo, 0, v11
	s_wait_alu 0xfffd
	s_delay_alu instid0(VALU_DEP_2) | instskip(NEXT) | instid1(VALU_DEP_1)
	v_add_co_ci_u32_e64 v10, null, v12, v10, vcc_lo
	v_dual_mov_b32 v18, v10 :: v_dual_mov_b32 v17, v9
; %bb.82:
	s_or_b32 exec_lo, exec_lo, s0
	v_mov_b32_dpp v9, v11 row_shr:4 row_mask:0xf bank_mask:0xf
	v_mov_b32_dpp v12, v10 row_shr:4 row_mask:0xf bank_mask:0xf
	s_mov_b32 s0, exec_lo
	v_cmpx_lt_u32_e32 3, v32
; %bb.83:
	s_delay_alu instid0(VALU_DEP_3) | instskip(SKIP_2) | instid1(VALU_DEP_2)
	v_add_co_u32 v11, vcc_lo, v17, v9
	s_wait_alu 0xfffd
	v_add_co_ci_u32_e64 v10, null, 0, v18, vcc_lo
	v_add_co_u32 v9, vcc_lo, 0, v11
	s_wait_alu 0xfffd
	s_delay_alu instid0(VALU_DEP_2) | instskip(NEXT) | instid1(VALU_DEP_1)
	v_add_co_ci_u32_e64 v10, null, v12, v10, vcc_lo
	v_dual_mov_b32 v18, v10 :: v_dual_mov_b32 v17, v9
; %bb.84:
	s_or_b32 exec_lo, exec_lo, s0
	v_mov_b32_dpp v12, v11 row_shr:8 row_mask:0xf bank_mask:0xf
	v_mov_b32_dpp v9, v10 row_shr:8 row_mask:0xf bank_mask:0xf
	s_mov_b32 s0, exec_lo
	v_cmpx_lt_u32_e32 7, v32
; %bb.85:
	s_delay_alu instid0(VALU_DEP_3) | instskip(SKIP_2) | instid1(VALU_DEP_2)
	v_add_co_u32 v11, vcc_lo, v17, v12
	s_wait_alu 0xfffd
	v_add_co_ci_u32_e64 v10, null, 0, v18, vcc_lo
	v_add_co_u32 v17, vcc_lo, 0, v11
	s_wait_alu 0xfffd
	s_delay_alu instid0(VALU_DEP_2) | instskip(NEXT) | instid1(VALU_DEP_1)
	v_add_co_ci_u32_e64 v18, null, v9, v10, vcc_lo
	v_mov_b32_e32 v10, v18
; %bb.86:
	s_or_b32 exec_lo, exec_lo, s0
	ds_swizzle_b32 v11, v11 offset:swizzle(BROADCAST,32,15)
	ds_swizzle_b32 v9, v10 offset:swizzle(BROADCAST,32,15)
	v_and_b32_e32 v10, 16, v31
	s_mov_b32 s0, exec_lo
	s_delay_alu instid0(VALU_DEP_1)
	v_cmpx_ne_u32_e32 0, v10
	s_cbranch_execz .LBB463_88
; %bb.87:
	s_wait_dscnt 0x1
	v_add_co_u32 v10, vcc_lo, v17, v11
	s_wait_alu 0xfffd
	v_add_co_ci_u32_e64 v11, null, 0, v18, vcc_lo
	s_delay_alu instid0(VALU_DEP_2) | instskip(SKIP_2) | instid1(VALU_DEP_2)
	v_add_co_u32 v17, vcc_lo, v10, 0
	s_wait_dscnt 0x0
	s_wait_alu 0xfffd
	v_add_co_ci_u32_e64 v18, null, v11, v9, vcc_lo
.LBB463_88:
	s_or_b32 exec_lo, exec_lo, s0
	s_wait_dscnt 0x0
	v_or_b32_e32 v9, 31, v0
	s_mov_b32 s0, exec_lo
	s_delay_alu instid0(VALU_DEP_1)
	v_cmpx_eq_u32_e64 v0, v9
; %bb.89:
	v_lshlrev_b32_e32 v9, 3, v26
	ds_store_b64 v9, v[17:18]
; %bb.90:
	s_or_b32 exec_lo, exec_lo, s0
	s_delay_alu instid0(SALU_CYCLE_1)
	s_mov_b32 s0, exec_lo
	s_wait_loadcnt_dscnt 0x0
	s_barrier_signal -1
	s_barrier_wait -1
	global_inv scope:SCOPE_SE
	v_cmpx_gt_u32_e32 8, v0
	s_cbranch_execz .LBB463_98
; %bb.91:
	v_lshlrev_b32_e32 v11, 3, v0
	s_mov_b32 s1, exec_lo
	ds_load_b64 v[9:10], v11
	s_wait_dscnt 0x0
	v_dual_mov_b32 v13, v9 :: v_dual_and_b32 v12, 7, v31
	v_mov_b32_dpp v15, v9 row_shr:1 row_mask:0xf bank_mask:0xf
	v_mov_b32_dpp v14, v10 row_shr:1 row_mask:0xf bank_mask:0xf
	s_delay_alu instid0(VALU_DEP_3)
	v_cmpx_ne_u32_e32 0, v12
; %bb.92:
	s_delay_alu instid0(VALU_DEP_3) | instskip(SKIP_2) | instid1(VALU_DEP_2)
	v_add_co_u32 v13, vcc_lo, v9, v15
	s_wait_alu 0xfffd
	v_add_co_ci_u32_e64 v10, null, 0, v10, vcc_lo
	v_add_co_u32 v9, vcc_lo, 0, v13
	s_wait_alu 0xfffd
	s_delay_alu instid0(VALU_DEP_2)
	v_add_co_ci_u32_e64 v10, null, v14, v10, vcc_lo
; %bb.93:
	s_or_b32 exec_lo, exec_lo, s1
	v_mov_b32_dpp v15, v13 row_shr:2 row_mask:0xf bank_mask:0xf
	s_delay_alu instid0(VALU_DEP_2)
	v_mov_b32_dpp v14, v10 row_shr:2 row_mask:0xf bank_mask:0xf
	s_mov_b32 s1, exec_lo
	v_cmpx_lt_u32_e32 1, v12
; %bb.94:
	s_delay_alu instid0(VALU_DEP_3) | instskip(SKIP_2) | instid1(VALU_DEP_2)
	v_add_co_u32 v13, vcc_lo, v9, v15
	s_wait_alu 0xfffd
	v_add_co_ci_u32_e64 v10, null, 0, v10, vcc_lo
	v_add_co_u32 v9, vcc_lo, 0, v13
	s_wait_alu 0xfffd
	s_delay_alu instid0(VALU_DEP_2)
	v_add_co_ci_u32_e64 v10, null, v14, v10, vcc_lo
; %bb.95:
	s_or_b32 exec_lo, exec_lo, s1
	v_mov_b32_dpp v14, v13 row_shr:4 row_mask:0xf bank_mask:0xf
	s_delay_alu instid0(VALU_DEP_2)
	v_mov_b32_dpp v13, v10 row_shr:4 row_mask:0xf bank_mask:0xf
	s_mov_b32 s1, exec_lo
	v_cmpx_lt_u32_e32 3, v12
; %bb.96:
	s_delay_alu instid0(VALU_DEP_3) | instskip(SKIP_2) | instid1(VALU_DEP_2)
	v_add_co_u32 v9, vcc_lo, v9, v14
	s_wait_alu 0xfffd
	v_add_co_ci_u32_e64 v10, null, 0, v10, vcc_lo
	v_add_co_u32 v9, vcc_lo, v9, 0
	s_wait_alu 0xfffd
	s_delay_alu instid0(VALU_DEP_2)
	v_add_co_ci_u32_e64 v10, null, v10, v13, vcc_lo
; %bb.97:
	s_or_b32 exec_lo, exec_lo, s1
	ds_store_b64 v11, v[9:10]
.LBB463_98:
	s_or_b32 exec_lo, exec_lo, s0
	v_mov_b32_e32 v13, 0
	v_mov_b32_e32 v14, 0
	s_mov_b32 s0, exec_lo
	s_wait_loadcnt_dscnt 0x0
	s_barrier_signal -1
	s_barrier_wait -1
	global_inv scope:SCOPE_SE
	v_cmpx_lt_u32_e32 31, v0
; %bb.99:
	v_lshl_add_u32 v9, v26, 3, -8
	ds_load_b64 v[13:14], v9
; %bb.100:
	s_or_b32 exec_lo, exec_lo, s0
	v_sub_co_u32 v9, vcc_lo, v31, 1
	v_mov_b32_e32 v12, 0
	s_delay_alu instid0(VALU_DEP_2) | instskip(NEXT) | instid1(VALU_DEP_1)
	v_cmp_gt_i32_e64 s0, 0, v9
	v_cndmask_b32_e64 v9, v9, v31, s0
	s_wait_dscnt 0x0
	v_add_co_u32 v10, s0, v13, v17
	s_wait_alu 0xf1ff
	v_add_co_ci_u32_e64 v11, null, v14, v18, s0
	v_lshlrev_b32_e32 v9, 2, v9
	v_cmp_eq_u32_e64 s0, 0, v0
	ds_bpermute_b32 v15, v9, v10
	ds_bpermute_b32 v16, v9, v11
	ds_load_b64 v[9:10], v12 offset:56
	s_and_saveexec_b32 s1, s0
	s_cbranch_execz .LBB463_102
; %bb.101:
	s_wait_kmcnt 0x0
	s_add_nc_u64 s[2:3], s[6:7], 0x200
	s_wait_alu 0xfffe
	v_dual_mov_b32 v11, 2 :: v_dual_mov_b32 v18, s3
	v_mov_b32_e32 v17, s2
	s_wait_dscnt 0x0
	;;#ASMSTART
	global_store_b128 v[17:18], v[9:12] off scope:SCOPE_DEV	
s_wait_storecnt 0x0
	;;#ASMEND
.LBB463_102:
	s_wait_alu 0xfffe
	s_or_b32 exec_lo, exec_lo, s1
	s_wait_dscnt 0x1
	s_wait_alu 0xfffd
	v_dual_cndmask_b32 v11, v15, v13 :: v_dual_cndmask_b32 v12, v16, v14
	s_wait_loadcnt_dscnt 0x0
	s_barrier_signal -1
	s_barrier_wait -1
	s_delay_alu instid0(VALU_DEP_1)
	v_cndmask_b32_e64 v21, v11, 0, s0
	v_cndmask_b32_e64 v22, v12, 0, s0
	v_mov_b32_e32 v11, 0
	v_mov_b32_e32 v12, 0
	global_inv scope:SCOPE_SE
	v_add_co_u32 v19, vcc_lo, v21, v30
	s_wait_alu 0xfffd
	v_add_co_ci_u32_e64 v20, null, 0, v22, vcc_lo
	s_delay_alu instid0(VALU_DEP_2) | instskip(SKIP_1) | instid1(VALU_DEP_2)
	v_add_co_u32 v13, vcc_lo, v19, v29
	s_wait_alu 0xfffd
	v_add_co_ci_u32_e64 v14, null, 0, v20, vcc_lo
	s_delay_alu instid0(VALU_DEP_2) | instskip(SKIP_1) | instid1(VALU_DEP_2)
	v_add_co_u32 v15, vcc_lo, v13, v28
	s_wait_alu 0xfffd
	v_add_co_ci_u32_e64 v16, null, 0, v14, vcc_lo
.LBB463_103:
	v_and_b32_e32 v26, 1, v27
	s_wait_dscnt 0x0
	v_cmp_gt_u64_e32 vcc_lo, 0x101, v[9:10]
	v_lshrrev_b32_e32 v23, 16, v27
	v_lshrrev_b32_e32 v24, 8, v27
	s_mov_b32 s1, -1
	v_cmp_eq_u32_e64 s0, 1, v26
	s_cbranch_vccnz .LBB463_107
; %bb.104:
	s_wait_alu 0xfffe
	s_and_b32 vcc_lo, exec_lo, s1
	s_wait_alu 0xfffe
	s_cbranch_vccnz .LBB463_116
.LBB463_105:
	v_cmp_eq_u32_e32 vcc_lo, 0, v0
	s_and_b32 s0, vcc_lo, s16
	s_wait_alu 0xfffe
	s_and_saveexec_b32 s1, s0
	s_cbranch_execnz .LBB463_128
.LBB463_106:
	s_endpgm
.LBB463_107:
	v_add_co_u32 v17, vcc_lo, v11, v9
	s_wait_alu 0xfffd
	v_add_co_ci_u32_e64 v18, null, v12, v10, vcc_lo
	s_delay_alu instid0(VALU_DEP_1)
	v_cmp_lt_u64_e32 vcc_lo, v[21:22], v[17:18]
	s_or_b32 s1, s17, vcc_lo
	s_wait_alu 0xfffe
	s_and_b32 s1, s1, s0
	s_wait_alu 0xfffe
	s_and_saveexec_b32 s0, s1
	s_cbranch_execz .LBB463_109
; %bb.108:
	v_lshlrev_b64_e32 v[27:28], 3, v[21:22]
	s_lshl_b64 s[2:3], s[10:11], 3
	s_wait_kmcnt 0x0
	s_wait_alu 0xfffe
	s_add_nc_u64 s[2:3], s[4:5], s[2:3]
	s_wait_alu 0xfffe
	v_add_co_u32 v27, vcc_lo, s2, v27
	s_wait_alu 0xfffd
	v_add_co_ci_u32_e64 v28, null, s3, v28, vcc_lo
	global_store_b64 v[27:28], v[5:6], off
.LBB463_109:
	s_wait_alu 0xfffe
	s_or_b32 exec_lo, exec_lo, s0
	v_and_b32_e32 v22, 1, v24
	v_cmp_lt_u64_e32 vcc_lo, v[19:20], v[17:18]
	s_delay_alu instid0(VALU_DEP_2)
	v_cmp_eq_u32_e64 s0, 1, v22
	s_or_b32 s1, s17, vcc_lo
	s_wait_alu 0xfffe
	s_and_b32 s1, s1, s0
	s_wait_alu 0xfffe
	s_and_saveexec_b32 s0, s1
	s_cbranch_execz .LBB463_111
; %bb.110:
	v_lshlrev_b64_e32 v[27:28], 3, v[19:20]
	s_lshl_b64 s[2:3], s[10:11], 3
	s_wait_kmcnt 0x0
	s_wait_alu 0xfffe
	s_add_nc_u64 s[2:3], s[4:5], s[2:3]
	s_wait_alu 0xfffe
	v_add_co_u32 v27, vcc_lo, s2, v27
	s_wait_alu 0xfffd
	v_add_co_ci_u32_e64 v28, null, s3, v28, vcc_lo
	global_store_b64 v[27:28], v[7:8], off
.LBB463_111:
	s_wait_alu 0xfffe
	s_or_b32 exec_lo, exec_lo, s0
	v_and_b32_e32 v20, 1, v23
	v_cmp_lt_u64_e32 vcc_lo, v[13:14], v[17:18]
	s_delay_alu instid0(VALU_DEP_2)
	v_cmp_eq_u32_e64 s0, 1, v20
	;; [unrolled: 24-line block ×3, first 2 shown]
	s_or_b32 s1, s17, vcc_lo
	s_wait_alu 0xfffe
	s_and_b32 s1, s1, s0
	s_wait_alu 0xfffe
	s_and_saveexec_b32 s0, s1
	s_cbranch_execz .LBB463_115
; %bb.114:
	v_lshlrev_b64_e32 v[16:17], 3, v[15:16]
	s_lshl_b64 s[2:3], s[10:11], 3
	s_wait_kmcnt 0x0
	s_wait_alu 0xfffe
	s_add_nc_u64 s[2:3], s[4:5], s[2:3]
	s_wait_alu 0xfffe
	v_add_co_u32 v16, vcc_lo, s2, v16
	s_wait_alu 0xfffd
	v_add_co_ci_u32_e64 v17, null, s3, v17, vcc_lo
	global_store_b64 v[16:17], v[3:4], off
.LBB463_115:
	s_wait_alu 0xfffe
	s_or_b32 exec_lo, exec_lo, s0
	s_branch .LBB463_105
.LBB463_116:
	s_mov_b32 s0, exec_lo
	v_cmpx_eq_u32_e32 1, v26
; %bb.117:
	v_sub_nc_u32_e32 v14, v21, v11
	s_delay_alu instid0(VALU_DEP_1)
	v_lshlrev_b32_e32 v14, 3, v14
	ds_store_b64 v14, v[5:6]
; %bb.118:
	s_wait_alu 0xfffe
	s_or_b32 exec_lo, exec_lo, s0
	v_and_b32_e32 v5, 1, v24
	s_mov_b32 s0, exec_lo
	s_delay_alu instid0(VALU_DEP_1)
	v_cmpx_eq_u32_e32 1, v5
; %bb.119:
	v_sub_nc_u32_e32 v5, v19, v11
	s_delay_alu instid0(VALU_DEP_1)
	v_lshlrev_b32_e32 v5, 3, v5
	ds_store_b64 v5, v[7:8]
; %bb.120:
	s_wait_alu 0xfffe
	s_or_b32 exec_lo, exec_lo, s0
	v_and_b32_e32 v5, 1, v23
	s_mov_b32 s0, exec_lo
	s_delay_alu instid0(VALU_DEP_1)
	v_cmpx_eq_u32_e32 1, v5
; %bb.121:
	v_sub_nc_u32_e32 v5, v13, v11
	s_delay_alu instid0(VALU_DEP_1)
	v_lshlrev_b32_e32 v5, 3, v5
	ds_store_b64 v5, v[1:2]
; %bb.122:
	s_wait_alu 0xfffe
	s_or_b32 exec_lo, exec_lo, s0
	v_and_b32_e32 v1, 1, v25
	s_mov_b32 s0, exec_lo
	s_delay_alu instid0(VALU_DEP_1)
	v_cmpx_eq_u32_e32 1, v1
; %bb.123:
	v_sub_nc_u32_e32 v1, v15, v11
	s_delay_alu instid0(VALU_DEP_1)
	v_lshlrev_b32_e32 v1, 3, v1
	ds_store_b64 v1, v[3:4]
; %bb.124:
	s_wait_alu 0xfffe
	s_or_b32 exec_lo, exec_lo, s0
	v_mov_b32_e32 v3, 0
	s_mov_b32 s1, exec_lo
	s_wait_storecnt 0x0
	s_wait_loadcnt_dscnt 0x0
	s_barrier_signal -1
	s_barrier_wait -1
	v_mov_b32_e32 v1, v3
	global_inv scope:SCOPE_SE
	v_cmpx_gt_u64_e64 v[9:10], v[0:1]
	s_cbranch_execz .LBB463_127
; %bb.125:
	v_lshlrev_b64_e32 v[4:5], 3, v[11:12]
	s_lshl_b64 s[2:3], s[10:11], 3
	v_or_b32_e32 v2, 0x100, v0
	s_wait_kmcnt 0x0
	s_delay_alu instid0(VALU_DEP_2) | instskip(SKIP_3) | instid1(VALU_DEP_2)
	v_add_co_u32 v4, vcc_lo, s4, v4
	s_wait_alu 0xfffd
	v_add_co_ci_u32_e64 v5, null, s5, v5, vcc_lo
	s_wait_alu 0xfffe
	v_add_co_u32 v6, vcc_lo, v4, s2
	s_wait_alu 0xfffd
	s_delay_alu instid0(VALU_DEP_2)
	v_add_co_ci_u32_e64 v7, null, s3, v5, vcc_lo
	v_dual_mov_b32 v5, v1 :: v_dual_mov_b32 v4, v0
	s_mov_b32 s2, 0
.LBB463_126:                            ; =>This Inner Loop Header: Depth=1
	s_delay_alu instid0(VALU_DEP_1) | instskip(NEXT) | instid1(VALU_DEP_2)
	v_lshlrev_b32_e32 v1, 3, v4
	v_lshlrev_b64_e32 v[15:16], 3, v[4:5]
	v_dual_mov_b32 v5, v3 :: v_dual_mov_b32 v4, v2
	v_cmp_le_u64_e32 vcc_lo, v[9:10], v[2:3]
	ds_load_b64 v[13:14], v1
	v_add_nc_u32_e32 v2, 0x100, v2
	v_add_co_u32 v15, s0, v6, v15
	s_wait_alu 0xf1ff
	v_add_co_ci_u32_e64 v16, null, v7, v16, s0
	s_wait_alu 0xfffe
	s_or_b32 s2, vcc_lo, s2
	s_wait_dscnt 0x0
	global_store_b64 v[15:16], v[13:14], off
	s_wait_alu 0xfffe
	s_and_not1_b32 exec_lo, exec_lo, s2
	s_cbranch_execnz .LBB463_126
.LBB463_127:
	s_wait_alu 0xfffe
	s_or_b32 exec_lo, exec_lo, s1
	v_cmp_eq_u32_e32 vcc_lo, 0, v0
	s_and_b32 s0, vcc_lo, s16
	s_wait_alu 0xfffe
	s_and_saveexec_b32 s1, s0
	s_cbranch_execz .LBB463_106
.LBB463_128:
	v_add_co_u32 v0, vcc_lo, v11, v9
	s_wait_alu 0xfffd
	v_add_co_ci_u32_e64 v1, null, v12, v10, vcc_lo
	v_mov_b32_e32 v2, 0
	s_delay_alu instid0(VALU_DEP_3) | instskip(SKIP_1) | instid1(VALU_DEP_3)
	v_add_co_u32 v0, vcc_lo, v0, s10
	s_wait_alu 0xfffd
	v_add_co_ci_u32_e64 v1, null, s11, v1, vcc_lo
	global_store_b64 v2, v[0:1], s[8:9]
	s_endpgm
.LBB463_129:
	global_load_b32 v15, v11, s[2:3] offset:1024
	s_wait_loadcnt 0x0
	v_cmp_neq_f32_e32 vcc_lo, 0, v15
	s_wait_alu 0xfffd
	v_cndmask_b32_e64 v15, 0, 1, vcc_lo
	s_delay_alu instid0(VALU_DEP_1) | instskip(NEXT) | instid1(VALU_DEP_1)
	v_lshlrev_b16 v15, 8, v15
	v_or_b32_e32 v13, v13, v15
	s_delay_alu instid0(VALU_DEP_1) | instskip(SKIP_2) | instid1(SALU_CYCLE_1)
	v_and_b32_e32 v13, 0xffff, v13
	s_wait_alu 0xfffe
	s_or_b32 exec_lo, exec_lo, s4
	s_mov_b32 s4, exec_lo
	v_cmpx_gt_u32_e64 s18, v9
	s_cbranch_execz .LBB463_12
.LBB463_130:
	global_load_b32 v15, v11, s[2:3] offset:2048
	s_wait_loadcnt 0x0
	v_cmp_neq_f32_e32 vcc_lo, 0, v15
	s_wait_alu 0xfffd
	v_cndmask_b32_e64 v15, 0, 1, vcc_lo
	s_delay_alu instid0(VALU_DEP_1) | instskip(SKIP_2) | instid1(SALU_CYCLE_1)
	v_lshl_or_b32 v13, v15, 16, v13
	s_wait_alu 0xfffe
	s_or_b32 exec_lo, exec_lo, s4
	s_mov_b32 s4, exec_lo
	v_cmpx_gt_u32_e64 s18, v10
	s_cbranch_execnz .LBB463_13
	s_branch .LBB463_14
	.section	.rodata,"a",@progbits
	.p2align	6, 0x0
	.amdhsa_kernel _ZN7rocprim17ROCPRIM_400000_NS6detail17trampoline_kernelINS0_14default_configENS1_25partition_config_selectorILNS1_17partition_subalgoE5ElNS0_10empty_typeEbEEZZNS1_14partition_implILS5_5ELb0ES3_mN6hipcub16HIPCUB_304000_NS21CountingInputIteratorIllEEPS6_NSA_22TransformInputIteratorIbN2at6native12_GLOBAL__N_19NonZeroOpIfEEPKflEENS0_5tupleIJPlS6_EEENSN_IJSD_SD_EEES6_PiJS6_EEE10hipError_tPvRmT3_T4_T5_T6_T7_T9_mT8_P12ihipStream_tbDpT10_ENKUlT_T0_E_clISt17integral_constantIbLb0EES1B_EEDaS16_S17_EUlS16_E_NS1_11comp_targetILNS1_3genE10ELNS1_11target_archE1200ELNS1_3gpuE4ELNS1_3repE0EEENS1_30default_config_static_selectorELNS0_4arch9wavefront6targetE0EEEvT1_
		.amdhsa_group_segment_fixed_size 8464
		.amdhsa_private_segment_fixed_size 0
		.amdhsa_kernarg_size 120
		.amdhsa_user_sgpr_count 2
		.amdhsa_user_sgpr_dispatch_ptr 0
		.amdhsa_user_sgpr_queue_ptr 0
		.amdhsa_user_sgpr_kernarg_segment_ptr 1
		.amdhsa_user_sgpr_dispatch_id 0
		.amdhsa_user_sgpr_private_segment_size 0
		.amdhsa_wavefront_size32 1
		.amdhsa_uses_dynamic_stack 0
		.amdhsa_enable_private_segment 0
		.amdhsa_system_sgpr_workgroup_id_x 1
		.amdhsa_system_sgpr_workgroup_id_y 0
		.amdhsa_system_sgpr_workgroup_id_z 0
		.amdhsa_system_sgpr_workgroup_info 0
		.amdhsa_system_vgpr_workitem_id 0
		.amdhsa_next_free_vgpr 46
		.amdhsa_next_free_sgpr 20
		.amdhsa_reserve_vcc 1
		.amdhsa_float_round_mode_32 0
		.amdhsa_float_round_mode_16_64 0
		.amdhsa_float_denorm_mode_32 3
		.amdhsa_float_denorm_mode_16_64 3
		.amdhsa_fp16_overflow 0
		.amdhsa_workgroup_processor_mode 1
		.amdhsa_memory_ordered 1
		.amdhsa_forward_progress 1
		.amdhsa_inst_pref_size 54
		.amdhsa_round_robin_scheduling 0
		.amdhsa_exception_fp_ieee_invalid_op 0
		.amdhsa_exception_fp_denorm_src 0
		.amdhsa_exception_fp_ieee_div_zero 0
		.amdhsa_exception_fp_ieee_overflow 0
		.amdhsa_exception_fp_ieee_underflow 0
		.amdhsa_exception_fp_ieee_inexact 0
		.amdhsa_exception_int_div_zero 0
	.end_amdhsa_kernel
	.section	.text._ZN7rocprim17ROCPRIM_400000_NS6detail17trampoline_kernelINS0_14default_configENS1_25partition_config_selectorILNS1_17partition_subalgoE5ElNS0_10empty_typeEbEEZZNS1_14partition_implILS5_5ELb0ES3_mN6hipcub16HIPCUB_304000_NS21CountingInputIteratorIllEEPS6_NSA_22TransformInputIteratorIbN2at6native12_GLOBAL__N_19NonZeroOpIfEEPKflEENS0_5tupleIJPlS6_EEENSN_IJSD_SD_EEES6_PiJS6_EEE10hipError_tPvRmT3_T4_T5_T6_T7_T9_mT8_P12ihipStream_tbDpT10_ENKUlT_T0_E_clISt17integral_constantIbLb0EES1B_EEDaS16_S17_EUlS16_E_NS1_11comp_targetILNS1_3genE10ELNS1_11target_archE1200ELNS1_3gpuE4ELNS1_3repE0EEENS1_30default_config_static_selectorELNS0_4arch9wavefront6targetE0EEEvT1_,"axG",@progbits,_ZN7rocprim17ROCPRIM_400000_NS6detail17trampoline_kernelINS0_14default_configENS1_25partition_config_selectorILNS1_17partition_subalgoE5ElNS0_10empty_typeEbEEZZNS1_14partition_implILS5_5ELb0ES3_mN6hipcub16HIPCUB_304000_NS21CountingInputIteratorIllEEPS6_NSA_22TransformInputIteratorIbN2at6native12_GLOBAL__N_19NonZeroOpIfEEPKflEENS0_5tupleIJPlS6_EEENSN_IJSD_SD_EEES6_PiJS6_EEE10hipError_tPvRmT3_T4_T5_T6_T7_T9_mT8_P12ihipStream_tbDpT10_ENKUlT_T0_E_clISt17integral_constantIbLb0EES1B_EEDaS16_S17_EUlS16_E_NS1_11comp_targetILNS1_3genE10ELNS1_11target_archE1200ELNS1_3gpuE4ELNS1_3repE0EEENS1_30default_config_static_selectorELNS0_4arch9wavefront6targetE0EEEvT1_,comdat
.Lfunc_end463:
	.size	_ZN7rocprim17ROCPRIM_400000_NS6detail17trampoline_kernelINS0_14default_configENS1_25partition_config_selectorILNS1_17partition_subalgoE5ElNS0_10empty_typeEbEEZZNS1_14partition_implILS5_5ELb0ES3_mN6hipcub16HIPCUB_304000_NS21CountingInputIteratorIllEEPS6_NSA_22TransformInputIteratorIbN2at6native12_GLOBAL__N_19NonZeroOpIfEEPKflEENS0_5tupleIJPlS6_EEENSN_IJSD_SD_EEES6_PiJS6_EEE10hipError_tPvRmT3_T4_T5_T6_T7_T9_mT8_P12ihipStream_tbDpT10_ENKUlT_T0_E_clISt17integral_constantIbLb0EES1B_EEDaS16_S17_EUlS16_E_NS1_11comp_targetILNS1_3genE10ELNS1_11target_archE1200ELNS1_3gpuE4ELNS1_3repE0EEENS1_30default_config_static_selectorELNS0_4arch9wavefront6targetE0EEEvT1_, .Lfunc_end463-_ZN7rocprim17ROCPRIM_400000_NS6detail17trampoline_kernelINS0_14default_configENS1_25partition_config_selectorILNS1_17partition_subalgoE5ElNS0_10empty_typeEbEEZZNS1_14partition_implILS5_5ELb0ES3_mN6hipcub16HIPCUB_304000_NS21CountingInputIteratorIllEEPS6_NSA_22TransformInputIteratorIbN2at6native12_GLOBAL__N_19NonZeroOpIfEEPKflEENS0_5tupleIJPlS6_EEENSN_IJSD_SD_EEES6_PiJS6_EEE10hipError_tPvRmT3_T4_T5_T6_T7_T9_mT8_P12ihipStream_tbDpT10_ENKUlT_T0_E_clISt17integral_constantIbLb0EES1B_EEDaS16_S17_EUlS16_E_NS1_11comp_targetILNS1_3genE10ELNS1_11target_archE1200ELNS1_3gpuE4ELNS1_3repE0EEENS1_30default_config_static_selectorELNS0_4arch9wavefront6targetE0EEEvT1_
                                        ; -- End function
	.set _ZN7rocprim17ROCPRIM_400000_NS6detail17trampoline_kernelINS0_14default_configENS1_25partition_config_selectorILNS1_17partition_subalgoE5ElNS0_10empty_typeEbEEZZNS1_14partition_implILS5_5ELb0ES3_mN6hipcub16HIPCUB_304000_NS21CountingInputIteratorIllEEPS6_NSA_22TransformInputIteratorIbN2at6native12_GLOBAL__N_19NonZeroOpIfEEPKflEENS0_5tupleIJPlS6_EEENSN_IJSD_SD_EEES6_PiJS6_EEE10hipError_tPvRmT3_T4_T5_T6_T7_T9_mT8_P12ihipStream_tbDpT10_ENKUlT_T0_E_clISt17integral_constantIbLb0EES1B_EEDaS16_S17_EUlS16_E_NS1_11comp_targetILNS1_3genE10ELNS1_11target_archE1200ELNS1_3gpuE4ELNS1_3repE0EEENS1_30default_config_static_selectorELNS0_4arch9wavefront6targetE0EEEvT1_.num_vgpr, 46
	.set _ZN7rocprim17ROCPRIM_400000_NS6detail17trampoline_kernelINS0_14default_configENS1_25partition_config_selectorILNS1_17partition_subalgoE5ElNS0_10empty_typeEbEEZZNS1_14partition_implILS5_5ELb0ES3_mN6hipcub16HIPCUB_304000_NS21CountingInputIteratorIllEEPS6_NSA_22TransformInputIteratorIbN2at6native12_GLOBAL__N_19NonZeroOpIfEEPKflEENS0_5tupleIJPlS6_EEENSN_IJSD_SD_EEES6_PiJS6_EEE10hipError_tPvRmT3_T4_T5_T6_T7_T9_mT8_P12ihipStream_tbDpT10_ENKUlT_T0_E_clISt17integral_constantIbLb0EES1B_EEDaS16_S17_EUlS16_E_NS1_11comp_targetILNS1_3genE10ELNS1_11target_archE1200ELNS1_3gpuE4ELNS1_3repE0EEENS1_30default_config_static_selectorELNS0_4arch9wavefront6targetE0EEEvT1_.num_agpr, 0
	.set _ZN7rocprim17ROCPRIM_400000_NS6detail17trampoline_kernelINS0_14default_configENS1_25partition_config_selectorILNS1_17partition_subalgoE5ElNS0_10empty_typeEbEEZZNS1_14partition_implILS5_5ELb0ES3_mN6hipcub16HIPCUB_304000_NS21CountingInputIteratorIllEEPS6_NSA_22TransformInputIteratorIbN2at6native12_GLOBAL__N_19NonZeroOpIfEEPKflEENS0_5tupleIJPlS6_EEENSN_IJSD_SD_EEES6_PiJS6_EEE10hipError_tPvRmT3_T4_T5_T6_T7_T9_mT8_P12ihipStream_tbDpT10_ENKUlT_T0_E_clISt17integral_constantIbLb0EES1B_EEDaS16_S17_EUlS16_E_NS1_11comp_targetILNS1_3genE10ELNS1_11target_archE1200ELNS1_3gpuE4ELNS1_3repE0EEENS1_30default_config_static_selectorELNS0_4arch9wavefront6targetE0EEEvT1_.numbered_sgpr, 20
	.set _ZN7rocprim17ROCPRIM_400000_NS6detail17trampoline_kernelINS0_14default_configENS1_25partition_config_selectorILNS1_17partition_subalgoE5ElNS0_10empty_typeEbEEZZNS1_14partition_implILS5_5ELb0ES3_mN6hipcub16HIPCUB_304000_NS21CountingInputIteratorIllEEPS6_NSA_22TransformInputIteratorIbN2at6native12_GLOBAL__N_19NonZeroOpIfEEPKflEENS0_5tupleIJPlS6_EEENSN_IJSD_SD_EEES6_PiJS6_EEE10hipError_tPvRmT3_T4_T5_T6_T7_T9_mT8_P12ihipStream_tbDpT10_ENKUlT_T0_E_clISt17integral_constantIbLb0EES1B_EEDaS16_S17_EUlS16_E_NS1_11comp_targetILNS1_3genE10ELNS1_11target_archE1200ELNS1_3gpuE4ELNS1_3repE0EEENS1_30default_config_static_selectorELNS0_4arch9wavefront6targetE0EEEvT1_.num_named_barrier, 0
	.set _ZN7rocprim17ROCPRIM_400000_NS6detail17trampoline_kernelINS0_14default_configENS1_25partition_config_selectorILNS1_17partition_subalgoE5ElNS0_10empty_typeEbEEZZNS1_14partition_implILS5_5ELb0ES3_mN6hipcub16HIPCUB_304000_NS21CountingInputIteratorIllEEPS6_NSA_22TransformInputIteratorIbN2at6native12_GLOBAL__N_19NonZeroOpIfEEPKflEENS0_5tupleIJPlS6_EEENSN_IJSD_SD_EEES6_PiJS6_EEE10hipError_tPvRmT3_T4_T5_T6_T7_T9_mT8_P12ihipStream_tbDpT10_ENKUlT_T0_E_clISt17integral_constantIbLb0EES1B_EEDaS16_S17_EUlS16_E_NS1_11comp_targetILNS1_3genE10ELNS1_11target_archE1200ELNS1_3gpuE4ELNS1_3repE0EEENS1_30default_config_static_selectorELNS0_4arch9wavefront6targetE0EEEvT1_.private_seg_size, 0
	.set _ZN7rocprim17ROCPRIM_400000_NS6detail17trampoline_kernelINS0_14default_configENS1_25partition_config_selectorILNS1_17partition_subalgoE5ElNS0_10empty_typeEbEEZZNS1_14partition_implILS5_5ELb0ES3_mN6hipcub16HIPCUB_304000_NS21CountingInputIteratorIllEEPS6_NSA_22TransformInputIteratorIbN2at6native12_GLOBAL__N_19NonZeroOpIfEEPKflEENS0_5tupleIJPlS6_EEENSN_IJSD_SD_EEES6_PiJS6_EEE10hipError_tPvRmT3_T4_T5_T6_T7_T9_mT8_P12ihipStream_tbDpT10_ENKUlT_T0_E_clISt17integral_constantIbLb0EES1B_EEDaS16_S17_EUlS16_E_NS1_11comp_targetILNS1_3genE10ELNS1_11target_archE1200ELNS1_3gpuE4ELNS1_3repE0EEENS1_30default_config_static_selectorELNS0_4arch9wavefront6targetE0EEEvT1_.uses_vcc, 1
	.set _ZN7rocprim17ROCPRIM_400000_NS6detail17trampoline_kernelINS0_14default_configENS1_25partition_config_selectorILNS1_17partition_subalgoE5ElNS0_10empty_typeEbEEZZNS1_14partition_implILS5_5ELb0ES3_mN6hipcub16HIPCUB_304000_NS21CountingInputIteratorIllEEPS6_NSA_22TransformInputIteratorIbN2at6native12_GLOBAL__N_19NonZeroOpIfEEPKflEENS0_5tupleIJPlS6_EEENSN_IJSD_SD_EEES6_PiJS6_EEE10hipError_tPvRmT3_T4_T5_T6_T7_T9_mT8_P12ihipStream_tbDpT10_ENKUlT_T0_E_clISt17integral_constantIbLb0EES1B_EEDaS16_S17_EUlS16_E_NS1_11comp_targetILNS1_3genE10ELNS1_11target_archE1200ELNS1_3gpuE4ELNS1_3repE0EEENS1_30default_config_static_selectorELNS0_4arch9wavefront6targetE0EEEvT1_.uses_flat_scratch, 0
	.set _ZN7rocprim17ROCPRIM_400000_NS6detail17trampoline_kernelINS0_14default_configENS1_25partition_config_selectorILNS1_17partition_subalgoE5ElNS0_10empty_typeEbEEZZNS1_14partition_implILS5_5ELb0ES3_mN6hipcub16HIPCUB_304000_NS21CountingInputIteratorIllEEPS6_NSA_22TransformInputIteratorIbN2at6native12_GLOBAL__N_19NonZeroOpIfEEPKflEENS0_5tupleIJPlS6_EEENSN_IJSD_SD_EEES6_PiJS6_EEE10hipError_tPvRmT3_T4_T5_T6_T7_T9_mT8_P12ihipStream_tbDpT10_ENKUlT_T0_E_clISt17integral_constantIbLb0EES1B_EEDaS16_S17_EUlS16_E_NS1_11comp_targetILNS1_3genE10ELNS1_11target_archE1200ELNS1_3gpuE4ELNS1_3repE0EEENS1_30default_config_static_selectorELNS0_4arch9wavefront6targetE0EEEvT1_.has_dyn_sized_stack, 0
	.set _ZN7rocprim17ROCPRIM_400000_NS6detail17trampoline_kernelINS0_14default_configENS1_25partition_config_selectorILNS1_17partition_subalgoE5ElNS0_10empty_typeEbEEZZNS1_14partition_implILS5_5ELb0ES3_mN6hipcub16HIPCUB_304000_NS21CountingInputIteratorIllEEPS6_NSA_22TransformInputIteratorIbN2at6native12_GLOBAL__N_19NonZeroOpIfEEPKflEENS0_5tupleIJPlS6_EEENSN_IJSD_SD_EEES6_PiJS6_EEE10hipError_tPvRmT3_T4_T5_T6_T7_T9_mT8_P12ihipStream_tbDpT10_ENKUlT_T0_E_clISt17integral_constantIbLb0EES1B_EEDaS16_S17_EUlS16_E_NS1_11comp_targetILNS1_3genE10ELNS1_11target_archE1200ELNS1_3gpuE4ELNS1_3repE0EEENS1_30default_config_static_selectorELNS0_4arch9wavefront6targetE0EEEvT1_.has_recursion, 0
	.set _ZN7rocprim17ROCPRIM_400000_NS6detail17trampoline_kernelINS0_14default_configENS1_25partition_config_selectorILNS1_17partition_subalgoE5ElNS0_10empty_typeEbEEZZNS1_14partition_implILS5_5ELb0ES3_mN6hipcub16HIPCUB_304000_NS21CountingInputIteratorIllEEPS6_NSA_22TransformInputIteratorIbN2at6native12_GLOBAL__N_19NonZeroOpIfEEPKflEENS0_5tupleIJPlS6_EEENSN_IJSD_SD_EEES6_PiJS6_EEE10hipError_tPvRmT3_T4_T5_T6_T7_T9_mT8_P12ihipStream_tbDpT10_ENKUlT_T0_E_clISt17integral_constantIbLb0EES1B_EEDaS16_S17_EUlS16_E_NS1_11comp_targetILNS1_3genE10ELNS1_11target_archE1200ELNS1_3gpuE4ELNS1_3repE0EEENS1_30default_config_static_selectorELNS0_4arch9wavefront6targetE0EEEvT1_.has_indirect_call, 0
	.section	.AMDGPU.csdata,"",@progbits
; Kernel info:
; codeLenInByte = 6812
; TotalNumSgprs: 22
; NumVgprs: 46
; ScratchSize: 0
; MemoryBound: 0
; FloatMode: 240
; IeeeMode: 1
; LDSByteSize: 8464 bytes/workgroup (compile time only)
; SGPRBlocks: 0
; VGPRBlocks: 5
; NumSGPRsForWavesPerEU: 22
; NumVGPRsForWavesPerEU: 46
; Occupancy: 16
; WaveLimiterHint : 1
; COMPUTE_PGM_RSRC2:SCRATCH_EN: 0
; COMPUTE_PGM_RSRC2:USER_SGPR: 2
; COMPUTE_PGM_RSRC2:TRAP_HANDLER: 0
; COMPUTE_PGM_RSRC2:TGID_X_EN: 1
; COMPUTE_PGM_RSRC2:TGID_Y_EN: 0
; COMPUTE_PGM_RSRC2:TGID_Z_EN: 0
; COMPUTE_PGM_RSRC2:TIDIG_COMP_CNT: 0
	.section	.text._ZN7rocprim17ROCPRIM_400000_NS6detail17trampoline_kernelINS0_14default_configENS1_25partition_config_selectorILNS1_17partition_subalgoE5ElNS0_10empty_typeEbEEZZNS1_14partition_implILS5_5ELb0ES3_mN6hipcub16HIPCUB_304000_NS21CountingInputIteratorIllEEPS6_NSA_22TransformInputIteratorIbN2at6native12_GLOBAL__N_19NonZeroOpIfEEPKflEENS0_5tupleIJPlS6_EEENSN_IJSD_SD_EEES6_PiJS6_EEE10hipError_tPvRmT3_T4_T5_T6_T7_T9_mT8_P12ihipStream_tbDpT10_ENKUlT_T0_E_clISt17integral_constantIbLb0EES1B_EEDaS16_S17_EUlS16_E_NS1_11comp_targetILNS1_3genE9ELNS1_11target_archE1100ELNS1_3gpuE3ELNS1_3repE0EEENS1_30default_config_static_selectorELNS0_4arch9wavefront6targetE0EEEvT1_,"axG",@progbits,_ZN7rocprim17ROCPRIM_400000_NS6detail17trampoline_kernelINS0_14default_configENS1_25partition_config_selectorILNS1_17partition_subalgoE5ElNS0_10empty_typeEbEEZZNS1_14partition_implILS5_5ELb0ES3_mN6hipcub16HIPCUB_304000_NS21CountingInputIteratorIllEEPS6_NSA_22TransformInputIteratorIbN2at6native12_GLOBAL__N_19NonZeroOpIfEEPKflEENS0_5tupleIJPlS6_EEENSN_IJSD_SD_EEES6_PiJS6_EEE10hipError_tPvRmT3_T4_T5_T6_T7_T9_mT8_P12ihipStream_tbDpT10_ENKUlT_T0_E_clISt17integral_constantIbLb0EES1B_EEDaS16_S17_EUlS16_E_NS1_11comp_targetILNS1_3genE9ELNS1_11target_archE1100ELNS1_3gpuE3ELNS1_3repE0EEENS1_30default_config_static_selectorELNS0_4arch9wavefront6targetE0EEEvT1_,comdat
	.globl	_ZN7rocprim17ROCPRIM_400000_NS6detail17trampoline_kernelINS0_14default_configENS1_25partition_config_selectorILNS1_17partition_subalgoE5ElNS0_10empty_typeEbEEZZNS1_14partition_implILS5_5ELb0ES3_mN6hipcub16HIPCUB_304000_NS21CountingInputIteratorIllEEPS6_NSA_22TransformInputIteratorIbN2at6native12_GLOBAL__N_19NonZeroOpIfEEPKflEENS0_5tupleIJPlS6_EEENSN_IJSD_SD_EEES6_PiJS6_EEE10hipError_tPvRmT3_T4_T5_T6_T7_T9_mT8_P12ihipStream_tbDpT10_ENKUlT_T0_E_clISt17integral_constantIbLb0EES1B_EEDaS16_S17_EUlS16_E_NS1_11comp_targetILNS1_3genE9ELNS1_11target_archE1100ELNS1_3gpuE3ELNS1_3repE0EEENS1_30default_config_static_selectorELNS0_4arch9wavefront6targetE0EEEvT1_ ; -- Begin function _ZN7rocprim17ROCPRIM_400000_NS6detail17trampoline_kernelINS0_14default_configENS1_25partition_config_selectorILNS1_17partition_subalgoE5ElNS0_10empty_typeEbEEZZNS1_14partition_implILS5_5ELb0ES3_mN6hipcub16HIPCUB_304000_NS21CountingInputIteratorIllEEPS6_NSA_22TransformInputIteratorIbN2at6native12_GLOBAL__N_19NonZeroOpIfEEPKflEENS0_5tupleIJPlS6_EEENSN_IJSD_SD_EEES6_PiJS6_EEE10hipError_tPvRmT3_T4_T5_T6_T7_T9_mT8_P12ihipStream_tbDpT10_ENKUlT_T0_E_clISt17integral_constantIbLb0EES1B_EEDaS16_S17_EUlS16_E_NS1_11comp_targetILNS1_3genE9ELNS1_11target_archE1100ELNS1_3gpuE3ELNS1_3repE0EEENS1_30default_config_static_selectorELNS0_4arch9wavefront6targetE0EEEvT1_
	.p2align	8
	.type	_ZN7rocprim17ROCPRIM_400000_NS6detail17trampoline_kernelINS0_14default_configENS1_25partition_config_selectorILNS1_17partition_subalgoE5ElNS0_10empty_typeEbEEZZNS1_14partition_implILS5_5ELb0ES3_mN6hipcub16HIPCUB_304000_NS21CountingInputIteratorIllEEPS6_NSA_22TransformInputIteratorIbN2at6native12_GLOBAL__N_19NonZeroOpIfEEPKflEENS0_5tupleIJPlS6_EEENSN_IJSD_SD_EEES6_PiJS6_EEE10hipError_tPvRmT3_T4_T5_T6_T7_T9_mT8_P12ihipStream_tbDpT10_ENKUlT_T0_E_clISt17integral_constantIbLb0EES1B_EEDaS16_S17_EUlS16_E_NS1_11comp_targetILNS1_3genE9ELNS1_11target_archE1100ELNS1_3gpuE3ELNS1_3repE0EEENS1_30default_config_static_selectorELNS0_4arch9wavefront6targetE0EEEvT1_,@function
_ZN7rocprim17ROCPRIM_400000_NS6detail17trampoline_kernelINS0_14default_configENS1_25partition_config_selectorILNS1_17partition_subalgoE5ElNS0_10empty_typeEbEEZZNS1_14partition_implILS5_5ELb0ES3_mN6hipcub16HIPCUB_304000_NS21CountingInputIteratorIllEEPS6_NSA_22TransformInputIteratorIbN2at6native12_GLOBAL__N_19NonZeroOpIfEEPKflEENS0_5tupleIJPlS6_EEENSN_IJSD_SD_EEES6_PiJS6_EEE10hipError_tPvRmT3_T4_T5_T6_T7_T9_mT8_P12ihipStream_tbDpT10_ENKUlT_T0_E_clISt17integral_constantIbLb0EES1B_EEDaS16_S17_EUlS16_E_NS1_11comp_targetILNS1_3genE9ELNS1_11target_archE1100ELNS1_3gpuE3ELNS1_3repE0EEENS1_30default_config_static_selectorELNS0_4arch9wavefront6targetE0EEEvT1_: ; @_ZN7rocprim17ROCPRIM_400000_NS6detail17trampoline_kernelINS0_14default_configENS1_25partition_config_selectorILNS1_17partition_subalgoE5ElNS0_10empty_typeEbEEZZNS1_14partition_implILS5_5ELb0ES3_mN6hipcub16HIPCUB_304000_NS21CountingInputIteratorIllEEPS6_NSA_22TransformInputIteratorIbN2at6native12_GLOBAL__N_19NonZeroOpIfEEPKflEENS0_5tupleIJPlS6_EEENSN_IJSD_SD_EEES6_PiJS6_EEE10hipError_tPvRmT3_T4_T5_T6_T7_T9_mT8_P12ihipStream_tbDpT10_ENKUlT_T0_E_clISt17integral_constantIbLb0EES1B_EEDaS16_S17_EUlS16_E_NS1_11comp_targetILNS1_3genE9ELNS1_11target_archE1100ELNS1_3gpuE3ELNS1_3repE0EEENS1_30default_config_static_selectorELNS0_4arch9wavefront6targetE0EEEvT1_
; %bb.0:
	.section	.rodata,"a",@progbits
	.p2align	6, 0x0
	.amdhsa_kernel _ZN7rocprim17ROCPRIM_400000_NS6detail17trampoline_kernelINS0_14default_configENS1_25partition_config_selectorILNS1_17partition_subalgoE5ElNS0_10empty_typeEbEEZZNS1_14partition_implILS5_5ELb0ES3_mN6hipcub16HIPCUB_304000_NS21CountingInputIteratorIllEEPS6_NSA_22TransformInputIteratorIbN2at6native12_GLOBAL__N_19NonZeroOpIfEEPKflEENS0_5tupleIJPlS6_EEENSN_IJSD_SD_EEES6_PiJS6_EEE10hipError_tPvRmT3_T4_T5_T6_T7_T9_mT8_P12ihipStream_tbDpT10_ENKUlT_T0_E_clISt17integral_constantIbLb0EES1B_EEDaS16_S17_EUlS16_E_NS1_11comp_targetILNS1_3genE9ELNS1_11target_archE1100ELNS1_3gpuE3ELNS1_3repE0EEENS1_30default_config_static_selectorELNS0_4arch9wavefront6targetE0EEEvT1_
		.amdhsa_group_segment_fixed_size 0
		.amdhsa_private_segment_fixed_size 0
		.amdhsa_kernarg_size 120
		.amdhsa_user_sgpr_count 2
		.amdhsa_user_sgpr_dispatch_ptr 0
		.amdhsa_user_sgpr_queue_ptr 0
		.amdhsa_user_sgpr_kernarg_segment_ptr 1
		.amdhsa_user_sgpr_dispatch_id 0
		.amdhsa_user_sgpr_private_segment_size 0
		.amdhsa_wavefront_size32 1
		.amdhsa_uses_dynamic_stack 0
		.amdhsa_enable_private_segment 0
		.amdhsa_system_sgpr_workgroup_id_x 1
		.amdhsa_system_sgpr_workgroup_id_y 0
		.amdhsa_system_sgpr_workgroup_id_z 0
		.amdhsa_system_sgpr_workgroup_info 0
		.amdhsa_system_vgpr_workitem_id 0
		.amdhsa_next_free_vgpr 1
		.amdhsa_next_free_sgpr 1
		.amdhsa_reserve_vcc 0
		.amdhsa_float_round_mode_32 0
		.amdhsa_float_round_mode_16_64 0
		.amdhsa_float_denorm_mode_32 3
		.amdhsa_float_denorm_mode_16_64 3
		.amdhsa_fp16_overflow 0
		.amdhsa_workgroup_processor_mode 1
		.amdhsa_memory_ordered 1
		.amdhsa_forward_progress 1
		.amdhsa_inst_pref_size 0
		.amdhsa_round_robin_scheduling 0
		.amdhsa_exception_fp_ieee_invalid_op 0
		.amdhsa_exception_fp_denorm_src 0
		.amdhsa_exception_fp_ieee_div_zero 0
		.amdhsa_exception_fp_ieee_overflow 0
		.amdhsa_exception_fp_ieee_underflow 0
		.amdhsa_exception_fp_ieee_inexact 0
		.amdhsa_exception_int_div_zero 0
	.end_amdhsa_kernel
	.section	.text._ZN7rocprim17ROCPRIM_400000_NS6detail17trampoline_kernelINS0_14default_configENS1_25partition_config_selectorILNS1_17partition_subalgoE5ElNS0_10empty_typeEbEEZZNS1_14partition_implILS5_5ELb0ES3_mN6hipcub16HIPCUB_304000_NS21CountingInputIteratorIllEEPS6_NSA_22TransformInputIteratorIbN2at6native12_GLOBAL__N_19NonZeroOpIfEEPKflEENS0_5tupleIJPlS6_EEENSN_IJSD_SD_EEES6_PiJS6_EEE10hipError_tPvRmT3_T4_T5_T6_T7_T9_mT8_P12ihipStream_tbDpT10_ENKUlT_T0_E_clISt17integral_constantIbLb0EES1B_EEDaS16_S17_EUlS16_E_NS1_11comp_targetILNS1_3genE9ELNS1_11target_archE1100ELNS1_3gpuE3ELNS1_3repE0EEENS1_30default_config_static_selectorELNS0_4arch9wavefront6targetE0EEEvT1_,"axG",@progbits,_ZN7rocprim17ROCPRIM_400000_NS6detail17trampoline_kernelINS0_14default_configENS1_25partition_config_selectorILNS1_17partition_subalgoE5ElNS0_10empty_typeEbEEZZNS1_14partition_implILS5_5ELb0ES3_mN6hipcub16HIPCUB_304000_NS21CountingInputIteratorIllEEPS6_NSA_22TransformInputIteratorIbN2at6native12_GLOBAL__N_19NonZeroOpIfEEPKflEENS0_5tupleIJPlS6_EEENSN_IJSD_SD_EEES6_PiJS6_EEE10hipError_tPvRmT3_T4_T5_T6_T7_T9_mT8_P12ihipStream_tbDpT10_ENKUlT_T0_E_clISt17integral_constantIbLb0EES1B_EEDaS16_S17_EUlS16_E_NS1_11comp_targetILNS1_3genE9ELNS1_11target_archE1100ELNS1_3gpuE3ELNS1_3repE0EEENS1_30default_config_static_selectorELNS0_4arch9wavefront6targetE0EEEvT1_,comdat
.Lfunc_end464:
	.size	_ZN7rocprim17ROCPRIM_400000_NS6detail17trampoline_kernelINS0_14default_configENS1_25partition_config_selectorILNS1_17partition_subalgoE5ElNS0_10empty_typeEbEEZZNS1_14partition_implILS5_5ELb0ES3_mN6hipcub16HIPCUB_304000_NS21CountingInputIteratorIllEEPS6_NSA_22TransformInputIteratorIbN2at6native12_GLOBAL__N_19NonZeroOpIfEEPKflEENS0_5tupleIJPlS6_EEENSN_IJSD_SD_EEES6_PiJS6_EEE10hipError_tPvRmT3_T4_T5_T6_T7_T9_mT8_P12ihipStream_tbDpT10_ENKUlT_T0_E_clISt17integral_constantIbLb0EES1B_EEDaS16_S17_EUlS16_E_NS1_11comp_targetILNS1_3genE9ELNS1_11target_archE1100ELNS1_3gpuE3ELNS1_3repE0EEENS1_30default_config_static_selectorELNS0_4arch9wavefront6targetE0EEEvT1_, .Lfunc_end464-_ZN7rocprim17ROCPRIM_400000_NS6detail17trampoline_kernelINS0_14default_configENS1_25partition_config_selectorILNS1_17partition_subalgoE5ElNS0_10empty_typeEbEEZZNS1_14partition_implILS5_5ELb0ES3_mN6hipcub16HIPCUB_304000_NS21CountingInputIteratorIllEEPS6_NSA_22TransformInputIteratorIbN2at6native12_GLOBAL__N_19NonZeroOpIfEEPKflEENS0_5tupleIJPlS6_EEENSN_IJSD_SD_EEES6_PiJS6_EEE10hipError_tPvRmT3_T4_T5_T6_T7_T9_mT8_P12ihipStream_tbDpT10_ENKUlT_T0_E_clISt17integral_constantIbLb0EES1B_EEDaS16_S17_EUlS16_E_NS1_11comp_targetILNS1_3genE9ELNS1_11target_archE1100ELNS1_3gpuE3ELNS1_3repE0EEENS1_30default_config_static_selectorELNS0_4arch9wavefront6targetE0EEEvT1_
                                        ; -- End function
	.set _ZN7rocprim17ROCPRIM_400000_NS6detail17trampoline_kernelINS0_14default_configENS1_25partition_config_selectorILNS1_17partition_subalgoE5ElNS0_10empty_typeEbEEZZNS1_14partition_implILS5_5ELb0ES3_mN6hipcub16HIPCUB_304000_NS21CountingInputIteratorIllEEPS6_NSA_22TransformInputIteratorIbN2at6native12_GLOBAL__N_19NonZeroOpIfEEPKflEENS0_5tupleIJPlS6_EEENSN_IJSD_SD_EEES6_PiJS6_EEE10hipError_tPvRmT3_T4_T5_T6_T7_T9_mT8_P12ihipStream_tbDpT10_ENKUlT_T0_E_clISt17integral_constantIbLb0EES1B_EEDaS16_S17_EUlS16_E_NS1_11comp_targetILNS1_3genE9ELNS1_11target_archE1100ELNS1_3gpuE3ELNS1_3repE0EEENS1_30default_config_static_selectorELNS0_4arch9wavefront6targetE0EEEvT1_.num_vgpr, 0
	.set _ZN7rocprim17ROCPRIM_400000_NS6detail17trampoline_kernelINS0_14default_configENS1_25partition_config_selectorILNS1_17partition_subalgoE5ElNS0_10empty_typeEbEEZZNS1_14partition_implILS5_5ELb0ES3_mN6hipcub16HIPCUB_304000_NS21CountingInputIteratorIllEEPS6_NSA_22TransformInputIteratorIbN2at6native12_GLOBAL__N_19NonZeroOpIfEEPKflEENS0_5tupleIJPlS6_EEENSN_IJSD_SD_EEES6_PiJS6_EEE10hipError_tPvRmT3_T4_T5_T6_T7_T9_mT8_P12ihipStream_tbDpT10_ENKUlT_T0_E_clISt17integral_constantIbLb0EES1B_EEDaS16_S17_EUlS16_E_NS1_11comp_targetILNS1_3genE9ELNS1_11target_archE1100ELNS1_3gpuE3ELNS1_3repE0EEENS1_30default_config_static_selectorELNS0_4arch9wavefront6targetE0EEEvT1_.num_agpr, 0
	.set _ZN7rocprim17ROCPRIM_400000_NS6detail17trampoline_kernelINS0_14default_configENS1_25partition_config_selectorILNS1_17partition_subalgoE5ElNS0_10empty_typeEbEEZZNS1_14partition_implILS5_5ELb0ES3_mN6hipcub16HIPCUB_304000_NS21CountingInputIteratorIllEEPS6_NSA_22TransformInputIteratorIbN2at6native12_GLOBAL__N_19NonZeroOpIfEEPKflEENS0_5tupleIJPlS6_EEENSN_IJSD_SD_EEES6_PiJS6_EEE10hipError_tPvRmT3_T4_T5_T6_T7_T9_mT8_P12ihipStream_tbDpT10_ENKUlT_T0_E_clISt17integral_constantIbLb0EES1B_EEDaS16_S17_EUlS16_E_NS1_11comp_targetILNS1_3genE9ELNS1_11target_archE1100ELNS1_3gpuE3ELNS1_3repE0EEENS1_30default_config_static_selectorELNS0_4arch9wavefront6targetE0EEEvT1_.numbered_sgpr, 0
	.set _ZN7rocprim17ROCPRIM_400000_NS6detail17trampoline_kernelINS0_14default_configENS1_25partition_config_selectorILNS1_17partition_subalgoE5ElNS0_10empty_typeEbEEZZNS1_14partition_implILS5_5ELb0ES3_mN6hipcub16HIPCUB_304000_NS21CountingInputIteratorIllEEPS6_NSA_22TransformInputIteratorIbN2at6native12_GLOBAL__N_19NonZeroOpIfEEPKflEENS0_5tupleIJPlS6_EEENSN_IJSD_SD_EEES6_PiJS6_EEE10hipError_tPvRmT3_T4_T5_T6_T7_T9_mT8_P12ihipStream_tbDpT10_ENKUlT_T0_E_clISt17integral_constantIbLb0EES1B_EEDaS16_S17_EUlS16_E_NS1_11comp_targetILNS1_3genE9ELNS1_11target_archE1100ELNS1_3gpuE3ELNS1_3repE0EEENS1_30default_config_static_selectorELNS0_4arch9wavefront6targetE0EEEvT1_.num_named_barrier, 0
	.set _ZN7rocprim17ROCPRIM_400000_NS6detail17trampoline_kernelINS0_14default_configENS1_25partition_config_selectorILNS1_17partition_subalgoE5ElNS0_10empty_typeEbEEZZNS1_14partition_implILS5_5ELb0ES3_mN6hipcub16HIPCUB_304000_NS21CountingInputIteratorIllEEPS6_NSA_22TransformInputIteratorIbN2at6native12_GLOBAL__N_19NonZeroOpIfEEPKflEENS0_5tupleIJPlS6_EEENSN_IJSD_SD_EEES6_PiJS6_EEE10hipError_tPvRmT3_T4_T5_T6_T7_T9_mT8_P12ihipStream_tbDpT10_ENKUlT_T0_E_clISt17integral_constantIbLb0EES1B_EEDaS16_S17_EUlS16_E_NS1_11comp_targetILNS1_3genE9ELNS1_11target_archE1100ELNS1_3gpuE3ELNS1_3repE0EEENS1_30default_config_static_selectorELNS0_4arch9wavefront6targetE0EEEvT1_.private_seg_size, 0
	.set _ZN7rocprim17ROCPRIM_400000_NS6detail17trampoline_kernelINS0_14default_configENS1_25partition_config_selectorILNS1_17partition_subalgoE5ElNS0_10empty_typeEbEEZZNS1_14partition_implILS5_5ELb0ES3_mN6hipcub16HIPCUB_304000_NS21CountingInputIteratorIllEEPS6_NSA_22TransformInputIteratorIbN2at6native12_GLOBAL__N_19NonZeroOpIfEEPKflEENS0_5tupleIJPlS6_EEENSN_IJSD_SD_EEES6_PiJS6_EEE10hipError_tPvRmT3_T4_T5_T6_T7_T9_mT8_P12ihipStream_tbDpT10_ENKUlT_T0_E_clISt17integral_constantIbLb0EES1B_EEDaS16_S17_EUlS16_E_NS1_11comp_targetILNS1_3genE9ELNS1_11target_archE1100ELNS1_3gpuE3ELNS1_3repE0EEENS1_30default_config_static_selectorELNS0_4arch9wavefront6targetE0EEEvT1_.uses_vcc, 0
	.set _ZN7rocprim17ROCPRIM_400000_NS6detail17trampoline_kernelINS0_14default_configENS1_25partition_config_selectorILNS1_17partition_subalgoE5ElNS0_10empty_typeEbEEZZNS1_14partition_implILS5_5ELb0ES3_mN6hipcub16HIPCUB_304000_NS21CountingInputIteratorIllEEPS6_NSA_22TransformInputIteratorIbN2at6native12_GLOBAL__N_19NonZeroOpIfEEPKflEENS0_5tupleIJPlS6_EEENSN_IJSD_SD_EEES6_PiJS6_EEE10hipError_tPvRmT3_T4_T5_T6_T7_T9_mT8_P12ihipStream_tbDpT10_ENKUlT_T0_E_clISt17integral_constantIbLb0EES1B_EEDaS16_S17_EUlS16_E_NS1_11comp_targetILNS1_3genE9ELNS1_11target_archE1100ELNS1_3gpuE3ELNS1_3repE0EEENS1_30default_config_static_selectorELNS0_4arch9wavefront6targetE0EEEvT1_.uses_flat_scratch, 0
	.set _ZN7rocprim17ROCPRIM_400000_NS6detail17trampoline_kernelINS0_14default_configENS1_25partition_config_selectorILNS1_17partition_subalgoE5ElNS0_10empty_typeEbEEZZNS1_14partition_implILS5_5ELb0ES3_mN6hipcub16HIPCUB_304000_NS21CountingInputIteratorIllEEPS6_NSA_22TransformInputIteratorIbN2at6native12_GLOBAL__N_19NonZeroOpIfEEPKflEENS0_5tupleIJPlS6_EEENSN_IJSD_SD_EEES6_PiJS6_EEE10hipError_tPvRmT3_T4_T5_T6_T7_T9_mT8_P12ihipStream_tbDpT10_ENKUlT_T0_E_clISt17integral_constantIbLb0EES1B_EEDaS16_S17_EUlS16_E_NS1_11comp_targetILNS1_3genE9ELNS1_11target_archE1100ELNS1_3gpuE3ELNS1_3repE0EEENS1_30default_config_static_selectorELNS0_4arch9wavefront6targetE0EEEvT1_.has_dyn_sized_stack, 0
	.set _ZN7rocprim17ROCPRIM_400000_NS6detail17trampoline_kernelINS0_14default_configENS1_25partition_config_selectorILNS1_17partition_subalgoE5ElNS0_10empty_typeEbEEZZNS1_14partition_implILS5_5ELb0ES3_mN6hipcub16HIPCUB_304000_NS21CountingInputIteratorIllEEPS6_NSA_22TransformInputIteratorIbN2at6native12_GLOBAL__N_19NonZeroOpIfEEPKflEENS0_5tupleIJPlS6_EEENSN_IJSD_SD_EEES6_PiJS6_EEE10hipError_tPvRmT3_T4_T5_T6_T7_T9_mT8_P12ihipStream_tbDpT10_ENKUlT_T0_E_clISt17integral_constantIbLb0EES1B_EEDaS16_S17_EUlS16_E_NS1_11comp_targetILNS1_3genE9ELNS1_11target_archE1100ELNS1_3gpuE3ELNS1_3repE0EEENS1_30default_config_static_selectorELNS0_4arch9wavefront6targetE0EEEvT1_.has_recursion, 0
	.set _ZN7rocprim17ROCPRIM_400000_NS6detail17trampoline_kernelINS0_14default_configENS1_25partition_config_selectorILNS1_17partition_subalgoE5ElNS0_10empty_typeEbEEZZNS1_14partition_implILS5_5ELb0ES3_mN6hipcub16HIPCUB_304000_NS21CountingInputIteratorIllEEPS6_NSA_22TransformInputIteratorIbN2at6native12_GLOBAL__N_19NonZeroOpIfEEPKflEENS0_5tupleIJPlS6_EEENSN_IJSD_SD_EEES6_PiJS6_EEE10hipError_tPvRmT3_T4_T5_T6_T7_T9_mT8_P12ihipStream_tbDpT10_ENKUlT_T0_E_clISt17integral_constantIbLb0EES1B_EEDaS16_S17_EUlS16_E_NS1_11comp_targetILNS1_3genE9ELNS1_11target_archE1100ELNS1_3gpuE3ELNS1_3repE0EEENS1_30default_config_static_selectorELNS0_4arch9wavefront6targetE0EEEvT1_.has_indirect_call, 0
	.section	.AMDGPU.csdata,"",@progbits
; Kernel info:
; codeLenInByte = 0
; TotalNumSgprs: 0
; NumVgprs: 0
; ScratchSize: 0
; MemoryBound: 0
; FloatMode: 240
; IeeeMode: 1
; LDSByteSize: 0 bytes/workgroup (compile time only)
; SGPRBlocks: 0
; VGPRBlocks: 0
; NumSGPRsForWavesPerEU: 1
; NumVGPRsForWavesPerEU: 1
; Occupancy: 16
; WaveLimiterHint : 0
; COMPUTE_PGM_RSRC2:SCRATCH_EN: 0
; COMPUTE_PGM_RSRC2:USER_SGPR: 2
; COMPUTE_PGM_RSRC2:TRAP_HANDLER: 0
; COMPUTE_PGM_RSRC2:TGID_X_EN: 1
; COMPUTE_PGM_RSRC2:TGID_Y_EN: 0
; COMPUTE_PGM_RSRC2:TGID_Z_EN: 0
; COMPUTE_PGM_RSRC2:TIDIG_COMP_CNT: 0
	.section	.text._ZN7rocprim17ROCPRIM_400000_NS6detail17trampoline_kernelINS0_14default_configENS1_25partition_config_selectorILNS1_17partition_subalgoE5ElNS0_10empty_typeEbEEZZNS1_14partition_implILS5_5ELb0ES3_mN6hipcub16HIPCUB_304000_NS21CountingInputIteratorIllEEPS6_NSA_22TransformInputIteratorIbN2at6native12_GLOBAL__N_19NonZeroOpIfEEPKflEENS0_5tupleIJPlS6_EEENSN_IJSD_SD_EEES6_PiJS6_EEE10hipError_tPvRmT3_T4_T5_T6_T7_T9_mT8_P12ihipStream_tbDpT10_ENKUlT_T0_E_clISt17integral_constantIbLb0EES1B_EEDaS16_S17_EUlS16_E_NS1_11comp_targetILNS1_3genE8ELNS1_11target_archE1030ELNS1_3gpuE2ELNS1_3repE0EEENS1_30default_config_static_selectorELNS0_4arch9wavefront6targetE0EEEvT1_,"axG",@progbits,_ZN7rocprim17ROCPRIM_400000_NS6detail17trampoline_kernelINS0_14default_configENS1_25partition_config_selectorILNS1_17partition_subalgoE5ElNS0_10empty_typeEbEEZZNS1_14partition_implILS5_5ELb0ES3_mN6hipcub16HIPCUB_304000_NS21CountingInputIteratorIllEEPS6_NSA_22TransformInputIteratorIbN2at6native12_GLOBAL__N_19NonZeroOpIfEEPKflEENS0_5tupleIJPlS6_EEENSN_IJSD_SD_EEES6_PiJS6_EEE10hipError_tPvRmT3_T4_T5_T6_T7_T9_mT8_P12ihipStream_tbDpT10_ENKUlT_T0_E_clISt17integral_constantIbLb0EES1B_EEDaS16_S17_EUlS16_E_NS1_11comp_targetILNS1_3genE8ELNS1_11target_archE1030ELNS1_3gpuE2ELNS1_3repE0EEENS1_30default_config_static_selectorELNS0_4arch9wavefront6targetE0EEEvT1_,comdat
	.globl	_ZN7rocprim17ROCPRIM_400000_NS6detail17trampoline_kernelINS0_14default_configENS1_25partition_config_selectorILNS1_17partition_subalgoE5ElNS0_10empty_typeEbEEZZNS1_14partition_implILS5_5ELb0ES3_mN6hipcub16HIPCUB_304000_NS21CountingInputIteratorIllEEPS6_NSA_22TransformInputIteratorIbN2at6native12_GLOBAL__N_19NonZeroOpIfEEPKflEENS0_5tupleIJPlS6_EEENSN_IJSD_SD_EEES6_PiJS6_EEE10hipError_tPvRmT3_T4_T5_T6_T7_T9_mT8_P12ihipStream_tbDpT10_ENKUlT_T0_E_clISt17integral_constantIbLb0EES1B_EEDaS16_S17_EUlS16_E_NS1_11comp_targetILNS1_3genE8ELNS1_11target_archE1030ELNS1_3gpuE2ELNS1_3repE0EEENS1_30default_config_static_selectorELNS0_4arch9wavefront6targetE0EEEvT1_ ; -- Begin function _ZN7rocprim17ROCPRIM_400000_NS6detail17trampoline_kernelINS0_14default_configENS1_25partition_config_selectorILNS1_17partition_subalgoE5ElNS0_10empty_typeEbEEZZNS1_14partition_implILS5_5ELb0ES3_mN6hipcub16HIPCUB_304000_NS21CountingInputIteratorIllEEPS6_NSA_22TransformInputIteratorIbN2at6native12_GLOBAL__N_19NonZeroOpIfEEPKflEENS0_5tupleIJPlS6_EEENSN_IJSD_SD_EEES6_PiJS6_EEE10hipError_tPvRmT3_T4_T5_T6_T7_T9_mT8_P12ihipStream_tbDpT10_ENKUlT_T0_E_clISt17integral_constantIbLb0EES1B_EEDaS16_S17_EUlS16_E_NS1_11comp_targetILNS1_3genE8ELNS1_11target_archE1030ELNS1_3gpuE2ELNS1_3repE0EEENS1_30default_config_static_selectorELNS0_4arch9wavefront6targetE0EEEvT1_
	.p2align	8
	.type	_ZN7rocprim17ROCPRIM_400000_NS6detail17trampoline_kernelINS0_14default_configENS1_25partition_config_selectorILNS1_17partition_subalgoE5ElNS0_10empty_typeEbEEZZNS1_14partition_implILS5_5ELb0ES3_mN6hipcub16HIPCUB_304000_NS21CountingInputIteratorIllEEPS6_NSA_22TransformInputIteratorIbN2at6native12_GLOBAL__N_19NonZeroOpIfEEPKflEENS0_5tupleIJPlS6_EEENSN_IJSD_SD_EEES6_PiJS6_EEE10hipError_tPvRmT3_T4_T5_T6_T7_T9_mT8_P12ihipStream_tbDpT10_ENKUlT_T0_E_clISt17integral_constantIbLb0EES1B_EEDaS16_S17_EUlS16_E_NS1_11comp_targetILNS1_3genE8ELNS1_11target_archE1030ELNS1_3gpuE2ELNS1_3repE0EEENS1_30default_config_static_selectorELNS0_4arch9wavefront6targetE0EEEvT1_,@function
_ZN7rocprim17ROCPRIM_400000_NS6detail17trampoline_kernelINS0_14default_configENS1_25partition_config_selectorILNS1_17partition_subalgoE5ElNS0_10empty_typeEbEEZZNS1_14partition_implILS5_5ELb0ES3_mN6hipcub16HIPCUB_304000_NS21CountingInputIteratorIllEEPS6_NSA_22TransformInputIteratorIbN2at6native12_GLOBAL__N_19NonZeroOpIfEEPKflEENS0_5tupleIJPlS6_EEENSN_IJSD_SD_EEES6_PiJS6_EEE10hipError_tPvRmT3_T4_T5_T6_T7_T9_mT8_P12ihipStream_tbDpT10_ENKUlT_T0_E_clISt17integral_constantIbLb0EES1B_EEDaS16_S17_EUlS16_E_NS1_11comp_targetILNS1_3genE8ELNS1_11target_archE1030ELNS1_3gpuE2ELNS1_3repE0EEENS1_30default_config_static_selectorELNS0_4arch9wavefront6targetE0EEEvT1_: ; @_ZN7rocprim17ROCPRIM_400000_NS6detail17trampoline_kernelINS0_14default_configENS1_25partition_config_selectorILNS1_17partition_subalgoE5ElNS0_10empty_typeEbEEZZNS1_14partition_implILS5_5ELb0ES3_mN6hipcub16HIPCUB_304000_NS21CountingInputIteratorIllEEPS6_NSA_22TransformInputIteratorIbN2at6native12_GLOBAL__N_19NonZeroOpIfEEPKflEENS0_5tupleIJPlS6_EEENSN_IJSD_SD_EEES6_PiJS6_EEE10hipError_tPvRmT3_T4_T5_T6_T7_T9_mT8_P12ihipStream_tbDpT10_ENKUlT_T0_E_clISt17integral_constantIbLb0EES1B_EEDaS16_S17_EUlS16_E_NS1_11comp_targetILNS1_3genE8ELNS1_11target_archE1030ELNS1_3gpuE2ELNS1_3repE0EEENS1_30default_config_static_selectorELNS0_4arch9wavefront6targetE0EEEvT1_
; %bb.0:
	.section	.rodata,"a",@progbits
	.p2align	6, 0x0
	.amdhsa_kernel _ZN7rocprim17ROCPRIM_400000_NS6detail17trampoline_kernelINS0_14default_configENS1_25partition_config_selectorILNS1_17partition_subalgoE5ElNS0_10empty_typeEbEEZZNS1_14partition_implILS5_5ELb0ES3_mN6hipcub16HIPCUB_304000_NS21CountingInputIteratorIllEEPS6_NSA_22TransformInputIteratorIbN2at6native12_GLOBAL__N_19NonZeroOpIfEEPKflEENS0_5tupleIJPlS6_EEENSN_IJSD_SD_EEES6_PiJS6_EEE10hipError_tPvRmT3_T4_T5_T6_T7_T9_mT8_P12ihipStream_tbDpT10_ENKUlT_T0_E_clISt17integral_constantIbLb0EES1B_EEDaS16_S17_EUlS16_E_NS1_11comp_targetILNS1_3genE8ELNS1_11target_archE1030ELNS1_3gpuE2ELNS1_3repE0EEENS1_30default_config_static_selectorELNS0_4arch9wavefront6targetE0EEEvT1_
		.amdhsa_group_segment_fixed_size 0
		.amdhsa_private_segment_fixed_size 0
		.amdhsa_kernarg_size 120
		.amdhsa_user_sgpr_count 2
		.amdhsa_user_sgpr_dispatch_ptr 0
		.amdhsa_user_sgpr_queue_ptr 0
		.amdhsa_user_sgpr_kernarg_segment_ptr 1
		.amdhsa_user_sgpr_dispatch_id 0
		.amdhsa_user_sgpr_private_segment_size 0
		.amdhsa_wavefront_size32 1
		.amdhsa_uses_dynamic_stack 0
		.amdhsa_enable_private_segment 0
		.amdhsa_system_sgpr_workgroup_id_x 1
		.amdhsa_system_sgpr_workgroup_id_y 0
		.amdhsa_system_sgpr_workgroup_id_z 0
		.amdhsa_system_sgpr_workgroup_info 0
		.amdhsa_system_vgpr_workitem_id 0
		.amdhsa_next_free_vgpr 1
		.amdhsa_next_free_sgpr 1
		.amdhsa_reserve_vcc 0
		.amdhsa_float_round_mode_32 0
		.amdhsa_float_round_mode_16_64 0
		.amdhsa_float_denorm_mode_32 3
		.amdhsa_float_denorm_mode_16_64 3
		.amdhsa_fp16_overflow 0
		.amdhsa_workgroup_processor_mode 1
		.amdhsa_memory_ordered 1
		.amdhsa_forward_progress 1
		.amdhsa_inst_pref_size 0
		.amdhsa_round_robin_scheduling 0
		.amdhsa_exception_fp_ieee_invalid_op 0
		.amdhsa_exception_fp_denorm_src 0
		.amdhsa_exception_fp_ieee_div_zero 0
		.amdhsa_exception_fp_ieee_overflow 0
		.amdhsa_exception_fp_ieee_underflow 0
		.amdhsa_exception_fp_ieee_inexact 0
		.amdhsa_exception_int_div_zero 0
	.end_amdhsa_kernel
	.section	.text._ZN7rocprim17ROCPRIM_400000_NS6detail17trampoline_kernelINS0_14default_configENS1_25partition_config_selectorILNS1_17partition_subalgoE5ElNS0_10empty_typeEbEEZZNS1_14partition_implILS5_5ELb0ES3_mN6hipcub16HIPCUB_304000_NS21CountingInputIteratorIllEEPS6_NSA_22TransformInputIteratorIbN2at6native12_GLOBAL__N_19NonZeroOpIfEEPKflEENS0_5tupleIJPlS6_EEENSN_IJSD_SD_EEES6_PiJS6_EEE10hipError_tPvRmT3_T4_T5_T6_T7_T9_mT8_P12ihipStream_tbDpT10_ENKUlT_T0_E_clISt17integral_constantIbLb0EES1B_EEDaS16_S17_EUlS16_E_NS1_11comp_targetILNS1_3genE8ELNS1_11target_archE1030ELNS1_3gpuE2ELNS1_3repE0EEENS1_30default_config_static_selectorELNS0_4arch9wavefront6targetE0EEEvT1_,"axG",@progbits,_ZN7rocprim17ROCPRIM_400000_NS6detail17trampoline_kernelINS0_14default_configENS1_25partition_config_selectorILNS1_17partition_subalgoE5ElNS0_10empty_typeEbEEZZNS1_14partition_implILS5_5ELb0ES3_mN6hipcub16HIPCUB_304000_NS21CountingInputIteratorIllEEPS6_NSA_22TransformInputIteratorIbN2at6native12_GLOBAL__N_19NonZeroOpIfEEPKflEENS0_5tupleIJPlS6_EEENSN_IJSD_SD_EEES6_PiJS6_EEE10hipError_tPvRmT3_T4_T5_T6_T7_T9_mT8_P12ihipStream_tbDpT10_ENKUlT_T0_E_clISt17integral_constantIbLb0EES1B_EEDaS16_S17_EUlS16_E_NS1_11comp_targetILNS1_3genE8ELNS1_11target_archE1030ELNS1_3gpuE2ELNS1_3repE0EEENS1_30default_config_static_selectorELNS0_4arch9wavefront6targetE0EEEvT1_,comdat
.Lfunc_end465:
	.size	_ZN7rocprim17ROCPRIM_400000_NS6detail17trampoline_kernelINS0_14default_configENS1_25partition_config_selectorILNS1_17partition_subalgoE5ElNS0_10empty_typeEbEEZZNS1_14partition_implILS5_5ELb0ES3_mN6hipcub16HIPCUB_304000_NS21CountingInputIteratorIllEEPS6_NSA_22TransformInputIteratorIbN2at6native12_GLOBAL__N_19NonZeroOpIfEEPKflEENS0_5tupleIJPlS6_EEENSN_IJSD_SD_EEES6_PiJS6_EEE10hipError_tPvRmT3_T4_T5_T6_T7_T9_mT8_P12ihipStream_tbDpT10_ENKUlT_T0_E_clISt17integral_constantIbLb0EES1B_EEDaS16_S17_EUlS16_E_NS1_11comp_targetILNS1_3genE8ELNS1_11target_archE1030ELNS1_3gpuE2ELNS1_3repE0EEENS1_30default_config_static_selectorELNS0_4arch9wavefront6targetE0EEEvT1_, .Lfunc_end465-_ZN7rocprim17ROCPRIM_400000_NS6detail17trampoline_kernelINS0_14default_configENS1_25partition_config_selectorILNS1_17partition_subalgoE5ElNS0_10empty_typeEbEEZZNS1_14partition_implILS5_5ELb0ES3_mN6hipcub16HIPCUB_304000_NS21CountingInputIteratorIllEEPS6_NSA_22TransformInputIteratorIbN2at6native12_GLOBAL__N_19NonZeroOpIfEEPKflEENS0_5tupleIJPlS6_EEENSN_IJSD_SD_EEES6_PiJS6_EEE10hipError_tPvRmT3_T4_T5_T6_T7_T9_mT8_P12ihipStream_tbDpT10_ENKUlT_T0_E_clISt17integral_constantIbLb0EES1B_EEDaS16_S17_EUlS16_E_NS1_11comp_targetILNS1_3genE8ELNS1_11target_archE1030ELNS1_3gpuE2ELNS1_3repE0EEENS1_30default_config_static_selectorELNS0_4arch9wavefront6targetE0EEEvT1_
                                        ; -- End function
	.set _ZN7rocprim17ROCPRIM_400000_NS6detail17trampoline_kernelINS0_14default_configENS1_25partition_config_selectorILNS1_17partition_subalgoE5ElNS0_10empty_typeEbEEZZNS1_14partition_implILS5_5ELb0ES3_mN6hipcub16HIPCUB_304000_NS21CountingInputIteratorIllEEPS6_NSA_22TransformInputIteratorIbN2at6native12_GLOBAL__N_19NonZeroOpIfEEPKflEENS0_5tupleIJPlS6_EEENSN_IJSD_SD_EEES6_PiJS6_EEE10hipError_tPvRmT3_T4_T5_T6_T7_T9_mT8_P12ihipStream_tbDpT10_ENKUlT_T0_E_clISt17integral_constantIbLb0EES1B_EEDaS16_S17_EUlS16_E_NS1_11comp_targetILNS1_3genE8ELNS1_11target_archE1030ELNS1_3gpuE2ELNS1_3repE0EEENS1_30default_config_static_selectorELNS0_4arch9wavefront6targetE0EEEvT1_.num_vgpr, 0
	.set _ZN7rocprim17ROCPRIM_400000_NS6detail17trampoline_kernelINS0_14default_configENS1_25partition_config_selectorILNS1_17partition_subalgoE5ElNS0_10empty_typeEbEEZZNS1_14partition_implILS5_5ELb0ES3_mN6hipcub16HIPCUB_304000_NS21CountingInputIteratorIllEEPS6_NSA_22TransformInputIteratorIbN2at6native12_GLOBAL__N_19NonZeroOpIfEEPKflEENS0_5tupleIJPlS6_EEENSN_IJSD_SD_EEES6_PiJS6_EEE10hipError_tPvRmT3_T4_T5_T6_T7_T9_mT8_P12ihipStream_tbDpT10_ENKUlT_T0_E_clISt17integral_constantIbLb0EES1B_EEDaS16_S17_EUlS16_E_NS1_11comp_targetILNS1_3genE8ELNS1_11target_archE1030ELNS1_3gpuE2ELNS1_3repE0EEENS1_30default_config_static_selectorELNS0_4arch9wavefront6targetE0EEEvT1_.num_agpr, 0
	.set _ZN7rocprim17ROCPRIM_400000_NS6detail17trampoline_kernelINS0_14default_configENS1_25partition_config_selectorILNS1_17partition_subalgoE5ElNS0_10empty_typeEbEEZZNS1_14partition_implILS5_5ELb0ES3_mN6hipcub16HIPCUB_304000_NS21CountingInputIteratorIllEEPS6_NSA_22TransformInputIteratorIbN2at6native12_GLOBAL__N_19NonZeroOpIfEEPKflEENS0_5tupleIJPlS6_EEENSN_IJSD_SD_EEES6_PiJS6_EEE10hipError_tPvRmT3_T4_T5_T6_T7_T9_mT8_P12ihipStream_tbDpT10_ENKUlT_T0_E_clISt17integral_constantIbLb0EES1B_EEDaS16_S17_EUlS16_E_NS1_11comp_targetILNS1_3genE8ELNS1_11target_archE1030ELNS1_3gpuE2ELNS1_3repE0EEENS1_30default_config_static_selectorELNS0_4arch9wavefront6targetE0EEEvT1_.numbered_sgpr, 0
	.set _ZN7rocprim17ROCPRIM_400000_NS6detail17trampoline_kernelINS0_14default_configENS1_25partition_config_selectorILNS1_17partition_subalgoE5ElNS0_10empty_typeEbEEZZNS1_14partition_implILS5_5ELb0ES3_mN6hipcub16HIPCUB_304000_NS21CountingInputIteratorIllEEPS6_NSA_22TransformInputIteratorIbN2at6native12_GLOBAL__N_19NonZeroOpIfEEPKflEENS0_5tupleIJPlS6_EEENSN_IJSD_SD_EEES6_PiJS6_EEE10hipError_tPvRmT3_T4_T5_T6_T7_T9_mT8_P12ihipStream_tbDpT10_ENKUlT_T0_E_clISt17integral_constantIbLb0EES1B_EEDaS16_S17_EUlS16_E_NS1_11comp_targetILNS1_3genE8ELNS1_11target_archE1030ELNS1_3gpuE2ELNS1_3repE0EEENS1_30default_config_static_selectorELNS0_4arch9wavefront6targetE0EEEvT1_.num_named_barrier, 0
	.set _ZN7rocprim17ROCPRIM_400000_NS6detail17trampoline_kernelINS0_14default_configENS1_25partition_config_selectorILNS1_17partition_subalgoE5ElNS0_10empty_typeEbEEZZNS1_14partition_implILS5_5ELb0ES3_mN6hipcub16HIPCUB_304000_NS21CountingInputIteratorIllEEPS6_NSA_22TransformInputIteratorIbN2at6native12_GLOBAL__N_19NonZeroOpIfEEPKflEENS0_5tupleIJPlS6_EEENSN_IJSD_SD_EEES6_PiJS6_EEE10hipError_tPvRmT3_T4_T5_T6_T7_T9_mT8_P12ihipStream_tbDpT10_ENKUlT_T0_E_clISt17integral_constantIbLb0EES1B_EEDaS16_S17_EUlS16_E_NS1_11comp_targetILNS1_3genE8ELNS1_11target_archE1030ELNS1_3gpuE2ELNS1_3repE0EEENS1_30default_config_static_selectorELNS0_4arch9wavefront6targetE0EEEvT1_.private_seg_size, 0
	.set _ZN7rocprim17ROCPRIM_400000_NS6detail17trampoline_kernelINS0_14default_configENS1_25partition_config_selectorILNS1_17partition_subalgoE5ElNS0_10empty_typeEbEEZZNS1_14partition_implILS5_5ELb0ES3_mN6hipcub16HIPCUB_304000_NS21CountingInputIteratorIllEEPS6_NSA_22TransformInputIteratorIbN2at6native12_GLOBAL__N_19NonZeroOpIfEEPKflEENS0_5tupleIJPlS6_EEENSN_IJSD_SD_EEES6_PiJS6_EEE10hipError_tPvRmT3_T4_T5_T6_T7_T9_mT8_P12ihipStream_tbDpT10_ENKUlT_T0_E_clISt17integral_constantIbLb0EES1B_EEDaS16_S17_EUlS16_E_NS1_11comp_targetILNS1_3genE8ELNS1_11target_archE1030ELNS1_3gpuE2ELNS1_3repE0EEENS1_30default_config_static_selectorELNS0_4arch9wavefront6targetE0EEEvT1_.uses_vcc, 0
	.set _ZN7rocprim17ROCPRIM_400000_NS6detail17trampoline_kernelINS0_14default_configENS1_25partition_config_selectorILNS1_17partition_subalgoE5ElNS0_10empty_typeEbEEZZNS1_14partition_implILS5_5ELb0ES3_mN6hipcub16HIPCUB_304000_NS21CountingInputIteratorIllEEPS6_NSA_22TransformInputIteratorIbN2at6native12_GLOBAL__N_19NonZeroOpIfEEPKflEENS0_5tupleIJPlS6_EEENSN_IJSD_SD_EEES6_PiJS6_EEE10hipError_tPvRmT3_T4_T5_T6_T7_T9_mT8_P12ihipStream_tbDpT10_ENKUlT_T0_E_clISt17integral_constantIbLb0EES1B_EEDaS16_S17_EUlS16_E_NS1_11comp_targetILNS1_3genE8ELNS1_11target_archE1030ELNS1_3gpuE2ELNS1_3repE0EEENS1_30default_config_static_selectorELNS0_4arch9wavefront6targetE0EEEvT1_.uses_flat_scratch, 0
	.set _ZN7rocprim17ROCPRIM_400000_NS6detail17trampoline_kernelINS0_14default_configENS1_25partition_config_selectorILNS1_17partition_subalgoE5ElNS0_10empty_typeEbEEZZNS1_14partition_implILS5_5ELb0ES3_mN6hipcub16HIPCUB_304000_NS21CountingInputIteratorIllEEPS6_NSA_22TransformInputIteratorIbN2at6native12_GLOBAL__N_19NonZeroOpIfEEPKflEENS0_5tupleIJPlS6_EEENSN_IJSD_SD_EEES6_PiJS6_EEE10hipError_tPvRmT3_T4_T5_T6_T7_T9_mT8_P12ihipStream_tbDpT10_ENKUlT_T0_E_clISt17integral_constantIbLb0EES1B_EEDaS16_S17_EUlS16_E_NS1_11comp_targetILNS1_3genE8ELNS1_11target_archE1030ELNS1_3gpuE2ELNS1_3repE0EEENS1_30default_config_static_selectorELNS0_4arch9wavefront6targetE0EEEvT1_.has_dyn_sized_stack, 0
	.set _ZN7rocprim17ROCPRIM_400000_NS6detail17trampoline_kernelINS0_14default_configENS1_25partition_config_selectorILNS1_17partition_subalgoE5ElNS0_10empty_typeEbEEZZNS1_14partition_implILS5_5ELb0ES3_mN6hipcub16HIPCUB_304000_NS21CountingInputIteratorIllEEPS6_NSA_22TransformInputIteratorIbN2at6native12_GLOBAL__N_19NonZeroOpIfEEPKflEENS0_5tupleIJPlS6_EEENSN_IJSD_SD_EEES6_PiJS6_EEE10hipError_tPvRmT3_T4_T5_T6_T7_T9_mT8_P12ihipStream_tbDpT10_ENKUlT_T0_E_clISt17integral_constantIbLb0EES1B_EEDaS16_S17_EUlS16_E_NS1_11comp_targetILNS1_3genE8ELNS1_11target_archE1030ELNS1_3gpuE2ELNS1_3repE0EEENS1_30default_config_static_selectorELNS0_4arch9wavefront6targetE0EEEvT1_.has_recursion, 0
	.set _ZN7rocprim17ROCPRIM_400000_NS6detail17trampoline_kernelINS0_14default_configENS1_25partition_config_selectorILNS1_17partition_subalgoE5ElNS0_10empty_typeEbEEZZNS1_14partition_implILS5_5ELb0ES3_mN6hipcub16HIPCUB_304000_NS21CountingInputIteratorIllEEPS6_NSA_22TransformInputIteratorIbN2at6native12_GLOBAL__N_19NonZeroOpIfEEPKflEENS0_5tupleIJPlS6_EEENSN_IJSD_SD_EEES6_PiJS6_EEE10hipError_tPvRmT3_T4_T5_T6_T7_T9_mT8_P12ihipStream_tbDpT10_ENKUlT_T0_E_clISt17integral_constantIbLb0EES1B_EEDaS16_S17_EUlS16_E_NS1_11comp_targetILNS1_3genE8ELNS1_11target_archE1030ELNS1_3gpuE2ELNS1_3repE0EEENS1_30default_config_static_selectorELNS0_4arch9wavefront6targetE0EEEvT1_.has_indirect_call, 0
	.section	.AMDGPU.csdata,"",@progbits
; Kernel info:
; codeLenInByte = 0
; TotalNumSgprs: 0
; NumVgprs: 0
; ScratchSize: 0
; MemoryBound: 0
; FloatMode: 240
; IeeeMode: 1
; LDSByteSize: 0 bytes/workgroup (compile time only)
; SGPRBlocks: 0
; VGPRBlocks: 0
; NumSGPRsForWavesPerEU: 1
; NumVGPRsForWavesPerEU: 1
; Occupancy: 16
; WaveLimiterHint : 0
; COMPUTE_PGM_RSRC2:SCRATCH_EN: 0
; COMPUTE_PGM_RSRC2:USER_SGPR: 2
; COMPUTE_PGM_RSRC2:TRAP_HANDLER: 0
; COMPUTE_PGM_RSRC2:TGID_X_EN: 1
; COMPUTE_PGM_RSRC2:TGID_Y_EN: 0
; COMPUTE_PGM_RSRC2:TGID_Z_EN: 0
; COMPUTE_PGM_RSRC2:TIDIG_COMP_CNT: 0
	.section	.text._ZN7rocprim17ROCPRIM_400000_NS6detail17trampoline_kernelINS0_14default_configENS1_25partition_config_selectorILNS1_17partition_subalgoE5ElNS0_10empty_typeEbEEZZNS1_14partition_implILS5_5ELb0ES3_mN6hipcub16HIPCUB_304000_NS21CountingInputIteratorIllEEPS6_NSA_22TransformInputIteratorIbN2at6native12_GLOBAL__N_19NonZeroOpIfEEPKflEENS0_5tupleIJPlS6_EEENSN_IJSD_SD_EEES6_PiJS6_EEE10hipError_tPvRmT3_T4_T5_T6_T7_T9_mT8_P12ihipStream_tbDpT10_ENKUlT_T0_E_clISt17integral_constantIbLb1EES1B_EEDaS16_S17_EUlS16_E_NS1_11comp_targetILNS1_3genE0ELNS1_11target_archE4294967295ELNS1_3gpuE0ELNS1_3repE0EEENS1_30default_config_static_selectorELNS0_4arch9wavefront6targetE0EEEvT1_,"axG",@progbits,_ZN7rocprim17ROCPRIM_400000_NS6detail17trampoline_kernelINS0_14default_configENS1_25partition_config_selectorILNS1_17partition_subalgoE5ElNS0_10empty_typeEbEEZZNS1_14partition_implILS5_5ELb0ES3_mN6hipcub16HIPCUB_304000_NS21CountingInputIteratorIllEEPS6_NSA_22TransformInputIteratorIbN2at6native12_GLOBAL__N_19NonZeroOpIfEEPKflEENS0_5tupleIJPlS6_EEENSN_IJSD_SD_EEES6_PiJS6_EEE10hipError_tPvRmT3_T4_T5_T6_T7_T9_mT8_P12ihipStream_tbDpT10_ENKUlT_T0_E_clISt17integral_constantIbLb1EES1B_EEDaS16_S17_EUlS16_E_NS1_11comp_targetILNS1_3genE0ELNS1_11target_archE4294967295ELNS1_3gpuE0ELNS1_3repE0EEENS1_30default_config_static_selectorELNS0_4arch9wavefront6targetE0EEEvT1_,comdat
	.globl	_ZN7rocprim17ROCPRIM_400000_NS6detail17trampoline_kernelINS0_14default_configENS1_25partition_config_selectorILNS1_17partition_subalgoE5ElNS0_10empty_typeEbEEZZNS1_14partition_implILS5_5ELb0ES3_mN6hipcub16HIPCUB_304000_NS21CountingInputIteratorIllEEPS6_NSA_22TransformInputIteratorIbN2at6native12_GLOBAL__N_19NonZeroOpIfEEPKflEENS0_5tupleIJPlS6_EEENSN_IJSD_SD_EEES6_PiJS6_EEE10hipError_tPvRmT3_T4_T5_T6_T7_T9_mT8_P12ihipStream_tbDpT10_ENKUlT_T0_E_clISt17integral_constantIbLb1EES1B_EEDaS16_S17_EUlS16_E_NS1_11comp_targetILNS1_3genE0ELNS1_11target_archE4294967295ELNS1_3gpuE0ELNS1_3repE0EEENS1_30default_config_static_selectorELNS0_4arch9wavefront6targetE0EEEvT1_ ; -- Begin function _ZN7rocprim17ROCPRIM_400000_NS6detail17trampoline_kernelINS0_14default_configENS1_25partition_config_selectorILNS1_17partition_subalgoE5ElNS0_10empty_typeEbEEZZNS1_14partition_implILS5_5ELb0ES3_mN6hipcub16HIPCUB_304000_NS21CountingInputIteratorIllEEPS6_NSA_22TransformInputIteratorIbN2at6native12_GLOBAL__N_19NonZeroOpIfEEPKflEENS0_5tupleIJPlS6_EEENSN_IJSD_SD_EEES6_PiJS6_EEE10hipError_tPvRmT3_T4_T5_T6_T7_T9_mT8_P12ihipStream_tbDpT10_ENKUlT_T0_E_clISt17integral_constantIbLb1EES1B_EEDaS16_S17_EUlS16_E_NS1_11comp_targetILNS1_3genE0ELNS1_11target_archE4294967295ELNS1_3gpuE0ELNS1_3repE0EEENS1_30default_config_static_selectorELNS0_4arch9wavefront6targetE0EEEvT1_
	.p2align	8
	.type	_ZN7rocprim17ROCPRIM_400000_NS6detail17trampoline_kernelINS0_14default_configENS1_25partition_config_selectorILNS1_17partition_subalgoE5ElNS0_10empty_typeEbEEZZNS1_14partition_implILS5_5ELb0ES3_mN6hipcub16HIPCUB_304000_NS21CountingInputIteratorIllEEPS6_NSA_22TransformInputIteratorIbN2at6native12_GLOBAL__N_19NonZeroOpIfEEPKflEENS0_5tupleIJPlS6_EEENSN_IJSD_SD_EEES6_PiJS6_EEE10hipError_tPvRmT3_T4_T5_T6_T7_T9_mT8_P12ihipStream_tbDpT10_ENKUlT_T0_E_clISt17integral_constantIbLb1EES1B_EEDaS16_S17_EUlS16_E_NS1_11comp_targetILNS1_3genE0ELNS1_11target_archE4294967295ELNS1_3gpuE0ELNS1_3repE0EEENS1_30default_config_static_selectorELNS0_4arch9wavefront6targetE0EEEvT1_,@function
_ZN7rocprim17ROCPRIM_400000_NS6detail17trampoline_kernelINS0_14default_configENS1_25partition_config_selectorILNS1_17partition_subalgoE5ElNS0_10empty_typeEbEEZZNS1_14partition_implILS5_5ELb0ES3_mN6hipcub16HIPCUB_304000_NS21CountingInputIteratorIllEEPS6_NSA_22TransformInputIteratorIbN2at6native12_GLOBAL__N_19NonZeroOpIfEEPKflEENS0_5tupleIJPlS6_EEENSN_IJSD_SD_EEES6_PiJS6_EEE10hipError_tPvRmT3_T4_T5_T6_T7_T9_mT8_P12ihipStream_tbDpT10_ENKUlT_T0_E_clISt17integral_constantIbLb1EES1B_EEDaS16_S17_EUlS16_E_NS1_11comp_targetILNS1_3genE0ELNS1_11target_archE4294967295ELNS1_3gpuE0ELNS1_3repE0EEENS1_30default_config_static_selectorELNS0_4arch9wavefront6targetE0EEEvT1_: ; @_ZN7rocprim17ROCPRIM_400000_NS6detail17trampoline_kernelINS0_14default_configENS1_25partition_config_selectorILNS1_17partition_subalgoE5ElNS0_10empty_typeEbEEZZNS1_14partition_implILS5_5ELb0ES3_mN6hipcub16HIPCUB_304000_NS21CountingInputIteratorIllEEPS6_NSA_22TransformInputIteratorIbN2at6native12_GLOBAL__N_19NonZeroOpIfEEPKflEENS0_5tupleIJPlS6_EEENSN_IJSD_SD_EEES6_PiJS6_EEE10hipError_tPvRmT3_T4_T5_T6_T7_T9_mT8_P12ihipStream_tbDpT10_ENKUlT_T0_E_clISt17integral_constantIbLb1EES1B_EEDaS16_S17_EUlS16_E_NS1_11comp_targetILNS1_3genE0ELNS1_11target_archE4294967295ELNS1_3gpuE0ELNS1_3repE0EEENS1_30default_config_static_selectorELNS0_4arch9wavefront6targetE0EEEvT1_
; %bb.0:
	.section	.rodata,"a",@progbits
	.p2align	6, 0x0
	.amdhsa_kernel _ZN7rocprim17ROCPRIM_400000_NS6detail17trampoline_kernelINS0_14default_configENS1_25partition_config_selectorILNS1_17partition_subalgoE5ElNS0_10empty_typeEbEEZZNS1_14partition_implILS5_5ELb0ES3_mN6hipcub16HIPCUB_304000_NS21CountingInputIteratorIllEEPS6_NSA_22TransformInputIteratorIbN2at6native12_GLOBAL__N_19NonZeroOpIfEEPKflEENS0_5tupleIJPlS6_EEENSN_IJSD_SD_EEES6_PiJS6_EEE10hipError_tPvRmT3_T4_T5_T6_T7_T9_mT8_P12ihipStream_tbDpT10_ENKUlT_T0_E_clISt17integral_constantIbLb1EES1B_EEDaS16_S17_EUlS16_E_NS1_11comp_targetILNS1_3genE0ELNS1_11target_archE4294967295ELNS1_3gpuE0ELNS1_3repE0EEENS1_30default_config_static_selectorELNS0_4arch9wavefront6targetE0EEEvT1_
		.amdhsa_group_segment_fixed_size 0
		.amdhsa_private_segment_fixed_size 0
		.amdhsa_kernarg_size 136
		.amdhsa_user_sgpr_count 2
		.amdhsa_user_sgpr_dispatch_ptr 0
		.amdhsa_user_sgpr_queue_ptr 0
		.amdhsa_user_sgpr_kernarg_segment_ptr 1
		.amdhsa_user_sgpr_dispatch_id 0
		.amdhsa_user_sgpr_private_segment_size 0
		.amdhsa_wavefront_size32 1
		.amdhsa_uses_dynamic_stack 0
		.amdhsa_enable_private_segment 0
		.amdhsa_system_sgpr_workgroup_id_x 1
		.amdhsa_system_sgpr_workgroup_id_y 0
		.amdhsa_system_sgpr_workgroup_id_z 0
		.amdhsa_system_sgpr_workgroup_info 0
		.amdhsa_system_vgpr_workitem_id 0
		.amdhsa_next_free_vgpr 1
		.amdhsa_next_free_sgpr 1
		.amdhsa_reserve_vcc 0
		.amdhsa_float_round_mode_32 0
		.amdhsa_float_round_mode_16_64 0
		.amdhsa_float_denorm_mode_32 3
		.amdhsa_float_denorm_mode_16_64 3
		.amdhsa_fp16_overflow 0
		.amdhsa_workgroup_processor_mode 1
		.amdhsa_memory_ordered 1
		.amdhsa_forward_progress 1
		.amdhsa_inst_pref_size 0
		.amdhsa_round_robin_scheduling 0
		.amdhsa_exception_fp_ieee_invalid_op 0
		.amdhsa_exception_fp_denorm_src 0
		.amdhsa_exception_fp_ieee_div_zero 0
		.amdhsa_exception_fp_ieee_overflow 0
		.amdhsa_exception_fp_ieee_underflow 0
		.amdhsa_exception_fp_ieee_inexact 0
		.amdhsa_exception_int_div_zero 0
	.end_amdhsa_kernel
	.section	.text._ZN7rocprim17ROCPRIM_400000_NS6detail17trampoline_kernelINS0_14default_configENS1_25partition_config_selectorILNS1_17partition_subalgoE5ElNS0_10empty_typeEbEEZZNS1_14partition_implILS5_5ELb0ES3_mN6hipcub16HIPCUB_304000_NS21CountingInputIteratorIllEEPS6_NSA_22TransformInputIteratorIbN2at6native12_GLOBAL__N_19NonZeroOpIfEEPKflEENS0_5tupleIJPlS6_EEENSN_IJSD_SD_EEES6_PiJS6_EEE10hipError_tPvRmT3_T4_T5_T6_T7_T9_mT8_P12ihipStream_tbDpT10_ENKUlT_T0_E_clISt17integral_constantIbLb1EES1B_EEDaS16_S17_EUlS16_E_NS1_11comp_targetILNS1_3genE0ELNS1_11target_archE4294967295ELNS1_3gpuE0ELNS1_3repE0EEENS1_30default_config_static_selectorELNS0_4arch9wavefront6targetE0EEEvT1_,"axG",@progbits,_ZN7rocprim17ROCPRIM_400000_NS6detail17trampoline_kernelINS0_14default_configENS1_25partition_config_selectorILNS1_17partition_subalgoE5ElNS0_10empty_typeEbEEZZNS1_14partition_implILS5_5ELb0ES3_mN6hipcub16HIPCUB_304000_NS21CountingInputIteratorIllEEPS6_NSA_22TransformInputIteratorIbN2at6native12_GLOBAL__N_19NonZeroOpIfEEPKflEENS0_5tupleIJPlS6_EEENSN_IJSD_SD_EEES6_PiJS6_EEE10hipError_tPvRmT3_T4_T5_T6_T7_T9_mT8_P12ihipStream_tbDpT10_ENKUlT_T0_E_clISt17integral_constantIbLb1EES1B_EEDaS16_S17_EUlS16_E_NS1_11comp_targetILNS1_3genE0ELNS1_11target_archE4294967295ELNS1_3gpuE0ELNS1_3repE0EEENS1_30default_config_static_selectorELNS0_4arch9wavefront6targetE0EEEvT1_,comdat
.Lfunc_end466:
	.size	_ZN7rocprim17ROCPRIM_400000_NS6detail17trampoline_kernelINS0_14default_configENS1_25partition_config_selectorILNS1_17partition_subalgoE5ElNS0_10empty_typeEbEEZZNS1_14partition_implILS5_5ELb0ES3_mN6hipcub16HIPCUB_304000_NS21CountingInputIteratorIllEEPS6_NSA_22TransformInputIteratorIbN2at6native12_GLOBAL__N_19NonZeroOpIfEEPKflEENS0_5tupleIJPlS6_EEENSN_IJSD_SD_EEES6_PiJS6_EEE10hipError_tPvRmT3_T4_T5_T6_T7_T9_mT8_P12ihipStream_tbDpT10_ENKUlT_T0_E_clISt17integral_constantIbLb1EES1B_EEDaS16_S17_EUlS16_E_NS1_11comp_targetILNS1_3genE0ELNS1_11target_archE4294967295ELNS1_3gpuE0ELNS1_3repE0EEENS1_30default_config_static_selectorELNS0_4arch9wavefront6targetE0EEEvT1_, .Lfunc_end466-_ZN7rocprim17ROCPRIM_400000_NS6detail17trampoline_kernelINS0_14default_configENS1_25partition_config_selectorILNS1_17partition_subalgoE5ElNS0_10empty_typeEbEEZZNS1_14partition_implILS5_5ELb0ES3_mN6hipcub16HIPCUB_304000_NS21CountingInputIteratorIllEEPS6_NSA_22TransformInputIteratorIbN2at6native12_GLOBAL__N_19NonZeroOpIfEEPKflEENS0_5tupleIJPlS6_EEENSN_IJSD_SD_EEES6_PiJS6_EEE10hipError_tPvRmT3_T4_T5_T6_T7_T9_mT8_P12ihipStream_tbDpT10_ENKUlT_T0_E_clISt17integral_constantIbLb1EES1B_EEDaS16_S17_EUlS16_E_NS1_11comp_targetILNS1_3genE0ELNS1_11target_archE4294967295ELNS1_3gpuE0ELNS1_3repE0EEENS1_30default_config_static_selectorELNS0_4arch9wavefront6targetE0EEEvT1_
                                        ; -- End function
	.set _ZN7rocprim17ROCPRIM_400000_NS6detail17trampoline_kernelINS0_14default_configENS1_25partition_config_selectorILNS1_17partition_subalgoE5ElNS0_10empty_typeEbEEZZNS1_14partition_implILS5_5ELb0ES3_mN6hipcub16HIPCUB_304000_NS21CountingInputIteratorIllEEPS6_NSA_22TransformInputIteratorIbN2at6native12_GLOBAL__N_19NonZeroOpIfEEPKflEENS0_5tupleIJPlS6_EEENSN_IJSD_SD_EEES6_PiJS6_EEE10hipError_tPvRmT3_T4_T5_T6_T7_T9_mT8_P12ihipStream_tbDpT10_ENKUlT_T0_E_clISt17integral_constantIbLb1EES1B_EEDaS16_S17_EUlS16_E_NS1_11comp_targetILNS1_3genE0ELNS1_11target_archE4294967295ELNS1_3gpuE0ELNS1_3repE0EEENS1_30default_config_static_selectorELNS0_4arch9wavefront6targetE0EEEvT1_.num_vgpr, 0
	.set _ZN7rocprim17ROCPRIM_400000_NS6detail17trampoline_kernelINS0_14default_configENS1_25partition_config_selectorILNS1_17partition_subalgoE5ElNS0_10empty_typeEbEEZZNS1_14partition_implILS5_5ELb0ES3_mN6hipcub16HIPCUB_304000_NS21CountingInputIteratorIllEEPS6_NSA_22TransformInputIteratorIbN2at6native12_GLOBAL__N_19NonZeroOpIfEEPKflEENS0_5tupleIJPlS6_EEENSN_IJSD_SD_EEES6_PiJS6_EEE10hipError_tPvRmT3_T4_T5_T6_T7_T9_mT8_P12ihipStream_tbDpT10_ENKUlT_T0_E_clISt17integral_constantIbLb1EES1B_EEDaS16_S17_EUlS16_E_NS1_11comp_targetILNS1_3genE0ELNS1_11target_archE4294967295ELNS1_3gpuE0ELNS1_3repE0EEENS1_30default_config_static_selectorELNS0_4arch9wavefront6targetE0EEEvT1_.num_agpr, 0
	.set _ZN7rocprim17ROCPRIM_400000_NS6detail17trampoline_kernelINS0_14default_configENS1_25partition_config_selectorILNS1_17partition_subalgoE5ElNS0_10empty_typeEbEEZZNS1_14partition_implILS5_5ELb0ES3_mN6hipcub16HIPCUB_304000_NS21CountingInputIteratorIllEEPS6_NSA_22TransformInputIteratorIbN2at6native12_GLOBAL__N_19NonZeroOpIfEEPKflEENS0_5tupleIJPlS6_EEENSN_IJSD_SD_EEES6_PiJS6_EEE10hipError_tPvRmT3_T4_T5_T6_T7_T9_mT8_P12ihipStream_tbDpT10_ENKUlT_T0_E_clISt17integral_constantIbLb1EES1B_EEDaS16_S17_EUlS16_E_NS1_11comp_targetILNS1_3genE0ELNS1_11target_archE4294967295ELNS1_3gpuE0ELNS1_3repE0EEENS1_30default_config_static_selectorELNS0_4arch9wavefront6targetE0EEEvT1_.numbered_sgpr, 0
	.set _ZN7rocprim17ROCPRIM_400000_NS6detail17trampoline_kernelINS0_14default_configENS1_25partition_config_selectorILNS1_17partition_subalgoE5ElNS0_10empty_typeEbEEZZNS1_14partition_implILS5_5ELb0ES3_mN6hipcub16HIPCUB_304000_NS21CountingInputIteratorIllEEPS6_NSA_22TransformInputIteratorIbN2at6native12_GLOBAL__N_19NonZeroOpIfEEPKflEENS0_5tupleIJPlS6_EEENSN_IJSD_SD_EEES6_PiJS6_EEE10hipError_tPvRmT3_T4_T5_T6_T7_T9_mT8_P12ihipStream_tbDpT10_ENKUlT_T0_E_clISt17integral_constantIbLb1EES1B_EEDaS16_S17_EUlS16_E_NS1_11comp_targetILNS1_3genE0ELNS1_11target_archE4294967295ELNS1_3gpuE0ELNS1_3repE0EEENS1_30default_config_static_selectorELNS0_4arch9wavefront6targetE0EEEvT1_.num_named_barrier, 0
	.set _ZN7rocprim17ROCPRIM_400000_NS6detail17trampoline_kernelINS0_14default_configENS1_25partition_config_selectorILNS1_17partition_subalgoE5ElNS0_10empty_typeEbEEZZNS1_14partition_implILS5_5ELb0ES3_mN6hipcub16HIPCUB_304000_NS21CountingInputIteratorIllEEPS6_NSA_22TransformInputIteratorIbN2at6native12_GLOBAL__N_19NonZeroOpIfEEPKflEENS0_5tupleIJPlS6_EEENSN_IJSD_SD_EEES6_PiJS6_EEE10hipError_tPvRmT3_T4_T5_T6_T7_T9_mT8_P12ihipStream_tbDpT10_ENKUlT_T0_E_clISt17integral_constantIbLb1EES1B_EEDaS16_S17_EUlS16_E_NS1_11comp_targetILNS1_3genE0ELNS1_11target_archE4294967295ELNS1_3gpuE0ELNS1_3repE0EEENS1_30default_config_static_selectorELNS0_4arch9wavefront6targetE0EEEvT1_.private_seg_size, 0
	.set _ZN7rocprim17ROCPRIM_400000_NS6detail17trampoline_kernelINS0_14default_configENS1_25partition_config_selectorILNS1_17partition_subalgoE5ElNS0_10empty_typeEbEEZZNS1_14partition_implILS5_5ELb0ES3_mN6hipcub16HIPCUB_304000_NS21CountingInputIteratorIllEEPS6_NSA_22TransformInputIteratorIbN2at6native12_GLOBAL__N_19NonZeroOpIfEEPKflEENS0_5tupleIJPlS6_EEENSN_IJSD_SD_EEES6_PiJS6_EEE10hipError_tPvRmT3_T4_T5_T6_T7_T9_mT8_P12ihipStream_tbDpT10_ENKUlT_T0_E_clISt17integral_constantIbLb1EES1B_EEDaS16_S17_EUlS16_E_NS1_11comp_targetILNS1_3genE0ELNS1_11target_archE4294967295ELNS1_3gpuE0ELNS1_3repE0EEENS1_30default_config_static_selectorELNS0_4arch9wavefront6targetE0EEEvT1_.uses_vcc, 0
	.set _ZN7rocprim17ROCPRIM_400000_NS6detail17trampoline_kernelINS0_14default_configENS1_25partition_config_selectorILNS1_17partition_subalgoE5ElNS0_10empty_typeEbEEZZNS1_14partition_implILS5_5ELb0ES3_mN6hipcub16HIPCUB_304000_NS21CountingInputIteratorIllEEPS6_NSA_22TransformInputIteratorIbN2at6native12_GLOBAL__N_19NonZeroOpIfEEPKflEENS0_5tupleIJPlS6_EEENSN_IJSD_SD_EEES6_PiJS6_EEE10hipError_tPvRmT3_T4_T5_T6_T7_T9_mT8_P12ihipStream_tbDpT10_ENKUlT_T0_E_clISt17integral_constantIbLb1EES1B_EEDaS16_S17_EUlS16_E_NS1_11comp_targetILNS1_3genE0ELNS1_11target_archE4294967295ELNS1_3gpuE0ELNS1_3repE0EEENS1_30default_config_static_selectorELNS0_4arch9wavefront6targetE0EEEvT1_.uses_flat_scratch, 0
	.set _ZN7rocprim17ROCPRIM_400000_NS6detail17trampoline_kernelINS0_14default_configENS1_25partition_config_selectorILNS1_17partition_subalgoE5ElNS0_10empty_typeEbEEZZNS1_14partition_implILS5_5ELb0ES3_mN6hipcub16HIPCUB_304000_NS21CountingInputIteratorIllEEPS6_NSA_22TransformInputIteratorIbN2at6native12_GLOBAL__N_19NonZeroOpIfEEPKflEENS0_5tupleIJPlS6_EEENSN_IJSD_SD_EEES6_PiJS6_EEE10hipError_tPvRmT3_T4_T5_T6_T7_T9_mT8_P12ihipStream_tbDpT10_ENKUlT_T0_E_clISt17integral_constantIbLb1EES1B_EEDaS16_S17_EUlS16_E_NS1_11comp_targetILNS1_3genE0ELNS1_11target_archE4294967295ELNS1_3gpuE0ELNS1_3repE0EEENS1_30default_config_static_selectorELNS0_4arch9wavefront6targetE0EEEvT1_.has_dyn_sized_stack, 0
	.set _ZN7rocprim17ROCPRIM_400000_NS6detail17trampoline_kernelINS0_14default_configENS1_25partition_config_selectorILNS1_17partition_subalgoE5ElNS0_10empty_typeEbEEZZNS1_14partition_implILS5_5ELb0ES3_mN6hipcub16HIPCUB_304000_NS21CountingInputIteratorIllEEPS6_NSA_22TransformInputIteratorIbN2at6native12_GLOBAL__N_19NonZeroOpIfEEPKflEENS0_5tupleIJPlS6_EEENSN_IJSD_SD_EEES6_PiJS6_EEE10hipError_tPvRmT3_T4_T5_T6_T7_T9_mT8_P12ihipStream_tbDpT10_ENKUlT_T0_E_clISt17integral_constantIbLb1EES1B_EEDaS16_S17_EUlS16_E_NS1_11comp_targetILNS1_3genE0ELNS1_11target_archE4294967295ELNS1_3gpuE0ELNS1_3repE0EEENS1_30default_config_static_selectorELNS0_4arch9wavefront6targetE0EEEvT1_.has_recursion, 0
	.set _ZN7rocprim17ROCPRIM_400000_NS6detail17trampoline_kernelINS0_14default_configENS1_25partition_config_selectorILNS1_17partition_subalgoE5ElNS0_10empty_typeEbEEZZNS1_14partition_implILS5_5ELb0ES3_mN6hipcub16HIPCUB_304000_NS21CountingInputIteratorIllEEPS6_NSA_22TransformInputIteratorIbN2at6native12_GLOBAL__N_19NonZeroOpIfEEPKflEENS0_5tupleIJPlS6_EEENSN_IJSD_SD_EEES6_PiJS6_EEE10hipError_tPvRmT3_T4_T5_T6_T7_T9_mT8_P12ihipStream_tbDpT10_ENKUlT_T0_E_clISt17integral_constantIbLb1EES1B_EEDaS16_S17_EUlS16_E_NS1_11comp_targetILNS1_3genE0ELNS1_11target_archE4294967295ELNS1_3gpuE0ELNS1_3repE0EEENS1_30default_config_static_selectorELNS0_4arch9wavefront6targetE0EEEvT1_.has_indirect_call, 0
	.section	.AMDGPU.csdata,"",@progbits
; Kernel info:
; codeLenInByte = 0
; TotalNumSgprs: 0
; NumVgprs: 0
; ScratchSize: 0
; MemoryBound: 0
; FloatMode: 240
; IeeeMode: 1
; LDSByteSize: 0 bytes/workgroup (compile time only)
; SGPRBlocks: 0
; VGPRBlocks: 0
; NumSGPRsForWavesPerEU: 1
; NumVGPRsForWavesPerEU: 1
; Occupancy: 16
; WaveLimiterHint : 0
; COMPUTE_PGM_RSRC2:SCRATCH_EN: 0
; COMPUTE_PGM_RSRC2:USER_SGPR: 2
; COMPUTE_PGM_RSRC2:TRAP_HANDLER: 0
; COMPUTE_PGM_RSRC2:TGID_X_EN: 1
; COMPUTE_PGM_RSRC2:TGID_Y_EN: 0
; COMPUTE_PGM_RSRC2:TGID_Z_EN: 0
; COMPUTE_PGM_RSRC2:TIDIG_COMP_CNT: 0
	.section	.text._ZN7rocprim17ROCPRIM_400000_NS6detail17trampoline_kernelINS0_14default_configENS1_25partition_config_selectorILNS1_17partition_subalgoE5ElNS0_10empty_typeEbEEZZNS1_14partition_implILS5_5ELb0ES3_mN6hipcub16HIPCUB_304000_NS21CountingInputIteratorIllEEPS6_NSA_22TransformInputIteratorIbN2at6native12_GLOBAL__N_19NonZeroOpIfEEPKflEENS0_5tupleIJPlS6_EEENSN_IJSD_SD_EEES6_PiJS6_EEE10hipError_tPvRmT3_T4_T5_T6_T7_T9_mT8_P12ihipStream_tbDpT10_ENKUlT_T0_E_clISt17integral_constantIbLb1EES1B_EEDaS16_S17_EUlS16_E_NS1_11comp_targetILNS1_3genE5ELNS1_11target_archE942ELNS1_3gpuE9ELNS1_3repE0EEENS1_30default_config_static_selectorELNS0_4arch9wavefront6targetE0EEEvT1_,"axG",@progbits,_ZN7rocprim17ROCPRIM_400000_NS6detail17trampoline_kernelINS0_14default_configENS1_25partition_config_selectorILNS1_17partition_subalgoE5ElNS0_10empty_typeEbEEZZNS1_14partition_implILS5_5ELb0ES3_mN6hipcub16HIPCUB_304000_NS21CountingInputIteratorIllEEPS6_NSA_22TransformInputIteratorIbN2at6native12_GLOBAL__N_19NonZeroOpIfEEPKflEENS0_5tupleIJPlS6_EEENSN_IJSD_SD_EEES6_PiJS6_EEE10hipError_tPvRmT3_T4_T5_T6_T7_T9_mT8_P12ihipStream_tbDpT10_ENKUlT_T0_E_clISt17integral_constantIbLb1EES1B_EEDaS16_S17_EUlS16_E_NS1_11comp_targetILNS1_3genE5ELNS1_11target_archE942ELNS1_3gpuE9ELNS1_3repE0EEENS1_30default_config_static_selectorELNS0_4arch9wavefront6targetE0EEEvT1_,comdat
	.globl	_ZN7rocprim17ROCPRIM_400000_NS6detail17trampoline_kernelINS0_14default_configENS1_25partition_config_selectorILNS1_17partition_subalgoE5ElNS0_10empty_typeEbEEZZNS1_14partition_implILS5_5ELb0ES3_mN6hipcub16HIPCUB_304000_NS21CountingInputIteratorIllEEPS6_NSA_22TransformInputIteratorIbN2at6native12_GLOBAL__N_19NonZeroOpIfEEPKflEENS0_5tupleIJPlS6_EEENSN_IJSD_SD_EEES6_PiJS6_EEE10hipError_tPvRmT3_T4_T5_T6_T7_T9_mT8_P12ihipStream_tbDpT10_ENKUlT_T0_E_clISt17integral_constantIbLb1EES1B_EEDaS16_S17_EUlS16_E_NS1_11comp_targetILNS1_3genE5ELNS1_11target_archE942ELNS1_3gpuE9ELNS1_3repE0EEENS1_30default_config_static_selectorELNS0_4arch9wavefront6targetE0EEEvT1_ ; -- Begin function _ZN7rocprim17ROCPRIM_400000_NS6detail17trampoline_kernelINS0_14default_configENS1_25partition_config_selectorILNS1_17partition_subalgoE5ElNS0_10empty_typeEbEEZZNS1_14partition_implILS5_5ELb0ES3_mN6hipcub16HIPCUB_304000_NS21CountingInputIteratorIllEEPS6_NSA_22TransformInputIteratorIbN2at6native12_GLOBAL__N_19NonZeroOpIfEEPKflEENS0_5tupleIJPlS6_EEENSN_IJSD_SD_EEES6_PiJS6_EEE10hipError_tPvRmT3_T4_T5_T6_T7_T9_mT8_P12ihipStream_tbDpT10_ENKUlT_T0_E_clISt17integral_constantIbLb1EES1B_EEDaS16_S17_EUlS16_E_NS1_11comp_targetILNS1_3genE5ELNS1_11target_archE942ELNS1_3gpuE9ELNS1_3repE0EEENS1_30default_config_static_selectorELNS0_4arch9wavefront6targetE0EEEvT1_
	.p2align	8
	.type	_ZN7rocprim17ROCPRIM_400000_NS6detail17trampoline_kernelINS0_14default_configENS1_25partition_config_selectorILNS1_17partition_subalgoE5ElNS0_10empty_typeEbEEZZNS1_14partition_implILS5_5ELb0ES3_mN6hipcub16HIPCUB_304000_NS21CountingInputIteratorIllEEPS6_NSA_22TransformInputIteratorIbN2at6native12_GLOBAL__N_19NonZeroOpIfEEPKflEENS0_5tupleIJPlS6_EEENSN_IJSD_SD_EEES6_PiJS6_EEE10hipError_tPvRmT3_T4_T5_T6_T7_T9_mT8_P12ihipStream_tbDpT10_ENKUlT_T0_E_clISt17integral_constantIbLb1EES1B_EEDaS16_S17_EUlS16_E_NS1_11comp_targetILNS1_3genE5ELNS1_11target_archE942ELNS1_3gpuE9ELNS1_3repE0EEENS1_30default_config_static_selectorELNS0_4arch9wavefront6targetE0EEEvT1_,@function
_ZN7rocprim17ROCPRIM_400000_NS6detail17trampoline_kernelINS0_14default_configENS1_25partition_config_selectorILNS1_17partition_subalgoE5ElNS0_10empty_typeEbEEZZNS1_14partition_implILS5_5ELb0ES3_mN6hipcub16HIPCUB_304000_NS21CountingInputIteratorIllEEPS6_NSA_22TransformInputIteratorIbN2at6native12_GLOBAL__N_19NonZeroOpIfEEPKflEENS0_5tupleIJPlS6_EEENSN_IJSD_SD_EEES6_PiJS6_EEE10hipError_tPvRmT3_T4_T5_T6_T7_T9_mT8_P12ihipStream_tbDpT10_ENKUlT_T0_E_clISt17integral_constantIbLb1EES1B_EEDaS16_S17_EUlS16_E_NS1_11comp_targetILNS1_3genE5ELNS1_11target_archE942ELNS1_3gpuE9ELNS1_3repE0EEENS1_30default_config_static_selectorELNS0_4arch9wavefront6targetE0EEEvT1_: ; @_ZN7rocprim17ROCPRIM_400000_NS6detail17trampoline_kernelINS0_14default_configENS1_25partition_config_selectorILNS1_17partition_subalgoE5ElNS0_10empty_typeEbEEZZNS1_14partition_implILS5_5ELb0ES3_mN6hipcub16HIPCUB_304000_NS21CountingInputIteratorIllEEPS6_NSA_22TransformInputIteratorIbN2at6native12_GLOBAL__N_19NonZeroOpIfEEPKflEENS0_5tupleIJPlS6_EEENSN_IJSD_SD_EEES6_PiJS6_EEE10hipError_tPvRmT3_T4_T5_T6_T7_T9_mT8_P12ihipStream_tbDpT10_ENKUlT_T0_E_clISt17integral_constantIbLb1EES1B_EEDaS16_S17_EUlS16_E_NS1_11comp_targetILNS1_3genE5ELNS1_11target_archE942ELNS1_3gpuE9ELNS1_3repE0EEENS1_30default_config_static_selectorELNS0_4arch9wavefront6targetE0EEEvT1_
; %bb.0:
	.section	.rodata,"a",@progbits
	.p2align	6, 0x0
	.amdhsa_kernel _ZN7rocprim17ROCPRIM_400000_NS6detail17trampoline_kernelINS0_14default_configENS1_25partition_config_selectorILNS1_17partition_subalgoE5ElNS0_10empty_typeEbEEZZNS1_14partition_implILS5_5ELb0ES3_mN6hipcub16HIPCUB_304000_NS21CountingInputIteratorIllEEPS6_NSA_22TransformInputIteratorIbN2at6native12_GLOBAL__N_19NonZeroOpIfEEPKflEENS0_5tupleIJPlS6_EEENSN_IJSD_SD_EEES6_PiJS6_EEE10hipError_tPvRmT3_T4_T5_T6_T7_T9_mT8_P12ihipStream_tbDpT10_ENKUlT_T0_E_clISt17integral_constantIbLb1EES1B_EEDaS16_S17_EUlS16_E_NS1_11comp_targetILNS1_3genE5ELNS1_11target_archE942ELNS1_3gpuE9ELNS1_3repE0EEENS1_30default_config_static_selectorELNS0_4arch9wavefront6targetE0EEEvT1_
		.amdhsa_group_segment_fixed_size 0
		.amdhsa_private_segment_fixed_size 0
		.amdhsa_kernarg_size 136
		.amdhsa_user_sgpr_count 2
		.amdhsa_user_sgpr_dispatch_ptr 0
		.amdhsa_user_sgpr_queue_ptr 0
		.amdhsa_user_sgpr_kernarg_segment_ptr 1
		.amdhsa_user_sgpr_dispatch_id 0
		.amdhsa_user_sgpr_private_segment_size 0
		.amdhsa_wavefront_size32 1
		.amdhsa_uses_dynamic_stack 0
		.amdhsa_enable_private_segment 0
		.amdhsa_system_sgpr_workgroup_id_x 1
		.amdhsa_system_sgpr_workgroup_id_y 0
		.amdhsa_system_sgpr_workgroup_id_z 0
		.amdhsa_system_sgpr_workgroup_info 0
		.amdhsa_system_vgpr_workitem_id 0
		.amdhsa_next_free_vgpr 1
		.amdhsa_next_free_sgpr 1
		.amdhsa_reserve_vcc 0
		.amdhsa_float_round_mode_32 0
		.amdhsa_float_round_mode_16_64 0
		.amdhsa_float_denorm_mode_32 3
		.amdhsa_float_denorm_mode_16_64 3
		.amdhsa_fp16_overflow 0
		.amdhsa_workgroup_processor_mode 1
		.amdhsa_memory_ordered 1
		.amdhsa_forward_progress 1
		.amdhsa_inst_pref_size 0
		.amdhsa_round_robin_scheduling 0
		.amdhsa_exception_fp_ieee_invalid_op 0
		.amdhsa_exception_fp_denorm_src 0
		.amdhsa_exception_fp_ieee_div_zero 0
		.amdhsa_exception_fp_ieee_overflow 0
		.amdhsa_exception_fp_ieee_underflow 0
		.amdhsa_exception_fp_ieee_inexact 0
		.amdhsa_exception_int_div_zero 0
	.end_amdhsa_kernel
	.section	.text._ZN7rocprim17ROCPRIM_400000_NS6detail17trampoline_kernelINS0_14default_configENS1_25partition_config_selectorILNS1_17partition_subalgoE5ElNS0_10empty_typeEbEEZZNS1_14partition_implILS5_5ELb0ES3_mN6hipcub16HIPCUB_304000_NS21CountingInputIteratorIllEEPS6_NSA_22TransformInputIteratorIbN2at6native12_GLOBAL__N_19NonZeroOpIfEEPKflEENS0_5tupleIJPlS6_EEENSN_IJSD_SD_EEES6_PiJS6_EEE10hipError_tPvRmT3_T4_T5_T6_T7_T9_mT8_P12ihipStream_tbDpT10_ENKUlT_T0_E_clISt17integral_constantIbLb1EES1B_EEDaS16_S17_EUlS16_E_NS1_11comp_targetILNS1_3genE5ELNS1_11target_archE942ELNS1_3gpuE9ELNS1_3repE0EEENS1_30default_config_static_selectorELNS0_4arch9wavefront6targetE0EEEvT1_,"axG",@progbits,_ZN7rocprim17ROCPRIM_400000_NS6detail17trampoline_kernelINS0_14default_configENS1_25partition_config_selectorILNS1_17partition_subalgoE5ElNS0_10empty_typeEbEEZZNS1_14partition_implILS5_5ELb0ES3_mN6hipcub16HIPCUB_304000_NS21CountingInputIteratorIllEEPS6_NSA_22TransformInputIteratorIbN2at6native12_GLOBAL__N_19NonZeroOpIfEEPKflEENS0_5tupleIJPlS6_EEENSN_IJSD_SD_EEES6_PiJS6_EEE10hipError_tPvRmT3_T4_T5_T6_T7_T9_mT8_P12ihipStream_tbDpT10_ENKUlT_T0_E_clISt17integral_constantIbLb1EES1B_EEDaS16_S17_EUlS16_E_NS1_11comp_targetILNS1_3genE5ELNS1_11target_archE942ELNS1_3gpuE9ELNS1_3repE0EEENS1_30default_config_static_selectorELNS0_4arch9wavefront6targetE0EEEvT1_,comdat
.Lfunc_end467:
	.size	_ZN7rocprim17ROCPRIM_400000_NS6detail17trampoline_kernelINS0_14default_configENS1_25partition_config_selectorILNS1_17partition_subalgoE5ElNS0_10empty_typeEbEEZZNS1_14partition_implILS5_5ELb0ES3_mN6hipcub16HIPCUB_304000_NS21CountingInputIteratorIllEEPS6_NSA_22TransformInputIteratorIbN2at6native12_GLOBAL__N_19NonZeroOpIfEEPKflEENS0_5tupleIJPlS6_EEENSN_IJSD_SD_EEES6_PiJS6_EEE10hipError_tPvRmT3_T4_T5_T6_T7_T9_mT8_P12ihipStream_tbDpT10_ENKUlT_T0_E_clISt17integral_constantIbLb1EES1B_EEDaS16_S17_EUlS16_E_NS1_11comp_targetILNS1_3genE5ELNS1_11target_archE942ELNS1_3gpuE9ELNS1_3repE0EEENS1_30default_config_static_selectorELNS0_4arch9wavefront6targetE0EEEvT1_, .Lfunc_end467-_ZN7rocprim17ROCPRIM_400000_NS6detail17trampoline_kernelINS0_14default_configENS1_25partition_config_selectorILNS1_17partition_subalgoE5ElNS0_10empty_typeEbEEZZNS1_14partition_implILS5_5ELb0ES3_mN6hipcub16HIPCUB_304000_NS21CountingInputIteratorIllEEPS6_NSA_22TransformInputIteratorIbN2at6native12_GLOBAL__N_19NonZeroOpIfEEPKflEENS0_5tupleIJPlS6_EEENSN_IJSD_SD_EEES6_PiJS6_EEE10hipError_tPvRmT3_T4_T5_T6_T7_T9_mT8_P12ihipStream_tbDpT10_ENKUlT_T0_E_clISt17integral_constantIbLb1EES1B_EEDaS16_S17_EUlS16_E_NS1_11comp_targetILNS1_3genE5ELNS1_11target_archE942ELNS1_3gpuE9ELNS1_3repE0EEENS1_30default_config_static_selectorELNS0_4arch9wavefront6targetE0EEEvT1_
                                        ; -- End function
	.set _ZN7rocprim17ROCPRIM_400000_NS6detail17trampoline_kernelINS0_14default_configENS1_25partition_config_selectorILNS1_17partition_subalgoE5ElNS0_10empty_typeEbEEZZNS1_14partition_implILS5_5ELb0ES3_mN6hipcub16HIPCUB_304000_NS21CountingInputIteratorIllEEPS6_NSA_22TransformInputIteratorIbN2at6native12_GLOBAL__N_19NonZeroOpIfEEPKflEENS0_5tupleIJPlS6_EEENSN_IJSD_SD_EEES6_PiJS6_EEE10hipError_tPvRmT3_T4_T5_T6_T7_T9_mT8_P12ihipStream_tbDpT10_ENKUlT_T0_E_clISt17integral_constantIbLb1EES1B_EEDaS16_S17_EUlS16_E_NS1_11comp_targetILNS1_3genE5ELNS1_11target_archE942ELNS1_3gpuE9ELNS1_3repE0EEENS1_30default_config_static_selectorELNS0_4arch9wavefront6targetE0EEEvT1_.num_vgpr, 0
	.set _ZN7rocprim17ROCPRIM_400000_NS6detail17trampoline_kernelINS0_14default_configENS1_25partition_config_selectorILNS1_17partition_subalgoE5ElNS0_10empty_typeEbEEZZNS1_14partition_implILS5_5ELb0ES3_mN6hipcub16HIPCUB_304000_NS21CountingInputIteratorIllEEPS6_NSA_22TransformInputIteratorIbN2at6native12_GLOBAL__N_19NonZeroOpIfEEPKflEENS0_5tupleIJPlS6_EEENSN_IJSD_SD_EEES6_PiJS6_EEE10hipError_tPvRmT3_T4_T5_T6_T7_T9_mT8_P12ihipStream_tbDpT10_ENKUlT_T0_E_clISt17integral_constantIbLb1EES1B_EEDaS16_S17_EUlS16_E_NS1_11comp_targetILNS1_3genE5ELNS1_11target_archE942ELNS1_3gpuE9ELNS1_3repE0EEENS1_30default_config_static_selectorELNS0_4arch9wavefront6targetE0EEEvT1_.num_agpr, 0
	.set _ZN7rocprim17ROCPRIM_400000_NS6detail17trampoline_kernelINS0_14default_configENS1_25partition_config_selectorILNS1_17partition_subalgoE5ElNS0_10empty_typeEbEEZZNS1_14partition_implILS5_5ELb0ES3_mN6hipcub16HIPCUB_304000_NS21CountingInputIteratorIllEEPS6_NSA_22TransformInputIteratorIbN2at6native12_GLOBAL__N_19NonZeroOpIfEEPKflEENS0_5tupleIJPlS6_EEENSN_IJSD_SD_EEES6_PiJS6_EEE10hipError_tPvRmT3_T4_T5_T6_T7_T9_mT8_P12ihipStream_tbDpT10_ENKUlT_T0_E_clISt17integral_constantIbLb1EES1B_EEDaS16_S17_EUlS16_E_NS1_11comp_targetILNS1_3genE5ELNS1_11target_archE942ELNS1_3gpuE9ELNS1_3repE0EEENS1_30default_config_static_selectorELNS0_4arch9wavefront6targetE0EEEvT1_.numbered_sgpr, 0
	.set _ZN7rocprim17ROCPRIM_400000_NS6detail17trampoline_kernelINS0_14default_configENS1_25partition_config_selectorILNS1_17partition_subalgoE5ElNS0_10empty_typeEbEEZZNS1_14partition_implILS5_5ELb0ES3_mN6hipcub16HIPCUB_304000_NS21CountingInputIteratorIllEEPS6_NSA_22TransformInputIteratorIbN2at6native12_GLOBAL__N_19NonZeroOpIfEEPKflEENS0_5tupleIJPlS6_EEENSN_IJSD_SD_EEES6_PiJS6_EEE10hipError_tPvRmT3_T4_T5_T6_T7_T9_mT8_P12ihipStream_tbDpT10_ENKUlT_T0_E_clISt17integral_constantIbLb1EES1B_EEDaS16_S17_EUlS16_E_NS1_11comp_targetILNS1_3genE5ELNS1_11target_archE942ELNS1_3gpuE9ELNS1_3repE0EEENS1_30default_config_static_selectorELNS0_4arch9wavefront6targetE0EEEvT1_.num_named_barrier, 0
	.set _ZN7rocprim17ROCPRIM_400000_NS6detail17trampoline_kernelINS0_14default_configENS1_25partition_config_selectorILNS1_17partition_subalgoE5ElNS0_10empty_typeEbEEZZNS1_14partition_implILS5_5ELb0ES3_mN6hipcub16HIPCUB_304000_NS21CountingInputIteratorIllEEPS6_NSA_22TransformInputIteratorIbN2at6native12_GLOBAL__N_19NonZeroOpIfEEPKflEENS0_5tupleIJPlS6_EEENSN_IJSD_SD_EEES6_PiJS6_EEE10hipError_tPvRmT3_T4_T5_T6_T7_T9_mT8_P12ihipStream_tbDpT10_ENKUlT_T0_E_clISt17integral_constantIbLb1EES1B_EEDaS16_S17_EUlS16_E_NS1_11comp_targetILNS1_3genE5ELNS1_11target_archE942ELNS1_3gpuE9ELNS1_3repE0EEENS1_30default_config_static_selectorELNS0_4arch9wavefront6targetE0EEEvT1_.private_seg_size, 0
	.set _ZN7rocprim17ROCPRIM_400000_NS6detail17trampoline_kernelINS0_14default_configENS1_25partition_config_selectorILNS1_17partition_subalgoE5ElNS0_10empty_typeEbEEZZNS1_14partition_implILS5_5ELb0ES3_mN6hipcub16HIPCUB_304000_NS21CountingInputIteratorIllEEPS6_NSA_22TransformInputIteratorIbN2at6native12_GLOBAL__N_19NonZeroOpIfEEPKflEENS0_5tupleIJPlS6_EEENSN_IJSD_SD_EEES6_PiJS6_EEE10hipError_tPvRmT3_T4_T5_T6_T7_T9_mT8_P12ihipStream_tbDpT10_ENKUlT_T0_E_clISt17integral_constantIbLb1EES1B_EEDaS16_S17_EUlS16_E_NS1_11comp_targetILNS1_3genE5ELNS1_11target_archE942ELNS1_3gpuE9ELNS1_3repE0EEENS1_30default_config_static_selectorELNS0_4arch9wavefront6targetE0EEEvT1_.uses_vcc, 0
	.set _ZN7rocprim17ROCPRIM_400000_NS6detail17trampoline_kernelINS0_14default_configENS1_25partition_config_selectorILNS1_17partition_subalgoE5ElNS0_10empty_typeEbEEZZNS1_14partition_implILS5_5ELb0ES3_mN6hipcub16HIPCUB_304000_NS21CountingInputIteratorIllEEPS6_NSA_22TransformInputIteratorIbN2at6native12_GLOBAL__N_19NonZeroOpIfEEPKflEENS0_5tupleIJPlS6_EEENSN_IJSD_SD_EEES6_PiJS6_EEE10hipError_tPvRmT3_T4_T5_T6_T7_T9_mT8_P12ihipStream_tbDpT10_ENKUlT_T0_E_clISt17integral_constantIbLb1EES1B_EEDaS16_S17_EUlS16_E_NS1_11comp_targetILNS1_3genE5ELNS1_11target_archE942ELNS1_3gpuE9ELNS1_3repE0EEENS1_30default_config_static_selectorELNS0_4arch9wavefront6targetE0EEEvT1_.uses_flat_scratch, 0
	.set _ZN7rocprim17ROCPRIM_400000_NS6detail17trampoline_kernelINS0_14default_configENS1_25partition_config_selectorILNS1_17partition_subalgoE5ElNS0_10empty_typeEbEEZZNS1_14partition_implILS5_5ELb0ES3_mN6hipcub16HIPCUB_304000_NS21CountingInputIteratorIllEEPS6_NSA_22TransformInputIteratorIbN2at6native12_GLOBAL__N_19NonZeroOpIfEEPKflEENS0_5tupleIJPlS6_EEENSN_IJSD_SD_EEES6_PiJS6_EEE10hipError_tPvRmT3_T4_T5_T6_T7_T9_mT8_P12ihipStream_tbDpT10_ENKUlT_T0_E_clISt17integral_constantIbLb1EES1B_EEDaS16_S17_EUlS16_E_NS1_11comp_targetILNS1_3genE5ELNS1_11target_archE942ELNS1_3gpuE9ELNS1_3repE0EEENS1_30default_config_static_selectorELNS0_4arch9wavefront6targetE0EEEvT1_.has_dyn_sized_stack, 0
	.set _ZN7rocprim17ROCPRIM_400000_NS6detail17trampoline_kernelINS0_14default_configENS1_25partition_config_selectorILNS1_17partition_subalgoE5ElNS0_10empty_typeEbEEZZNS1_14partition_implILS5_5ELb0ES3_mN6hipcub16HIPCUB_304000_NS21CountingInputIteratorIllEEPS6_NSA_22TransformInputIteratorIbN2at6native12_GLOBAL__N_19NonZeroOpIfEEPKflEENS0_5tupleIJPlS6_EEENSN_IJSD_SD_EEES6_PiJS6_EEE10hipError_tPvRmT3_T4_T5_T6_T7_T9_mT8_P12ihipStream_tbDpT10_ENKUlT_T0_E_clISt17integral_constantIbLb1EES1B_EEDaS16_S17_EUlS16_E_NS1_11comp_targetILNS1_3genE5ELNS1_11target_archE942ELNS1_3gpuE9ELNS1_3repE0EEENS1_30default_config_static_selectorELNS0_4arch9wavefront6targetE0EEEvT1_.has_recursion, 0
	.set _ZN7rocprim17ROCPRIM_400000_NS6detail17trampoline_kernelINS0_14default_configENS1_25partition_config_selectorILNS1_17partition_subalgoE5ElNS0_10empty_typeEbEEZZNS1_14partition_implILS5_5ELb0ES3_mN6hipcub16HIPCUB_304000_NS21CountingInputIteratorIllEEPS6_NSA_22TransformInputIteratorIbN2at6native12_GLOBAL__N_19NonZeroOpIfEEPKflEENS0_5tupleIJPlS6_EEENSN_IJSD_SD_EEES6_PiJS6_EEE10hipError_tPvRmT3_T4_T5_T6_T7_T9_mT8_P12ihipStream_tbDpT10_ENKUlT_T0_E_clISt17integral_constantIbLb1EES1B_EEDaS16_S17_EUlS16_E_NS1_11comp_targetILNS1_3genE5ELNS1_11target_archE942ELNS1_3gpuE9ELNS1_3repE0EEENS1_30default_config_static_selectorELNS0_4arch9wavefront6targetE0EEEvT1_.has_indirect_call, 0
	.section	.AMDGPU.csdata,"",@progbits
; Kernel info:
; codeLenInByte = 0
; TotalNumSgprs: 0
; NumVgprs: 0
; ScratchSize: 0
; MemoryBound: 0
; FloatMode: 240
; IeeeMode: 1
; LDSByteSize: 0 bytes/workgroup (compile time only)
; SGPRBlocks: 0
; VGPRBlocks: 0
; NumSGPRsForWavesPerEU: 1
; NumVGPRsForWavesPerEU: 1
; Occupancy: 16
; WaveLimiterHint : 0
; COMPUTE_PGM_RSRC2:SCRATCH_EN: 0
; COMPUTE_PGM_RSRC2:USER_SGPR: 2
; COMPUTE_PGM_RSRC2:TRAP_HANDLER: 0
; COMPUTE_PGM_RSRC2:TGID_X_EN: 1
; COMPUTE_PGM_RSRC2:TGID_Y_EN: 0
; COMPUTE_PGM_RSRC2:TGID_Z_EN: 0
; COMPUTE_PGM_RSRC2:TIDIG_COMP_CNT: 0
	.section	.text._ZN7rocprim17ROCPRIM_400000_NS6detail17trampoline_kernelINS0_14default_configENS1_25partition_config_selectorILNS1_17partition_subalgoE5ElNS0_10empty_typeEbEEZZNS1_14partition_implILS5_5ELb0ES3_mN6hipcub16HIPCUB_304000_NS21CountingInputIteratorIllEEPS6_NSA_22TransformInputIteratorIbN2at6native12_GLOBAL__N_19NonZeroOpIfEEPKflEENS0_5tupleIJPlS6_EEENSN_IJSD_SD_EEES6_PiJS6_EEE10hipError_tPvRmT3_T4_T5_T6_T7_T9_mT8_P12ihipStream_tbDpT10_ENKUlT_T0_E_clISt17integral_constantIbLb1EES1B_EEDaS16_S17_EUlS16_E_NS1_11comp_targetILNS1_3genE4ELNS1_11target_archE910ELNS1_3gpuE8ELNS1_3repE0EEENS1_30default_config_static_selectorELNS0_4arch9wavefront6targetE0EEEvT1_,"axG",@progbits,_ZN7rocprim17ROCPRIM_400000_NS6detail17trampoline_kernelINS0_14default_configENS1_25partition_config_selectorILNS1_17partition_subalgoE5ElNS0_10empty_typeEbEEZZNS1_14partition_implILS5_5ELb0ES3_mN6hipcub16HIPCUB_304000_NS21CountingInputIteratorIllEEPS6_NSA_22TransformInputIteratorIbN2at6native12_GLOBAL__N_19NonZeroOpIfEEPKflEENS0_5tupleIJPlS6_EEENSN_IJSD_SD_EEES6_PiJS6_EEE10hipError_tPvRmT3_T4_T5_T6_T7_T9_mT8_P12ihipStream_tbDpT10_ENKUlT_T0_E_clISt17integral_constantIbLb1EES1B_EEDaS16_S17_EUlS16_E_NS1_11comp_targetILNS1_3genE4ELNS1_11target_archE910ELNS1_3gpuE8ELNS1_3repE0EEENS1_30default_config_static_selectorELNS0_4arch9wavefront6targetE0EEEvT1_,comdat
	.globl	_ZN7rocprim17ROCPRIM_400000_NS6detail17trampoline_kernelINS0_14default_configENS1_25partition_config_selectorILNS1_17partition_subalgoE5ElNS0_10empty_typeEbEEZZNS1_14partition_implILS5_5ELb0ES3_mN6hipcub16HIPCUB_304000_NS21CountingInputIteratorIllEEPS6_NSA_22TransformInputIteratorIbN2at6native12_GLOBAL__N_19NonZeroOpIfEEPKflEENS0_5tupleIJPlS6_EEENSN_IJSD_SD_EEES6_PiJS6_EEE10hipError_tPvRmT3_T4_T5_T6_T7_T9_mT8_P12ihipStream_tbDpT10_ENKUlT_T0_E_clISt17integral_constantIbLb1EES1B_EEDaS16_S17_EUlS16_E_NS1_11comp_targetILNS1_3genE4ELNS1_11target_archE910ELNS1_3gpuE8ELNS1_3repE0EEENS1_30default_config_static_selectorELNS0_4arch9wavefront6targetE0EEEvT1_ ; -- Begin function _ZN7rocprim17ROCPRIM_400000_NS6detail17trampoline_kernelINS0_14default_configENS1_25partition_config_selectorILNS1_17partition_subalgoE5ElNS0_10empty_typeEbEEZZNS1_14partition_implILS5_5ELb0ES3_mN6hipcub16HIPCUB_304000_NS21CountingInputIteratorIllEEPS6_NSA_22TransformInputIteratorIbN2at6native12_GLOBAL__N_19NonZeroOpIfEEPKflEENS0_5tupleIJPlS6_EEENSN_IJSD_SD_EEES6_PiJS6_EEE10hipError_tPvRmT3_T4_T5_T6_T7_T9_mT8_P12ihipStream_tbDpT10_ENKUlT_T0_E_clISt17integral_constantIbLb1EES1B_EEDaS16_S17_EUlS16_E_NS1_11comp_targetILNS1_3genE4ELNS1_11target_archE910ELNS1_3gpuE8ELNS1_3repE0EEENS1_30default_config_static_selectorELNS0_4arch9wavefront6targetE0EEEvT1_
	.p2align	8
	.type	_ZN7rocprim17ROCPRIM_400000_NS6detail17trampoline_kernelINS0_14default_configENS1_25partition_config_selectorILNS1_17partition_subalgoE5ElNS0_10empty_typeEbEEZZNS1_14partition_implILS5_5ELb0ES3_mN6hipcub16HIPCUB_304000_NS21CountingInputIteratorIllEEPS6_NSA_22TransformInputIteratorIbN2at6native12_GLOBAL__N_19NonZeroOpIfEEPKflEENS0_5tupleIJPlS6_EEENSN_IJSD_SD_EEES6_PiJS6_EEE10hipError_tPvRmT3_T4_T5_T6_T7_T9_mT8_P12ihipStream_tbDpT10_ENKUlT_T0_E_clISt17integral_constantIbLb1EES1B_EEDaS16_S17_EUlS16_E_NS1_11comp_targetILNS1_3genE4ELNS1_11target_archE910ELNS1_3gpuE8ELNS1_3repE0EEENS1_30default_config_static_selectorELNS0_4arch9wavefront6targetE0EEEvT1_,@function
_ZN7rocprim17ROCPRIM_400000_NS6detail17trampoline_kernelINS0_14default_configENS1_25partition_config_selectorILNS1_17partition_subalgoE5ElNS0_10empty_typeEbEEZZNS1_14partition_implILS5_5ELb0ES3_mN6hipcub16HIPCUB_304000_NS21CountingInputIteratorIllEEPS6_NSA_22TransformInputIteratorIbN2at6native12_GLOBAL__N_19NonZeroOpIfEEPKflEENS0_5tupleIJPlS6_EEENSN_IJSD_SD_EEES6_PiJS6_EEE10hipError_tPvRmT3_T4_T5_T6_T7_T9_mT8_P12ihipStream_tbDpT10_ENKUlT_T0_E_clISt17integral_constantIbLb1EES1B_EEDaS16_S17_EUlS16_E_NS1_11comp_targetILNS1_3genE4ELNS1_11target_archE910ELNS1_3gpuE8ELNS1_3repE0EEENS1_30default_config_static_selectorELNS0_4arch9wavefront6targetE0EEEvT1_: ; @_ZN7rocprim17ROCPRIM_400000_NS6detail17trampoline_kernelINS0_14default_configENS1_25partition_config_selectorILNS1_17partition_subalgoE5ElNS0_10empty_typeEbEEZZNS1_14partition_implILS5_5ELb0ES3_mN6hipcub16HIPCUB_304000_NS21CountingInputIteratorIllEEPS6_NSA_22TransformInputIteratorIbN2at6native12_GLOBAL__N_19NonZeroOpIfEEPKflEENS0_5tupleIJPlS6_EEENSN_IJSD_SD_EEES6_PiJS6_EEE10hipError_tPvRmT3_T4_T5_T6_T7_T9_mT8_P12ihipStream_tbDpT10_ENKUlT_T0_E_clISt17integral_constantIbLb1EES1B_EEDaS16_S17_EUlS16_E_NS1_11comp_targetILNS1_3genE4ELNS1_11target_archE910ELNS1_3gpuE8ELNS1_3repE0EEENS1_30default_config_static_selectorELNS0_4arch9wavefront6targetE0EEEvT1_
; %bb.0:
	.section	.rodata,"a",@progbits
	.p2align	6, 0x0
	.amdhsa_kernel _ZN7rocprim17ROCPRIM_400000_NS6detail17trampoline_kernelINS0_14default_configENS1_25partition_config_selectorILNS1_17partition_subalgoE5ElNS0_10empty_typeEbEEZZNS1_14partition_implILS5_5ELb0ES3_mN6hipcub16HIPCUB_304000_NS21CountingInputIteratorIllEEPS6_NSA_22TransformInputIteratorIbN2at6native12_GLOBAL__N_19NonZeroOpIfEEPKflEENS0_5tupleIJPlS6_EEENSN_IJSD_SD_EEES6_PiJS6_EEE10hipError_tPvRmT3_T4_T5_T6_T7_T9_mT8_P12ihipStream_tbDpT10_ENKUlT_T0_E_clISt17integral_constantIbLb1EES1B_EEDaS16_S17_EUlS16_E_NS1_11comp_targetILNS1_3genE4ELNS1_11target_archE910ELNS1_3gpuE8ELNS1_3repE0EEENS1_30default_config_static_selectorELNS0_4arch9wavefront6targetE0EEEvT1_
		.amdhsa_group_segment_fixed_size 0
		.amdhsa_private_segment_fixed_size 0
		.amdhsa_kernarg_size 136
		.amdhsa_user_sgpr_count 2
		.amdhsa_user_sgpr_dispatch_ptr 0
		.amdhsa_user_sgpr_queue_ptr 0
		.amdhsa_user_sgpr_kernarg_segment_ptr 1
		.amdhsa_user_sgpr_dispatch_id 0
		.amdhsa_user_sgpr_private_segment_size 0
		.amdhsa_wavefront_size32 1
		.amdhsa_uses_dynamic_stack 0
		.amdhsa_enable_private_segment 0
		.amdhsa_system_sgpr_workgroup_id_x 1
		.amdhsa_system_sgpr_workgroup_id_y 0
		.amdhsa_system_sgpr_workgroup_id_z 0
		.amdhsa_system_sgpr_workgroup_info 0
		.amdhsa_system_vgpr_workitem_id 0
		.amdhsa_next_free_vgpr 1
		.amdhsa_next_free_sgpr 1
		.amdhsa_reserve_vcc 0
		.amdhsa_float_round_mode_32 0
		.amdhsa_float_round_mode_16_64 0
		.amdhsa_float_denorm_mode_32 3
		.amdhsa_float_denorm_mode_16_64 3
		.amdhsa_fp16_overflow 0
		.amdhsa_workgroup_processor_mode 1
		.amdhsa_memory_ordered 1
		.amdhsa_forward_progress 1
		.amdhsa_inst_pref_size 0
		.amdhsa_round_robin_scheduling 0
		.amdhsa_exception_fp_ieee_invalid_op 0
		.amdhsa_exception_fp_denorm_src 0
		.amdhsa_exception_fp_ieee_div_zero 0
		.amdhsa_exception_fp_ieee_overflow 0
		.amdhsa_exception_fp_ieee_underflow 0
		.amdhsa_exception_fp_ieee_inexact 0
		.amdhsa_exception_int_div_zero 0
	.end_amdhsa_kernel
	.section	.text._ZN7rocprim17ROCPRIM_400000_NS6detail17trampoline_kernelINS0_14default_configENS1_25partition_config_selectorILNS1_17partition_subalgoE5ElNS0_10empty_typeEbEEZZNS1_14partition_implILS5_5ELb0ES3_mN6hipcub16HIPCUB_304000_NS21CountingInputIteratorIllEEPS6_NSA_22TransformInputIteratorIbN2at6native12_GLOBAL__N_19NonZeroOpIfEEPKflEENS0_5tupleIJPlS6_EEENSN_IJSD_SD_EEES6_PiJS6_EEE10hipError_tPvRmT3_T4_T5_T6_T7_T9_mT8_P12ihipStream_tbDpT10_ENKUlT_T0_E_clISt17integral_constantIbLb1EES1B_EEDaS16_S17_EUlS16_E_NS1_11comp_targetILNS1_3genE4ELNS1_11target_archE910ELNS1_3gpuE8ELNS1_3repE0EEENS1_30default_config_static_selectorELNS0_4arch9wavefront6targetE0EEEvT1_,"axG",@progbits,_ZN7rocprim17ROCPRIM_400000_NS6detail17trampoline_kernelINS0_14default_configENS1_25partition_config_selectorILNS1_17partition_subalgoE5ElNS0_10empty_typeEbEEZZNS1_14partition_implILS5_5ELb0ES3_mN6hipcub16HIPCUB_304000_NS21CountingInputIteratorIllEEPS6_NSA_22TransformInputIteratorIbN2at6native12_GLOBAL__N_19NonZeroOpIfEEPKflEENS0_5tupleIJPlS6_EEENSN_IJSD_SD_EEES6_PiJS6_EEE10hipError_tPvRmT3_T4_T5_T6_T7_T9_mT8_P12ihipStream_tbDpT10_ENKUlT_T0_E_clISt17integral_constantIbLb1EES1B_EEDaS16_S17_EUlS16_E_NS1_11comp_targetILNS1_3genE4ELNS1_11target_archE910ELNS1_3gpuE8ELNS1_3repE0EEENS1_30default_config_static_selectorELNS0_4arch9wavefront6targetE0EEEvT1_,comdat
.Lfunc_end468:
	.size	_ZN7rocprim17ROCPRIM_400000_NS6detail17trampoline_kernelINS0_14default_configENS1_25partition_config_selectorILNS1_17partition_subalgoE5ElNS0_10empty_typeEbEEZZNS1_14partition_implILS5_5ELb0ES3_mN6hipcub16HIPCUB_304000_NS21CountingInputIteratorIllEEPS6_NSA_22TransformInputIteratorIbN2at6native12_GLOBAL__N_19NonZeroOpIfEEPKflEENS0_5tupleIJPlS6_EEENSN_IJSD_SD_EEES6_PiJS6_EEE10hipError_tPvRmT3_T4_T5_T6_T7_T9_mT8_P12ihipStream_tbDpT10_ENKUlT_T0_E_clISt17integral_constantIbLb1EES1B_EEDaS16_S17_EUlS16_E_NS1_11comp_targetILNS1_3genE4ELNS1_11target_archE910ELNS1_3gpuE8ELNS1_3repE0EEENS1_30default_config_static_selectorELNS0_4arch9wavefront6targetE0EEEvT1_, .Lfunc_end468-_ZN7rocprim17ROCPRIM_400000_NS6detail17trampoline_kernelINS0_14default_configENS1_25partition_config_selectorILNS1_17partition_subalgoE5ElNS0_10empty_typeEbEEZZNS1_14partition_implILS5_5ELb0ES3_mN6hipcub16HIPCUB_304000_NS21CountingInputIteratorIllEEPS6_NSA_22TransformInputIteratorIbN2at6native12_GLOBAL__N_19NonZeroOpIfEEPKflEENS0_5tupleIJPlS6_EEENSN_IJSD_SD_EEES6_PiJS6_EEE10hipError_tPvRmT3_T4_T5_T6_T7_T9_mT8_P12ihipStream_tbDpT10_ENKUlT_T0_E_clISt17integral_constantIbLb1EES1B_EEDaS16_S17_EUlS16_E_NS1_11comp_targetILNS1_3genE4ELNS1_11target_archE910ELNS1_3gpuE8ELNS1_3repE0EEENS1_30default_config_static_selectorELNS0_4arch9wavefront6targetE0EEEvT1_
                                        ; -- End function
	.set _ZN7rocprim17ROCPRIM_400000_NS6detail17trampoline_kernelINS0_14default_configENS1_25partition_config_selectorILNS1_17partition_subalgoE5ElNS0_10empty_typeEbEEZZNS1_14partition_implILS5_5ELb0ES3_mN6hipcub16HIPCUB_304000_NS21CountingInputIteratorIllEEPS6_NSA_22TransformInputIteratorIbN2at6native12_GLOBAL__N_19NonZeroOpIfEEPKflEENS0_5tupleIJPlS6_EEENSN_IJSD_SD_EEES6_PiJS6_EEE10hipError_tPvRmT3_T4_T5_T6_T7_T9_mT8_P12ihipStream_tbDpT10_ENKUlT_T0_E_clISt17integral_constantIbLb1EES1B_EEDaS16_S17_EUlS16_E_NS1_11comp_targetILNS1_3genE4ELNS1_11target_archE910ELNS1_3gpuE8ELNS1_3repE0EEENS1_30default_config_static_selectorELNS0_4arch9wavefront6targetE0EEEvT1_.num_vgpr, 0
	.set _ZN7rocprim17ROCPRIM_400000_NS6detail17trampoline_kernelINS0_14default_configENS1_25partition_config_selectorILNS1_17partition_subalgoE5ElNS0_10empty_typeEbEEZZNS1_14partition_implILS5_5ELb0ES3_mN6hipcub16HIPCUB_304000_NS21CountingInputIteratorIllEEPS6_NSA_22TransformInputIteratorIbN2at6native12_GLOBAL__N_19NonZeroOpIfEEPKflEENS0_5tupleIJPlS6_EEENSN_IJSD_SD_EEES6_PiJS6_EEE10hipError_tPvRmT3_T4_T5_T6_T7_T9_mT8_P12ihipStream_tbDpT10_ENKUlT_T0_E_clISt17integral_constantIbLb1EES1B_EEDaS16_S17_EUlS16_E_NS1_11comp_targetILNS1_3genE4ELNS1_11target_archE910ELNS1_3gpuE8ELNS1_3repE0EEENS1_30default_config_static_selectorELNS0_4arch9wavefront6targetE0EEEvT1_.num_agpr, 0
	.set _ZN7rocprim17ROCPRIM_400000_NS6detail17trampoline_kernelINS0_14default_configENS1_25partition_config_selectorILNS1_17partition_subalgoE5ElNS0_10empty_typeEbEEZZNS1_14partition_implILS5_5ELb0ES3_mN6hipcub16HIPCUB_304000_NS21CountingInputIteratorIllEEPS6_NSA_22TransformInputIteratorIbN2at6native12_GLOBAL__N_19NonZeroOpIfEEPKflEENS0_5tupleIJPlS6_EEENSN_IJSD_SD_EEES6_PiJS6_EEE10hipError_tPvRmT3_T4_T5_T6_T7_T9_mT8_P12ihipStream_tbDpT10_ENKUlT_T0_E_clISt17integral_constantIbLb1EES1B_EEDaS16_S17_EUlS16_E_NS1_11comp_targetILNS1_3genE4ELNS1_11target_archE910ELNS1_3gpuE8ELNS1_3repE0EEENS1_30default_config_static_selectorELNS0_4arch9wavefront6targetE0EEEvT1_.numbered_sgpr, 0
	.set _ZN7rocprim17ROCPRIM_400000_NS6detail17trampoline_kernelINS0_14default_configENS1_25partition_config_selectorILNS1_17partition_subalgoE5ElNS0_10empty_typeEbEEZZNS1_14partition_implILS5_5ELb0ES3_mN6hipcub16HIPCUB_304000_NS21CountingInputIteratorIllEEPS6_NSA_22TransformInputIteratorIbN2at6native12_GLOBAL__N_19NonZeroOpIfEEPKflEENS0_5tupleIJPlS6_EEENSN_IJSD_SD_EEES6_PiJS6_EEE10hipError_tPvRmT3_T4_T5_T6_T7_T9_mT8_P12ihipStream_tbDpT10_ENKUlT_T0_E_clISt17integral_constantIbLb1EES1B_EEDaS16_S17_EUlS16_E_NS1_11comp_targetILNS1_3genE4ELNS1_11target_archE910ELNS1_3gpuE8ELNS1_3repE0EEENS1_30default_config_static_selectorELNS0_4arch9wavefront6targetE0EEEvT1_.num_named_barrier, 0
	.set _ZN7rocprim17ROCPRIM_400000_NS6detail17trampoline_kernelINS0_14default_configENS1_25partition_config_selectorILNS1_17partition_subalgoE5ElNS0_10empty_typeEbEEZZNS1_14partition_implILS5_5ELb0ES3_mN6hipcub16HIPCUB_304000_NS21CountingInputIteratorIllEEPS6_NSA_22TransformInputIteratorIbN2at6native12_GLOBAL__N_19NonZeroOpIfEEPKflEENS0_5tupleIJPlS6_EEENSN_IJSD_SD_EEES6_PiJS6_EEE10hipError_tPvRmT3_T4_T5_T6_T7_T9_mT8_P12ihipStream_tbDpT10_ENKUlT_T0_E_clISt17integral_constantIbLb1EES1B_EEDaS16_S17_EUlS16_E_NS1_11comp_targetILNS1_3genE4ELNS1_11target_archE910ELNS1_3gpuE8ELNS1_3repE0EEENS1_30default_config_static_selectorELNS0_4arch9wavefront6targetE0EEEvT1_.private_seg_size, 0
	.set _ZN7rocprim17ROCPRIM_400000_NS6detail17trampoline_kernelINS0_14default_configENS1_25partition_config_selectorILNS1_17partition_subalgoE5ElNS0_10empty_typeEbEEZZNS1_14partition_implILS5_5ELb0ES3_mN6hipcub16HIPCUB_304000_NS21CountingInputIteratorIllEEPS6_NSA_22TransformInputIteratorIbN2at6native12_GLOBAL__N_19NonZeroOpIfEEPKflEENS0_5tupleIJPlS6_EEENSN_IJSD_SD_EEES6_PiJS6_EEE10hipError_tPvRmT3_T4_T5_T6_T7_T9_mT8_P12ihipStream_tbDpT10_ENKUlT_T0_E_clISt17integral_constantIbLb1EES1B_EEDaS16_S17_EUlS16_E_NS1_11comp_targetILNS1_3genE4ELNS1_11target_archE910ELNS1_3gpuE8ELNS1_3repE0EEENS1_30default_config_static_selectorELNS0_4arch9wavefront6targetE0EEEvT1_.uses_vcc, 0
	.set _ZN7rocprim17ROCPRIM_400000_NS6detail17trampoline_kernelINS0_14default_configENS1_25partition_config_selectorILNS1_17partition_subalgoE5ElNS0_10empty_typeEbEEZZNS1_14partition_implILS5_5ELb0ES3_mN6hipcub16HIPCUB_304000_NS21CountingInputIteratorIllEEPS6_NSA_22TransformInputIteratorIbN2at6native12_GLOBAL__N_19NonZeroOpIfEEPKflEENS0_5tupleIJPlS6_EEENSN_IJSD_SD_EEES6_PiJS6_EEE10hipError_tPvRmT3_T4_T5_T6_T7_T9_mT8_P12ihipStream_tbDpT10_ENKUlT_T0_E_clISt17integral_constantIbLb1EES1B_EEDaS16_S17_EUlS16_E_NS1_11comp_targetILNS1_3genE4ELNS1_11target_archE910ELNS1_3gpuE8ELNS1_3repE0EEENS1_30default_config_static_selectorELNS0_4arch9wavefront6targetE0EEEvT1_.uses_flat_scratch, 0
	.set _ZN7rocprim17ROCPRIM_400000_NS6detail17trampoline_kernelINS0_14default_configENS1_25partition_config_selectorILNS1_17partition_subalgoE5ElNS0_10empty_typeEbEEZZNS1_14partition_implILS5_5ELb0ES3_mN6hipcub16HIPCUB_304000_NS21CountingInputIteratorIllEEPS6_NSA_22TransformInputIteratorIbN2at6native12_GLOBAL__N_19NonZeroOpIfEEPKflEENS0_5tupleIJPlS6_EEENSN_IJSD_SD_EEES6_PiJS6_EEE10hipError_tPvRmT3_T4_T5_T6_T7_T9_mT8_P12ihipStream_tbDpT10_ENKUlT_T0_E_clISt17integral_constantIbLb1EES1B_EEDaS16_S17_EUlS16_E_NS1_11comp_targetILNS1_3genE4ELNS1_11target_archE910ELNS1_3gpuE8ELNS1_3repE0EEENS1_30default_config_static_selectorELNS0_4arch9wavefront6targetE0EEEvT1_.has_dyn_sized_stack, 0
	.set _ZN7rocprim17ROCPRIM_400000_NS6detail17trampoline_kernelINS0_14default_configENS1_25partition_config_selectorILNS1_17partition_subalgoE5ElNS0_10empty_typeEbEEZZNS1_14partition_implILS5_5ELb0ES3_mN6hipcub16HIPCUB_304000_NS21CountingInputIteratorIllEEPS6_NSA_22TransformInputIteratorIbN2at6native12_GLOBAL__N_19NonZeroOpIfEEPKflEENS0_5tupleIJPlS6_EEENSN_IJSD_SD_EEES6_PiJS6_EEE10hipError_tPvRmT3_T4_T5_T6_T7_T9_mT8_P12ihipStream_tbDpT10_ENKUlT_T0_E_clISt17integral_constantIbLb1EES1B_EEDaS16_S17_EUlS16_E_NS1_11comp_targetILNS1_3genE4ELNS1_11target_archE910ELNS1_3gpuE8ELNS1_3repE0EEENS1_30default_config_static_selectorELNS0_4arch9wavefront6targetE0EEEvT1_.has_recursion, 0
	.set _ZN7rocprim17ROCPRIM_400000_NS6detail17trampoline_kernelINS0_14default_configENS1_25partition_config_selectorILNS1_17partition_subalgoE5ElNS0_10empty_typeEbEEZZNS1_14partition_implILS5_5ELb0ES3_mN6hipcub16HIPCUB_304000_NS21CountingInputIteratorIllEEPS6_NSA_22TransformInputIteratorIbN2at6native12_GLOBAL__N_19NonZeroOpIfEEPKflEENS0_5tupleIJPlS6_EEENSN_IJSD_SD_EEES6_PiJS6_EEE10hipError_tPvRmT3_T4_T5_T6_T7_T9_mT8_P12ihipStream_tbDpT10_ENKUlT_T0_E_clISt17integral_constantIbLb1EES1B_EEDaS16_S17_EUlS16_E_NS1_11comp_targetILNS1_3genE4ELNS1_11target_archE910ELNS1_3gpuE8ELNS1_3repE0EEENS1_30default_config_static_selectorELNS0_4arch9wavefront6targetE0EEEvT1_.has_indirect_call, 0
	.section	.AMDGPU.csdata,"",@progbits
; Kernel info:
; codeLenInByte = 0
; TotalNumSgprs: 0
; NumVgprs: 0
; ScratchSize: 0
; MemoryBound: 0
; FloatMode: 240
; IeeeMode: 1
; LDSByteSize: 0 bytes/workgroup (compile time only)
; SGPRBlocks: 0
; VGPRBlocks: 0
; NumSGPRsForWavesPerEU: 1
; NumVGPRsForWavesPerEU: 1
; Occupancy: 16
; WaveLimiterHint : 0
; COMPUTE_PGM_RSRC2:SCRATCH_EN: 0
; COMPUTE_PGM_RSRC2:USER_SGPR: 2
; COMPUTE_PGM_RSRC2:TRAP_HANDLER: 0
; COMPUTE_PGM_RSRC2:TGID_X_EN: 1
; COMPUTE_PGM_RSRC2:TGID_Y_EN: 0
; COMPUTE_PGM_RSRC2:TGID_Z_EN: 0
; COMPUTE_PGM_RSRC2:TIDIG_COMP_CNT: 0
	.section	.text._ZN7rocprim17ROCPRIM_400000_NS6detail17trampoline_kernelINS0_14default_configENS1_25partition_config_selectorILNS1_17partition_subalgoE5ElNS0_10empty_typeEbEEZZNS1_14partition_implILS5_5ELb0ES3_mN6hipcub16HIPCUB_304000_NS21CountingInputIteratorIllEEPS6_NSA_22TransformInputIteratorIbN2at6native12_GLOBAL__N_19NonZeroOpIfEEPKflEENS0_5tupleIJPlS6_EEENSN_IJSD_SD_EEES6_PiJS6_EEE10hipError_tPvRmT3_T4_T5_T6_T7_T9_mT8_P12ihipStream_tbDpT10_ENKUlT_T0_E_clISt17integral_constantIbLb1EES1B_EEDaS16_S17_EUlS16_E_NS1_11comp_targetILNS1_3genE3ELNS1_11target_archE908ELNS1_3gpuE7ELNS1_3repE0EEENS1_30default_config_static_selectorELNS0_4arch9wavefront6targetE0EEEvT1_,"axG",@progbits,_ZN7rocprim17ROCPRIM_400000_NS6detail17trampoline_kernelINS0_14default_configENS1_25partition_config_selectorILNS1_17partition_subalgoE5ElNS0_10empty_typeEbEEZZNS1_14partition_implILS5_5ELb0ES3_mN6hipcub16HIPCUB_304000_NS21CountingInputIteratorIllEEPS6_NSA_22TransformInputIteratorIbN2at6native12_GLOBAL__N_19NonZeroOpIfEEPKflEENS0_5tupleIJPlS6_EEENSN_IJSD_SD_EEES6_PiJS6_EEE10hipError_tPvRmT3_T4_T5_T6_T7_T9_mT8_P12ihipStream_tbDpT10_ENKUlT_T0_E_clISt17integral_constantIbLb1EES1B_EEDaS16_S17_EUlS16_E_NS1_11comp_targetILNS1_3genE3ELNS1_11target_archE908ELNS1_3gpuE7ELNS1_3repE0EEENS1_30default_config_static_selectorELNS0_4arch9wavefront6targetE0EEEvT1_,comdat
	.globl	_ZN7rocprim17ROCPRIM_400000_NS6detail17trampoline_kernelINS0_14default_configENS1_25partition_config_selectorILNS1_17partition_subalgoE5ElNS0_10empty_typeEbEEZZNS1_14partition_implILS5_5ELb0ES3_mN6hipcub16HIPCUB_304000_NS21CountingInputIteratorIllEEPS6_NSA_22TransformInputIteratorIbN2at6native12_GLOBAL__N_19NonZeroOpIfEEPKflEENS0_5tupleIJPlS6_EEENSN_IJSD_SD_EEES6_PiJS6_EEE10hipError_tPvRmT3_T4_T5_T6_T7_T9_mT8_P12ihipStream_tbDpT10_ENKUlT_T0_E_clISt17integral_constantIbLb1EES1B_EEDaS16_S17_EUlS16_E_NS1_11comp_targetILNS1_3genE3ELNS1_11target_archE908ELNS1_3gpuE7ELNS1_3repE0EEENS1_30default_config_static_selectorELNS0_4arch9wavefront6targetE0EEEvT1_ ; -- Begin function _ZN7rocprim17ROCPRIM_400000_NS6detail17trampoline_kernelINS0_14default_configENS1_25partition_config_selectorILNS1_17partition_subalgoE5ElNS0_10empty_typeEbEEZZNS1_14partition_implILS5_5ELb0ES3_mN6hipcub16HIPCUB_304000_NS21CountingInputIteratorIllEEPS6_NSA_22TransformInputIteratorIbN2at6native12_GLOBAL__N_19NonZeroOpIfEEPKflEENS0_5tupleIJPlS6_EEENSN_IJSD_SD_EEES6_PiJS6_EEE10hipError_tPvRmT3_T4_T5_T6_T7_T9_mT8_P12ihipStream_tbDpT10_ENKUlT_T0_E_clISt17integral_constantIbLb1EES1B_EEDaS16_S17_EUlS16_E_NS1_11comp_targetILNS1_3genE3ELNS1_11target_archE908ELNS1_3gpuE7ELNS1_3repE0EEENS1_30default_config_static_selectorELNS0_4arch9wavefront6targetE0EEEvT1_
	.p2align	8
	.type	_ZN7rocprim17ROCPRIM_400000_NS6detail17trampoline_kernelINS0_14default_configENS1_25partition_config_selectorILNS1_17partition_subalgoE5ElNS0_10empty_typeEbEEZZNS1_14partition_implILS5_5ELb0ES3_mN6hipcub16HIPCUB_304000_NS21CountingInputIteratorIllEEPS6_NSA_22TransformInputIteratorIbN2at6native12_GLOBAL__N_19NonZeroOpIfEEPKflEENS0_5tupleIJPlS6_EEENSN_IJSD_SD_EEES6_PiJS6_EEE10hipError_tPvRmT3_T4_T5_T6_T7_T9_mT8_P12ihipStream_tbDpT10_ENKUlT_T0_E_clISt17integral_constantIbLb1EES1B_EEDaS16_S17_EUlS16_E_NS1_11comp_targetILNS1_3genE3ELNS1_11target_archE908ELNS1_3gpuE7ELNS1_3repE0EEENS1_30default_config_static_selectorELNS0_4arch9wavefront6targetE0EEEvT1_,@function
_ZN7rocprim17ROCPRIM_400000_NS6detail17trampoline_kernelINS0_14default_configENS1_25partition_config_selectorILNS1_17partition_subalgoE5ElNS0_10empty_typeEbEEZZNS1_14partition_implILS5_5ELb0ES3_mN6hipcub16HIPCUB_304000_NS21CountingInputIteratorIllEEPS6_NSA_22TransformInputIteratorIbN2at6native12_GLOBAL__N_19NonZeroOpIfEEPKflEENS0_5tupleIJPlS6_EEENSN_IJSD_SD_EEES6_PiJS6_EEE10hipError_tPvRmT3_T4_T5_T6_T7_T9_mT8_P12ihipStream_tbDpT10_ENKUlT_T0_E_clISt17integral_constantIbLb1EES1B_EEDaS16_S17_EUlS16_E_NS1_11comp_targetILNS1_3genE3ELNS1_11target_archE908ELNS1_3gpuE7ELNS1_3repE0EEENS1_30default_config_static_selectorELNS0_4arch9wavefront6targetE0EEEvT1_: ; @_ZN7rocprim17ROCPRIM_400000_NS6detail17trampoline_kernelINS0_14default_configENS1_25partition_config_selectorILNS1_17partition_subalgoE5ElNS0_10empty_typeEbEEZZNS1_14partition_implILS5_5ELb0ES3_mN6hipcub16HIPCUB_304000_NS21CountingInputIteratorIllEEPS6_NSA_22TransformInputIteratorIbN2at6native12_GLOBAL__N_19NonZeroOpIfEEPKflEENS0_5tupleIJPlS6_EEENSN_IJSD_SD_EEES6_PiJS6_EEE10hipError_tPvRmT3_T4_T5_T6_T7_T9_mT8_P12ihipStream_tbDpT10_ENKUlT_T0_E_clISt17integral_constantIbLb1EES1B_EEDaS16_S17_EUlS16_E_NS1_11comp_targetILNS1_3genE3ELNS1_11target_archE908ELNS1_3gpuE7ELNS1_3repE0EEENS1_30default_config_static_selectorELNS0_4arch9wavefront6targetE0EEEvT1_
; %bb.0:
	.section	.rodata,"a",@progbits
	.p2align	6, 0x0
	.amdhsa_kernel _ZN7rocprim17ROCPRIM_400000_NS6detail17trampoline_kernelINS0_14default_configENS1_25partition_config_selectorILNS1_17partition_subalgoE5ElNS0_10empty_typeEbEEZZNS1_14partition_implILS5_5ELb0ES3_mN6hipcub16HIPCUB_304000_NS21CountingInputIteratorIllEEPS6_NSA_22TransformInputIteratorIbN2at6native12_GLOBAL__N_19NonZeroOpIfEEPKflEENS0_5tupleIJPlS6_EEENSN_IJSD_SD_EEES6_PiJS6_EEE10hipError_tPvRmT3_T4_T5_T6_T7_T9_mT8_P12ihipStream_tbDpT10_ENKUlT_T0_E_clISt17integral_constantIbLb1EES1B_EEDaS16_S17_EUlS16_E_NS1_11comp_targetILNS1_3genE3ELNS1_11target_archE908ELNS1_3gpuE7ELNS1_3repE0EEENS1_30default_config_static_selectorELNS0_4arch9wavefront6targetE0EEEvT1_
		.amdhsa_group_segment_fixed_size 0
		.amdhsa_private_segment_fixed_size 0
		.amdhsa_kernarg_size 136
		.amdhsa_user_sgpr_count 2
		.amdhsa_user_sgpr_dispatch_ptr 0
		.amdhsa_user_sgpr_queue_ptr 0
		.amdhsa_user_sgpr_kernarg_segment_ptr 1
		.amdhsa_user_sgpr_dispatch_id 0
		.amdhsa_user_sgpr_private_segment_size 0
		.amdhsa_wavefront_size32 1
		.amdhsa_uses_dynamic_stack 0
		.amdhsa_enable_private_segment 0
		.amdhsa_system_sgpr_workgroup_id_x 1
		.amdhsa_system_sgpr_workgroup_id_y 0
		.amdhsa_system_sgpr_workgroup_id_z 0
		.amdhsa_system_sgpr_workgroup_info 0
		.amdhsa_system_vgpr_workitem_id 0
		.amdhsa_next_free_vgpr 1
		.amdhsa_next_free_sgpr 1
		.amdhsa_reserve_vcc 0
		.amdhsa_float_round_mode_32 0
		.amdhsa_float_round_mode_16_64 0
		.amdhsa_float_denorm_mode_32 3
		.amdhsa_float_denorm_mode_16_64 3
		.amdhsa_fp16_overflow 0
		.amdhsa_workgroup_processor_mode 1
		.amdhsa_memory_ordered 1
		.amdhsa_forward_progress 1
		.amdhsa_inst_pref_size 0
		.amdhsa_round_robin_scheduling 0
		.amdhsa_exception_fp_ieee_invalid_op 0
		.amdhsa_exception_fp_denorm_src 0
		.amdhsa_exception_fp_ieee_div_zero 0
		.amdhsa_exception_fp_ieee_overflow 0
		.amdhsa_exception_fp_ieee_underflow 0
		.amdhsa_exception_fp_ieee_inexact 0
		.amdhsa_exception_int_div_zero 0
	.end_amdhsa_kernel
	.section	.text._ZN7rocprim17ROCPRIM_400000_NS6detail17trampoline_kernelINS0_14default_configENS1_25partition_config_selectorILNS1_17partition_subalgoE5ElNS0_10empty_typeEbEEZZNS1_14partition_implILS5_5ELb0ES3_mN6hipcub16HIPCUB_304000_NS21CountingInputIteratorIllEEPS6_NSA_22TransformInputIteratorIbN2at6native12_GLOBAL__N_19NonZeroOpIfEEPKflEENS0_5tupleIJPlS6_EEENSN_IJSD_SD_EEES6_PiJS6_EEE10hipError_tPvRmT3_T4_T5_T6_T7_T9_mT8_P12ihipStream_tbDpT10_ENKUlT_T0_E_clISt17integral_constantIbLb1EES1B_EEDaS16_S17_EUlS16_E_NS1_11comp_targetILNS1_3genE3ELNS1_11target_archE908ELNS1_3gpuE7ELNS1_3repE0EEENS1_30default_config_static_selectorELNS0_4arch9wavefront6targetE0EEEvT1_,"axG",@progbits,_ZN7rocprim17ROCPRIM_400000_NS6detail17trampoline_kernelINS0_14default_configENS1_25partition_config_selectorILNS1_17partition_subalgoE5ElNS0_10empty_typeEbEEZZNS1_14partition_implILS5_5ELb0ES3_mN6hipcub16HIPCUB_304000_NS21CountingInputIteratorIllEEPS6_NSA_22TransformInputIteratorIbN2at6native12_GLOBAL__N_19NonZeroOpIfEEPKflEENS0_5tupleIJPlS6_EEENSN_IJSD_SD_EEES6_PiJS6_EEE10hipError_tPvRmT3_T4_T5_T6_T7_T9_mT8_P12ihipStream_tbDpT10_ENKUlT_T0_E_clISt17integral_constantIbLb1EES1B_EEDaS16_S17_EUlS16_E_NS1_11comp_targetILNS1_3genE3ELNS1_11target_archE908ELNS1_3gpuE7ELNS1_3repE0EEENS1_30default_config_static_selectorELNS0_4arch9wavefront6targetE0EEEvT1_,comdat
.Lfunc_end469:
	.size	_ZN7rocprim17ROCPRIM_400000_NS6detail17trampoline_kernelINS0_14default_configENS1_25partition_config_selectorILNS1_17partition_subalgoE5ElNS0_10empty_typeEbEEZZNS1_14partition_implILS5_5ELb0ES3_mN6hipcub16HIPCUB_304000_NS21CountingInputIteratorIllEEPS6_NSA_22TransformInputIteratorIbN2at6native12_GLOBAL__N_19NonZeroOpIfEEPKflEENS0_5tupleIJPlS6_EEENSN_IJSD_SD_EEES6_PiJS6_EEE10hipError_tPvRmT3_T4_T5_T6_T7_T9_mT8_P12ihipStream_tbDpT10_ENKUlT_T0_E_clISt17integral_constantIbLb1EES1B_EEDaS16_S17_EUlS16_E_NS1_11comp_targetILNS1_3genE3ELNS1_11target_archE908ELNS1_3gpuE7ELNS1_3repE0EEENS1_30default_config_static_selectorELNS0_4arch9wavefront6targetE0EEEvT1_, .Lfunc_end469-_ZN7rocprim17ROCPRIM_400000_NS6detail17trampoline_kernelINS0_14default_configENS1_25partition_config_selectorILNS1_17partition_subalgoE5ElNS0_10empty_typeEbEEZZNS1_14partition_implILS5_5ELb0ES3_mN6hipcub16HIPCUB_304000_NS21CountingInputIteratorIllEEPS6_NSA_22TransformInputIteratorIbN2at6native12_GLOBAL__N_19NonZeroOpIfEEPKflEENS0_5tupleIJPlS6_EEENSN_IJSD_SD_EEES6_PiJS6_EEE10hipError_tPvRmT3_T4_T5_T6_T7_T9_mT8_P12ihipStream_tbDpT10_ENKUlT_T0_E_clISt17integral_constantIbLb1EES1B_EEDaS16_S17_EUlS16_E_NS1_11comp_targetILNS1_3genE3ELNS1_11target_archE908ELNS1_3gpuE7ELNS1_3repE0EEENS1_30default_config_static_selectorELNS0_4arch9wavefront6targetE0EEEvT1_
                                        ; -- End function
	.set _ZN7rocprim17ROCPRIM_400000_NS6detail17trampoline_kernelINS0_14default_configENS1_25partition_config_selectorILNS1_17partition_subalgoE5ElNS0_10empty_typeEbEEZZNS1_14partition_implILS5_5ELb0ES3_mN6hipcub16HIPCUB_304000_NS21CountingInputIteratorIllEEPS6_NSA_22TransformInputIteratorIbN2at6native12_GLOBAL__N_19NonZeroOpIfEEPKflEENS0_5tupleIJPlS6_EEENSN_IJSD_SD_EEES6_PiJS6_EEE10hipError_tPvRmT3_T4_T5_T6_T7_T9_mT8_P12ihipStream_tbDpT10_ENKUlT_T0_E_clISt17integral_constantIbLb1EES1B_EEDaS16_S17_EUlS16_E_NS1_11comp_targetILNS1_3genE3ELNS1_11target_archE908ELNS1_3gpuE7ELNS1_3repE0EEENS1_30default_config_static_selectorELNS0_4arch9wavefront6targetE0EEEvT1_.num_vgpr, 0
	.set _ZN7rocprim17ROCPRIM_400000_NS6detail17trampoline_kernelINS0_14default_configENS1_25partition_config_selectorILNS1_17partition_subalgoE5ElNS0_10empty_typeEbEEZZNS1_14partition_implILS5_5ELb0ES3_mN6hipcub16HIPCUB_304000_NS21CountingInputIteratorIllEEPS6_NSA_22TransformInputIteratorIbN2at6native12_GLOBAL__N_19NonZeroOpIfEEPKflEENS0_5tupleIJPlS6_EEENSN_IJSD_SD_EEES6_PiJS6_EEE10hipError_tPvRmT3_T4_T5_T6_T7_T9_mT8_P12ihipStream_tbDpT10_ENKUlT_T0_E_clISt17integral_constantIbLb1EES1B_EEDaS16_S17_EUlS16_E_NS1_11comp_targetILNS1_3genE3ELNS1_11target_archE908ELNS1_3gpuE7ELNS1_3repE0EEENS1_30default_config_static_selectorELNS0_4arch9wavefront6targetE0EEEvT1_.num_agpr, 0
	.set _ZN7rocprim17ROCPRIM_400000_NS6detail17trampoline_kernelINS0_14default_configENS1_25partition_config_selectorILNS1_17partition_subalgoE5ElNS0_10empty_typeEbEEZZNS1_14partition_implILS5_5ELb0ES3_mN6hipcub16HIPCUB_304000_NS21CountingInputIteratorIllEEPS6_NSA_22TransformInputIteratorIbN2at6native12_GLOBAL__N_19NonZeroOpIfEEPKflEENS0_5tupleIJPlS6_EEENSN_IJSD_SD_EEES6_PiJS6_EEE10hipError_tPvRmT3_T4_T5_T6_T7_T9_mT8_P12ihipStream_tbDpT10_ENKUlT_T0_E_clISt17integral_constantIbLb1EES1B_EEDaS16_S17_EUlS16_E_NS1_11comp_targetILNS1_3genE3ELNS1_11target_archE908ELNS1_3gpuE7ELNS1_3repE0EEENS1_30default_config_static_selectorELNS0_4arch9wavefront6targetE0EEEvT1_.numbered_sgpr, 0
	.set _ZN7rocprim17ROCPRIM_400000_NS6detail17trampoline_kernelINS0_14default_configENS1_25partition_config_selectorILNS1_17partition_subalgoE5ElNS0_10empty_typeEbEEZZNS1_14partition_implILS5_5ELb0ES3_mN6hipcub16HIPCUB_304000_NS21CountingInputIteratorIllEEPS6_NSA_22TransformInputIteratorIbN2at6native12_GLOBAL__N_19NonZeroOpIfEEPKflEENS0_5tupleIJPlS6_EEENSN_IJSD_SD_EEES6_PiJS6_EEE10hipError_tPvRmT3_T4_T5_T6_T7_T9_mT8_P12ihipStream_tbDpT10_ENKUlT_T0_E_clISt17integral_constantIbLb1EES1B_EEDaS16_S17_EUlS16_E_NS1_11comp_targetILNS1_3genE3ELNS1_11target_archE908ELNS1_3gpuE7ELNS1_3repE0EEENS1_30default_config_static_selectorELNS0_4arch9wavefront6targetE0EEEvT1_.num_named_barrier, 0
	.set _ZN7rocprim17ROCPRIM_400000_NS6detail17trampoline_kernelINS0_14default_configENS1_25partition_config_selectorILNS1_17partition_subalgoE5ElNS0_10empty_typeEbEEZZNS1_14partition_implILS5_5ELb0ES3_mN6hipcub16HIPCUB_304000_NS21CountingInputIteratorIllEEPS6_NSA_22TransformInputIteratorIbN2at6native12_GLOBAL__N_19NonZeroOpIfEEPKflEENS0_5tupleIJPlS6_EEENSN_IJSD_SD_EEES6_PiJS6_EEE10hipError_tPvRmT3_T4_T5_T6_T7_T9_mT8_P12ihipStream_tbDpT10_ENKUlT_T0_E_clISt17integral_constantIbLb1EES1B_EEDaS16_S17_EUlS16_E_NS1_11comp_targetILNS1_3genE3ELNS1_11target_archE908ELNS1_3gpuE7ELNS1_3repE0EEENS1_30default_config_static_selectorELNS0_4arch9wavefront6targetE0EEEvT1_.private_seg_size, 0
	.set _ZN7rocprim17ROCPRIM_400000_NS6detail17trampoline_kernelINS0_14default_configENS1_25partition_config_selectorILNS1_17partition_subalgoE5ElNS0_10empty_typeEbEEZZNS1_14partition_implILS5_5ELb0ES3_mN6hipcub16HIPCUB_304000_NS21CountingInputIteratorIllEEPS6_NSA_22TransformInputIteratorIbN2at6native12_GLOBAL__N_19NonZeroOpIfEEPKflEENS0_5tupleIJPlS6_EEENSN_IJSD_SD_EEES6_PiJS6_EEE10hipError_tPvRmT3_T4_T5_T6_T7_T9_mT8_P12ihipStream_tbDpT10_ENKUlT_T0_E_clISt17integral_constantIbLb1EES1B_EEDaS16_S17_EUlS16_E_NS1_11comp_targetILNS1_3genE3ELNS1_11target_archE908ELNS1_3gpuE7ELNS1_3repE0EEENS1_30default_config_static_selectorELNS0_4arch9wavefront6targetE0EEEvT1_.uses_vcc, 0
	.set _ZN7rocprim17ROCPRIM_400000_NS6detail17trampoline_kernelINS0_14default_configENS1_25partition_config_selectorILNS1_17partition_subalgoE5ElNS0_10empty_typeEbEEZZNS1_14partition_implILS5_5ELb0ES3_mN6hipcub16HIPCUB_304000_NS21CountingInputIteratorIllEEPS6_NSA_22TransformInputIteratorIbN2at6native12_GLOBAL__N_19NonZeroOpIfEEPKflEENS0_5tupleIJPlS6_EEENSN_IJSD_SD_EEES6_PiJS6_EEE10hipError_tPvRmT3_T4_T5_T6_T7_T9_mT8_P12ihipStream_tbDpT10_ENKUlT_T0_E_clISt17integral_constantIbLb1EES1B_EEDaS16_S17_EUlS16_E_NS1_11comp_targetILNS1_3genE3ELNS1_11target_archE908ELNS1_3gpuE7ELNS1_3repE0EEENS1_30default_config_static_selectorELNS0_4arch9wavefront6targetE0EEEvT1_.uses_flat_scratch, 0
	.set _ZN7rocprim17ROCPRIM_400000_NS6detail17trampoline_kernelINS0_14default_configENS1_25partition_config_selectorILNS1_17partition_subalgoE5ElNS0_10empty_typeEbEEZZNS1_14partition_implILS5_5ELb0ES3_mN6hipcub16HIPCUB_304000_NS21CountingInputIteratorIllEEPS6_NSA_22TransformInputIteratorIbN2at6native12_GLOBAL__N_19NonZeroOpIfEEPKflEENS0_5tupleIJPlS6_EEENSN_IJSD_SD_EEES6_PiJS6_EEE10hipError_tPvRmT3_T4_T5_T6_T7_T9_mT8_P12ihipStream_tbDpT10_ENKUlT_T0_E_clISt17integral_constantIbLb1EES1B_EEDaS16_S17_EUlS16_E_NS1_11comp_targetILNS1_3genE3ELNS1_11target_archE908ELNS1_3gpuE7ELNS1_3repE0EEENS1_30default_config_static_selectorELNS0_4arch9wavefront6targetE0EEEvT1_.has_dyn_sized_stack, 0
	.set _ZN7rocprim17ROCPRIM_400000_NS6detail17trampoline_kernelINS0_14default_configENS1_25partition_config_selectorILNS1_17partition_subalgoE5ElNS0_10empty_typeEbEEZZNS1_14partition_implILS5_5ELb0ES3_mN6hipcub16HIPCUB_304000_NS21CountingInputIteratorIllEEPS6_NSA_22TransformInputIteratorIbN2at6native12_GLOBAL__N_19NonZeroOpIfEEPKflEENS0_5tupleIJPlS6_EEENSN_IJSD_SD_EEES6_PiJS6_EEE10hipError_tPvRmT3_T4_T5_T6_T7_T9_mT8_P12ihipStream_tbDpT10_ENKUlT_T0_E_clISt17integral_constantIbLb1EES1B_EEDaS16_S17_EUlS16_E_NS1_11comp_targetILNS1_3genE3ELNS1_11target_archE908ELNS1_3gpuE7ELNS1_3repE0EEENS1_30default_config_static_selectorELNS0_4arch9wavefront6targetE0EEEvT1_.has_recursion, 0
	.set _ZN7rocprim17ROCPRIM_400000_NS6detail17trampoline_kernelINS0_14default_configENS1_25partition_config_selectorILNS1_17partition_subalgoE5ElNS0_10empty_typeEbEEZZNS1_14partition_implILS5_5ELb0ES3_mN6hipcub16HIPCUB_304000_NS21CountingInputIteratorIllEEPS6_NSA_22TransformInputIteratorIbN2at6native12_GLOBAL__N_19NonZeroOpIfEEPKflEENS0_5tupleIJPlS6_EEENSN_IJSD_SD_EEES6_PiJS6_EEE10hipError_tPvRmT3_T4_T5_T6_T7_T9_mT8_P12ihipStream_tbDpT10_ENKUlT_T0_E_clISt17integral_constantIbLb1EES1B_EEDaS16_S17_EUlS16_E_NS1_11comp_targetILNS1_3genE3ELNS1_11target_archE908ELNS1_3gpuE7ELNS1_3repE0EEENS1_30default_config_static_selectorELNS0_4arch9wavefront6targetE0EEEvT1_.has_indirect_call, 0
	.section	.AMDGPU.csdata,"",@progbits
; Kernel info:
; codeLenInByte = 0
; TotalNumSgprs: 0
; NumVgprs: 0
; ScratchSize: 0
; MemoryBound: 0
; FloatMode: 240
; IeeeMode: 1
; LDSByteSize: 0 bytes/workgroup (compile time only)
; SGPRBlocks: 0
; VGPRBlocks: 0
; NumSGPRsForWavesPerEU: 1
; NumVGPRsForWavesPerEU: 1
; Occupancy: 16
; WaveLimiterHint : 0
; COMPUTE_PGM_RSRC2:SCRATCH_EN: 0
; COMPUTE_PGM_RSRC2:USER_SGPR: 2
; COMPUTE_PGM_RSRC2:TRAP_HANDLER: 0
; COMPUTE_PGM_RSRC2:TGID_X_EN: 1
; COMPUTE_PGM_RSRC2:TGID_Y_EN: 0
; COMPUTE_PGM_RSRC2:TGID_Z_EN: 0
; COMPUTE_PGM_RSRC2:TIDIG_COMP_CNT: 0
	.section	.text._ZN7rocprim17ROCPRIM_400000_NS6detail17trampoline_kernelINS0_14default_configENS1_25partition_config_selectorILNS1_17partition_subalgoE5ElNS0_10empty_typeEbEEZZNS1_14partition_implILS5_5ELb0ES3_mN6hipcub16HIPCUB_304000_NS21CountingInputIteratorIllEEPS6_NSA_22TransformInputIteratorIbN2at6native12_GLOBAL__N_19NonZeroOpIfEEPKflEENS0_5tupleIJPlS6_EEENSN_IJSD_SD_EEES6_PiJS6_EEE10hipError_tPvRmT3_T4_T5_T6_T7_T9_mT8_P12ihipStream_tbDpT10_ENKUlT_T0_E_clISt17integral_constantIbLb1EES1B_EEDaS16_S17_EUlS16_E_NS1_11comp_targetILNS1_3genE2ELNS1_11target_archE906ELNS1_3gpuE6ELNS1_3repE0EEENS1_30default_config_static_selectorELNS0_4arch9wavefront6targetE0EEEvT1_,"axG",@progbits,_ZN7rocprim17ROCPRIM_400000_NS6detail17trampoline_kernelINS0_14default_configENS1_25partition_config_selectorILNS1_17partition_subalgoE5ElNS0_10empty_typeEbEEZZNS1_14partition_implILS5_5ELb0ES3_mN6hipcub16HIPCUB_304000_NS21CountingInputIteratorIllEEPS6_NSA_22TransformInputIteratorIbN2at6native12_GLOBAL__N_19NonZeroOpIfEEPKflEENS0_5tupleIJPlS6_EEENSN_IJSD_SD_EEES6_PiJS6_EEE10hipError_tPvRmT3_T4_T5_T6_T7_T9_mT8_P12ihipStream_tbDpT10_ENKUlT_T0_E_clISt17integral_constantIbLb1EES1B_EEDaS16_S17_EUlS16_E_NS1_11comp_targetILNS1_3genE2ELNS1_11target_archE906ELNS1_3gpuE6ELNS1_3repE0EEENS1_30default_config_static_selectorELNS0_4arch9wavefront6targetE0EEEvT1_,comdat
	.globl	_ZN7rocprim17ROCPRIM_400000_NS6detail17trampoline_kernelINS0_14default_configENS1_25partition_config_selectorILNS1_17partition_subalgoE5ElNS0_10empty_typeEbEEZZNS1_14partition_implILS5_5ELb0ES3_mN6hipcub16HIPCUB_304000_NS21CountingInputIteratorIllEEPS6_NSA_22TransformInputIteratorIbN2at6native12_GLOBAL__N_19NonZeroOpIfEEPKflEENS0_5tupleIJPlS6_EEENSN_IJSD_SD_EEES6_PiJS6_EEE10hipError_tPvRmT3_T4_T5_T6_T7_T9_mT8_P12ihipStream_tbDpT10_ENKUlT_T0_E_clISt17integral_constantIbLb1EES1B_EEDaS16_S17_EUlS16_E_NS1_11comp_targetILNS1_3genE2ELNS1_11target_archE906ELNS1_3gpuE6ELNS1_3repE0EEENS1_30default_config_static_selectorELNS0_4arch9wavefront6targetE0EEEvT1_ ; -- Begin function _ZN7rocprim17ROCPRIM_400000_NS6detail17trampoline_kernelINS0_14default_configENS1_25partition_config_selectorILNS1_17partition_subalgoE5ElNS0_10empty_typeEbEEZZNS1_14partition_implILS5_5ELb0ES3_mN6hipcub16HIPCUB_304000_NS21CountingInputIteratorIllEEPS6_NSA_22TransformInputIteratorIbN2at6native12_GLOBAL__N_19NonZeroOpIfEEPKflEENS0_5tupleIJPlS6_EEENSN_IJSD_SD_EEES6_PiJS6_EEE10hipError_tPvRmT3_T4_T5_T6_T7_T9_mT8_P12ihipStream_tbDpT10_ENKUlT_T0_E_clISt17integral_constantIbLb1EES1B_EEDaS16_S17_EUlS16_E_NS1_11comp_targetILNS1_3genE2ELNS1_11target_archE906ELNS1_3gpuE6ELNS1_3repE0EEENS1_30default_config_static_selectorELNS0_4arch9wavefront6targetE0EEEvT1_
	.p2align	8
	.type	_ZN7rocprim17ROCPRIM_400000_NS6detail17trampoline_kernelINS0_14default_configENS1_25partition_config_selectorILNS1_17partition_subalgoE5ElNS0_10empty_typeEbEEZZNS1_14partition_implILS5_5ELb0ES3_mN6hipcub16HIPCUB_304000_NS21CountingInputIteratorIllEEPS6_NSA_22TransformInputIteratorIbN2at6native12_GLOBAL__N_19NonZeroOpIfEEPKflEENS0_5tupleIJPlS6_EEENSN_IJSD_SD_EEES6_PiJS6_EEE10hipError_tPvRmT3_T4_T5_T6_T7_T9_mT8_P12ihipStream_tbDpT10_ENKUlT_T0_E_clISt17integral_constantIbLb1EES1B_EEDaS16_S17_EUlS16_E_NS1_11comp_targetILNS1_3genE2ELNS1_11target_archE906ELNS1_3gpuE6ELNS1_3repE0EEENS1_30default_config_static_selectorELNS0_4arch9wavefront6targetE0EEEvT1_,@function
_ZN7rocprim17ROCPRIM_400000_NS6detail17trampoline_kernelINS0_14default_configENS1_25partition_config_selectorILNS1_17partition_subalgoE5ElNS0_10empty_typeEbEEZZNS1_14partition_implILS5_5ELb0ES3_mN6hipcub16HIPCUB_304000_NS21CountingInputIteratorIllEEPS6_NSA_22TransformInputIteratorIbN2at6native12_GLOBAL__N_19NonZeroOpIfEEPKflEENS0_5tupleIJPlS6_EEENSN_IJSD_SD_EEES6_PiJS6_EEE10hipError_tPvRmT3_T4_T5_T6_T7_T9_mT8_P12ihipStream_tbDpT10_ENKUlT_T0_E_clISt17integral_constantIbLb1EES1B_EEDaS16_S17_EUlS16_E_NS1_11comp_targetILNS1_3genE2ELNS1_11target_archE906ELNS1_3gpuE6ELNS1_3repE0EEENS1_30default_config_static_selectorELNS0_4arch9wavefront6targetE0EEEvT1_: ; @_ZN7rocprim17ROCPRIM_400000_NS6detail17trampoline_kernelINS0_14default_configENS1_25partition_config_selectorILNS1_17partition_subalgoE5ElNS0_10empty_typeEbEEZZNS1_14partition_implILS5_5ELb0ES3_mN6hipcub16HIPCUB_304000_NS21CountingInputIteratorIllEEPS6_NSA_22TransformInputIteratorIbN2at6native12_GLOBAL__N_19NonZeroOpIfEEPKflEENS0_5tupleIJPlS6_EEENSN_IJSD_SD_EEES6_PiJS6_EEE10hipError_tPvRmT3_T4_T5_T6_T7_T9_mT8_P12ihipStream_tbDpT10_ENKUlT_T0_E_clISt17integral_constantIbLb1EES1B_EEDaS16_S17_EUlS16_E_NS1_11comp_targetILNS1_3genE2ELNS1_11target_archE906ELNS1_3gpuE6ELNS1_3repE0EEENS1_30default_config_static_selectorELNS0_4arch9wavefront6targetE0EEEvT1_
; %bb.0:
	.section	.rodata,"a",@progbits
	.p2align	6, 0x0
	.amdhsa_kernel _ZN7rocprim17ROCPRIM_400000_NS6detail17trampoline_kernelINS0_14default_configENS1_25partition_config_selectorILNS1_17partition_subalgoE5ElNS0_10empty_typeEbEEZZNS1_14partition_implILS5_5ELb0ES3_mN6hipcub16HIPCUB_304000_NS21CountingInputIteratorIllEEPS6_NSA_22TransformInputIteratorIbN2at6native12_GLOBAL__N_19NonZeroOpIfEEPKflEENS0_5tupleIJPlS6_EEENSN_IJSD_SD_EEES6_PiJS6_EEE10hipError_tPvRmT3_T4_T5_T6_T7_T9_mT8_P12ihipStream_tbDpT10_ENKUlT_T0_E_clISt17integral_constantIbLb1EES1B_EEDaS16_S17_EUlS16_E_NS1_11comp_targetILNS1_3genE2ELNS1_11target_archE906ELNS1_3gpuE6ELNS1_3repE0EEENS1_30default_config_static_selectorELNS0_4arch9wavefront6targetE0EEEvT1_
		.amdhsa_group_segment_fixed_size 0
		.amdhsa_private_segment_fixed_size 0
		.amdhsa_kernarg_size 136
		.amdhsa_user_sgpr_count 2
		.amdhsa_user_sgpr_dispatch_ptr 0
		.amdhsa_user_sgpr_queue_ptr 0
		.amdhsa_user_sgpr_kernarg_segment_ptr 1
		.amdhsa_user_sgpr_dispatch_id 0
		.amdhsa_user_sgpr_private_segment_size 0
		.amdhsa_wavefront_size32 1
		.amdhsa_uses_dynamic_stack 0
		.amdhsa_enable_private_segment 0
		.amdhsa_system_sgpr_workgroup_id_x 1
		.amdhsa_system_sgpr_workgroup_id_y 0
		.amdhsa_system_sgpr_workgroup_id_z 0
		.amdhsa_system_sgpr_workgroup_info 0
		.amdhsa_system_vgpr_workitem_id 0
		.amdhsa_next_free_vgpr 1
		.amdhsa_next_free_sgpr 1
		.amdhsa_reserve_vcc 0
		.amdhsa_float_round_mode_32 0
		.amdhsa_float_round_mode_16_64 0
		.amdhsa_float_denorm_mode_32 3
		.amdhsa_float_denorm_mode_16_64 3
		.amdhsa_fp16_overflow 0
		.amdhsa_workgroup_processor_mode 1
		.amdhsa_memory_ordered 1
		.amdhsa_forward_progress 1
		.amdhsa_inst_pref_size 0
		.amdhsa_round_robin_scheduling 0
		.amdhsa_exception_fp_ieee_invalid_op 0
		.amdhsa_exception_fp_denorm_src 0
		.amdhsa_exception_fp_ieee_div_zero 0
		.amdhsa_exception_fp_ieee_overflow 0
		.amdhsa_exception_fp_ieee_underflow 0
		.amdhsa_exception_fp_ieee_inexact 0
		.amdhsa_exception_int_div_zero 0
	.end_amdhsa_kernel
	.section	.text._ZN7rocprim17ROCPRIM_400000_NS6detail17trampoline_kernelINS0_14default_configENS1_25partition_config_selectorILNS1_17partition_subalgoE5ElNS0_10empty_typeEbEEZZNS1_14partition_implILS5_5ELb0ES3_mN6hipcub16HIPCUB_304000_NS21CountingInputIteratorIllEEPS6_NSA_22TransformInputIteratorIbN2at6native12_GLOBAL__N_19NonZeroOpIfEEPKflEENS0_5tupleIJPlS6_EEENSN_IJSD_SD_EEES6_PiJS6_EEE10hipError_tPvRmT3_T4_T5_T6_T7_T9_mT8_P12ihipStream_tbDpT10_ENKUlT_T0_E_clISt17integral_constantIbLb1EES1B_EEDaS16_S17_EUlS16_E_NS1_11comp_targetILNS1_3genE2ELNS1_11target_archE906ELNS1_3gpuE6ELNS1_3repE0EEENS1_30default_config_static_selectorELNS0_4arch9wavefront6targetE0EEEvT1_,"axG",@progbits,_ZN7rocprim17ROCPRIM_400000_NS6detail17trampoline_kernelINS0_14default_configENS1_25partition_config_selectorILNS1_17partition_subalgoE5ElNS0_10empty_typeEbEEZZNS1_14partition_implILS5_5ELb0ES3_mN6hipcub16HIPCUB_304000_NS21CountingInputIteratorIllEEPS6_NSA_22TransformInputIteratorIbN2at6native12_GLOBAL__N_19NonZeroOpIfEEPKflEENS0_5tupleIJPlS6_EEENSN_IJSD_SD_EEES6_PiJS6_EEE10hipError_tPvRmT3_T4_T5_T6_T7_T9_mT8_P12ihipStream_tbDpT10_ENKUlT_T0_E_clISt17integral_constantIbLb1EES1B_EEDaS16_S17_EUlS16_E_NS1_11comp_targetILNS1_3genE2ELNS1_11target_archE906ELNS1_3gpuE6ELNS1_3repE0EEENS1_30default_config_static_selectorELNS0_4arch9wavefront6targetE0EEEvT1_,comdat
.Lfunc_end470:
	.size	_ZN7rocprim17ROCPRIM_400000_NS6detail17trampoline_kernelINS0_14default_configENS1_25partition_config_selectorILNS1_17partition_subalgoE5ElNS0_10empty_typeEbEEZZNS1_14partition_implILS5_5ELb0ES3_mN6hipcub16HIPCUB_304000_NS21CountingInputIteratorIllEEPS6_NSA_22TransformInputIteratorIbN2at6native12_GLOBAL__N_19NonZeroOpIfEEPKflEENS0_5tupleIJPlS6_EEENSN_IJSD_SD_EEES6_PiJS6_EEE10hipError_tPvRmT3_T4_T5_T6_T7_T9_mT8_P12ihipStream_tbDpT10_ENKUlT_T0_E_clISt17integral_constantIbLb1EES1B_EEDaS16_S17_EUlS16_E_NS1_11comp_targetILNS1_3genE2ELNS1_11target_archE906ELNS1_3gpuE6ELNS1_3repE0EEENS1_30default_config_static_selectorELNS0_4arch9wavefront6targetE0EEEvT1_, .Lfunc_end470-_ZN7rocprim17ROCPRIM_400000_NS6detail17trampoline_kernelINS0_14default_configENS1_25partition_config_selectorILNS1_17partition_subalgoE5ElNS0_10empty_typeEbEEZZNS1_14partition_implILS5_5ELb0ES3_mN6hipcub16HIPCUB_304000_NS21CountingInputIteratorIllEEPS6_NSA_22TransformInputIteratorIbN2at6native12_GLOBAL__N_19NonZeroOpIfEEPKflEENS0_5tupleIJPlS6_EEENSN_IJSD_SD_EEES6_PiJS6_EEE10hipError_tPvRmT3_T4_T5_T6_T7_T9_mT8_P12ihipStream_tbDpT10_ENKUlT_T0_E_clISt17integral_constantIbLb1EES1B_EEDaS16_S17_EUlS16_E_NS1_11comp_targetILNS1_3genE2ELNS1_11target_archE906ELNS1_3gpuE6ELNS1_3repE0EEENS1_30default_config_static_selectorELNS0_4arch9wavefront6targetE0EEEvT1_
                                        ; -- End function
	.set _ZN7rocprim17ROCPRIM_400000_NS6detail17trampoline_kernelINS0_14default_configENS1_25partition_config_selectorILNS1_17partition_subalgoE5ElNS0_10empty_typeEbEEZZNS1_14partition_implILS5_5ELb0ES3_mN6hipcub16HIPCUB_304000_NS21CountingInputIteratorIllEEPS6_NSA_22TransformInputIteratorIbN2at6native12_GLOBAL__N_19NonZeroOpIfEEPKflEENS0_5tupleIJPlS6_EEENSN_IJSD_SD_EEES6_PiJS6_EEE10hipError_tPvRmT3_T4_T5_T6_T7_T9_mT8_P12ihipStream_tbDpT10_ENKUlT_T0_E_clISt17integral_constantIbLb1EES1B_EEDaS16_S17_EUlS16_E_NS1_11comp_targetILNS1_3genE2ELNS1_11target_archE906ELNS1_3gpuE6ELNS1_3repE0EEENS1_30default_config_static_selectorELNS0_4arch9wavefront6targetE0EEEvT1_.num_vgpr, 0
	.set _ZN7rocprim17ROCPRIM_400000_NS6detail17trampoline_kernelINS0_14default_configENS1_25partition_config_selectorILNS1_17partition_subalgoE5ElNS0_10empty_typeEbEEZZNS1_14partition_implILS5_5ELb0ES3_mN6hipcub16HIPCUB_304000_NS21CountingInputIteratorIllEEPS6_NSA_22TransformInputIteratorIbN2at6native12_GLOBAL__N_19NonZeroOpIfEEPKflEENS0_5tupleIJPlS6_EEENSN_IJSD_SD_EEES6_PiJS6_EEE10hipError_tPvRmT3_T4_T5_T6_T7_T9_mT8_P12ihipStream_tbDpT10_ENKUlT_T0_E_clISt17integral_constantIbLb1EES1B_EEDaS16_S17_EUlS16_E_NS1_11comp_targetILNS1_3genE2ELNS1_11target_archE906ELNS1_3gpuE6ELNS1_3repE0EEENS1_30default_config_static_selectorELNS0_4arch9wavefront6targetE0EEEvT1_.num_agpr, 0
	.set _ZN7rocprim17ROCPRIM_400000_NS6detail17trampoline_kernelINS0_14default_configENS1_25partition_config_selectorILNS1_17partition_subalgoE5ElNS0_10empty_typeEbEEZZNS1_14partition_implILS5_5ELb0ES3_mN6hipcub16HIPCUB_304000_NS21CountingInputIteratorIllEEPS6_NSA_22TransformInputIteratorIbN2at6native12_GLOBAL__N_19NonZeroOpIfEEPKflEENS0_5tupleIJPlS6_EEENSN_IJSD_SD_EEES6_PiJS6_EEE10hipError_tPvRmT3_T4_T5_T6_T7_T9_mT8_P12ihipStream_tbDpT10_ENKUlT_T0_E_clISt17integral_constantIbLb1EES1B_EEDaS16_S17_EUlS16_E_NS1_11comp_targetILNS1_3genE2ELNS1_11target_archE906ELNS1_3gpuE6ELNS1_3repE0EEENS1_30default_config_static_selectorELNS0_4arch9wavefront6targetE0EEEvT1_.numbered_sgpr, 0
	.set _ZN7rocprim17ROCPRIM_400000_NS6detail17trampoline_kernelINS0_14default_configENS1_25partition_config_selectorILNS1_17partition_subalgoE5ElNS0_10empty_typeEbEEZZNS1_14partition_implILS5_5ELb0ES3_mN6hipcub16HIPCUB_304000_NS21CountingInputIteratorIllEEPS6_NSA_22TransformInputIteratorIbN2at6native12_GLOBAL__N_19NonZeroOpIfEEPKflEENS0_5tupleIJPlS6_EEENSN_IJSD_SD_EEES6_PiJS6_EEE10hipError_tPvRmT3_T4_T5_T6_T7_T9_mT8_P12ihipStream_tbDpT10_ENKUlT_T0_E_clISt17integral_constantIbLb1EES1B_EEDaS16_S17_EUlS16_E_NS1_11comp_targetILNS1_3genE2ELNS1_11target_archE906ELNS1_3gpuE6ELNS1_3repE0EEENS1_30default_config_static_selectorELNS0_4arch9wavefront6targetE0EEEvT1_.num_named_barrier, 0
	.set _ZN7rocprim17ROCPRIM_400000_NS6detail17trampoline_kernelINS0_14default_configENS1_25partition_config_selectorILNS1_17partition_subalgoE5ElNS0_10empty_typeEbEEZZNS1_14partition_implILS5_5ELb0ES3_mN6hipcub16HIPCUB_304000_NS21CountingInputIteratorIllEEPS6_NSA_22TransformInputIteratorIbN2at6native12_GLOBAL__N_19NonZeroOpIfEEPKflEENS0_5tupleIJPlS6_EEENSN_IJSD_SD_EEES6_PiJS6_EEE10hipError_tPvRmT3_T4_T5_T6_T7_T9_mT8_P12ihipStream_tbDpT10_ENKUlT_T0_E_clISt17integral_constantIbLb1EES1B_EEDaS16_S17_EUlS16_E_NS1_11comp_targetILNS1_3genE2ELNS1_11target_archE906ELNS1_3gpuE6ELNS1_3repE0EEENS1_30default_config_static_selectorELNS0_4arch9wavefront6targetE0EEEvT1_.private_seg_size, 0
	.set _ZN7rocprim17ROCPRIM_400000_NS6detail17trampoline_kernelINS0_14default_configENS1_25partition_config_selectorILNS1_17partition_subalgoE5ElNS0_10empty_typeEbEEZZNS1_14partition_implILS5_5ELb0ES3_mN6hipcub16HIPCUB_304000_NS21CountingInputIteratorIllEEPS6_NSA_22TransformInputIteratorIbN2at6native12_GLOBAL__N_19NonZeroOpIfEEPKflEENS0_5tupleIJPlS6_EEENSN_IJSD_SD_EEES6_PiJS6_EEE10hipError_tPvRmT3_T4_T5_T6_T7_T9_mT8_P12ihipStream_tbDpT10_ENKUlT_T0_E_clISt17integral_constantIbLb1EES1B_EEDaS16_S17_EUlS16_E_NS1_11comp_targetILNS1_3genE2ELNS1_11target_archE906ELNS1_3gpuE6ELNS1_3repE0EEENS1_30default_config_static_selectorELNS0_4arch9wavefront6targetE0EEEvT1_.uses_vcc, 0
	.set _ZN7rocprim17ROCPRIM_400000_NS6detail17trampoline_kernelINS0_14default_configENS1_25partition_config_selectorILNS1_17partition_subalgoE5ElNS0_10empty_typeEbEEZZNS1_14partition_implILS5_5ELb0ES3_mN6hipcub16HIPCUB_304000_NS21CountingInputIteratorIllEEPS6_NSA_22TransformInputIteratorIbN2at6native12_GLOBAL__N_19NonZeroOpIfEEPKflEENS0_5tupleIJPlS6_EEENSN_IJSD_SD_EEES6_PiJS6_EEE10hipError_tPvRmT3_T4_T5_T6_T7_T9_mT8_P12ihipStream_tbDpT10_ENKUlT_T0_E_clISt17integral_constantIbLb1EES1B_EEDaS16_S17_EUlS16_E_NS1_11comp_targetILNS1_3genE2ELNS1_11target_archE906ELNS1_3gpuE6ELNS1_3repE0EEENS1_30default_config_static_selectorELNS0_4arch9wavefront6targetE0EEEvT1_.uses_flat_scratch, 0
	.set _ZN7rocprim17ROCPRIM_400000_NS6detail17trampoline_kernelINS0_14default_configENS1_25partition_config_selectorILNS1_17partition_subalgoE5ElNS0_10empty_typeEbEEZZNS1_14partition_implILS5_5ELb0ES3_mN6hipcub16HIPCUB_304000_NS21CountingInputIteratorIllEEPS6_NSA_22TransformInputIteratorIbN2at6native12_GLOBAL__N_19NonZeroOpIfEEPKflEENS0_5tupleIJPlS6_EEENSN_IJSD_SD_EEES6_PiJS6_EEE10hipError_tPvRmT3_T4_T5_T6_T7_T9_mT8_P12ihipStream_tbDpT10_ENKUlT_T0_E_clISt17integral_constantIbLb1EES1B_EEDaS16_S17_EUlS16_E_NS1_11comp_targetILNS1_3genE2ELNS1_11target_archE906ELNS1_3gpuE6ELNS1_3repE0EEENS1_30default_config_static_selectorELNS0_4arch9wavefront6targetE0EEEvT1_.has_dyn_sized_stack, 0
	.set _ZN7rocprim17ROCPRIM_400000_NS6detail17trampoline_kernelINS0_14default_configENS1_25partition_config_selectorILNS1_17partition_subalgoE5ElNS0_10empty_typeEbEEZZNS1_14partition_implILS5_5ELb0ES3_mN6hipcub16HIPCUB_304000_NS21CountingInputIteratorIllEEPS6_NSA_22TransformInputIteratorIbN2at6native12_GLOBAL__N_19NonZeroOpIfEEPKflEENS0_5tupleIJPlS6_EEENSN_IJSD_SD_EEES6_PiJS6_EEE10hipError_tPvRmT3_T4_T5_T6_T7_T9_mT8_P12ihipStream_tbDpT10_ENKUlT_T0_E_clISt17integral_constantIbLb1EES1B_EEDaS16_S17_EUlS16_E_NS1_11comp_targetILNS1_3genE2ELNS1_11target_archE906ELNS1_3gpuE6ELNS1_3repE0EEENS1_30default_config_static_selectorELNS0_4arch9wavefront6targetE0EEEvT1_.has_recursion, 0
	.set _ZN7rocprim17ROCPRIM_400000_NS6detail17trampoline_kernelINS0_14default_configENS1_25partition_config_selectorILNS1_17partition_subalgoE5ElNS0_10empty_typeEbEEZZNS1_14partition_implILS5_5ELb0ES3_mN6hipcub16HIPCUB_304000_NS21CountingInputIteratorIllEEPS6_NSA_22TransformInputIteratorIbN2at6native12_GLOBAL__N_19NonZeroOpIfEEPKflEENS0_5tupleIJPlS6_EEENSN_IJSD_SD_EEES6_PiJS6_EEE10hipError_tPvRmT3_T4_T5_T6_T7_T9_mT8_P12ihipStream_tbDpT10_ENKUlT_T0_E_clISt17integral_constantIbLb1EES1B_EEDaS16_S17_EUlS16_E_NS1_11comp_targetILNS1_3genE2ELNS1_11target_archE906ELNS1_3gpuE6ELNS1_3repE0EEENS1_30default_config_static_selectorELNS0_4arch9wavefront6targetE0EEEvT1_.has_indirect_call, 0
	.section	.AMDGPU.csdata,"",@progbits
; Kernel info:
; codeLenInByte = 0
; TotalNumSgprs: 0
; NumVgprs: 0
; ScratchSize: 0
; MemoryBound: 0
; FloatMode: 240
; IeeeMode: 1
; LDSByteSize: 0 bytes/workgroup (compile time only)
; SGPRBlocks: 0
; VGPRBlocks: 0
; NumSGPRsForWavesPerEU: 1
; NumVGPRsForWavesPerEU: 1
; Occupancy: 16
; WaveLimiterHint : 0
; COMPUTE_PGM_RSRC2:SCRATCH_EN: 0
; COMPUTE_PGM_RSRC2:USER_SGPR: 2
; COMPUTE_PGM_RSRC2:TRAP_HANDLER: 0
; COMPUTE_PGM_RSRC2:TGID_X_EN: 1
; COMPUTE_PGM_RSRC2:TGID_Y_EN: 0
; COMPUTE_PGM_RSRC2:TGID_Z_EN: 0
; COMPUTE_PGM_RSRC2:TIDIG_COMP_CNT: 0
	.section	.text._ZN7rocprim17ROCPRIM_400000_NS6detail17trampoline_kernelINS0_14default_configENS1_25partition_config_selectorILNS1_17partition_subalgoE5ElNS0_10empty_typeEbEEZZNS1_14partition_implILS5_5ELb0ES3_mN6hipcub16HIPCUB_304000_NS21CountingInputIteratorIllEEPS6_NSA_22TransformInputIteratorIbN2at6native12_GLOBAL__N_19NonZeroOpIfEEPKflEENS0_5tupleIJPlS6_EEENSN_IJSD_SD_EEES6_PiJS6_EEE10hipError_tPvRmT3_T4_T5_T6_T7_T9_mT8_P12ihipStream_tbDpT10_ENKUlT_T0_E_clISt17integral_constantIbLb1EES1B_EEDaS16_S17_EUlS16_E_NS1_11comp_targetILNS1_3genE10ELNS1_11target_archE1200ELNS1_3gpuE4ELNS1_3repE0EEENS1_30default_config_static_selectorELNS0_4arch9wavefront6targetE0EEEvT1_,"axG",@progbits,_ZN7rocprim17ROCPRIM_400000_NS6detail17trampoline_kernelINS0_14default_configENS1_25partition_config_selectorILNS1_17partition_subalgoE5ElNS0_10empty_typeEbEEZZNS1_14partition_implILS5_5ELb0ES3_mN6hipcub16HIPCUB_304000_NS21CountingInputIteratorIllEEPS6_NSA_22TransformInputIteratorIbN2at6native12_GLOBAL__N_19NonZeroOpIfEEPKflEENS0_5tupleIJPlS6_EEENSN_IJSD_SD_EEES6_PiJS6_EEE10hipError_tPvRmT3_T4_T5_T6_T7_T9_mT8_P12ihipStream_tbDpT10_ENKUlT_T0_E_clISt17integral_constantIbLb1EES1B_EEDaS16_S17_EUlS16_E_NS1_11comp_targetILNS1_3genE10ELNS1_11target_archE1200ELNS1_3gpuE4ELNS1_3repE0EEENS1_30default_config_static_selectorELNS0_4arch9wavefront6targetE0EEEvT1_,comdat
	.globl	_ZN7rocprim17ROCPRIM_400000_NS6detail17trampoline_kernelINS0_14default_configENS1_25partition_config_selectorILNS1_17partition_subalgoE5ElNS0_10empty_typeEbEEZZNS1_14partition_implILS5_5ELb0ES3_mN6hipcub16HIPCUB_304000_NS21CountingInputIteratorIllEEPS6_NSA_22TransformInputIteratorIbN2at6native12_GLOBAL__N_19NonZeroOpIfEEPKflEENS0_5tupleIJPlS6_EEENSN_IJSD_SD_EEES6_PiJS6_EEE10hipError_tPvRmT3_T4_T5_T6_T7_T9_mT8_P12ihipStream_tbDpT10_ENKUlT_T0_E_clISt17integral_constantIbLb1EES1B_EEDaS16_S17_EUlS16_E_NS1_11comp_targetILNS1_3genE10ELNS1_11target_archE1200ELNS1_3gpuE4ELNS1_3repE0EEENS1_30default_config_static_selectorELNS0_4arch9wavefront6targetE0EEEvT1_ ; -- Begin function _ZN7rocprim17ROCPRIM_400000_NS6detail17trampoline_kernelINS0_14default_configENS1_25partition_config_selectorILNS1_17partition_subalgoE5ElNS0_10empty_typeEbEEZZNS1_14partition_implILS5_5ELb0ES3_mN6hipcub16HIPCUB_304000_NS21CountingInputIteratorIllEEPS6_NSA_22TransformInputIteratorIbN2at6native12_GLOBAL__N_19NonZeroOpIfEEPKflEENS0_5tupleIJPlS6_EEENSN_IJSD_SD_EEES6_PiJS6_EEE10hipError_tPvRmT3_T4_T5_T6_T7_T9_mT8_P12ihipStream_tbDpT10_ENKUlT_T0_E_clISt17integral_constantIbLb1EES1B_EEDaS16_S17_EUlS16_E_NS1_11comp_targetILNS1_3genE10ELNS1_11target_archE1200ELNS1_3gpuE4ELNS1_3repE0EEENS1_30default_config_static_selectorELNS0_4arch9wavefront6targetE0EEEvT1_
	.p2align	8
	.type	_ZN7rocprim17ROCPRIM_400000_NS6detail17trampoline_kernelINS0_14default_configENS1_25partition_config_selectorILNS1_17partition_subalgoE5ElNS0_10empty_typeEbEEZZNS1_14partition_implILS5_5ELb0ES3_mN6hipcub16HIPCUB_304000_NS21CountingInputIteratorIllEEPS6_NSA_22TransformInputIteratorIbN2at6native12_GLOBAL__N_19NonZeroOpIfEEPKflEENS0_5tupleIJPlS6_EEENSN_IJSD_SD_EEES6_PiJS6_EEE10hipError_tPvRmT3_T4_T5_T6_T7_T9_mT8_P12ihipStream_tbDpT10_ENKUlT_T0_E_clISt17integral_constantIbLb1EES1B_EEDaS16_S17_EUlS16_E_NS1_11comp_targetILNS1_3genE10ELNS1_11target_archE1200ELNS1_3gpuE4ELNS1_3repE0EEENS1_30default_config_static_selectorELNS0_4arch9wavefront6targetE0EEEvT1_,@function
_ZN7rocprim17ROCPRIM_400000_NS6detail17trampoline_kernelINS0_14default_configENS1_25partition_config_selectorILNS1_17partition_subalgoE5ElNS0_10empty_typeEbEEZZNS1_14partition_implILS5_5ELb0ES3_mN6hipcub16HIPCUB_304000_NS21CountingInputIteratorIllEEPS6_NSA_22TransformInputIteratorIbN2at6native12_GLOBAL__N_19NonZeroOpIfEEPKflEENS0_5tupleIJPlS6_EEENSN_IJSD_SD_EEES6_PiJS6_EEE10hipError_tPvRmT3_T4_T5_T6_T7_T9_mT8_P12ihipStream_tbDpT10_ENKUlT_T0_E_clISt17integral_constantIbLb1EES1B_EEDaS16_S17_EUlS16_E_NS1_11comp_targetILNS1_3genE10ELNS1_11target_archE1200ELNS1_3gpuE4ELNS1_3repE0EEENS1_30default_config_static_selectorELNS0_4arch9wavefront6targetE0EEEvT1_: ; @_ZN7rocprim17ROCPRIM_400000_NS6detail17trampoline_kernelINS0_14default_configENS1_25partition_config_selectorILNS1_17partition_subalgoE5ElNS0_10empty_typeEbEEZZNS1_14partition_implILS5_5ELb0ES3_mN6hipcub16HIPCUB_304000_NS21CountingInputIteratorIllEEPS6_NSA_22TransformInputIteratorIbN2at6native12_GLOBAL__N_19NonZeroOpIfEEPKflEENS0_5tupleIJPlS6_EEENSN_IJSD_SD_EEES6_PiJS6_EEE10hipError_tPvRmT3_T4_T5_T6_T7_T9_mT8_P12ihipStream_tbDpT10_ENKUlT_T0_E_clISt17integral_constantIbLb1EES1B_EEDaS16_S17_EUlS16_E_NS1_11comp_targetILNS1_3genE10ELNS1_11target_archE1200ELNS1_3gpuE4ELNS1_3repE0EEENS1_30default_config_static_selectorELNS0_4arch9wavefront6targetE0EEEvT1_
; %bb.0:
	s_endpgm
	.section	.rodata,"a",@progbits
	.p2align	6, 0x0
	.amdhsa_kernel _ZN7rocprim17ROCPRIM_400000_NS6detail17trampoline_kernelINS0_14default_configENS1_25partition_config_selectorILNS1_17partition_subalgoE5ElNS0_10empty_typeEbEEZZNS1_14partition_implILS5_5ELb0ES3_mN6hipcub16HIPCUB_304000_NS21CountingInputIteratorIllEEPS6_NSA_22TransformInputIteratorIbN2at6native12_GLOBAL__N_19NonZeroOpIfEEPKflEENS0_5tupleIJPlS6_EEENSN_IJSD_SD_EEES6_PiJS6_EEE10hipError_tPvRmT3_T4_T5_T6_T7_T9_mT8_P12ihipStream_tbDpT10_ENKUlT_T0_E_clISt17integral_constantIbLb1EES1B_EEDaS16_S17_EUlS16_E_NS1_11comp_targetILNS1_3genE10ELNS1_11target_archE1200ELNS1_3gpuE4ELNS1_3repE0EEENS1_30default_config_static_selectorELNS0_4arch9wavefront6targetE0EEEvT1_
		.amdhsa_group_segment_fixed_size 0
		.amdhsa_private_segment_fixed_size 0
		.amdhsa_kernarg_size 136
		.amdhsa_user_sgpr_count 2
		.amdhsa_user_sgpr_dispatch_ptr 0
		.amdhsa_user_sgpr_queue_ptr 0
		.amdhsa_user_sgpr_kernarg_segment_ptr 1
		.amdhsa_user_sgpr_dispatch_id 0
		.amdhsa_user_sgpr_private_segment_size 0
		.amdhsa_wavefront_size32 1
		.amdhsa_uses_dynamic_stack 0
		.amdhsa_enable_private_segment 0
		.amdhsa_system_sgpr_workgroup_id_x 1
		.amdhsa_system_sgpr_workgroup_id_y 0
		.amdhsa_system_sgpr_workgroup_id_z 0
		.amdhsa_system_sgpr_workgroup_info 0
		.amdhsa_system_vgpr_workitem_id 0
		.amdhsa_next_free_vgpr 1
		.amdhsa_next_free_sgpr 1
		.amdhsa_reserve_vcc 0
		.amdhsa_float_round_mode_32 0
		.amdhsa_float_round_mode_16_64 0
		.amdhsa_float_denorm_mode_32 3
		.amdhsa_float_denorm_mode_16_64 3
		.amdhsa_fp16_overflow 0
		.amdhsa_workgroup_processor_mode 1
		.amdhsa_memory_ordered 1
		.amdhsa_forward_progress 1
		.amdhsa_inst_pref_size 1
		.amdhsa_round_robin_scheduling 0
		.amdhsa_exception_fp_ieee_invalid_op 0
		.amdhsa_exception_fp_denorm_src 0
		.amdhsa_exception_fp_ieee_div_zero 0
		.amdhsa_exception_fp_ieee_overflow 0
		.amdhsa_exception_fp_ieee_underflow 0
		.amdhsa_exception_fp_ieee_inexact 0
		.amdhsa_exception_int_div_zero 0
	.end_amdhsa_kernel
	.section	.text._ZN7rocprim17ROCPRIM_400000_NS6detail17trampoline_kernelINS0_14default_configENS1_25partition_config_selectorILNS1_17partition_subalgoE5ElNS0_10empty_typeEbEEZZNS1_14partition_implILS5_5ELb0ES3_mN6hipcub16HIPCUB_304000_NS21CountingInputIteratorIllEEPS6_NSA_22TransformInputIteratorIbN2at6native12_GLOBAL__N_19NonZeroOpIfEEPKflEENS0_5tupleIJPlS6_EEENSN_IJSD_SD_EEES6_PiJS6_EEE10hipError_tPvRmT3_T4_T5_T6_T7_T9_mT8_P12ihipStream_tbDpT10_ENKUlT_T0_E_clISt17integral_constantIbLb1EES1B_EEDaS16_S17_EUlS16_E_NS1_11comp_targetILNS1_3genE10ELNS1_11target_archE1200ELNS1_3gpuE4ELNS1_3repE0EEENS1_30default_config_static_selectorELNS0_4arch9wavefront6targetE0EEEvT1_,"axG",@progbits,_ZN7rocprim17ROCPRIM_400000_NS6detail17trampoline_kernelINS0_14default_configENS1_25partition_config_selectorILNS1_17partition_subalgoE5ElNS0_10empty_typeEbEEZZNS1_14partition_implILS5_5ELb0ES3_mN6hipcub16HIPCUB_304000_NS21CountingInputIteratorIllEEPS6_NSA_22TransformInputIteratorIbN2at6native12_GLOBAL__N_19NonZeroOpIfEEPKflEENS0_5tupleIJPlS6_EEENSN_IJSD_SD_EEES6_PiJS6_EEE10hipError_tPvRmT3_T4_T5_T6_T7_T9_mT8_P12ihipStream_tbDpT10_ENKUlT_T0_E_clISt17integral_constantIbLb1EES1B_EEDaS16_S17_EUlS16_E_NS1_11comp_targetILNS1_3genE10ELNS1_11target_archE1200ELNS1_3gpuE4ELNS1_3repE0EEENS1_30default_config_static_selectorELNS0_4arch9wavefront6targetE0EEEvT1_,comdat
.Lfunc_end471:
	.size	_ZN7rocprim17ROCPRIM_400000_NS6detail17trampoline_kernelINS0_14default_configENS1_25partition_config_selectorILNS1_17partition_subalgoE5ElNS0_10empty_typeEbEEZZNS1_14partition_implILS5_5ELb0ES3_mN6hipcub16HIPCUB_304000_NS21CountingInputIteratorIllEEPS6_NSA_22TransformInputIteratorIbN2at6native12_GLOBAL__N_19NonZeroOpIfEEPKflEENS0_5tupleIJPlS6_EEENSN_IJSD_SD_EEES6_PiJS6_EEE10hipError_tPvRmT3_T4_T5_T6_T7_T9_mT8_P12ihipStream_tbDpT10_ENKUlT_T0_E_clISt17integral_constantIbLb1EES1B_EEDaS16_S17_EUlS16_E_NS1_11comp_targetILNS1_3genE10ELNS1_11target_archE1200ELNS1_3gpuE4ELNS1_3repE0EEENS1_30default_config_static_selectorELNS0_4arch9wavefront6targetE0EEEvT1_, .Lfunc_end471-_ZN7rocprim17ROCPRIM_400000_NS6detail17trampoline_kernelINS0_14default_configENS1_25partition_config_selectorILNS1_17partition_subalgoE5ElNS0_10empty_typeEbEEZZNS1_14partition_implILS5_5ELb0ES3_mN6hipcub16HIPCUB_304000_NS21CountingInputIteratorIllEEPS6_NSA_22TransformInputIteratorIbN2at6native12_GLOBAL__N_19NonZeroOpIfEEPKflEENS0_5tupleIJPlS6_EEENSN_IJSD_SD_EEES6_PiJS6_EEE10hipError_tPvRmT3_T4_T5_T6_T7_T9_mT8_P12ihipStream_tbDpT10_ENKUlT_T0_E_clISt17integral_constantIbLb1EES1B_EEDaS16_S17_EUlS16_E_NS1_11comp_targetILNS1_3genE10ELNS1_11target_archE1200ELNS1_3gpuE4ELNS1_3repE0EEENS1_30default_config_static_selectorELNS0_4arch9wavefront6targetE0EEEvT1_
                                        ; -- End function
	.set _ZN7rocprim17ROCPRIM_400000_NS6detail17trampoline_kernelINS0_14default_configENS1_25partition_config_selectorILNS1_17partition_subalgoE5ElNS0_10empty_typeEbEEZZNS1_14partition_implILS5_5ELb0ES3_mN6hipcub16HIPCUB_304000_NS21CountingInputIteratorIllEEPS6_NSA_22TransformInputIteratorIbN2at6native12_GLOBAL__N_19NonZeroOpIfEEPKflEENS0_5tupleIJPlS6_EEENSN_IJSD_SD_EEES6_PiJS6_EEE10hipError_tPvRmT3_T4_T5_T6_T7_T9_mT8_P12ihipStream_tbDpT10_ENKUlT_T0_E_clISt17integral_constantIbLb1EES1B_EEDaS16_S17_EUlS16_E_NS1_11comp_targetILNS1_3genE10ELNS1_11target_archE1200ELNS1_3gpuE4ELNS1_3repE0EEENS1_30default_config_static_selectorELNS0_4arch9wavefront6targetE0EEEvT1_.num_vgpr, 0
	.set _ZN7rocprim17ROCPRIM_400000_NS6detail17trampoline_kernelINS0_14default_configENS1_25partition_config_selectorILNS1_17partition_subalgoE5ElNS0_10empty_typeEbEEZZNS1_14partition_implILS5_5ELb0ES3_mN6hipcub16HIPCUB_304000_NS21CountingInputIteratorIllEEPS6_NSA_22TransformInputIteratorIbN2at6native12_GLOBAL__N_19NonZeroOpIfEEPKflEENS0_5tupleIJPlS6_EEENSN_IJSD_SD_EEES6_PiJS6_EEE10hipError_tPvRmT3_T4_T5_T6_T7_T9_mT8_P12ihipStream_tbDpT10_ENKUlT_T0_E_clISt17integral_constantIbLb1EES1B_EEDaS16_S17_EUlS16_E_NS1_11comp_targetILNS1_3genE10ELNS1_11target_archE1200ELNS1_3gpuE4ELNS1_3repE0EEENS1_30default_config_static_selectorELNS0_4arch9wavefront6targetE0EEEvT1_.num_agpr, 0
	.set _ZN7rocprim17ROCPRIM_400000_NS6detail17trampoline_kernelINS0_14default_configENS1_25partition_config_selectorILNS1_17partition_subalgoE5ElNS0_10empty_typeEbEEZZNS1_14partition_implILS5_5ELb0ES3_mN6hipcub16HIPCUB_304000_NS21CountingInputIteratorIllEEPS6_NSA_22TransformInputIteratorIbN2at6native12_GLOBAL__N_19NonZeroOpIfEEPKflEENS0_5tupleIJPlS6_EEENSN_IJSD_SD_EEES6_PiJS6_EEE10hipError_tPvRmT3_T4_T5_T6_T7_T9_mT8_P12ihipStream_tbDpT10_ENKUlT_T0_E_clISt17integral_constantIbLb1EES1B_EEDaS16_S17_EUlS16_E_NS1_11comp_targetILNS1_3genE10ELNS1_11target_archE1200ELNS1_3gpuE4ELNS1_3repE0EEENS1_30default_config_static_selectorELNS0_4arch9wavefront6targetE0EEEvT1_.numbered_sgpr, 0
	.set _ZN7rocprim17ROCPRIM_400000_NS6detail17trampoline_kernelINS0_14default_configENS1_25partition_config_selectorILNS1_17partition_subalgoE5ElNS0_10empty_typeEbEEZZNS1_14partition_implILS5_5ELb0ES3_mN6hipcub16HIPCUB_304000_NS21CountingInputIteratorIllEEPS6_NSA_22TransformInputIteratorIbN2at6native12_GLOBAL__N_19NonZeroOpIfEEPKflEENS0_5tupleIJPlS6_EEENSN_IJSD_SD_EEES6_PiJS6_EEE10hipError_tPvRmT3_T4_T5_T6_T7_T9_mT8_P12ihipStream_tbDpT10_ENKUlT_T0_E_clISt17integral_constantIbLb1EES1B_EEDaS16_S17_EUlS16_E_NS1_11comp_targetILNS1_3genE10ELNS1_11target_archE1200ELNS1_3gpuE4ELNS1_3repE0EEENS1_30default_config_static_selectorELNS0_4arch9wavefront6targetE0EEEvT1_.num_named_barrier, 0
	.set _ZN7rocprim17ROCPRIM_400000_NS6detail17trampoline_kernelINS0_14default_configENS1_25partition_config_selectorILNS1_17partition_subalgoE5ElNS0_10empty_typeEbEEZZNS1_14partition_implILS5_5ELb0ES3_mN6hipcub16HIPCUB_304000_NS21CountingInputIteratorIllEEPS6_NSA_22TransformInputIteratorIbN2at6native12_GLOBAL__N_19NonZeroOpIfEEPKflEENS0_5tupleIJPlS6_EEENSN_IJSD_SD_EEES6_PiJS6_EEE10hipError_tPvRmT3_T4_T5_T6_T7_T9_mT8_P12ihipStream_tbDpT10_ENKUlT_T0_E_clISt17integral_constantIbLb1EES1B_EEDaS16_S17_EUlS16_E_NS1_11comp_targetILNS1_3genE10ELNS1_11target_archE1200ELNS1_3gpuE4ELNS1_3repE0EEENS1_30default_config_static_selectorELNS0_4arch9wavefront6targetE0EEEvT1_.private_seg_size, 0
	.set _ZN7rocprim17ROCPRIM_400000_NS6detail17trampoline_kernelINS0_14default_configENS1_25partition_config_selectorILNS1_17partition_subalgoE5ElNS0_10empty_typeEbEEZZNS1_14partition_implILS5_5ELb0ES3_mN6hipcub16HIPCUB_304000_NS21CountingInputIteratorIllEEPS6_NSA_22TransformInputIteratorIbN2at6native12_GLOBAL__N_19NonZeroOpIfEEPKflEENS0_5tupleIJPlS6_EEENSN_IJSD_SD_EEES6_PiJS6_EEE10hipError_tPvRmT3_T4_T5_T6_T7_T9_mT8_P12ihipStream_tbDpT10_ENKUlT_T0_E_clISt17integral_constantIbLb1EES1B_EEDaS16_S17_EUlS16_E_NS1_11comp_targetILNS1_3genE10ELNS1_11target_archE1200ELNS1_3gpuE4ELNS1_3repE0EEENS1_30default_config_static_selectorELNS0_4arch9wavefront6targetE0EEEvT1_.uses_vcc, 0
	.set _ZN7rocprim17ROCPRIM_400000_NS6detail17trampoline_kernelINS0_14default_configENS1_25partition_config_selectorILNS1_17partition_subalgoE5ElNS0_10empty_typeEbEEZZNS1_14partition_implILS5_5ELb0ES3_mN6hipcub16HIPCUB_304000_NS21CountingInputIteratorIllEEPS6_NSA_22TransformInputIteratorIbN2at6native12_GLOBAL__N_19NonZeroOpIfEEPKflEENS0_5tupleIJPlS6_EEENSN_IJSD_SD_EEES6_PiJS6_EEE10hipError_tPvRmT3_T4_T5_T6_T7_T9_mT8_P12ihipStream_tbDpT10_ENKUlT_T0_E_clISt17integral_constantIbLb1EES1B_EEDaS16_S17_EUlS16_E_NS1_11comp_targetILNS1_3genE10ELNS1_11target_archE1200ELNS1_3gpuE4ELNS1_3repE0EEENS1_30default_config_static_selectorELNS0_4arch9wavefront6targetE0EEEvT1_.uses_flat_scratch, 0
	.set _ZN7rocprim17ROCPRIM_400000_NS6detail17trampoline_kernelINS0_14default_configENS1_25partition_config_selectorILNS1_17partition_subalgoE5ElNS0_10empty_typeEbEEZZNS1_14partition_implILS5_5ELb0ES3_mN6hipcub16HIPCUB_304000_NS21CountingInputIteratorIllEEPS6_NSA_22TransformInputIteratorIbN2at6native12_GLOBAL__N_19NonZeroOpIfEEPKflEENS0_5tupleIJPlS6_EEENSN_IJSD_SD_EEES6_PiJS6_EEE10hipError_tPvRmT3_T4_T5_T6_T7_T9_mT8_P12ihipStream_tbDpT10_ENKUlT_T0_E_clISt17integral_constantIbLb1EES1B_EEDaS16_S17_EUlS16_E_NS1_11comp_targetILNS1_3genE10ELNS1_11target_archE1200ELNS1_3gpuE4ELNS1_3repE0EEENS1_30default_config_static_selectorELNS0_4arch9wavefront6targetE0EEEvT1_.has_dyn_sized_stack, 0
	.set _ZN7rocprim17ROCPRIM_400000_NS6detail17trampoline_kernelINS0_14default_configENS1_25partition_config_selectorILNS1_17partition_subalgoE5ElNS0_10empty_typeEbEEZZNS1_14partition_implILS5_5ELb0ES3_mN6hipcub16HIPCUB_304000_NS21CountingInputIteratorIllEEPS6_NSA_22TransformInputIteratorIbN2at6native12_GLOBAL__N_19NonZeroOpIfEEPKflEENS0_5tupleIJPlS6_EEENSN_IJSD_SD_EEES6_PiJS6_EEE10hipError_tPvRmT3_T4_T5_T6_T7_T9_mT8_P12ihipStream_tbDpT10_ENKUlT_T0_E_clISt17integral_constantIbLb1EES1B_EEDaS16_S17_EUlS16_E_NS1_11comp_targetILNS1_3genE10ELNS1_11target_archE1200ELNS1_3gpuE4ELNS1_3repE0EEENS1_30default_config_static_selectorELNS0_4arch9wavefront6targetE0EEEvT1_.has_recursion, 0
	.set _ZN7rocprim17ROCPRIM_400000_NS6detail17trampoline_kernelINS0_14default_configENS1_25partition_config_selectorILNS1_17partition_subalgoE5ElNS0_10empty_typeEbEEZZNS1_14partition_implILS5_5ELb0ES3_mN6hipcub16HIPCUB_304000_NS21CountingInputIteratorIllEEPS6_NSA_22TransformInputIteratorIbN2at6native12_GLOBAL__N_19NonZeroOpIfEEPKflEENS0_5tupleIJPlS6_EEENSN_IJSD_SD_EEES6_PiJS6_EEE10hipError_tPvRmT3_T4_T5_T6_T7_T9_mT8_P12ihipStream_tbDpT10_ENKUlT_T0_E_clISt17integral_constantIbLb1EES1B_EEDaS16_S17_EUlS16_E_NS1_11comp_targetILNS1_3genE10ELNS1_11target_archE1200ELNS1_3gpuE4ELNS1_3repE0EEENS1_30default_config_static_selectorELNS0_4arch9wavefront6targetE0EEEvT1_.has_indirect_call, 0
	.section	.AMDGPU.csdata,"",@progbits
; Kernel info:
; codeLenInByte = 4
; TotalNumSgprs: 0
; NumVgprs: 0
; ScratchSize: 0
; MemoryBound: 0
; FloatMode: 240
; IeeeMode: 1
; LDSByteSize: 0 bytes/workgroup (compile time only)
; SGPRBlocks: 0
; VGPRBlocks: 0
; NumSGPRsForWavesPerEU: 1
; NumVGPRsForWavesPerEU: 1
; Occupancy: 16
; WaveLimiterHint : 0
; COMPUTE_PGM_RSRC2:SCRATCH_EN: 0
; COMPUTE_PGM_RSRC2:USER_SGPR: 2
; COMPUTE_PGM_RSRC2:TRAP_HANDLER: 0
; COMPUTE_PGM_RSRC2:TGID_X_EN: 1
; COMPUTE_PGM_RSRC2:TGID_Y_EN: 0
; COMPUTE_PGM_RSRC2:TGID_Z_EN: 0
; COMPUTE_PGM_RSRC2:TIDIG_COMP_CNT: 0
	.section	.text._ZN7rocprim17ROCPRIM_400000_NS6detail17trampoline_kernelINS0_14default_configENS1_25partition_config_selectorILNS1_17partition_subalgoE5ElNS0_10empty_typeEbEEZZNS1_14partition_implILS5_5ELb0ES3_mN6hipcub16HIPCUB_304000_NS21CountingInputIteratorIllEEPS6_NSA_22TransformInputIteratorIbN2at6native12_GLOBAL__N_19NonZeroOpIfEEPKflEENS0_5tupleIJPlS6_EEENSN_IJSD_SD_EEES6_PiJS6_EEE10hipError_tPvRmT3_T4_T5_T6_T7_T9_mT8_P12ihipStream_tbDpT10_ENKUlT_T0_E_clISt17integral_constantIbLb1EES1B_EEDaS16_S17_EUlS16_E_NS1_11comp_targetILNS1_3genE9ELNS1_11target_archE1100ELNS1_3gpuE3ELNS1_3repE0EEENS1_30default_config_static_selectorELNS0_4arch9wavefront6targetE0EEEvT1_,"axG",@progbits,_ZN7rocprim17ROCPRIM_400000_NS6detail17trampoline_kernelINS0_14default_configENS1_25partition_config_selectorILNS1_17partition_subalgoE5ElNS0_10empty_typeEbEEZZNS1_14partition_implILS5_5ELb0ES3_mN6hipcub16HIPCUB_304000_NS21CountingInputIteratorIllEEPS6_NSA_22TransformInputIteratorIbN2at6native12_GLOBAL__N_19NonZeroOpIfEEPKflEENS0_5tupleIJPlS6_EEENSN_IJSD_SD_EEES6_PiJS6_EEE10hipError_tPvRmT3_T4_T5_T6_T7_T9_mT8_P12ihipStream_tbDpT10_ENKUlT_T0_E_clISt17integral_constantIbLb1EES1B_EEDaS16_S17_EUlS16_E_NS1_11comp_targetILNS1_3genE9ELNS1_11target_archE1100ELNS1_3gpuE3ELNS1_3repE0EEENS1_30default_config_static_selectorELNS0_4arch9wavefront6targetE0EEEvT1_,comdat
	.globl	_ZN7rocprim17ROCPRIM_400000_NS6detail17trampoline_kernelINS0_14default_configENS1_25partition_config_selectorILNS1_17partition_subalgoE5ElNS0_10empty_typeEbEEZZNS1_14partition_implILS5_5ELb0ES3_mN6hipcub16HIPCUB_304000_NS21CountingInputIteratorIllEEPS6_NSA_22TransformInputIteratorIbN2at6native12_GLOBAL__N_19NonZeroOpIfEEPKflEENS0_5tupleIJPlS6_EEENSN_IJSD_SD_EEES6_PiJS6_EEE10hipError_tPvRmT3_T4_T5_T6_T7_T9_mT8_P12ihipStream_tbDpT10_ENKUlT_T0_E_clISt17integral_constantIbLb1EES1B_EEDaS16_S17_EUlS16_E_NS1_11comp_targetILNS1_3genE9ELNS1_11target_archE1100ELNS1_3gpuE3ELNS1_3repE0EEENS1_30default_config_static_selectorELNS0_4arch9wavefront6targetE0EEEvT1_ ; -- Begin function _ZN7rocprim17ROCPRIM_400000_NS6detail17trampoline_kernelINS0_14default_configENS1_25partition_config_selectorILNS1_17partition_subalgoE5ElNS0_10empty_typeEbEEZZNS1_14partition_implILS5_5ELb0ES3_mN6hipcub16HIPCUB_304000_NS21CountingInputIteratorIllEEPS6_NSA_22TransformInputIteratorIbN2at6native12_GLOBAL__N_19NonZeroOpIfEEPKflEENS0_5tupleIJPlS6_EEENSN_IJSD_SD_EEES6_PiJS6_EEE10hipError_tPvRmT3_T4_T5_T6_T7_T9_mT8_P12ihipStream_tbDpT10_ENKUlT_T0_E_clISt17integral_constantIbLb1EES1B_EEDaS16_S17_EUlS16_E_NS1_11comp_targetILNS1_3genE9ELNS1_11target_archE1100ELNS1_3gpuE3ELNS1_3repE0EEENS1_30default_config_static_selectorELNS0_4arch9wavefront6targetE0EEEvT1_
	.p2align	8
	.type	_ZN7rocprim17ROCPRIM_400000_NS6detail17trampoline_kernelINS0_14default_configENS1_25partition_config_selectorILNS1_17partition_subalgoE5ElNS0_10empty_typeEbEEZZNS1_14partition_implILS5_5ELb0ES3_mN6hipcub16HIPCUB_304000_NS21CountingInputIteratorIllEEPS6_NSA_22TransformInputIteratorIbN2at6native12_GLOBAL__N_19NonZeroOpIfEEPKflEENS0_5tupleIJPlS6_EEENSN_IJSD_SD_EEES6_PiJS6_EEE10hipError_tPvRmT3_T4_T5_T6_T7_T9_mT8_P12ihipStream_tbDpT10_ENKUlT_T0_E_clISt17integral_constantIbLb1EES1B_EEDaS16_S17_EUlS16_E_NS1_11comp_targetILNS1_3genE9ELNS1_11target_archE1100ELNS1_3gpuE3ELNS1_3repE0EEENS1_30default_config_static_selectorELNS0_4arch9wavefront6targetE0EEEvT1_,@function
_ZN7rocprim17ROCPRIM_400000_NS6detail17trampoline_kernelINS0_14default_configENS1_25partition_config_selectorILNS1_17partition_subalgoE5ElNS0_10empty_typeEbEEZZNS1_14partition_implILS5_5ELb0ES3_mN6hipcub16HIPCUB_304000_NS21CountingInputIteratorIllEEPS6_NSA_22TransformInputIteratorIbN2at6native12_GLOBAL__N_19NonZeroOpIfEEPKflEENS0_5tupleIJPlS6_EEENSN_IJSD_SD_EEES6_PiJS6_EEE10hipError_tPvRmT3_T4_T5_T6_T7_T9_mT8_P12ihipStream_tbDpT10_ENKUlT_T0_E_clISt17integral_constantIbLb1EES1B_EEDaS16_S17_EUlS16_E_NS1_11comp_targetILNS1_3genE9ELNS1_11target_archE1100ELNS1_3gpuE3ELNS1_3repE0EEENS1_30default_config_static_selectorELNS0_4arch9wavefront6targetE0EEEvT1_: ; @_ZN7rocprim17ROCPRIM_400000_NS6detail17trampoline_kernelINS0_14default_configENS1_25partition_config_selectorILNS1_17partition_subalgoE5ElNS0_10empty_typeEbEEZZNS1_14partition_implILS5_5ELb0ES3_mN6hipcub16HIPCUB_304000_NS21CountingInputIteratorIllEEPS6_NSA_22TransformInputIteratorIbN2at6native12_GLOBAL__N_19NonZeroOpIfEEPKflEENS0_5tupleIJPlS6_EEENSN_IJSD_SD_EEES6_PiJS6_EEE10hipError_tPvRmT3_T4_T5_T6_T7_T9_mT8_P12ihipStream_tbDpT10_ENKUlT_T0_E_clISt17integral_constantIbLb1EES1B_EEDaS16_S17_EUlS16_E_NS1_11comp_targetILNS1_3genE9ELNS1_11target_archE1100ELNS1_3gpuE3ELNS1_3repE0EEENS1_30default_config_static_selectorELNS0_4arch9wavefront6targetE0EEEvT1_
; %bb.0:
	.section	.rodata,"a",@progbits
	.p2align	6, 0x0
	.amdhsa_kernel _ZN7rocprim17ROCPRIM_400000_NS6detail17trampoline_kernelINS0_14default_configENS1_25partition_config_selectorILNS1_17partition_subalgoE5ElNS0_10empty_typeEbEEZZNS1_14partition_implILS5_5ELb0ES3_mN6hipcub16HIPCUB_304000_NS21CountingInputIteratorIllEEPS6_NSA_22TransformInputIteratorIbN2at6native12_GLOBAL__N_19NonZeroOpIfEEPKflEENS0_5tupleIJPlS6_EEENSN_IJSD_SD_EEES6_PiJS6_EEE10hipError_tPvRmT3_T4_T5_T6_T7_T9_mT8_P12ihipStream_tbDpT10_ENKUlT_T0_E_clISt17integral_constantIbLb1EES1B_EEDaS16_S17_EUlS16_E_NS1_11comp_targetILNS1_3genE9ELNS1_11target_archE1100ELNS1_3gpuE3ELNS1_3repE0EEENS1_30default_config_static_selectorELNS0_4arch9wavefront6targetE0EEEvT1_
		.amdhsa_group_segment_fixed_size 0
		.amdhsa_private_segment_fixed_size 0
		.amdhsa_kernarg_size 136
		.amdhsa_user_sgpr_count 2
		.amdhsa_user_sgpr_dispatch_ptr 0
		.amdhsa_user_sgpr_queue_ptr 0
		.amdhsa_user_sgpr_kernarg_segment_ptr 1
		.amdhsa_user_sgpr_dispatch_id 0
		.amdhsa_user_sgpr_private_segment_size 0
		.amdhsa_wavefront_size32 1
		.amdhsa_uses_dynamic_stack 0
		.amdhsa_enable_private_segment 0
		.amdhsa_system_sgpr_workgroup_id_x 1
		.amdhsa_system_sgpr_workgroup_id_y 0
		.amdhsa_system_sgpr_workgroup_id_z 0
		.amdhsa_system_sgpr_workgroup_info 0
		.amdhsa_system_vgpr_workitem_id 0
		.amdhsa_next_free_vgpr 1
		.amdhsa_next_free_sgpr 1
		.amdhsa_reserve_vcc 0
		.amdhsa_float_round_mode_32 0
		.amdhsa_float_round_mode_16_64 0
		.amdhsa_float_denorm_mode_32 3
		.amdhsa_float_denorm_mode_16_64 3
		.amdhsa_fp16_overflow 0
		.amdhsa_workgroup_processor_mode 1
		.amdhsa_memory_ordered 1
		.amdhsa_forward_progress 1
		.amdhsa_inst_pref_size 0
		.amdhsa_round_robin_scheduling 0
		.amdhsa_exception_fp_ieee_invalid_op 0
		.amdhsa_exception_fp_denorm_src 0
		.amdhsa_exception_fp_ieee_div_zero 0
		.amdhsa_exception_fp_ieee_overflow 0
		.amdhsa_exception_fp_ieee_underflow 0
		.amdhsa_exception_fp_ieee_inexact 0
		.amdhsa_exception_int_div_zero 0
	.end_amdhsa_kernel
	.section	.text._ZN7rocprim17ROCPRIM_400000_NS6detail17trampoline_kernelINS0_14default_configENS1_25partition_config_selectorILNS1_17partition_subalgoE5ElNS0_10empty_typeEbEEZZNS1_14partition_implILS5_5ELb0ES3_mN6hipcub16HIPCUB_304000_NS21CountingInputIteratorIllEEPS6_NSA_22TransformInputIteratorIbN2at6native12_GLOBAL__N_19NonZeroOpIfEEPKflEENS0_5tupleIJPlS6_EEENSN_IJSD_SD_EEES6_PiJS6_EEE10hipError_tPvRmT3_T4_T5_T6_T7_T9_mT8_P12ihipStream_tbDpT10_ENKUlT_T0_E_clISt17integral_constantIbLb1EES1B_EEDaS16_S17_EUlS16_E_NS1_11comp_targetILNS1_3genE9ELNS1_11target_archE1100ELNS1_3gpuE3ELNS1_3repE0EEENS1_30default_config_static_selectorELNS0_4arch9wavefront6targetE0EEEvT1_,"axG",@progbits,_ZN7rocprim17ROCPRIM_400000_NS6detail17trampoline_kernelINS0_14default_configENS1_25partition_config_selectorILNS1_17partition_subalgoE5ElNS0_10empty_typeEbEEZZNS1_14partition_implILS5_5ELb0ES3_mN6hipcub16HIPCUB_304000_NS21CountingInputIteratorIllEEPS6_NSA_22TransformInputIteratorIbN2at6native12_GLOBAL__N_19NonZeroOpIfEEPKflEENS0_5tupleIJPlS6_EEENSN_IJSD_SD_EEES6_PiJS6_EEE10hipError_tPvRmT3_T4_T5_T6_T7_T9_mT8_P12ihipStream_tbDpT10_ENKUlT_T0_E_clISt17integral_constantIbLb1EES1B_EEDaS16_S17_EUlS16_E_NS1_11comp_targetILNS1_3genE9ELNS1_11target_archE1100ELNS1_3gpuE3ELNS1_3repE0EEENS1_30default_config_static_selectorELNS0_4arch9wavefront6targetE0EEEvT1_,comdat
.Lfunc_end472:
	.size	_ZN7rocprim17ROCPRIM_400000_NS6detail17trampoline_kernelINS0_14default_configENS1_25partition_config_selectorILNS1_17partition_subalgoE5ElNS0_10empty_typeEbEEZZNS1_14partition_implILS5_5ELb0ES3_mN6hipcub16HIPCUB_304000_NS21CountingInputIteratorIllEEPS6_NSA_22TransformInputIteratorIbN2at6native12_GLOBAL__N_19NonZeroOpIfEEPKflEENS0_5tupleIJPlS6_EEENSN_IJSD_SD_EEES6_PiJS6_EEE10hipError_tPvRmT3_T4_T5_T6_T7_T9_mT8_P12ihipStream_tbDpT10_ENKUlT_T0_E_clISt17integral_constantIbLb1EES1B_EEDaS16_S17_EUlS16_E_NS1_11comp_targetILNS1_3genE9ELNS1_11target_archE1100ELNS1_3gpuE3ELNS1_3repE0EEENS1_30default_config_static_selectorELNS0_4arch9wavefront6targetE0EEEvT1_, .Lfunc_end472-_ZN7rocprim17ROCPRIM_400000_NS6detail17trampoline_kernelINS0_14default_configENS1_25partition_config_selectorILNS1_17partition_subalgoE5ElNS0_10empty_typeEbEEZZNS1_14partition_implILS5_5ELb0ES3_mN6hipcub16HIPCUB_304000_NS21CountingInputIteratorIllEEPS6_NSA_22TransformInputIteratorIbN2at6native12_GLOBAL__N_19NonZeroOpIfEEPKflEENS0_5tupleIJPlS6_EEENSN_IJSD_SD_EEES6_PiJS6_EEE10hipError_tPvRmT3_T4_T5_T6_T7_T9_mT8_P12ihipStream_tbDpT10_ENKUlT_T0_E_clISt17integral_constantIbLb1EES1B_EEDaS16_S17_EUlS16_E_NS1_11comp_targetILNS1_3genE9ELNS1_11target_archE1100ELNS1_3gpuE3ELNS1_3repE0EEENS1_30default_config_static_selectorELNS0_4arch9wavefront6targetE0EEEvT1_
                                        ; -- End function
	.set _ZN7rocprim17ROCPRIM_400000_NS6detail17trampoline_kernelINS0_14default_configENS1_25partition_config_selectorILNS1_17partition_subalgoE5ElNS0_10empty_typeEbEEZZNS1_14partition_implILS5_5ELb0ES3_mN6hipcub16HIPCUB_304000_NS21CountingInputIteratorIllEEPS6_NSA_22TransformInputIteratorIbN2at6native12_GLOBAL__N_19NonZeroOpIfEEPKflEENS0_5tupleIJPlS6_EEENSN_IJSD_SD_EEES6_PiJS6_EEE10hipError_tPvRmT3_T4_T5_T6_T7_T9_mT8_P12ihipStream_tbDpT10_ENKUlT_T0_E_clISt17integral_constantIbLb1EES1B_EEDaS16_S17_EUlS16_E_NS1_11comp_targetILNS1_3genE9ELNS1_11target_archE1100ELNS1_3gpuE3ELNS1_3repE0EEENS1_30default_config_static_selectorELNS0_4arch9wavefront6targetE0EEEvT1_.num_vgpr, 0
	.set _ZN7rocprim17ROCPRIM_400000_NS6detail17trampoline_kernelINS0_14default_configENS1_25partition_config_selectorILNS1_17partition_subalgoE5ElNS0_10empty_typeEbEEZZNS1_14partition_implILS5_5ELb0ES3_mN6hipcub16HIPCUB_304000_NS21CountingInputIteratorIllEEPS6_NSA_22TransformInputIteratorIbN2at6native12_GLOBAL__N_19NonZeroOpIfEEPKflEENS0_5tupleIJPlS6_EEENSN_IJSD_SD_EEES6_PiJS6_EEE10hipError_tPvRmT3_T4_T5_T6_T7_T9_mT8_P12ihipStream_tbDpT10_ENKUlT_T0_E_clISt17integral_constantIbLb1EES1B_EEDaS16_S17_EUlS16_E_NS1_11comp_targetILNS1_3genE9ELNS1_11target_archE1100ELNS1_3gpuE3ELNS1_3repE0EEENS1_30default_config_static_selectorELNS0_4arch9wavefront6targetE0EEEvT1_.num_agpr, 0
	.set _ZN7rocprim17ROCPRIM_400000_NS6detail17trampoline_kernelINS0_14default_configENS1_25partition_config_selectorILNS1_17partition_subalgoE5ElNS0_10empty_typeEbEEZZNS1_14partition_implILS5_5ELb0ES3_mN6hipcub16HIPCUB_304000_NS21CountingInputIteratorIllEEPS6_NSA_22TransformInputIteratorIbN2at6native12_GLOBAL__N_19NonZeroOpIfEEPKflEENS0_5tupleIJPlS6_EEENSN_IJSD_SD_EEES6_PiJS6_EEE10hipError_tPvRmT3_T4_T5_T6_T7_T9_mT8_P12ihipStream_tbDpT10_ENKUlT_T0_E_clISt17integral_constantIbLb1EES1B_EEDaS16_S17_EUlS16_E_NS1_11comp_targetILNS1_3genE9ELNS1_11target_archE1100ELNS1_3gpuE3ELNS1_3repE0EEENS1_30default_config_static_selectorELNS0_4arch9wavefront6targetE0EEEvT1_.numbered_sgpr, 0
	.set _ZN7rocprim17ROCPRIM_400000_NS6detail17trampoline_kernelINS0_14default_configENS1_25partition_config_selectorILNS1_17partition_subalgoE5ElNS0_10empty_typeEbEEZZNS1_14partition_implILS5_5ELb0ES3_mN6hipcub16HIPCUB_304000_NS21CountingInputIteratorIllEEPS6_NSA_22TransformInputIteratorIbN2at6native12_GLOBAL__N_19NonZeroOpIfEEPKflEENS0_5tupleIJPlS6_EEENSN_IJSD_SD_EEES6_PiJS6_EEE10hipError_tPvRmT3_T4_T5_T6_T7_T9_mT8_P12ihipStream_tbDpT10_ENKUlT_T0_E_clISt17integral_constantIbLb1EES1B_EEDaS16_S17_EUlS16_E_NS1_11comp_targetILNS1_3genE9ELNS1_11target_archE1100ELNS1_3gpuE3ELNS1_3repE0EEENS1_30default_config_static_selectorELNS0_4arch9wavefront6targetE0EEEvT1_.num_named_barrier, 0
	.set _ZN7rocprim17ROCPRIM_400000_NS6detail17trampoline_kernelINS0_14default_configENS1_25partition_config_selectorILNS1_17partition_subalgoE5ElNS0_10empty_typeEbEEZZNS1_14partition_implILS5_5ELb0ES3_mN6hipcub16HIPCUB_304000_NS21CountingInputIteratorIllEEPS6_NSA_22TransformInputIteratorIbN2at6native12_GLOBAL__N_19NonZeroOpIfEEPKflEENS0_5tupleIJPlS6_EEENSN_IJSD_SD_EEES6_PiJS6_EEE10hipError_tPvRmT3_T4_T5_T6_T7_T9_mT8_P12ihipStream_tbDpT10_ENKUlT_T0_E_clISt17integral_constantIbLb1EES1B_EEDaS16_S17_EUlS16_E_NS1_11comp_targetILNS1_3genE9ELNS1_11target_archE1100ELNS1_3gpuE3ELNS1_3repE0EEENS1_30default_config_static_selectorELNS0_4arch9wavefront6targetE0EEEvT1_.private_seg_size, 0
	.set _ZN7rocprim17ROCPRIM_400000_NS6detail17trampoline_kernelINS0_14default_configENS1_25partition_config_selectorILNS1_17partition_subalgoE5ElNS0_10empty_typeEbEEZZNS1_14partition_implILS5_5ELb0ES3_mN6hipcub16HIPCUB_304000_NS21CountingInputIteratorIllEEPS6_NSA_22TransformInputIteratorIbN2at6native12_GLOBAL__N_19NonZeroOpIfEEPKflEENS0_5tupleIJPlS6_EEENSN_IJSD_SD_EEES6_PiJS6_EEE10hipError_tPvRmT3_T4_T5_T6_T7_T9_mT8_P12ihipStream_tbDpT10_ENKUlT_T0_E_clISt17integral_constantIbLb1EES1B_EEDaS16_S17_EUlS16_E_NS1_11comp_targetILNS1_3genE9ELNS1_11target_archE1100ELNS1_3gpuE3ELNS1_3repE0EEENS1_30default_config_static_selectorELNS0_4arch9wavefront6targetE0EEEvT1_.uses_vcc, 0
	.set _ZN7rocprim17ROCPRIM_400000_NS6detail17trampoline_kernelINS0_14default_configENS1_25partition_config_selectorILNS1_17partition_subalgoE5ElNS0_10empty_typeEbEEZZNS1_14partition_implILS5_5ELb0ES3_mN6hipcub16HIPCUB_304000_NS21CountingInputIteratorIllEEPS6_NSA_22TransformInputIteratorIbN2at6native12_GLOBAL__N_19NonZeroOpIfEEPKflEENS0_5tupleIJPlS6_EEENSN_IJSD_SD_EEES6_PiJS6_EEE10hipError_tPvRmT3_T4_T5_T6_T7_T9_mT8_P12ihipStream_tbDpT10_ENKUlT_T0_E_clISt17integral_constantIbLb1EES1B_EEDaS16_S17_EUlS16_E_NS1_11comp_targetILNS1_3genE9ELNS1_11target_archE1100ELNS1_3gpuE3ELNS1_3repE0EEENS1_30default_config_static_selectorELNS0_4arch9wavefront6targetE0EEEvT1_.uses_flat_scratch, 0
	.set _ZN7rocprim17ROCPRIM_400000_NS6detail17trampoline_kernelINS0_14default_configENS1_25partition_config_selectorILNS1_17partition_subalgoE5ElNS0_10empty_typeEbEEZZNS1_14partition_implILS5_5ELb0ES3_mN6hipcub16HIPCUB_304000_NS21CountingInputIteratorIllEEPS6_NSA_22TransformInputIteratorIbN2at6native12_GLOBAL__N_19NonZeroOpIfEEPKflEENS0_5tupleIJPlS6_EEENSN_IJSD_SD_EEES6_PiJS6_EEE10hipError_tPvRmT3_T4_T5_T6_T7_T9_mT8_P12ihipStream_tbDpT10_ENKUlT_T0_E_clISt17integral_constantIbLb1EES1B_EEDaS16_S17_EUlS16_E_NS1_11comp_targetILNS1_3genE9ELNS1_11target_archE1100ELNS1_3gpuE3ELNS1_3repE0EEENS1_30default_config_static_selectorELNS0_4arch9wavefront6targetE0EEEvT1_.has_dyn_sized_stack, 0
	.set _ZN7rocprim17ROCPRIM_400000_NS6detail17trampoline_kernelINS0_14default_configENS1_25partition_config_selectorILNS1_17partition_subalgoE5ElNS0_10empty_typeEbEEZZNS1_14partition_implILS5_5ELb0ES3_mN6hipcub16HIPCUB_304000_NS21CountingInputIteratorIllEEPS6_NSA_22TransformInputIteratorIbN2at6native12_GLOBAL__N_19NonZeroOpIfEEPKflEENS0_5tupleIJPlS6_EEENSN_IJSD_SD_EEES6_PiJS6_EEE10hipError_tPvRmT3_T4_T5_T6_T7_T9_mT8_P12ihipStream_tbDpT10_ENKUlT_T0_E_clISt17integral_constantIbLb1EES1B_EEDaS16_S17_EUlS16_E_NS1_11comp_targetILNS1_3genE9ELNS1_11target_archE1100ELNS1_3gpuE3ELNS1_3repE0EEENS1_30default_config_static_selectorELNS0_4arch9wavefront6targetE0EEEvT1_.has_recursion, 0
	.set _ZN7rocprim17ROCPRIM_400000_NS6detail17trampoline_kernelINS0_14default_configENS1_25partition_config_selectorILNS1_17partition_subalgoE5ElNS0_10empty_typeEbEEZZNS1_14partition_implILS5_5ELb0ES3_mN6hipcub16HIPCUB_304000_NS21CountingInputIteratorIllEEPS6_NSA_22TransformInputIteratorIbN2at6native12_GLOBAL__N_19NonZeroOpIfEEPKflEENS0_5tupleIJPlS6_EEENSN_IJSD_SD_EEES6_PiJS6_EEE10hipError_tPvRmT3_T4_T5_T6_T7_T9_mT8_P12ihipStream_tbDpT10_ENKUlT_T0_E_clISt17integral_constantIbLb1EES1B_EEDaS16_S17_EUlS16_E_NS1_11comp_targetILNS1_3genE9ELNS1_11target_archE1100ELNS1_3gpuE3ELNS1_3repE0EEENS1_30default_config_static_selectorELNS0_4arch9wavefront6targetE0EEEvT1_.has_indirect_call, 0
	.section	.AMDGPU.csdata,"",@progbits
; Kernel info:
; codeLenInByte = 0
; TotalNumSgprs: 0
; NumVgprs: 0
; ScratchSize: 0
; MemoryBound: 0
; FloatMode: 240
; IeeeMode: 1
; LDSByteSize: 0 bytes/workgroup (compile time only)
; SGPRBlocks: 0
; VGPRBlocks: 0
; NumSGPRsForWavesPerEU: 1
; NumVGPRsForWavesPerEU: 1
; Occupancy: 16
; WaveLimiterHint : 0
; COMPUTE_PGM_RSRC2:SCRATCH_EN: 0
; COMPUTE_PGM_RSRC2:USER_SGPR: 2
; COMPUTE_PGM_RSRC2:TRAP_HANDLER: 0
; COMPUTE_PGM_RSRC2:TGID_X_EN: 1
; COMPUTE_PGM_RSRC2:TGID_Y_EN: 0
; COMPUTE_PGM_RSRC2:TGID_Z_EN: 0
; COMPUTE_PGM_RSRC2:TIDIG_COMP_CNT: 0
	.section	.text._ZN7rocprim17ROCPRIM_400000_NS6detail17trampoline_kernelINS0_14default_configENS1_25partition_config_selectorILNS1_17partition_subalgoE5ElNS0_10empty_typeEbEEZZNS1_14partition_implILS5_5ELb0ES3_mN6hipcub16HIPCUB_304000_NS21CountingInputIteratorIllEEPS6_NSA_22TransformInputIteratorIbN2at6native12_GLOBAL__N_19NonZeroOpIfEEPKflEENS0_5tupleIJPlS6_EEENSN_IJSD_SD_EEES6_PiJS6_EEE10hipError_tPvRmT3_T4_T5_T6_T7_T9_mT8_P12ihipStream_tbDpT10_ENKUlT_T0_E_clISt17integral_constantIbLb1EES1B_EEDaS16_S17_EUlS16_E_NS1_11comp_targetILNS1_3genE8ELNS1_11target_archE1030ELNS1_3gpuE2ELNS1_3repE0EEENS1_30default_config_static_selectorELNS0_4arch9wavefront6targetE0EEEvT1_,"axG",@progbits,_ZN7rocprim17ROCPRIM_400000_NS6detail17trampoline_kernelINS0_14default_configENS1_25partition_config_selectorILNS1_17partition_subalgoE5ElNS0_10empty_typeEbEEZZNS1_14partition_implILS5_5ELb0ES3_mN6hipcub16HIPCUB_304000_NS21CountingInputIteratorIllEEPS6_NSA_22TransformInputIteratorIbN2at6native12_GLOBAL__N_19NonZeroOpIfEEPKflEENS0_5tupleIJPlS6_EEENSN_IJSD_SD_EEES6_PiJS6_EEE10hipError_tPvRmT3_T4_T5_T6_T7_T9_mT8_P12ihipStream_tbDpT10_ENKUlT_T0_E_clISt17integral_constantIbLb1EES1B_EEDaS16_S17_EUlS16_E_NS1_11comp_targetILNS1_3genE8ELNS1_11target_archE1030ELNS1_3gpuE2ELNS1_3repE0EEENS1_30default_config_static_selectorELNS0_4arch9wavefront6targetE0EEEvT1_,comdat
	.globl	_ZN7rocprim17ROCPRIM_400000_NS6detail17trampoline_kernelINS0_14default_configENS1_25partition_config_selectorILNS1_17partition_subalgoE5ElNS0_10empty_typeEbEEZZNS1_14partition_implILS5_5ELb0ES3_mN6hipcub16HIPCUB_304000_NS21CountingInputIteratorIllEEPS6_NSA_22TransformInputIteratorIbN2at6native12_GLOBAL__N_19NonZeroOpIfEEPKflEENS0_5tupleIJPlS6_EEENSN_IJSD_SD_EEES6_PiJS6_EEE10hipError_tPvRmT3_T4_T5_T6_T7_T9_mT8_P12ihipStream_tbDpT10_ENKUlT_T0_E_clISt17integral_constantIbLb1EES1B_EEDaS16_S17_EUlS16_E_NS1_11comp_targetILNS1_3genE8ELNS1_11target_archE1030ELNS1_3gpuE2ELNS1_3repE0EEENS1_30default_config_static_selectorELNS0_4arch9wavefront6targetE0EEEvT1_ ; -- Begin function _ZN7rocprim17ROCPRIM_400000_NS6detail17trampoline_kernelINS0_14default_configENS1_25partition_config_selectorILNS1_17partition_subalgoE5ElNS0_10empty_typeEbEEZZNS1_14partition_implILS5_5ELb0ES3_mN6hipcub16HIPCUB_304000_NS21CountingInputIteratorIllEEPS6_NSA_22TransformInputIteratorIbN2at6native12_GLOBAL__N_19NonZeroOpIfEEPKflEENS0_5tupleIJPlS6_EEENSN_IJSD_SD_EEES6_PiJS6_EEE10hipError_tPvRmT3_T4_T5_T6_T7_T9_mT8_P12ihipStream_tbDpT10_ENKUlT_T0_E_clISt17integral_constantIbLb1EES1B_EEDaS16_S17_EUlS16_E_NS1_11comp_targetILNS1_3genE8ELNS1_11target_archE1030ELNS1_3gpuE2ELNS1_3repE0EEENS1_30default_config_static_selectorELNS0_4arch9wavefront6targetE0EEEvT1_
	.p2align	8
	.type	_ZN7rocprim17ROCPRIM_400000_NS6detail17trampoline_kernelINS0_14default_configENS1_25partition_config_selectorILNS1_17partition_subalgoE5ElNS0_10empty_typeEbEEZZNS1_14partition_implILS5_5ELb0ES3_mN6hipcub16HIPCUB_304000_NS21CountingInputIteratorIllEEPS6_NSA_22TransformInputIteratorIbN2at6native12_GLOBAL__N_19NonZeroOpIfEEPKflEENS0_5tupleIJPlS6_EEENSN_IJSD_SD_EEES6_PiJS6_EEE10hipError_tPvRmT3_T4_T5_T6_T7_T9_mT8_P12ihipStream_tbDpT10_ENKUlT_T0_E_clISt17integral_constantIbLb1EES1B_EEDaS16_S17_EUlS16_E_NS1_11comp_targetILNS1_3genE8ELNS1_11target_archE1030ELNS1_3gpuE2ELNS1_3repE0EEENS1_30default_config_static_selectorELNS0_4arch9wavefront6targetE0EEEvT1_,@function
_ZN7rocprim17ROCPRIM_400000_NS6detail17trampoline_kernelINS0_14default_configENS1_25partition_config_selectorILNS1_17partition_subalgoE5ElNS0_10empty_typeEbEEZZNS1_14partition_implILS5_5ELb0ES3_mN6hipcub16HIPCUB_304000_NS21CountingInputIteratorIllEEPS6_NSA_22TransformInputIteratorIbN2at6native12_GLOBAL__N_19NonZeroOpIfEEPKflEENS0_5tupleIJPlS6_EEENSN_IJSD_SD_EEES6_PiJS6_EEE10hipError_tPvRmT3_T4_T5_T6_T7_T9_mT8_P12ihipStream_tbDpT10_ENKUlT_T0_E_clISt17integral_constantIbLb1EES1B_EEDaS16_S17_EUlS16_E_NS1_11comp_targetILNS1_3genE8ELNS1_11target_archE1030ELNS1_3gpuE2ELNS1_3repE0EEENS1_30default_config_static_selectorELNS0_4arch9wavefront6targetE0EEEvT1_: ; @_ZN7rocprim17ROCPRIM_400000_NS6detail17trampoline_kernelINS0_14default_configENS1_25partition_config_selectorILNS1_17partition_subalgoE5ElNS0_10empty_typeEbEEZZNS1_14partition_implILS5_5ELb0ES3_mN6hipcub16HIPCUB_304000_NS21CountingInputIteratorIllEEPS6_NSA_22TransformInputIteratorIbN2at6native12_GLOBAL__N_19NonZeroOpIfEEPKflEENS0_5tupleIJPlS6_EEENSN_IJSD_SD_EEES6_PiJS6_EEE10hipError_tPvRmT3_T4_T5_T6_T7_T9_mT8_P12ihipStream_tbDpT10_ENKUlT_T0_E_clISt17integral_constantIbLb1EES1B_EEDaS16_S17_EUlS16_E_NS1_11comp_targetILNS1_3genE8ELNS1_11target_archE1030ELNS1_3gpuE2ELNS1_3repE0EEENS1_30default_config_static_selectorELNS0_4arch9wavefront6targetE0EEEvT1_
; %bb.0:
	.section	.rodata,"a",@progbits
	.p2align	6, 0x0
	.amdhsa_kernel _ZN7rocprim17ROCPRIM_400000_NS6detail17trampoline_kernelINS0_14default_configENS1_25partition_config_selectorILNS1_17partition_subalgoE5ElNS0_10empty_typeEbEEZZNS1_14partition_implILS5_5ELb0ES3_mN6hipcub16HIPCUB_304000_NS21CountingInputIteratorIllEEPS6_NSA_22TransformInputIteratorIbN2at6native12_GLOBAL__N_19NonZeroOpIfEEPKflEENS0_5tupleIJPlS6_EEENSN_IJSD_SD_EEES6_PiJS6_EEE10hipError_tPvRmT3_T4_T5_T6_T7_T9_mT8_P12ihipStream_tbDpT10_ENKUlT_T0_E_clISt17integral_constantIbLb1EES1B_EEDaS16_S17_EUlS16_E_NS1_11comp_targetILNS1_3genE8ELNS1_11target_archE1030ELNS1_3gpuE2ELNS1_3repE0EEENS1_30default_config_static_selectorELNS0_4arch9wavefront6targetE0EEEvT1_
		.amdhsa_group_segment_fixed_size 0
		.amdhsa_private_segment_fixed_size 0
		.amdhsa_kernarg_size 136
		.amdhsa_user_sgpr_count 2
		.amdhsa_user_sgpr_dispatch_ptr 0
		.amdhsa_user_sgpr_queue_ptr 0
		.amdhsa_user_sgpr_kernarg_segment_ptr 1
		.amdhsa_user_sgpr_dispatch_id 0
		.amdhsa_user_sgpr_private_segment_size 0
		.amdhsa_wavefront_size32 1
		.amdhsa_uses_dynamic_stack 0
		.amdhsa_enable_private_segment 0
		.amdhsa_system_sgpr_workgroup_id_x 1
		.amdhsa_system_sgpr_workgroup_id_y 0
		.amdhsa_system_sgpr_workgroup_id_z 0
		.amdhsa_system_sgpr_workgroup_info 0
		.amdhsa_system_vgpr_workitem_id 0
		.amdhsa_next_free_vgpr 1
		.amdhsa_next_free_sgpr 1
		.amdhsa_reserve_vcc 0
		.amdhsa_float_round_mode_32 0
		.amdhsa_float_round_mode_16_64 0
		.amdhsa_float_denorm_mode_32 3
		.amdhsa_float_denorm_mode_16_64 3
		.amdhsa_fp16_overflow 0
		.amdhsa_workgroup_processor_mode 1
		.amdhsa_memory_ordered 1
		.amdhsa_forward_progress 1
		.amdhsa_inst_pref_size 0
		.amdhsa_round_robin_scheduling 0
		.amdhsa_exception_fp_ieee_invalid_op 0
		.amdhsa_exception_fp_denorm_src 0
		.amdhsa_exception_fp_ieee_div_zero 0
		.amdhsa_exception_fp_ieee_overflow 0
		.amdhsa_exception_fp_ieee_underflow 0
		.amdhsa_exception_fp_ieee_inexact 0
		.amdhsa_exception_int_div_zero 0
	.end_amdhsa_kernel
	.section	.text._ZN7rocprim17ROCPRIM_400000_NS6detail17trampoline_kernelINS0_14default_configENS1_25partition_config_selectorILNS1_17partition_subalgoE5ElNS0_10empty_typeEbEEZZNS1_14partition_implILS5_5ELb0ES3_mN6hipcub16HIPCUB_304000_NS21CountingInputIteratorIllEEPS6_NSA_22TransformInputIteratorIbN2at6native12_GLOBAL__N_19NonZeroOpIfEEPKflEENS0_5tupleIJPlS6_EEENSN_IJSD_SD_EEES6_PiJS6_EEE10hipError_tPvRmT3_T4_T5_T6_T7_T9_mT8_P12ihipStream_tbDpT10_ENKUlT_T0_E_clISt17integral_constantIbLb1EES1B_EEDaS16_S17_EUlS16_E_NS1_11comp_targetILNS1_3genE8ELNS1_11target_archE1030ELNS1_3gpuE2ELNS1_3repE0EEENS1_30default_config_static_selectorELNS0_4arch9wavefront6targetE0EEEvT1_,"axG",@progbits,_ZN7rocprim17ROCPRIM_400000_NS6detail17trampoline_kernelINS0_14default_configENS1_25partition_config_selectorILNS1_17partition_subalgoE5ElNS0_10empty_typeEbEEZZNS1_14partition_implILS5_5ELb0ES3_mN6hipcub16HIPCUB_304000_NS21CountingInputIteratorIllEEPS6_NSA_22TransformInputIteratorIbN2at6native12_GLOBAL__N_19NonZeroOpIfEEPKflEENS0_5tupleIJPlS6_EEENSN_IJSD_SD_EEES6_PiJS6_EEE10hipError_tPvRmT3_T4_T5_T6_T7_T9_mT8_P12ihipStream_tbDpT10_ENKUlT_T0_E_clISt17integral_constantIbLb1EES1B_EEDaS16_S17_EUlS16_E_NS1_11comp_targetILNS1_3genE8ELNS1_11target_archE1030ELNS1_3gpuE2ELNS1_3repE0EEENS1_30default_config_static_selectorELNS0_4arch9wavefront6targetE0EEEvT1_,comdat
.Lfunc_end473:
	.size	_ZN7rocprim17ROCPRIM_400000_NS6detail17trampoline_kernelINS0_14default_configENS1_25partition_config_selectorILNS1_17partition_subalgoE5ElNS0_10empty_typeEbEEZZNS1_14partition_implILS5_5ELb0ES3_mN6hipcub16HIPCUB_304000_NS21CountingInputIteratorIllEEPS6_NSA_22TransformInputIteratorIbN2at6native12_GLOBAL__N_19NonZeroOpIfEEPKflEENS0_5tupleIJPlS6_EEENSN_IJSD_SD_EEES6_PiJS6_EEE10hipError_tPvRmT3_T4_T5_T6_T7_T9_mT8_P12ihipStream_tbDpT10_ENKUlT_T0_E_clISt17integral_constantIbLb1EES1B_EEDaS16_S17_EUlS16_E_NS1_11comp_targetILNS1_3genE8ELNS1_11target_archE1030ELNS1_3gpuE2ELNS1_3repE0EEENS1_30default_config_static_selectorELNS0_4arch9wavefront6targetE0EEEvT1_, .Lfunc_end473-_ZN7rocprim17ROCPRIM_400000_NS6detail17trampoline_kernelINS0_14default_configENS1_25partition_config_selectorILNS1_17partition_subalgoE5ElNS0_10empty_typeEbEEZZNS1_14partition_implILS5_5ELb0ES3_mN6hipcub16HIPCUB_304000_NS21CountingInputIteratorIllEEPS6_NSA_22TransformInputIteratorIbN2at6native12_GLOBAL__N_19NonZeroOpIfEEPKflEENS0_5tupleIJPlS6_EEENSN_IJSD_SD_EEES6_PiJS6_EEE10hipError_tPvRmT3_T4_T5_T6_T7_T9_mT8_P12ihipStream_tbDpT10_ENKUlT_T0_E_clISt17integral_constantIbLb1EES1B_EEDaS16_S17_EUlS16_E_NS1_11comp_targetILNS1_3genE8ELNS1_11target_archE1030ELNS1_3gpuE2ELNS1_3repE0EEENS1_30default_config_static_selectorELNS0_4arch9wavefront6targetE0EEEvT1_
                                        ; -- End function
	.set _ZN7rocprim17ROCPRIM_400000_NS6detail17trampoline_kernelINS0_14default_configENS1_25partition_config_selectorILNS1_17partition_subalgoE5ElNS0_10empty_typeEbEEZZNS1_14partition_implILS5_5ELb0ES3_mN6hipcub16HIPCUB_304000_NS21CountingInputIteratorIllEEPS6_NSA_22TransformInputIteratorIbN2at6native12_GLOBAL__N_19NonZeroOpIfEEPKflEENS0_5tupleIJPlS6_EEENSN_IJSD_SD_EEES6_PiJS6_EEE10hipError_tPvRmT3_T4_T5_T6_T7_T9_mT8_P12ihipStream_tbDpT10_ENKUlT_T0_E_clISt17integral_constantIbLb1EES1B_EEDaS16_S17_EUlS16_E_NS1_11comp_targetILNS1_3genE8ELNS1_11target_archE1030ELNS1_3gpuE2ELNS1_3repE0EEENS1_30default_config_static_selectorELNS0_4arch9wavefront6targetE0EEEvT1_.num_vgpr, 0
	.set _ZN7rocprim17ROCPRIM_400000_NS6detail17trampoline_kernelINS0_14default_configENS1_25partition_config_selectorILNS1_17partition_subalgoE5ElNS0_10empty_typeEbEEZZNS1_14partition_implILS5_5ELb0ES3_mN6hipcub16HIPCUB_304000_NS21CountingInputIteratorIllEEPS6_NSA_22TransformInputIteratorIbN2at6native12_GLOBAL__N_19NonZeroOpIfEEPKflEENS0_5tupleIJPlS6_EEENSN_IJSD_SD_EEES6_PiJS6_EEE10hipError_tPvRmT3_T4_T5_T6_T7_T9_mT8_P12ihipStream_tbDpT10_ENKUlT_T0_E_clISt17integral_constantIbLb1EES1B_EEDaS16_S17_EUlS16_E_NS1_11comp_targetILNS1_3genE8ELNS1_11target_archE1030ELNS1_3gpuE2ELNS1_3repE0EEENS1_30default_config_static_selectorELNS0_4arch9wavefront6targetE0EEEvT1_.num_agpr, 0
	.set _ZN7rocprim17ROCPRIM_400000_NS6detail17trampoline_kernelINS0_14default_configENS1_25partition_config_selectorILNS1_17partition_subalgoE5ElNS0_10empty_typeEbEEZZNS1_14partition_implILS5_5ELb0ES3_mN6hipcub16HIPCUB_304000_NS21CountingInputIteratorIllEEPS6_NSA_22TransformInputIteratorIbN2at6native12_GLOBAL__N_19NonZeroOpIfEEPKflEENS0_5tupleIJPlS6_EEENSN_IJSD_SD_EEES6_PiJS6_EEE10hipError_tPvRmT3_T4_T5_T6_T7_T9_mT8_P12ihipStream_tbDpT10_ENKUlT_T0_E_clISt17integral_constantIbLb1EES1B_EEDaS16_S17_EUlS16_E_NS1_11comp_targetILNS1_3genE8ELNS1_11target_archE1030ELNS1_3gpuE2ELNS1_3repE0EEENS1_30default_config_static_selectorELNS0_4arch9wavefront6targetE0EEEvT1_.numbered_sgpr, 0
	.set _ZN7rocprim17ROCPRIM_400000_NS6detail17trampoline_kernelINS0_14default_configENS1_25partition_config_selectorILNS1_17partition_subalgoE5ElNS0_10empty_typeEbEEZZNS1_14partition_implILS5_5ELb0ES3_mN6hipcub16HIPCUB_304000_NS21CountingInputIteratorIllEEPS6_NSA_22TransformInputIteratorIbN2at6native12_GLOBAL__N_19NonZeroOpIfEEPKflEENS0_5tupleIJPlS6_EEENSN_IJSD_SD_EEES6_PiJS6_EEE10hipError_tPvRmT3_T4_T5_T6_T7_T9_mT8_P12ihipStream_tbDpT10_ENKUlT_T0_E_clISt17integral_constantIbLb1EES1B_EEDaS16_S17_EUlS16_E_NS1_11comp_targetILNS1_3genE8ELNS1_11target_archE1030ELNS1_3gpuE2ELNS1_3repE0EEENS1_30default_config_static_selectorELNS0_4arch9wavefront6targetE0EEEvT1_.num_named_barrier, 0
	.set _ZN7rocprim17ROCPRIM_400000_NS6detail17trampoline_kernelINS0_14default_configENS1_25partition_config_selectorILNS1_17partition_subalgoE5ElNS0_10empty_typeEbEEZZNS1_14partition_implILS5_5ELb0ES3_mN6hipcub16HIPCUB_304000_NS21CountingInputIteratorIllEEPS6_NSA_22TransformInputIteratorIbN2at6native12_GLOBAL__N_19NonZeroOpIfEEPKflEENS0_5tupleIJPlS6_EEENSN_IJSD_SD_EEES6_PiJS6_EEE10hipError_tPvRmT3_T4_T5_T6_T7_T9_mT8_P12ihipStream_tbDpT10_ENKUlT_T0_E_clISt17integral_constantIbLb1EES1B_EEDaS16_S17_EUlS16_E_NS1_11comp_targetILNS1_3genE8ELNS1_11target_archE1030ELNS1_3gpuE2ELNS1_3repE0EEENS1_30default_config_static_selectorELNS0_4arch9wavefront6targetE0EEEvT1_.private_seg_size, 0
	.set _ZN7rocprim17ROCPRIM_400000_NS6detail17trampoline_kernelINS0_14default_configENS1_25partition_config_selectorILNS1_17partition_subalgoE5ElNS0_10empty_typeEbEEZZNS1_14partition_implILS5_5ELb0ES3_mN6hipcub16HIPCUB_304000_NS21CountingInputIteratorIllEEPS6_NSA_22TransformInputIteratorIbN2at6native12_GLOBAL__N_19NonZeroOpIfEEPKflEENS0_5tupleIJPlS6_EEENSN_IJSD_SD_EEES6_PiJS6_EEE10hipError_tPvRmT3_T4_T5_T6_T7_T9_mT8_P12ihipStream_tbDpT10_ENKUlT_T0_E_clISt17integral_constantIbLb1EES1B_EEDaS16_S17_EUlS16_E_NS1_11comp_targetILNS1_3genE8ELNS1_11target_archE1030ELNS1_3gpuE2ELNS1_3repE0EEENS1_30default_config_static_selectorELNS0_4arch9wavefront6targetE0EEEvT1_.uses_vcc, 0
	.set _ZN7rocprim17ROCPRIM_400000_NS6detail17trampoline_kernelINS0_14default_configENS1_25partition_config_selectorILNS1_17partition_subalgoE5ElNS0_10empty_typeEbEEZZNS1_14partition_implILS5_5ELb0ES3_mN6hipcub16HIPCUB_304000_NS21CountingInputIteratorIllEEPS6_NSA_22TransformInputIteratorIbN2at6native12_GLOBAL__N_19NonZeroOpIfEEPKflEENS0_5tupleIJPlS6_EEENSN_IJSD_SD_EEES6_PiJS6_EEE10hipError_tPvRmT3_T4_T5_T6_T7_T9_mT8_P12ihipStream_tbDpT10_ENKUlT_T0_E_clISt17integral_constantIbLb1EES1B_EEDaS16_S17_EUlS16_E_NS1_11comp_targetILNS1_3genE8ELNS1_11target_archE1030ELNS1_3gpuE2ELNS1_3repE0EEENS1_30default_config_static_selectorELNS0_4arch9wavefront6targetE0EEEvT1_.uses_flat_scratch, 0
	.set _ZN7rocprim17ROCPRIM_400000_NS6detail17trampoline_kernelINS0_14default_configENS1_25partition_config_selectorILNS1_17partition_subalgoE5ElNS0_10empty_typeEbEEZZNS1_14partition_implILS5_5ELb0ES3_mN6hipcub16HIPCUB_304000_NS21CountingInputIteratorIllEEPS6_NSA_22TransformInputIteratorIbN2at6native12_GLOBAL__N_19NonZeroOpIfEEPKflEENS0_5tupleIJPlS6_EEENSN_IJSD_SD_EEES6_PiJS6_EEE10hipError_tPvRmT3_T4_T5_T6_T7_T9_mT8_P12ihipStream_tbDpT10_ENKUlT_T0_E_clISt17integral_constantIbLb1EES1B_EEDaS16_S17_EUlS16_E_NS1_11comp_targetILNS1_3genE8ELNS1_11target_archE1030ELNS1_3gpuE2ELNS1_3repE0EEENS1_30default_config_static_selectorELNS0_4arch9wavefront6targetE0EEEvT1_.has_dyn_sized_stack, 0
	.set _ZN7rocprim17ROCPRIM_400000_NS6detail17trampoline_kernelINS0_14default_configENS1_25partition_config_selectorILNS1_17partition_subalgoE5ElNS0_10empty_typeEbEEZZNS1_14partition_implILS5_5ELb0ES3_mN6hipcub16HIPCUB_304000_NS21CountingInputIteratorIllEEPS6_NSA_22TransformInputIteratorIbN2at6native12_GLOBAL__N_19NonZeroOpIfEEPKflEENS0_5tupleIJPlS6_EEENSN_IJSD_SD_EEES6_PiJS6_EEE10hipError_tPvRmT3_T4_T5_T6_T7_T9_mT8_P12ihipStream_tbDpT10_ENKUlT_T0_E_clISt17integral_constantIbLb1EES1B_EEDaS16_S17_EUlS16_E_NS1_11comp_targetILNS1_3genE8ELNS1_11target_archE1030ELNS1_3gpuE2ELNS1_3repE0EEENS1_30default_config_static_selectorELNS0_4arch9wavefront6targetE0EEEvT1_.has_recursion, 0
	.set _ZN7rocprim17ROCPRIM_400000_NS6detail17trampoline_kernelINS0_14default_configENS1_25partition_config_selectorILNS1_17partition_subalgoE5ElNS0_10empty_typeEbEEZZNS1_14partition_implILS5_5ELb0ES3_mN6hipcub16HIPCUB_304000_NS21CountingInputIteratorIllEEPS6_NSA_22TransformInputIteratorIbN2at6native12_GLOBAL__N_19NonZeroOpIfEEPKflEENS0_5tupleIJPlS6_EEENSN_IJSD_SD_EEES6_PiJS6_EEE10hipError_tPvRmT3_T4_T5_T6_T7_T9_mT8_P12ihipStream_tbDpT10_ENKUlT_T0_E_clISt17integral_constantIbLb1EES1B_EEDaS16_S17_EUlS16_E_NS1_11comp_targetILNS1_3genE8ELNS1_11target_archE1030ELNS1_3gpuE2ELNS1_3repE0EEENS1_30default_config_static_selectorELNS0_4arch9wavefront6targetE0EEEvT1_.has_indirect_call, 0
	.section	.AMDGPU.csdata,"",@progbits
; Kernel info:
; codeLenInByte = 0
; TotalNumSgprs: 0
; NumVgprs: 0
; ScratchSize: 0
; MemoryBound: 0
; FloatMode: 240
; IeeeMode: 1
; LDSByteSize: 0 bytes/workgroup (compile time only)
; SGPRBlocks: 0
; VGPRBlocks: 0
; NumSGPRsForWavesPerEU: 1
; NumVGPRsForWavesPerEU: 1
; Occupancy: 16
; WaveLimiterHint : 0
; COMPUTE_PGM_RSRC2:SCRATCH_EN: 0
; COMPUTE_PGM_RSRC2:USER_SGPR: 2
; COMPUTE_PGM_RSRC2:TRAP_HANDLER: 0
; COMPUTE_PGM_RSRC2:TGID_X_EN: 1
; COMPUTE_PGM_RSRC2:TGID_Y_EN: 0
; COMPUTE_PGM_RSRC2:TGID_Z_EN: 0
; COMPUTE_PGM_RSRC2:TIDIG_COMP_CNT: 0
	.section	.text._ZN7rocprim17ROCPRIM_400000_NS6detail17trampoline_kernelINS0_14default_configENS1_25partition_config_selectorILNS1_17partition_subalgoE5ElNS0_10empty_typeEbEEZZNS1_14partition_implILS5_5ELb0ES3_mN6hipcub16HIPCUB_304000_NS21CountingInputIteratorIllEEPS6_NSA_22TransformInputIteratorIbN2at6native12_GLOBAL__N_19NonZeroOpIfEEPKflEENS0_5tupleIJPlS6_EEENSN_IJSD_SD_EEES6_PiJS6_EEE10hipError_tPvRmT3_T4_T5_T6_T7_T9_mT8_P12ihipStream_tbDpT10_ENKUlT_T0_E_clISt17integral_constantIbLb1EES1A_IbLb0EEEEDaS16_S17_EUlS16_E_NS1_11comp_targetILNS1_3genE0ELNS1_11target_archE4294967295ELNS1_3gpuE0ELNS1_3repE0EEENS1_30default_config_static_selectorELNS0_4arch9wavefront6targetE0EEEvT1_,"axG",@progbits,_ZN7rocprim17ROCPRIM_400000_NS6detail17trampoline_kernelINS0_14default_configENS1_25partition_config_selectorILNS1_17partition_subalgoE5ElNS0_10empty_typeEbEEZZNS1_14partition_implILS5_5ELb0ES3_mN6hipcub16HIPCUB_304000_NS21CountingInputIteratorIllEEPS6_NSA_22TransformInputIteratorIbN2at6native12_GLOBAL__N_19NonZeroOpIfEEPKflEENS0_5tupleIJPlS6_EEENSN_IJSD_SD_EEES6_PiJS6_EEE10hipError_tPvRmT3_T4_T5_T6_T7_T9_mT8_P12ihipStream_tbDpT10_ENKUlT_T0_E_clISt17integral_constantIbLb1EES1A_IbLb0EEEEDaS16_S17_EUlS16_E_NS1_11comp_targetILNS1_3genE0ELNS1_11target_archE4294967295ELNS1_3gpuE0ELNS1_3repE0EEENS1_30default_config_static_selectorELNS0_4arch9wavefront6targetE0EEEvT1_,comdat
	.globl	_ZN7rocprim17ROCPRIM_400000_NS6detail17trampoline_kernelINS0_14default_configENS1_25partition_config_selectorILNS1_17partition_subalgoE5ElNS0_10empty_typeEbEEZZNS1_14partition_implILS5_5ELb0ES3_mN6hipcub16HIPCUB_304000_NS21CountingInputIteratorIllEEPS6_NSA_22TransformInputIteratorIbN2at6native12_GLOBAL__N_19NonZeroOpIfEEPKflEENS0_5tupleIJPlS6_EEENSN_IJSD_SD_EEES6_PiJS6_EEE10hipError_tPvRmT3_T4_T5_T6_T7_T9_mT8_P12ihipStream_tbDpT10_ENKUlT_T0_E_clISt17integral_constantIbLb1EES1A_IbLb0EEEEDaS16_S17_EUlS16_E_NS1_11comp_targetILNS1_3genE0ELNS1_11target_archE4294967295ELNS1_3gpuE0ELNS1_3repE0EEENS1_30default_config_static_selectorELNS0_4arch9wavefront6targetE0EEEvT1_ ; -- Begin function _ZN7rocprim17ROCPRIM_400000_NS6detail17trampoline_kernelINS0_14default_configENS1_25partition_config_selectorILNS1_17partition_subalgoE5ElNS0_10empty_typeEbEEZZNS1_14partition_implILS5_5ELb0ES3_mN6hipcub16HIPCUB_304000_NS21CountingInputIteratorIllEEPS6_NSA_22TransformInputIteratorIbN2at6native12_GLOBAL__N_19NonZeroOpIfEEPKflEENS0_5tupleIJPlS6_EEENSN_IJSD_SD_EEES6_PiJS6_EEE10hipError_tPvRmT3_T4_T5_T6_T7_T9_mT8_P12ihipStream_tbDpT10_ENKUlT_T0_E_clISt17integral_constantIbLb1EES1A_IbLb0EEEEDaS16_S17_EUlS16_E_NS1_11comp_targetILNS1_3genE0ELNS1_11target_archE4294967295ELNS1_3gpuE0ELNS1_3repE0EEENS1_30default_config_static_selectorELNS0_4arch9wavefront6targetE0EEEvT1_
	.p2align	8
	.type	_ZN7rocprim17ROCPRIM_400000_NS6detail17trampoline_kernelINS0_14default_configENS1_25partition_config_selectorILNS1_17partition_subalgoE5ElNS0_10empty_typeEbEEZZNS1_14partition_implILS5_5ELb0ES3_mN6hipcub16HIPCUB_304000_NS21CountingInputIteratorIllEEPS6_NSA_22TransformInputIteratorIbN2at6native12_GLOBAL__N_19NonZeroOpIfEEPKflEENS0_5tupleIJPlS6_EEENSN_IJSD_SD_EEES6_PiJS6_EEE10hipError_tPvRmT3_T4_T5_T6_T7_T9_mT8_P12ihipStream_tbDpT10_ENKUlT_T0_E_clISt17integral_constantIbLb1EES1A_IbLb0EEEEDaS16_S17_EUlS16_E_NS1_11comp_targetILNS1_3genE0ELNS1_11target_archE4294967295ELNS1_3gpuE0ELNS1_3repE0EEENS1_30default_config_static_selectorELNS0_4arch9wavefront6targetE0EEEvT1_,@function
_ZN7rocprim17ROCPRIM_400000_NS6detail17trampoline_kernelINS0_14default_configENS1_25partition_config_selectorILNS1_17partition_subalgoE5ElNS0_10empty_typeEbEEZZNS1_14partition_implILS5_5ELb0ES3_mN6hipcub16HIPCUB_304000_NS21CountingInputIteratorIllEEPS6_NSA_22TransformInputIteratorIbN2at6native12_GLOBAL__N_19NonZeroOpIfEEPKflEENS0_5tupleIJPlS6_EEENSN_IJSD_SD_EEES6_PiJS6_EEE10hipError_tPvRmT3_T4_T5_T6_T7_T9_mT8_P12ihipStream_tbDpT10_ENKUlT_T0_E_clISt17integral_constantIbLb1EES1A_IbLb0EEEEDaS16_S17_EUlS16_E_NS1_11comp_targetILNS1_3genE0ELNS1_11target_archE4294967295ELNS1_3gpuE0ELNS1_3repE0EEENS1_30default_config_static_selectorELNS0_4arch9wavefront6targetE0EEEvT1_: ; @_ZN7rocprim17ROCPRIM_400000_NS6detail17trampoline_kernelINS0_14default_configENS1_25partition_config_selectorILNS1_17partition_subalgoE5ElNS0_10empty_typeEbEEZZNS1_14partition_implILS5_5ELb0ES3_mN6hipcub16HIPCUB_304000_NS21CountingInputIteratorIllEEPS6_NSA_22TransformInputIteratorIbN2at6native12_GLOBAL__N_19NonZeroOpIfEEPKflEENS0_5tupleIJPlS6_EEENSN_IJSD_SD_EEES6_PiJS6_EEE10hipError_tPvRmT3_T4_T5_T6_T7_T9_mT8_P12ihipStream_tbDpT10_ENKUlT_T0_E_clISt17integral_constantIbLb1EES1A_IbLb0EEEEDaS16_S17_EUlS16_E_NS1_11comp_targetILNS1_3genE0ELNS1_11target_archE4294967295ELNS1_3gpuE0ELNS1_3repE0EEENS1_30default_config_static_selectorELNS0_4arch9wavefront6targetE0EEEvT1_
; %bb.0:
	.section	.rodata,"a",@progbits
	.p2align	6, 0x0
	.amdhsa_kernel _ZN7rocprim17ROCPRIM_400000_NS6detail17trampoline_kernelINS0_14default_configENS1_25partition_config_selectorILNS1_17partition_subalgoE5ElNS0_10empty_typeEbEEZZNS1_14partition_implILS5_5ELb0ES3_mN6hipcub16HIPCUB_304000_NS21CountingInputIteratorIllEEPS6_NSA_22TransformInputIteratorIbN2at6native12_GLOBAL__N_19NonZeroOpIfEEPKflEENS0_5tupleIJPlS6_EEENSN_IJSD_SD_EEES6_PiJS6_EEE10hipError_tPvRmT3_T4_T5_T6_T7_T9_mT8_P12ihipStream_tbDpT10_ENKUlT_T0_E_clISt17integral_constantIbLb1EES1A_IbLb0EEEEDaS16_S17_EUlS16_E_NS1_11comp_targetILNS1_3genE0ELNS1_11target_archE4294967295ELNS1_3gpuE0ELNS1_3repE0EEENS1_30default_config_static_selectorELNS0_4arch9wavefront6targetE0EEEvT1_
		.amdhsa_group_segment_fixed_size 0
		.amdhsa_private_segment_fixed_size 0
		.amdhsa_kernarg_size 120
		.amdhsa_user_sgpr_count 2
		.amdhsa_user_sgpr_dispatch_ptr 0
		.amdhsa_user_sgpr_queue_ptr 0
		.amdhsa_user_sgpr_kernarg_segment_ptr 1
		.amdhsa_user_sgpr_dispatch_id 0
		.amdhsa_user_sgpr_private_segment_size 0
		.amdhsa_wavefront_size32 1
		.amdhsa_uses_dynamic_stack 0
		.amdhsa_enable_private_segment 0
		.amdhsa_system_sgpr_workgroup_id_x 1
		.amdhsa_system_sgpr_workgroup_id_y 0
		.amdhsa_system_sgpr_workgroup_id_z 0
		.amdhsa_system_sgpr_workgroup_info 0
		.amdhsa_system_vgpr_workitem_id 0
		.amdhsa_next_free_vgpr 1
		.amdhsa_next_free_sgpr 1
		.amdhsa_reserve_vcc 0
		.amdhsa_float_round_mode_32 0
		.amdhsa_float_round_mode_16_64 0
		.amdhsa_float_denorm_mode_32 3
		.amdhsa_float_denorm_mode_16_64 3
		.amdhsa_fp16_overflow 0
		.amdhsa_workgroup_processor_mode 1
		.amdhsa_memory_ordered 1
		.amdhsa_forward_progress 1
		.amdhsa_inst_pref_size 0
		.amdhsa_round_robin_scheduling 0
		.amdhsa_exception_fp_ieee_invalid_op 0
		.amdhsa_exception_fp_denorm_src 0
		.amdhsa_exception_fp_ieee_div_zero 0
		.amdhsa_exception_fp_ieee_overflow 0
		.amdhsa_exception_fp_ieee_underflow 0
		.amdhsa_exception_fp_ieee_inexact 0
		.amdhsa_exception_int_div_zero 0
	.end_amdhsa_kernel
	.section	.text._ZN7rocprim17ROCPRIM_400000_NS6detail17trampoline_kernelINS0_14default_configENS1_25partition_config_selectorILNS1_17partition_subalgoE5ElNS0_10empty_typeEbEEZZNS1_14partition_implILS5_5ELb0ES3_mN6hipcub16HIPCUB_304000_NS21CountingInputIteratorIllEEPS6_NSA_22TransformInputIteratorIbN2at6native12_GLOBAL__N_19NonZeroOpIfEEPKflEENS0_5tupleIJPlS6_EEENSN_IJSD_SD_EEES6_PiJS6_EEE10hipError_tPvRmT3_T4_T5_T6_T7_T9_mT8_P12ihipStream_tbDpT10_ENKUlT_T0_E_clISt17integral_constantIbLb1EES1A_IbLb0EEEEDaS16_S17_EUlS16_E_NS1_11comp_targetILNS1_3genE0ELNS1_11target_archE4294967295ELNS1_3gpuE0ELNS1_3repE0EEENS1_30default_config_static_selectorELNS0_4arch9wavefront6targetE0EEEvT1_,"axG",@progbits,_ZN7rocprim17ROCPRIM_400000_NS6detail17trampoline_kernelINS0_14default_configENS1_25partition_config_selectorILNS1_17partition_subalgoE5ElNS0_10empty_typeEbEEZZNS1_14partition_implILS5_5ELb0ES3_mN6hipcub16HIPCUB_304000_NS21CountingInputIteratorIllEEPS6_NSA_22TransformInputIteratorIbN2at6native12_GLOBAL__N_19NonZeroOpIfEEPKflEENS0_5tupleIJPlS6_EEENSN_IJSD_SD_EEES6_PiJS6_EEE10hipError_tPvRmT3_T4_T5_T6_T7_T9_mT8_P12ihipStream_tbDpT10_ENKUlT_T0_E_clISt17integral_constantIbLb1EES1A_IbLb0EEEEDaS16_S17_EUlS16_E_NS1_11comp_targetILNS1_3genE0ELNS1_11target_archE4294967295ELNS1_3gpuE0ELNS1_3repE0EEENS1_30default_config_static_selectorELNS0_4arch9wavefront6targetE0EEEvT1_,comdat
.Lfunc_end474:
	.size	_ZN7rocprim17ROCPRIM_400000_NS6detail17trampoline_kernelINS0_14default_configENS1_25partition_config_selectorILNS1_17partition_subalgoE5ElNS0_10empty_typeEbEEZZNS1_14partition_implILS5_5ELb0ES3_mN6hipcub16HIPCUB_304000_NS21CountingInputIteratorIllEEPS6_NSA_22TransformInputIteratorIbN2at6native12_GLOBAL__N_19NonZeroOpIfEEPKflEENS0_5tupleIJPlS6_EEENSN_IJSD_SD_EEES6_PiJS6_EEE10hipError_tPvRmT3_T4_T5_T6_T7_T9_mT8_P12ihipStream_tbDpT10_ENKUlT_T0_E_clISt17integral_constantIbLb1EES1A_IbLb0EEEEDaS16_S17_EUlS16_E_NS1_11comp_targetILNS1_3genE0ELNS1_11target_archE4294967295ELNS1_3gpuE0ELNS1_3repE0EEENS1_30default_config_static_selectorELNS0_4arch9wavefront6targetE0EEEvT1_, .Lfunc_end474-_ZN7rocprim17ROCPRIM_400000_NS6detail17trampoline_kernelINS0_14default_configENS1_25partition_config_selectorILNS1_17partition_subalgoE5ElNS0_10empty_typeEbEEZZNS1_14partition_implILS5_5ELb0ES3_mN6hipcub16HIPCUB_304000_NS21CountingInputIteratorIllEEPS6_NSA_22TransformInputIteratorIbN2at6native12_GLOBAL__N_19NonZeroOpIfEEPKflEENS0_5tupleIJPlS6_EEENSN_IJSD_SD_EEES6_PiJS6_EEE10hipError_tPvRmT3_T4_T5_T6_T7_T9_mT8_P12ihipStream_tbDpT10_ENKUlT_T0_E_clISt17integral_constantIbLb1EES1A_IbLb0EEEEDaS16_S17_EUlS16_E_NS1_11comp_targetILNS1_3genE0ELNS1_11target_archE4294967295ELNS1_3gpuE0ELNS1_3repE0EEENS1_30default_config_static_selectorELNS0_4arch9wavefront6targetE0EEEvT1_
                                        ; -- End function
	.set _ZN7rocprim17ROCPRIM_400000_NS6detail17trampoline_kernelINS0_14default_configENS1_25partition_config_selectorILNS1_17partition_subalgoE5ElNS0_10empty_typeEbEEZZNS1_14partition_implILS5_5ELb0ES3_mN6hipcub16HIPCUB_304000_NS21CountingInputIteratorIllEEPS6_NSA_22TransformInputIteratorIbN2at6native12_GLOBAL__N_19NonZeroOpIfEEPKflEENS0_5tupleIJPlS6_EEENSN_IJSD_SD_EEES6_PiJS6_EEE10hipError_tPvRmT3_T4_T5_T6_T7_T9_mT8_P12ihipStream_tbDpT10_ENKUlT_T0_E_clISt17integral_constantIbLb1EES1A_IbLb0EEEEDaS16_S17_EUlS16_E_NS1_11comp_targetILNS1_3genE0ELNS1_11target_archE4294967295ELNS1_3gpuE0ELNS1_3repE0EEENS1_30default_config_static_selectorELNS0_4arch9wavefront6targetE0EEEvT1_.num_vgpr, 0
	.set _ZN7rocprim17ROCPRIM_400000_NS6detail17trampoline_kernelINS0_14default_configENS1_25partition_config_selectorILNS1_17partition_subalgoE5ElNS0_10empty_typeEbEEZZNS1_14partition_implILS5_5ELb0ES3_mN6hipcub16HIPCUB_304000_NS21CountingInputIteratorIllEEPS6_NSA_22TransformInputIteratorIbN2at6native12_GLOBAL__N_19NonZeroOpIfEEPKflEENS0_5tupleIJPlS6_EEENSN_IJSD_SD_EEES6_PiJS6_EEE10hipError_tPvRmT3_T4_T5_T6_T7_T9_mT8_P12ihipStream_tbDpT10_ENKUlT_T0_E_clISt17integral_constantIbLb1EES1A_IbLb0EEEEDaS16_S17_EUlS16_E_NS1_11comp_targetILNS1_3genE0ELNS1_11target_archE4294967295ELNS1_3gpuE0ELNS1_3repE0EEENS1_30default_config_static_selectorELNS0_4arch9wavefront6targetE0EEEvT1_.num_agpr, 0
	.set _ZN7rocprim17ROCPRIM_400000_NS6detail17trampoline_kernelINS0_14default_configENS1_25partition_config_selectorILNS1_17partition_subalgoE5ElNS0_10empty_typeEbEEZZNS1_14partition_implILS5_5ELb0ES3_mN6hipcub16HIPCUB_304000_NS21CountingInputIteratorIllEEPS6_NSA_22TransformInputIteratorIbN2at6native12_GLOBAL__N_19NonZeroOpIfEEPKflEENS0_5tupleIJPlS6_EEENSN_IJSD_SD_EEES6_PiJS6_EEE10hipError_tPvRmT3_T4_T5_T6_T7_T9_mT8_P12ihipStream_tbDpT10_ENKUlT_T0_E_clISt17integral_constantIbLb1EES1A_IbLb0EEEEDaS16_S17_EUlS16_E_NS1_11comp_targetILNS1_3genE0ELNS1_11target_archE4294967295ELNS1_3gpuE0ELNS1_3repE0EEENS1_30default_config_static_selectorELNS0_4arch9wavefront6targetE0EEEvT1_.numbered_sgpr, 0
	.set _ZN7rocprim17ROCPRIM_400000_NS6detail17trampoline_kernelINS0_14default_configENS1_25partition_config_selectorILNS1_17partition_subalgoE5ElNS0_10empty_typeEbEEZZNS1_14partition_implILS5_5ELb0ES3_mN6hipcub16HIPCUB_304000_NS21CountingInputIteratorIllEEPS6_NSA_22TransformInputIteratorIbN2at6native12_GLOBAL__N_19NonZeroOpIfEEPKflEENS0_5tupleIJPlS6_EEENSN_IJSD_SD_EEES6_PiJS6_EEE10hipError_tPvRmT3_T4_T5_T6_T7_T9_mT8_P12ihipStream_tbDpT10_ENKUlT_T0_E_clISt17integral_constantIbLb1EES1A_IbLb0EEEEDaS16_S17_EUlS16_E_NS1_11comp_targetILNS1_3genE0ELNS1_11target_archE4294967295ELNS1_3gpuE0ELNS1_3repE0EEENS1_30default_config_static_selectorELNS0_4arch9wavefront6targetE0EEEvT1_.num_named_barrier, 0
	.set _ZN7rocprim17ROCPRIM_400000_NS6detail17trampoline_kernelINS0_14default_configENS1_25partition_config_selectorILNS1_17partition_subalgoE5ElNS0_10empty_typeEbEEZZNS1_14partition_implILS5_5ELb0ES3_mN6hipcub16HIPCUB_304000_NS21CountingInputIteratorIllEEPS6_NSA_22TransformInputIteratorIbN2at6native12_GLOBAL__N_19NonZeroOpIfEEPKflEENS0_5tupleIJPlS6_EEENSN_IJSD_SD_EEES6_PiJS6_EEE10hipError_tPvRmT3_T4_T5_T6_T7_T9_mT8_P12ihipStream_tbDpT10_ENKUlT_T0_E_clISt17integral_constantIbLb1EES1A_IbLb0EEEEDaS16_S17_EUlS16_E_NS1_11comp_targetILNS1_3genE0ELNS1_11target_archE4294967295ELNS1_3gpuE0ELNS1_3repE0EEENS1_30default_config_static_selectorELNS0_4arch9wavefront6targetE0EEEvT1_.private_seg_size, 0
	.set _ZN7rocprim17ROCPRIM_400000_NS6detail17trampoline_kernelINS0_14default_configENS1_25partition_config_selectorILNS1_17partition_subalgoE5ElNS0_10empty_typeEbEEZZNS1_14partition_implILS5_5ELb0ES3_mN6hipcub16HIPCUB_304000_NS21CountingInputIteratorIllEEPS6_NSA_22TransformInputIteratorIbN2at6native12_GLOBAL__N_19NonZeroOpIfEEPKflEENS0_5tupleIJPlS6_EEENSN_IJSD_SD_EEES6_PiJS6_EEE10hipError_tPvRmT3_T4_T5_T6_T7_T9_mT8_P12ihipStream_tbDpT10_ENKUlT_T0_E_clISt17integral_constantIbLb1EES1A_IbLb0EEEEDaS16_S17_EUlS16_E_NS1_11comp_targetILNS1_3genE0ELNS1_11target_archE4294967295ELNS1_3gpuE0ELNS1_3repE0EEENS1_30default_config_static_selectorELNS0_4arch9wavefront6targetE0EEEvT1_.uses_vcc, 0
	.set _ZN7rocprim17ROCPRIM_400000_NS6detail17trampoline_kernelINS0_14default_configENS1_25partition_config_selectorILNS1_17partition_subalgoE5ElNS0_10empty_typeEbEEZZNS1_14partition_implILS5_5ELb0ES3_mN6hipcub16HIPCUB_304000_NS21CountingInputIteratorIllEEPS6_NSA_22TransformInputIteratorIbN2at6native12_GLOBAL__N_19NonZeroOpIfEEPKflEENS0_5tupleIJPlS6_EEENSN_IJSD_SD_EEES6_PiJS6_EEE10hipError_tPvRmT3_T4_T5_T6_T7_T9_mT8_P12ihipStream_tbDpT10_ENKUlT_T0_E_clISt17integral_constantIbLb1EES1A_IbLb0EEEEDaS16_S17_EUlS16_E_NS1_11comp_targetILNS1_3genE0ELNS1_11target_archE4294967295ELNS1_3gpuE0ELNS1_3repE0EEENS1_30default_config_static_selectorELNS0_4arch9wavefront6targetE0EEEvT1_.uses_flat_scratch, 0
	.set _ZN7rocprim17ROCPRIM_400000_NS6detail17trampoline_kernelINS0_14default_configENS1_25partition_config_selectorILNS1_17partition_subalgoE5ElNS0_10empty_typeEbEEZZNS1_14partition_implILS5_5ELb0ES3_mN6hipcub16HIPCUB_304000_NS21CountingInputIteratorIllEEPS6_NSA_22TransformInputIteratorIbN2at6native12_GLOBAL__N_19NonZeroOpIfEEPKflEENS0_5tupleIJPlS6_EEENSN_IJSD_SD_EEES6_PiJS6_EEE10hipError_tPvRmT3_T4_T5_T6_T7_T9_mT8_P12ihipStream_tbDpT10_ENKUlT_T0_E_clISt17integral_constantIbLb1EES1A_IbLb0EEEEDaS16_S17_EUlS16_E_NS1_11comp_targetILNS1_3genE0ELNS1_11target_archE4294967295ELNS1_3gpuE0ELNS1_3repE0EEENS1_30default_config_static_selectorELNS0_4arch9wavefront6targetE0EEEvT1_.has_dyn_sized_stack, 0
	.set _ZN7rocprim17ROCPRIM_400000_NS6detail17trampoline_kernelINS0_14default_configENS1_25partition_config_selectorILNS1_17partition_subalgoE5ElNS0_10empty_typeEbEEZZNS1_14partition_implILS5_5ELb0ES3_mN6hipcub16HIPCUB_304000_NS21CountingInputIteratorIllEEPS6_NSA_22TransformInputIteratorIbN2at6native12_GLOBAL__N_19NonZeroOpIfEEPKflEENS0_5tupleIJPlS6_EEENSN_IJSD_SD_EEES6_PiJS6_EEE10hipError_tPvRmT3_T4_T5_T6_T7_T9_mT8_P12ihipStream_tbDpT10_ENKUlT_T0_E_clISt17integral_constantIbLb1EES1A_IbLb0EEEEDaS16_S17_EUlS16_E_NS1_11comp_targetILNS1_3genE0ELNS1_11target_archE4294967295ELNS1_3gpuE0ELNS1_3repE0EEENS1_30default_config_static_selectorELNS0_4arch9wavefront6targetE0EEEvT1_.has_recursion, 0
	.set _ZN7rocprim17ROCPRIM_400000_NS6detail17trampoline_kernelINS0_14default_configENS1_25partition_config_selectorILNS1_17partition_subalgoE5ElNS0_10empty_typeEbEEZZNS1_14partition_implILS5_5ELb0ES3_mN6hipcub16HIPCUB_304000_NS21CountingInputIteratorIllEEPS6_NSA_22TransformInputIteratorIbN2at6native12_GLOBAL__N_19NonZeroOpIfEEPKflEENS0_5tupleIJPlS6_EEENSN_IJSD_SD_EEES6_PiJS6_EEE10hipError_tPvRmT3_T4_T5_T6_T7_T9_mT8_P12ihipStream_tbDpT10_ENKUlT_T0_E_clISt17integral_constantIbLb1EES1A_IbLb0EEEEDaS16_S17_EUlS16_E_NS1_11comp_targetILNS1_3genE0ELNS1_11target_archE4294967295ELNS1_3gpuE0ELNS1_3repE0EEENS1_30default_config_static_selectorELNS0_4arch9wavefront6targetE0EEEvT1_.has_indirect_call, 0
	.section	.AMDGPU.csdata,"",@progbits
; Kernel info:
; codeLenInByte = 0
; TotalNumSgprs: 0
; NumVgprs: 0
; ScratchSize: 0
; MemoryBound: 0
; FloatMode: 240
; IeeeMode: 1
; LDSByteSize: 0 bytes/workgroup (compile time only)
; SGPRBlocks: 0
; VGPRBlocks: 0
; NumSGPRsForWavesPerEU: 1
; NumVGPRsForWavesPerEU: 1
; Occupancy: 16
; WaveLimiterHint : 0
; COMPUTE_PGM_RSRC2:SCRATCH_EN: 0
; COMPUTE_PGM_RSRC2:USER_SGPR: 2
; COMPUTE_PGM_RSRC2:TRAP_HANDLER: 0
; COMPUTE_PGM_RSRC2:TGID_X_EN: 1
; COMPUTE_PGM_RSRC2:TGID_Y_EN: 0
; COMPUTE_PGM_RSRC2:TGID_Z_EN: 0
; COMPUTE_PGM_RSRC2:TIDIG_COMP_CNT: 0
	.section	.text._ZN7rocprim17ROCPRIM_400000_NS6detail17trampoline_kernelINS0_14default_configENS1_25partition_config_selectorILNS1_17partition_subalgoE5ElNS0_10empty_typeEbEEZZNS1_14partition_implILS5_5ELb0ES3_mN6hipcub16HIPCUB_304000_NS21CountingInputIteratorIllEEPS6_NSA_22TransformInputIteratorIbN2at6native12_GLOBAL__N_19NonZeroOpIfEEPKflEENS0_5tupleIJPlS6_EEENSN_IJSD_SD_EEES6_PiJS6_EEE10hipError_tPvRmT3_T4_T5_T6_T7_T9_mT8_P12ihipStream_tbDpT10_ENKUlT_T0_E_clISt17integral_constantIbLb1EES1A_IbLb0EEEEDaS16_S17_EUlS16_E_NS1_11comp_targetILNS1_3genE5ELNS1_11target_archE942ELNS1_3gpuE9ELNS1_3repE0EEENS1_30default_config_static_selectorELNS0_4arch9wavefront6targetE0EEEvT1_,"axG",@progbits,_ZN7rocprim17ROCPRIM_400000_NS6detail17trampoline_kernelINS0_14default_configENS1_25partition_config_selectorILNS1_17partition_subalgoE5ElNS0_10empty_typeEbEEZZNS1_14partition_implILS5_5ELb0ES3_mN6hipcub16HIPCUB_304000_NS21CountingInputIteratorIllEEPS6_NSA_22TransformInputIteratorIbN2at6native12_GLOBAL__N_19NonZeroOpIfEEPKflEENS0_5tupleIJPlS6_EEENSN_IJSD_SD_EEES6_PiJS6_EEE10hipError_tPvRmT3_T4_T5_T6_T7_T9_mT8_P12ihipStream_tbDpT10_ENKUlT_T0_E_clISt17integral_constantIbLb1EES1A_IbLb0EEEEDaS16_S17_EUlS16_E_NS1_11comp_targetILNS1_3genE5ELNS1_11target_archE942ELNS1_3gpuE9ELNS1_3repE0EEENS1_30default_config_static_selectorELNS0_4arch9wavefront6targetE0EEEvT1_,comdat
	.globl	_ZN7rocprim17ROCPRIM_400000_NS6detail17trampoline_kernelINS0_14default_configENS1_25partition_config_selectorILNS1_17partition_subalgoE5ElNS0_10empty_typeEbEEZZNS1_14partition_implILS5_5ELb0ES3_mN6hipcub16HIPCUB_304000_NS21CountingInputIteratorIllEEPS6_NSA_22TransformInputIteratorIbN2at6native12_GLOBAL__N_19NonZeroOpIfEEPKflEENS0_5tupleIJPlS6_EEENSN_IJSD_SD_EEES6_PiJS6_EEE10hipError_tPvRmT3_T4_T5_T6_T7_T9_mT8_P12ihipStream_tbDpT10_ENKUlT_T0_E_clISt17integral_constantIbLb1EES1A_IbLb0EEEEDaS16_S17_EUlS16_E_NS1_11comp_targetILNS1_3genE5ELNS1_11target_archE942ELNS1_3gpuE9ELNS1_3repE0EEENS1_30default_config_static_selectorELNS0_4arch9wavefront6targetE0EEEvT1_ ; -- Begin function _ZN7rocprim17ROCPRIM_400000_NS6detail17trampoline_kernelINS0_14default_configENS1_25partition_config_selectorILNS1_17partition_subalgoE5ElNS0_10empty_typeEbEEZZNS1_14partition_implILS5_5ELb0ES3_mN6hipcub16HIPCUB_304000_NS21CountingInputIteratorIllEEPS6_NSA_22TransformInputIteratorIbN2at6native12_GLOBAL__N_19NonZeroOpIfEEPKflEENS0_5tupleIJPlS6_EEENSN_IJSD_SD_EEES6_PiJS6_EEE10hipError_tPvRmT3_T4_T5_T6_T7_T9_mT8_P12ihipStream_tbDpT10_ENKUlT_T0_E_clISt17integral_constantIbLb1EES1A_IbLb0EEEEDaS16_S17_EUlS16_E_NS1_11comp_targetILNS1_3genE5ELNS1_11target_archE942ELNS1_3gpuE9ELNS1_3repE0EEENS1_30default_config_static_selectorELNS0_4arch9wavefront6targetE0EEEvT1_
	.p2align	8
	.type	_ZN7rocprim17ROCPRIM_400000_NS6detail17trampoline_kernelINS0_14default_configENS1_25partition_config_selectorILNS1_17partition_subalgoE5ElNS0_10empty_typeEbEEZZNS1_14partition_implILS5_5ELb0ES3_mN6hipcub16HIPCUB_304000_NS21CountingInputIteratorIllEEPS6_NSA_22TransformInputIteratorIbN2at6native12_GLOBAL__N_19NonZeroOpIfEEPKflEENS0_5tupleIJPlS6_EEENSN_IJSD_SD_EEES6_PiJS6_EEE10hipError_tPvRmT3_T4_T5_T6_T7_T9_mT8_P12ihipStream_tbDpT10_ENKUlT_T0_E_clISt17integral_constantIbLb1EES1A_IbLb0EEEEDaS16_S17_EUlS16_E_NS1_11comp_targetILNS1_3genE5ELNS1_11target_archE942ELNS1_3gpuE9ELNS1_3repE0EEENS1_30default_config_static_selectorELNS0_4arch9wavefront6targetE0EEEvT1_,@function
_ZN7rocprim17ROCPRIM_400000_NS6detail17trampoline_kernelINS0_14default_configENS1_25partition_config_selectorILNS1_17partition_subalgoE5ElNS0_10empty_typeEbEEZZNS1_14partition_implILS5_5ELb0ES3_mN6hipcub16HIPCUB_304000_NS21CountingInputIteratorIllEEPS6_NSA_22TransformInputIteratorIbN2at6native12_GLOBAL__N_19NonZeroOpIfEEPKflEENS0_5tupleIJPlS6_EEENSN_IJSD_SD_EEES6_PiJS6_EEE10hipError_tPvRmT3_T4_T5_T6_T7_T9_mT8_P12ihipStream_tbDpT10_ENKUlT_T0_E_clISt17integral_constantIbLb1EES1A_IbLb0EEEEDaS16_S17_EUlS16_E_NS1_11comp_targetILNS1_3genE5ELNS1_11target_archE942ELNS1_3gpuE9ELNS1_3repE0EEENS1_30default_config_static_selectorELNS0_4arch9wavefront6targetE0EEEvT1_: ; @_ZN7rocprim17ROCPRIM_400000_NS6detail17trampoline_kernelINS0_14default_configENS1_25partition_config_selectorILNS1_17partition_subalgoE5ElNS0_10empty_typeEbEEZZNS1_14partition_implILS5_5ELb0ES3_mN6hipcub16HIPCUB_304000_NS21CountingInputIteratorIllEEPS6_NSA_22TransformInputIteratorIbN2at6native12_GLOBAL__N_19NonZeroOpIfEEPKflEENS0_5tupleIJPlS6_EEENSN_IJSD_SD_EEES6_PiJS6_EEE10hipError_tPvRmT3_T4_T5_T6_T7_T9_mT8_P12ihipStream_tbDpT10_ENKUlT_T0_E_clISt17integral_constantIbLb1EES1A_IbLb0EEEEDaS16_S17_EUlS16_E_NS1_11comp_targetILNS1_3genE5ELNS1_11target_archE942ELNS1_3gpuE9ELNS1_3repE0EEENS1_30default_config_static_selectorELNS0_4arch9wavefront6targetE0EEEvT1_
; %bb.0:
	.section	.rodata,"a",@progbits
	.p2align	6, 0x0
	.amdhsa_kernel _ZN7rocprim17ROCPRIM_400000_NS6detail17trampoline_kernelINS0_14default_configENS1_25partition_config_selectorILNS1_17partition_subalgoE5ElNS0_10empty_typeEbEEZZNS1_14partition_implILS5_5ELb0ES3_mN6hipcub16HIPCUB_304000_NS21CountingInputIteratorIllEEPS6_NSA_22TransformInputIteratorIbN2at6native12_GLOBAL__N_19NonZeroOpIfEEPKflEENS0_5tupleIJPlS6_EEENSN_IJSD_SD_EEES6_PiJS6_EEE10hipError_tPvRmT3_T4_T5_T6_T7_T9_mT8_P12ihipStream_tbDpT10_ENKUlT_T0_E_clISt17integral_constantIbLb1EES1A_IbLb0EEEEDaS16_S17_EUlS16_E_NS1_11comp_targetILNS1_3genE5ELNS1_11target_archE942ELNS1_3gpuE9ELNS1_3repE0EEENS1_30default_config_static_selectorELNS0_4arch9wavefront6targetE0EEEvT1_
		.amdhsa_group_segment_fixed_size 0
		.amdhsa_private_segment_fixed_size 0
		.amdhsa_kernarg_size 120
		.amdhsa_user_sgpr_count 2
		.amdhsa_user_sgpr_dispatch_ptr 0
		.amdhsa_user_sgpr_queue_ptr 0
		.amdhsa_user_sgpr_kernarg_segment_ptr 1
		.amdhsa_user_sgpr_dispatch_id 0
		.amdhsa_user_sgpr_private_segment_size 0
		.amdhsa_wavefront_size32 1
		.amdhsa_uses_dynamic_stack 0
		.amdhsa_enable_private_segment 0
		.amdhsa_system_sgpr_workgroup_id_x 1
		.amdhsa_system_sgpr_workgroup_id_y 0
		.amdhsa_system_sgpr_workgroup_id_z 0
		.amdhsa_system_sgpr_workgroup_info 0
		.amdhsa_system_vgpr_workitem_id 0
		.amdhsa_next_free_vgpr 1
		.amdhsa_next_free_sgpr 1
		.amdhsa_reserve_vcc 0
		.amdhsa_float_round_mode_32 0
		.amdhsa_float_round_mode_16_64 0
		.amdhsa_float_denorm_mode_32 3
		.amdhsa_float_denorm_mode_16_64 3
		.amdhsa_fp16_overflow 0
		.amdhsa_workgroup_processor_mode 1
		.amdhsa_memory_ordered 1
		.amdhsa_forward_progress 1
		.amdhsa_inst_pref_size 0
		.amdhsa_round_robin_scheduling 0
		.amdhsa_exception_fp_ieee_invalid_op 0
		.amdhsa_exception_fp_denorm_src 0
		.amdhsa_exception_fp_ieee_div_zero 0
		.amdhsa_exception_fp_ieee_overflow 0
		.amdhsa_exception_fp_ieee_underflow 0
		.amdhsa_exception_fp_ieee_inexact 0
		.amdhsa_exception_int_div_zero 0
	.end_amdhsa_kernel
	.section	.text._ZN7rocprim17ROCPRIM_400000_NS6detail17trampoline_kernelINS0_14default_configENS1_25partition_config_selectorILNS1_17partition_subalgoE5ElNS0_10empty_typeEbEEZZNS1_14partition_implILS5_5ELb0ES3_mN6hipcub16HIPCUB_304000_NS21CountingInputIteratorIllEEPS6_NSA_22TransformInputIteratorIbN2at6native12_GLOBAL__N_19NonZeroOpIfEEPKflEENS0_5tupleIJPlS6_EEENSN_IJSD_SD_EEES6_PiJS6_EEE10hipError_tPvRmT3_T4_T5_T6_T7_T9_mT8_P12ihipStream_tbDpT10_ENKUlT_T0_E_clISt17integral_constantIbLb1EES1A_IbLb0EEEEDaS16_S17_EUlS16_E_NS1_11comp_targetILNS1_3genE5ELNS1_11target_archE942ELNS1_3gpuE9ELNS1_3repE0EEENS1_30default_config_static_selectorELNS0_4arch9wavefront6targetE0EEEvT1_,"axG",@progbits,_ZN7rocprim17ROCPRIM_400000_NS6detail17trampoline_kernelINS0_14default_configENS1_25partition_config_selectorILNS1_17partition_subalgoE5ElNS0_10empty_typeEbEEZZNS1_14partition_implILS5_5ELb0ES3_mN6hipcub16HIPCUB_304000_NS21CountingInputIteratorIllEEPS6_NSA_22TransformInputIteratorIbN2at6native12_GLOBAL__N_19NonZeroOpIfEEPKflEENS0_5tupleIJPlS6_EEENSN_IJSD_SD_EEES6_PiJS6_EEE10hipError_tPvRmT3_T4_T5_T6_T7_T9_mT8_P12ihipStream_tbDpT10_ENKUlT_T0_E_clISt17integral_constantIbLb1EES1A_IbLb0EEEEDaS16_S17_EUlS16_E_NS1_11comp_targetILNS1_3genE5ELNS1_11target_archE942ELNS1_3gpuE9ELNS1_3repE0EEENS1_30default_config_static_selectorELNS0_4arch9wavefront6targetE0EEEvT1_,comdat
.Lfunc_end475:
	.size	_ZN7rocprim17ROCPRIM_400000_NS6detail17trampoline_kernelINS0_14default_configENS1_25partition_config_selectorILNS1_17partition_subalgoE5ElNS0_10empty_typeEbEEZZNS1_14partition_implILS5_5ELb0ES3_mN6hipcub16HIPCUB_304000_NS21CountingInputIteratorIllEEPS6_NSA_22TransformInputIteratorIbN2at6native12_GLOBAL__N_19NonZeroOpIfEEPKflEENS0_5tupleIJPlS6_EEENSN_IJSD_SD_EEES6_PiJS6_EEE10hipError_tPvRmT3_T4_T5_T6_T7_T9_mT8_P12ihipStream_tbDpT10_ENKUlT_T0_E_clISt17integral_constantIbLb1EES1A_IbLb0EEEEDaS16_S17_EUlS16_E_NS1_11comp_targetILNS1_3genE5ELNS1_11target_archE942ELNS1_3gpuE9ELNS1_3repE0EEENS1_30default_config_static_selectorELNS0_4arch9wavefront6targetE0EEEvT1_, .Lfunc_end475-_ZN7rocprim17ROCPRIM_400000_NS6detail17trampoline_kernelINS0_14default_configENS1_25partition_config_selectorILNS1_17partition_subalgoE5ElNS0_10empty_typeEbEEZZNS1_14partition_implILS5_5ELb0ES3_mN6hipcub16HIPCUB_304000_NS21CountingInputIteratorIllEEPS6_NSA_22TransformInputIteratorIbN2at6native12_GLOBAL__N_19NonZeroOpIfEEPKflEENS0_5tupleIJPlS6_EEENSN_IJSD_SD_EEES6_PiJS6_EEE10hipError_tPvRmT3_T4_T5_T6_T7_T9_mT8_P12ihipStream_tbDpT10_ENKUlT_T0_E_clISt17integral_constantIbLb1EES1A_IbLb0EEEEDaS16_S17_EUlS16_E_NS1_11comp_targetILNS1_3genE5ELNS1_11target_archE942ELNS1_3gpuE9ELNS1_3repE0EEENS1_30default_config_static_selectorELNS0_4arch9wavefront6targetE0EEEvT1_
                                        ; -- End function
	.set _ZN7rocprim17ROCPRIM_400000_NS6detail17trampoline_kernelINS0_14default_configENS1_25partition_config_selectorILNS1_17partition_subalgoE5ElNS0_10empty_typeEbEEZZNS1_14partition_implILS5_5ELb0ES3_mN6hipcub16HIPCUB_304000_NS21CountingInputIteratorIllEEPS6_NSA_22TransformInputIteratorIbN2at6native12_GLOBAL__N_19NonZeroOpIfEEPKflEENS0_5tupleIJPlS6_EEENSN_IJSD_SD_EEES6_PiJS6_EEE10hipError_tPvRmT3_T4_T5_T6_T7_T9_mT8_P12ihipStream_tbDpT10_ENKUlT_T0_E_clISt17integral_constantIbLb1EES1A_IbLb0EEEEDaS16_S17_EUlS16_E_NS1_11comp_targetILNS1_3genE5ELNS1_11target_archE942ELNS1_3gpuE9ELNS1_3repE0EEENS1_30default_config_static_selectorELNS0_4arch9wavefront6targetE0EEEvT1_.num_vgpr, 0
	.set _ZN7rocprim17ROCPRIM_400000_NS6detail17trampoline_kernelINS0_14default_configENS1_25partition_config_selectorILNS1_17partition_subalgoE5ElNS0_10empty_typeEbEEZZNS1_14partition_implILS5_5ELb0ES3_mN6hipcub16HIPCUB_304000_NS21CountingInputIteratorIllEEPS6_NSA_22TransformInputIteratorIbN2at6native12_GLOBAL__N_19NonZeroOpIfEEPKflEENS0_5tupleIJPlS6_EEENSN_IJSD_SD_EEES6_PiJS6_EEE10hipError_tPvRmT3_T4_T5_T6_T7_T9_mT8_P12ihipStream_tbDpT10_ENKUlT_T0_E_clISt17integral_constantIbLb1EES1A_IbLb0EEEEDaS16_S17_EUlS16_E_NS1_11comp_targetILNS1_3genE5ELNS1_11target_archE942ELNS1_3gpuE9ELNS1_3repE0EEENS1_30default_config_static_selectorELNS0_4arch9wavefront6targetE0EEEvT1_.num_agpr, 0
	.set _ZN7rocprim17ROCPRIM_400000_NS6detail17trampoline_kernelINS0_14default_configENS1_25partition_config_selectorILNS1_17partition_subalgoE5ElNS0_10empty_typeEbEEZZNS1_14partition_implILS5_5ELb0ES3_mN6hipcub16HIPCUB_304000_NS21CountingInputIteratorIllEEPS6_NSA_22TransformInputIteratorIbN2at6native12_GLOBAL__N_19NonZeroOpIfEEPKflEENS0_5tupleIJPlS6_EEENSN_IJSD_SD_EEES6_PiJS6_EEE10hipError_tPvRmT3_T4_T5_T6_T7_T9_mT8_P12ihipStream_tbDpT10_ENKUlT_T0_E_clISt17integral_constantIbLb1EES1A_IbLb0EEEEDaS16_S17_EUlS16_E_NS1_11comp_targetILNS1_3genE5ELNS1_11target_archE942ELNS1_3gpuE9ELNS1_3repE0EEENS1_30default_config_static_selectorELNS0_4arch9wavefront6targetE0EEEvT1_.numbered_sgpr, 0
	.set _ZN7rocprim17ROCPRIM_400000_NS6detail17trampoline_kernelINS0_14default_configENS1_25partition_config_selectorILNS1_17partition_subalgoE5ElNS0_10empty_typeEbEEZZNS1_14partition_implILS5_5ELb0ES3_mN6hipcub16HIPCUB_304000_NS21CountingInputIteratorIllEEPS6_NSA_22TransformInputIteratorIbN2at6native12_GLOBAL__N_19NonZeroOpIfEEPKflEENS0_5tupleIJPlS6_EEENSN_IJSD_SD_EEES6_PiJS6_EEE10hipError_tPvRmT3_T4_T5_T6_T7_T9_mT8_P12ihipStream_tbDpT10_ENKUlT_T0_E_clISt17integral_constantIbLb1EES1A_IbLb0EEEEDaS16_S17_EUlS16_E_NS1_11comp_targetILNS1_3genE5ELNS1_11target_archE942ELNS1_3gpuE9ELNS1_3repE0EEENS1_30default_config_static_selectorELNS0_4arch9wavefront6targetE0EEEvT1_.num_named_barrier, 0
	.set _ZN7rocprim17ROCPRIM_400000_NS6detail17trampoline_kernelINS0_14default_configENS1_25partition_config_selectorILNS1_17partition_subalgoE5ElNS0_10empty_typeEbEEZZNS1_14partition_implILS5_5ELb0ES3_mN6hipcub16HIPCUB_304000_NS21CountingInputIteratorIllEEPS6_NSA_22TransformInputIteratorIbN2at6native12_GLOBAL__N_19NonZeroOpIfEEPKflEENS0_5tupleIJPlS6_EEENSN_IJSD_SD_EEES6_PiJS6_EEE10hipError_tPvRmT3_T4_T5_T6_T7_T9_mT8_P12ihipStream_tbDpT10_ENKUlT_T0_E_clISt17integral_constantIbLb1EES1A_IbLb0EEEEDaS16_S17_EUlS16_E_NS1_11comp_targetILNS1_3genE5ELNS1_11target_archE942ELNS1_3gpuE9ELNS1_3repE0EEENS1_30default_config_static_selectorELNS0_4arch9wavefront6targetE0EEEvT1_.private_seg_size, 0
	.set _ZN7rocprim17ROCPRIM_400000_NS6detail17trampoline_kernelINS0_14default_configENS1_25partition_config_selectorILNS1_17partition_subalgoE5ElNS0_10empty_typeEbEEZZNS1_14partition_implILS5_5ELb0ES3_mN6hipcub16HIPCUB_304000_NS21CountingInputIteratorIllEEPS6_NSA_22TransformInputIteratorIbN2at6native12_GLOBAL__N_19NonZeroOpIfEEPKflEENS0_5tupleIJPlS6_EEENSN_IJSD_SD_EEES6_PiJS6_EEE10hipError_tPvRmT3_T4_T5_T6_T7_T9_mT8_P12ihipStream_tbDpT10_ENKUlT_T0_E_clISt17integral_constantIbLb1EES1A_IbLb0EEEEDaS16_S17_EUlS16_E_NS1_11comp_targetILNS1_3genE5ELNS1_11target_archE942ELNS1_3gpuE9ELNS1_3repE0EEENS1_30default_config_static_selectorELNS0_4arch9wavefront6targetE0EEEvT1_.uses_vcc, 0
	.set _ZN7rocprim17ROCPRIM_400000_NS6detail17trampoline_kernelINS0_14default_configENS1_25partition_config_selectorILNS1_17partition_subalgoE5ElNS0_10empty_typeEbEEZZNS1_14partition_implILS5_5ELb0ES3_mN6hipcub16HIPCUB_304000_NS21CountingInputIteratorIllEEPS6_NSA_22TransformInputIteratorIbN2at6native12_GLOBAL__N_19NonZeroOpIfEEPKflEENS0_5tupleIJPlS6_EEENSN_IJSD_SD_EEES6_PiJS6_EEE10hipError_tPvRmT3_T4_T5_T6_T7_T9_mT8_P12ihipStream_tbDpT10_ENKUlT_T0_E_clISt17integral_constantIbLb1EES1A_IbLb0EEEEDaS16_S17_EUlS16_E_NS1_11comp_targetILNS1_3genE5ELNS1_11target_archE942ELNS1_3gpuE9ELNS1_3repE0EEENS1_30default_config_static_selectorELNS0_4arch9wavefront6targetE0EEEvT1_.uses_flat_scratch, 0
	.set _ZN7rocprim17ROCPRIM_400000_NS6detail17trampoline_kernelINS0_14default_configENS1_25partition_config_selectorILNS1_17partition_subalgoE5ElNS0_10empty_typeEbEEZZNS1_14partition_implILS5_5ELb0ES3_mN6hipcub16HIPCUB_304000_NS21CountingInputIteratorIllEEPS6_NSA_22TransformInputIteratorIbN2at6native12_GLOBAL__N_19NonZeroOpIfEEPKflEENS0_5tupleIJPlS6_EEENSN_IJSD_SD_EEES6_PiJS6_EEE10hipError_tPvRmT3_T4_T5_T6_T7_T9_mT8_P12ihipStream_tbDpT10_ENKUlT_T0_E_clISt17integral_constantIbLb1EES1A_IbLb0EEEEDaS16_S17_EUlS16_E_NS1_11comp_targetILNS1_3genE5ELNS1_11target_archE942ELNS1_3gpuE9ELNS1_3repE0EEENS1_30default_config_static_selectorELNS0_4arch9wavefront6targetE0EEEvT1_.has_dyn_sized_stack, 0
	.set _ZN7rocprim17ROCPRIM_400000_NS6detail17trampoline_kernelINS0_14default_configENS1_25partition_config_selectorILNS1_17partition_subalgoE5ElNS0_10empty_typeEbEEZZNS1_14partition_implILS5_5ELb0ES3_mN6hipcub16HIPCUB_304000_NS21CountingInputIteratorIllEEPS6_NSA_22TransformInputIteratorIbN2at6native12_GLOBAL__N_19NonZeroOpIfEEPKflEENS0_5tupleIJPlS6_EEENSN_IJSD_SD_EEES6_PiJS6_EEE10hipError_tPvRmT3_T4_T5_T6_T7_T9_mT8_P12ihipStream_tbDpT10_ENKUlT_T0_E_clISt17integral_constantIbLb1EES1A_IbLb0EEEEDaS16_S17_EUlS16_E_NS1_11comp_targetILNS1_3genE5ELNS1_11target_archE942ELNS1_3gpuE9ELNS1_3repE0EEENS1_30default_config_static_selectorELNS0_4arch9wavefront6targetE0EEEvT1_.has_recursion, 0
	.set _ZN7rocprim17ROCPRIM_400000_NS6detail17trampoline_kernelINS0_14default_configENS1_25partition_config_selectorILNS1_17partition_subalgoE5ElNS0_10empty_typeEbEEZZNS1_14partition_implILS5_5ELb0ES3_mN6hipcub16HIPCUB_304000_NS21CountingInputIteratorIllEEPS6_NSA_22TransformInputIteratorIbN2at6native12_GLOBAL__N_19NonZeroOpIfEEPKflEENS0_5tupleIJPlS6_EEENSN_IJSD_SD_EEES6_PiJS6_EEE10hipError_tPvRmT3_T4_T5_T6_T7_T9_mT8_P12ihipStream_tbDpT10_ENKUlT_T0_E_clISt17integral_constantIbLb1EES1A_IbLb0EEEEDaS16_S17_EUlS16_E_NS1_11comp_targetILNS1_3genE5ELNS1_11target_archE942ELNS1_3gpuE9ELNS1_3repE0EEENS1_30default_config_static_selectorELNS0_4arch9wavefront6targetE0EEEvT1_.has_indirect_call, 0
	.section	.AMDGPU.csdata,"",@progbits
; Kernel info:
; codeLenInByte = 0
; TotalNumSgprs: 0
; NumVgprs: 0
; ScratchSize: 0
; MemoryBound: 0
; FloatMode: 240
; IeeeMode: 1
; LDSByteSize: 0 bytes/workgroup (compile time only)
; SGPRBlocks: 0
; VGPRBlocks: 0
; NumSGPRsForWavesPerEU: 1
; NumVGPRsForWavesPerEU: 1
; Occupancy: 16
; WaveLimiterHint : 0
; COMPUTE_PGM_RSRC2:SCRATCH_EN: 0
; COMPUTE_PGM_RSRC2:USER_SGPR: 2
; COMPUTE_PGM_RSRC2:TRAP_HANDLER: 0
; COMPUTE_PGM_RSRC2:TGID_X_EN: 1
; COMPUTE_PGM_RSRC2:TGID_Y_EN: 0
; COMPUTE_PGM_RSRC2:TGID_Z_EN: 0
; COMPUTE_PGM_RSRC2:TIDIG_COMP_CNT: 0
	.section	.text._ZN7rocprim17ROCPRIM_400000_NS6detail17trampoline_kernelINS0_14default_configENS1_25partition_config_selectorILNS1_17partition_subalgoE5ElNS0_10empty_typeEbEEZZNS1_14partition_implILS5_5ELb0ES3_mN6hipcub16HIPCUB_304000_NS21CountingInputIteratorIllEEPS6_NSA_22TransformInputIteratorIbN2at6native12_GLOBAL__N_19NonZeroOpIfEEPKflEENS0_5tupleIJPlS6_EEENSN_IJSD_SD_EEES6_PiJS6_EEE10hipError_tPvRmT3_T4_T5_T6_T7_T9_mT8_P12ihipStream_tbDpT10_ENKUlT_T0_E_clISt17integral_constantIbLb1EES1A_IbLb0EEEEDaS16_S17_EUlS16_E_NS1_11comp_targetILNS1_3genE4ELNS1_11target_archE910ELNS1_3gpuE8ELNS1_3repE0EEENS1_30default_config_static_selectorELNS0_4arch9wavefront6targetE0EEEvT1_,"axG",@progbits,_ZN7rocprim17ROCPRIM_400000_NS6detail17trampoline_kernelINS0_14default_configENS1_25partition_config_selectorILNS1_17partition_subalgoE5ElNS0_10empty_typeEbEEZZNS1_14partition_implILS5_5ELb0ES3_mN6hipcub16HIPCUB_304000_NS21CountingInputIteratorIllEEPS6_NSA_22TransformInputIteratorIbN2at6native12_GLOBAL__N_19NonZeroOpIfEEPKflEENS0_5tupleIJPlS6_EEENSN_IJSD_SD_EEES6_PiJS6_EEE10hipError_tPvRmT3_T4_T5_T6_T7_T9_mT8_P12ihipStream_tbDpT10_ENKUlT_T0_E_clISt17integral_constantIbLb1EES1A_IbLb0EEEEDaS16_S17_EUlS16_E_NS1_11comp_targetILNS1_3genE4ELNS1_11target_archE910ELNS1_3gpuE8ELNS1_3repE0EEENS1_30default_config_static_selectorELNS0_4arch9wavefront6targetE0EEEvT1_,comdat
	.globl	_ZN7rocprim17ROCPRIM_400000_NS6detail17trampoline_kernelINS0_14default_configENS1_25partition_config_selectorILNS1_17partition_subalgoE5ElNS0_10empty_typeEbEEZZNS1_14partition_implILS5_5ELb0ES3_mN6hipcub16HIPCUB_304000_NS21CountingInputIteratorIllEEPS6_NSA_22TransformInputIteratorIbN2at6native12_GLOBAL__N_19NonZeroOpIfEEPKflEENS0_5tupleIJPlS6_EEENSN_IJSD_SD_EEES6_PiJS6_EEE10hipError_tPvRmT3_T4_T5_T6_T7_T9_mT8_P12ihipStream_tbDpT10_ENKUlT_T0_E_clISt17integral_constantIbLb1EES1A_IbLb0EEEEDaS16_S17_EUlS16_E_NS1_11comp_targetILNS1_3genE4ELNS1_11target_archE910ELNS1_3gpuE8ELNS1_3repE0EEENS1_30default_config_static_selectorELNS0_4arch9wavefront6targetE0EEEvT1_ ; -- Begin function _ZN7rocprim17ROCPRIM_400000_NS6detail17trampoline_kernelINS0_14default_configENS1_25partition_config_selectorILNS1_17partition_subalgoE5ElNS0_10empty_typeEbEEZZNS1_14partition_implILS5_5ELb0ES3_mN6hipcub16HIPCUB_304000_NS21CountingInputIteratorIllEEPS6_NSA_22TransformInputIteratorIbN2at6native12_GLOBAL__N_19NonZeroOpIfEEPKflEENS0_5tupleIJPlS6_EEENSN_IJSD_SD_EEES6_PiJS6_EEE10hipError_tPvRmT3_T4_T5_T6_T7_T9_mT8_P12ihipStream_tbDpT10_ENKUlT_T0_E_clISt17integral_constantIbLb1EES1A_IbLb0EEEEDaS16_S17_EUlS16_E_NS1_11comp_targetILNS1_3genE4ELNS1_11target_archE910ELNS1_3gpuE8ELNS1_3repE0EEENS1_30default_config_static_selectorELNS0_4arch9wavefront6targetE0EEEvT1_
	.p2align	8
	.type	_ZN7rocprim17ROCPRIM_400000_NS6detail17trampoline_kernelINS0_14default_configENS1_25partition_config_selectorILNS1_17partition_subalgoE5ElNS0_10empty_typeEbEEZZNS1_14partition_implILS5_5ELb0ES3_mN6hipcub16HIPCUB_304000_NS21CountingInputIteratorIllEEPS6_NSA_22TransformInputIteratorIbN2at6native12_GLOBAL__N_19NonZeroOpIfEEPKflEENS0_5tupleIJPlS6_EEENSN_IJSD_SD_EEES6_PiJS6_EEE10hipError_tPvRmT3_T4_T5_T6_T7_T9_mT8_P12ihipStream_tbDpT10_ENKUlT_T0_E_clISt17integral_constantIbLb1EES1A_IbLb0EEEEDaS16_S17_EUlS16_E_NS1_11comp_targetILNS1_3genE4ELNS1_11target_archE910ELNS1_3gpuE8ELNS1_3repE0EEENS1_30default_config_static_selectorELNS0_4arch9wavefront6targetE0EEEvT1_,@function
_ZN7rocprim17ROCPRIM_400000_NS6detail17trampoline_kernelINS0_14default_configENS1_25partition_config_selectorILNS1_17partition_subalgoE5ElNS0_10empty_typeEbEEZZNS1_14partition_implILS5_5ELb0ES3_mN6hipcub16HIPCUB_304000_NS21CountingInputIteratorIllEEPS6_NSA_22TransformInputIteratorIbN2at6native12_GLOBAL__N_19NonZeroOpIfEEPKflEENS0_5tupleIJPlS6_EEENSN_IJSD_SD_EEES6_PiJS6_EEE10hipError_tPvRmT3_T4_T5_T6_T7_T9_mT8_P12ihipStream_tbDpT10_ENKUlT_T0_E_clISt17integral_constantIbLb1EES1A_IbLb0EEEEDaS16_S17_EUlS16_E_NS1_11comp_targetILNS1_3genE4ELNS1_11target_archE910ELNS1_3gpuE8ELNS1_3repE0EEENS1_30default_config_static_selectorELNS0_4arch9wavefront6targetE0EEEvT1_: ; @_ZN7rocprim17ROCPRIM_400000_NS6detail17trampoline_kernelINS0_14default_configENS1_25partition_config_selectorILNS1_17partition_subalgoE5ElNS0_10empty_typeEbEEZZNS1_14partition_implILS5_5ELb0ES3_mN6hipcub16HIPCUB_304000_NS21CountingInputIteratorIllEEPS6_NSA_22TransformInputIteratorIbN2at6native12_GLOBAL__N_19NonZeroOpIfEEPKflEENS0_5tupleIJPlS6_EEENSN_IJSD_SD_EEES6_PiJS6_EEE10hipError_tPvRmT3_T4_T5_T6_T7_T9_mT8_P12ihipStream_tbDpT10_ENKUlT_T0_E_clISt17integral_constantIbLb1EES1A_IbLb0EEEEDaS16_S17_EUlS16_E_NS1_11comp_targetILNS1_3genE4ELNS1_11target_archE910ELNS1_3gpuE8ELNS1_3repE0EEENS1_30default_config_static_selectorELNS0_4arch9wavefront6targetE0EEEvT1_
; %bb.0:
	.section	.rodata,"a",@progbits
	.p2align	6, 0x0
	.amdhsa_kernel _ZN7rocprim17ROCPRIM_400000_NS6detail17trampoline_kernelINS0_14default_configENS1_25partition_config_selectorILNS1_17partition_subalgoE5ElNS0_10empty_typeEbEEZZNS1_14partition_implILS5_5ELb0ES3_mN6hipcub16HIPCUB_304000_NS21CountingInputIteratorIllEEPS6_NSA_22TransformInputIteratorIbN2at6native12_GLOBAL__N_19NonZeroOpIfEEPKflEENS0_5tupleIJPlS6_EEENSN_IJSD_SD_EEES6_PiJS6_EEE10hipError_tPvRmT3_T4_T5_T6_T7_T9_mT8_P12ihipStream_tbDpT10_ENKUlT_T0_E_clISt17integral_constantIbLb1EES1A_IbLb0EEEEDaS16_S17_EUlS16_E_NS1_11comp_targetILNS1_3genE4ELNS1_11target_archE910ELNS1_3gpuE8ELNS1_3repE0EEENS1_30default_config_static_selectorELNS0_4arch9wavefront6targetE0EEEvT1_
		.amdhsa_group_segment_fixed_size 0
		.amdhsa_private_segment_fixed_size 0
		.amdhsa_kernarg_size 120
		.amdhsa_user_sgpr_count 2
		.amdhsa_user_sgpr_dispatch_ptr 0
		.amdhsa_user_sgpr_queue_ptr 0
		.amdhsa_user_sgpr_kernarg_segment_ptr 1
		.amdhsa_user_sgpr_dispatch_id 0
		.amdhsa_user_sgpr_private_segment_size 0
		.amdhsa_wavefront_size32 1
		.amdhsa_uses_dynamic_stack 0
		.amdhsa_enable_private_segment 0
		.amdhsa_system_sgpr_workgroup_id_x 1
		.amdhsa_system_sgpr_workgroup_id_y 0
		.amdhsa_system_sgpr_workgroup_id_z 0
		.amdhsa_system_sgpr_workgroup_info 0
		.amdhsa_system_vgpr_workitem_id 0
		.amdhsa_next_free_vgpr 1
		.amdhsa_next_free_sgpr 1
		.amdhsa_reserve_vcc 0
		.amdhsa_float_round_mode_32 0
		.amdhsa_float_round_mode_16_64 0
		.amdhsa_float_denorm_mode_32 3
		.amdhsa_float_denorm_mode_16_64 3
		.amdhsa_fp16_overflow 0
		.amdhsa_workgroup_processor_mode 1
		.amdhsa_memory_ordered 1
		.amdhsa_forward_progress 1
		.amdhsa_inst_pref_size 0
		.amdhsa_round_robin_scheduling 0
		.amdhsa_exception_fp_ieee_invalid_op 0
		.amdhsa_exception_fp_denorm_src 0
		.amdhsa_exception_fp_ieee_div_zero 0
		.amdhsa_exception_fp_ieee_overflow 0
		.amdhsa_exception_fp_ieee_underflow 0
		.amdhsa_exception_fp_ieee_inexact 0
		.amdhsa_exception_int_div_zero 0
	.end_amdhsa_kernel
	.section	.text._ZN7rocprim17ROCPRIM_400000_NS6detail17trampoline_kernelINS0_14default_configENS1_25partition_config_selectorILNS1_17partition_subalgoE5ElNS0_10empty_typeEbEEZZNS1_14partition_implILS5_5ELb0ES3_mN6hipcub16HIPCUB_304000_NS21CountingInputIteratorIllEEPS6_NSA_22TransformInputIteratorIbN2at6native12_GLOBAL__N_19NonZeroOpIfEEPKflEENS0_5tupleIJPlS6_EEENSN_IJSD_SD_EEES6_PiJS6_EEE10hipError_tPvRmT3_T4_T5_T6_T7_T9_mT8_P12ihipStream_tbDpT10_ENKUlT_T0_E_clISt17integral_constantIbLb1EES1A_IbLb0EEEEDaS16_S17_EUlS16_E_NS1_11comp_targetILNS1_3genE4ELNS1_11target_archE910ELNS1_3gpuE8ELNS1_3repE0EEENS1_30default_config_static_selectorELNS0_4arch9wavefront6targetE0EEEvT1_,"axG",@progbits,_ZN7rocprim17ROCPRIM_400000_NS6detail17trampoline_kernelINS0_14default_configENS1_25partition_config_selectorILNS1_17partition_subalgoE5ElNS0_10empty_typeEbEEZZNS1_14partition_implILS5_5ELb0ES3_mN6hipcub16HIPCUB_304000_NS21CountingInputIteratorIllEEPS6_NSA_22TransformInputIteratorIbN2at6native12_GLOBAL__N_19NonZeroOpIfEEPKflEENS0_5tupleIJPlS6_EEENSN_IJSD_SD_EEES6_PiJS6_EEE10hipError_tPvRmT3_T4_T5_T6_T7_T9_mT8_P12ihipStream_tbDpT10_ENKUlT_T0_E_clISt17integral_constantIbLb1EES1A_IbLb0EEEEDaS16_S17_EUlS16_E_NS1_11comp_targetILNS1_3genE4ELNS1_11target_archE910ELNS1_3gpuE8ELNS1_3repE0EEENS1_30default_config_static_selectorELNS0_4arch9wavefront6targetE0EEEvT1_,comdat
.Lfunc_end476:
	.size	_ZN7rocprim17ROCPRIM_400000_NS6detail17trampoline_kernelINS0_14default_configENS1_25partition_config_selectorILNS1_17partition_subalgoE5ElNS0_10empty_typeEbEEZZNS1_14partition_implILS5_5ELb0ES3_mN6hipcub16HIPCUB_304000_NS21CountingInputIteratorIllEEPS6_NSA_22TransformInputIteratorIbN2at6native12_GLOBAL__N_19NonZeroOpIfEEPKflEENS0_5tupleIJPlS6_EEENSN_IJSD_SD_EEES6_PiJS6_EEE10hipError_tPvRmT3_T4_T5_T6_T7_T9_mT8_P12ihipStream_tbDpT10_ENKUlT_T0_E_clISt17integral_constantIbLb1EES1A_IbLb0EEEEDaS16_S17_EUlS16_E_NS1_11comp_targetILNS1_3genE4ELNS1_11target_archE910ELNS1_3gpuE8ELNS1_3repE0EEENS1_30default_config_static_selectorELNS0_4arch9wavefront6targetE0EEEvT1_, .Lfunc_end476-_ZN7rocprim17ROCPRIM_400000_NS6detail17trampoline_kernelINS0_14default_configENS1_25partition_config_selectorILNS1_17partition_subalgoE5ElNS0_10empty_typeEbEEZZNS1_14partition_implILS5_5ELb0ES3_mN6hipcub16HIPCUB_304000_NS21CountingInputIteratorIllEEPS6_NSA_22TransformInputIteratorIbN2at6native12_GLOBAL__N_19NonZeroOpIfEEPKflEENS0_5tupleIJPlS6_EEENSN_IJSD_SD_EEES6_PiJS6_EEE10hipError_tPvRmT3_T4_T5_T6_T7_T9_mT8_P12ihipStream_tbDpT10_ENKUlT_T0_E_clISt17integral_constantIbLb1EES1A_IbLb0EEEEDaS16_S17_EUlS16_E_NS1_11comp_targetILNS1_3genE4ELNS1_11target_archE910ELNS1_3gpuE8ELNS1_3repE0EEENS1_30default_config_static_selectorELNS0_4arch9wavefront6targetE0EEEvT1_
                                        ; -- End function
	.set _ZN7rocprim17ROCPRIM_400000_NS6detail17trampoline_kernelINS0_14default_configENS1_25partition_config_selectorILNS1_17partition_subalgoE5ElNS0_10empty_typeEbEEZZNS1_14partition_implILS5_5ELb0ES3_mN6hipcub16HIPCUB_304000_NS21CountingInputIteratorIllEEPS6_NSA_22TransformInputIteratorIbN2at6native12_GLOBAL__N_19NonZeroOpIfEEPKflEENS0_5tupleIJPlS6_EEENSN_IJSD_SD_EEES6_PiJS6_EEE10hipError_tPvRmT3_T4_T5_T6_T7_T9_mT8_P12ihipStream_tbDpT10_ENKUlT_T0_E_clISt17integral_constantIbLb1EES1A_IbLb0EEEEDaS16_S17_EUlS16_E_NS1_11comp_targetILNS1_3genE4ELNS1_11target_archE910ELNS1_3gpuE8ELNS1_3repE0EEENS1_30default_config_static_selectorELNS0_4arch9wavefront6targetE0EEEvT1_.num_vgpr, 0
	.set _ZN7rocprim17ROCPRIM_400000_NS6detail17trampoline_kernelINS0_14default_configENS1_25partition_config_selectorILNS1_17partition_subalgoE5ElNS0_10empty_typeEbEEZZNS1_14partition_implILS5_5ELb0ES3_mN6hipcub16HIPCUB_304000_NS21CountingInputIteratorIllEEPS6_NSA_22TransformInputIteratorIbN2at6native12_GLOBAL__N_19NonZeroOpIfEEPKflEENS0_5tupleIJPlS6_EEENSN_IJSD_SD_EEES6_PiJS6_EEE10hipError_tPvRmT3_T4_T5_T6_T7_T9_mT8_P12ihipStream_tbDpT10_ENKUlT_T0_E_clISt17integral_constantIbLb1EES1A_IbLb0EEEEDaS16_S17_EUlS16_E_NS1_11comp_targetILNS1_3genE4ELNS1_11target_archE910ELNS1_3gpuE8ELNS1_3repE0EEENS1_30default_config_static_selectorELNS0_4arch9wavefront6targetE0EEEvT1_.num_agpr, 0
	.set _ZN7rocprim17ROCPRIM_400000_NS6detail17trampoline_kernelINS0_14default_configENS1_25partition_config_selectorILNS1_17partition_subalgoE5ElNS0_10empty_typeEbEEZZNS1_14partition_implILS5_5ELb0ES3_mN6hipcub16HIPCUB_304000_NS21CountingInputIteratorIllEEPS6_NSA_22TransformInputIteratorIbN2at6native12_GLOBAL__N_19NonZeroOpIfEEPKflEENS0_5tupleIJPlS6_EEENSN_IJSD_SD_EEES6_PiJS6_EEE10hipError_tPvRmT3_T4_T5_T6_T7_T9_mT8_P12ihipStream_tbDpT10_ENKUlT_T0_E_clISt17integral_constantIbLb1EES1A_IbLb0EEEEDaS16_S17_EUlS16_E_NS1_11comp_targetILNS1_3genE4ELNS1_11target_archE910ELNS1_3gpuE8ELNS1_3repE0EEENS1_30default_config_static_selectorELNS0_4arch9wavefront6targetE0EEEvT1_.numbered_sgpr, 0
	.set _ZN7rocprim17ROCPRIM_400000_NS6detail17trampoline_kernelINS0_14default_configENS1_25partition_config_selectorILNS1_17partition_subalgoE5ElNS0_10empty_typeEbEEZZNS1_14partition_implILS5_5ELb0ES3_mN6hipcub16HIPCUB_304000_NS21CountingInputIteratorIllEEPS6_NSA_22TransformInputIteratorIbN2at6native12_GLOBAL__N_19NonZeroOpIfEEPKflEENS0_5tupleIJPlS6_EEENSN_IJSD_SD_EEES6_PiJS6_EEE10hipError_tPvRmT3_T4_T5_T6_T7_T9_mT8_P12ihipStream_tbDpT10_ENKUlT_T0_E_clISt17integral_constantIbLb1EES1A_IbLb0EEEEDaS16_S17_EUlS16_E_NS1_11comp_targetILNS1_3genE4ELNS1_11target_archE910ELNS1_3gpuE8ELNS1_3repE0EEENS1_30default_config_static_selectorELNS0_4arch9wavefront6targetE0EEEvT1_.num_named_barrier, 0
	.set _ZN7rocprim17ROCPRIM_400000_NS6detail17trampoline_kernelINS0_14default_configENS1_25partition_config_selectorILNS1_17partition_subalgoE5ElNS0_10empty_typeEbEEZZNS1_14partition_implILS5_5ELb0ES3_mN6hipcub16HIPCUB_304000_NS21CountingInputIteratorIllEEPS6_NSA_22TransformInputIteratorIbN2at6native12_GLOBAL__N_19NonZeroOpIfEEPKflEENS0_5tupleIJPlS6_EEENSN_IJSD_SD_EEES6_PiJS6_EEE10hipError_tPvRmT3_T4_T5_T6_T7_T9_mT8_P12ihipStream_tbDpT10_ENKUlT_T0_E_clISt17integral_constantIbLb1EES1A_IbLb0EEEEDaS16_S17_EUlS16_E_NS1_11comp_targetILNS1_3genE4ELNS1_11target_archE910ELNS1_3gpuE8ELNS1_3repE0EEENS1_30default_config_static_selectorELNS0_4arch9wavefront6targetE0EEEvT1_.private_seg_size, 0
	.set _ZN7rocprim17ROCPRIM_400000_NS6detail17trampoline_kernelINS0_14default_configENS1_25partition_config_selectorILNS1_17partition_subalgoE5ElNS0_10empty_typeEbEEZZNS1_14partition_implILS5_5ELb0ES3_mN6hipcub16HIPCUB_304000_NS21CountingInputIteratorIllEEPS6_NSA_22TransformInputIteratorIbN2at6native12_GLOBAL__N_19NonZeroOpIfEEPKflEENS0_5tupleIJPlS6_EEENSN_IJSD_SD_EEES6_PiJS6_EEE10hipError_tPvRmT3_T4_T5_T6_T7_T9_mT8_P12ihipStream_tbDpT10_ENKUlT_T0_E_clISt17integral_constantIbLb1EES1A_IbLb0EEEEDaS16_S17_EUlS16_E_NS1_11comp_targetILNS1_3genE4ELNS1_11target_archE910ELNS1_3gpuE8ELNS1_3repE0EEENS1_30default_config_static_selectorELNS0_4arch9wavefront6targetE0EEEvT1_.uses_vcc, 0
	.set _ZN7rocprim17ROCPRIM_400000_NS6detail17trampoline_kernelINS0_14default_configENS1_25partition_config_selectorILNS1_17partition_subalgoE5ElNS0_10empty_typeEbEEZZNS1_14partition_implILS5_5ELb0ES3_mN6hipcub16HIPCUB_304000_NS21CountingInputIteratorIllEEPS6_NSA_22TransformInputIteratorIbN2at6native12_GLOBAL__N_19NonZeroOpIfEEPKflEENS0_5tupleIJPlS6_EEENSN_IJSD_SD_EEES6_PiJS6_EEE10hipError_tPvRmT3_T4_T5_T6_T7_T9_mT8_P12ihipStream_tbDpT10_ENKUlT_T0_E_clISt17integral_constantIbLb1EES1A_IbLb0EEEEDaS16_S17_EUlS16_E_NS1_11comp_targetILNS1_3genE4ELNS1_11target_archE910ELNS1_3gpuE8ELNS1_3repE0EEENS1_30default_config_static_selectorELNS0_4arch9wavefront6targetE0EEEvT1_.uses_flat_scratch, 0
	.set _ZN7rocprim17ROCPRIM_400000_NS6detail17trampoline_kernelINS0_14default_configENS1_25partition_config_selectorILNS1_17partition_subalgoE5ElNS0_10empty_typeEbEEZZNS1_14partition_implILS5_5ELb0ES3_mN6hipcub16HIPCUB_304000_NS21CountingInputIteratorIllEEPS6_NSA_22TransformInputIteratorIbN2at6native12_GLOBAL__N_19NonZeroOpIfEEPKflEENS0_5tupleIJPlS6_EEENSN_IJSD_SD_EEES6_PiJS6_EEE10hipError_tPvRmT3_T4_T5_T6_T7_T9_mT8_P12ihipStream_tbDpT10_ENKUlT_T0_E_clISt17integral_constantIbLb1EES1A_IbLb0EEEEDaS16_S17_EUlS16_E_NS1_11comp_targetILNS1_3genE4ELNS1_11target_archE910ELNS1_3gpuE8ELNS1_3repE0EEENS1_30default_config_static_selectorELNS0_4arch9wavefront6targetE0EEEvT1_.has_dyn_sized_stack, 0
	.set _ZN7rocprim17ROCPRIM_400000_NS6detail17trampoline_kernelINS0_14default_configENS1_25partition_config_selectorILNS1_17partition_subalgoE5ElNS0_10empty_typeEbEEZZNS1_14partition_implILS5_5ELb0ES3_mN6hipcub16HIPCUB_304000_NS21CountingInputIteratorIllEEPS6_NSA_22TransformInputIteratorIbN2at6native12_GLOBAL__N_19NonZeroOpIfEEPKflEENS0_5tupleIJPlS6_EEENSN_IJSD_SD_EEES6_PiJS6_EEE10hipError_tPvRmT3_T4_T5_T6_T7_T9_mT8_P12ihipStream_tbDpT10_ENKUlT_T0_E_clISt17integral_constantIbLb1EES1A_IbLb0EEEEDaS16_S17_EUlS16_E_NS1_11comp_targetILNS1_3genE4ELNS1_11target_archE910ELNS1_3gpuE8ELNS1_3repE0EEENS1_30default_config_static_selectorELNS0_4arch9wavefront6targetE0EEEvT1_.has_recursion, 0
	.set _ZN7rocprim17ROCPRIM_400000_NS6detail17trampoline_kernelINS0_14default_configENS1_25partition_config_selectorILNS1_17partition_subalgoE5ElNS0_10empty_typeEbEEZZNS1_14partition_implILS5_5ELb0ES3_mN6hipcub16HIPCUB_304000_NS21CountingInputIteratorIllEEPS6_NSA_22TransformInputIteratorIbN2at6native12_GLOBAL__N_19NonZeroOpIfEEPKflEENS0_5tupleIJPlS6_EEENSN_IJSD_SD_EEES6_PiJS6_EEE10hipError_tPvRmT3_T4_T5_T6_T7_T9_mT8_P12ihipStream_tbDpT10_ENKUlT_T0_E_clISt17integral_constantIbLb1EES1A_IbLb0EEEEDaS16_S17_EUlS16_E_NS1_11comp_targetILNS1_3genE4ELNS1_11target_archE910ELNS1_3gpuE8ELNS1_3repE0EEENS1_30default_config_static_selectorELNS0_4arch9wavefront6targetE0EEEvT1_.has_indirect_call, 0
	.section	.AMDGPU.csdata,"",@progbits
; Kernel info:
; codeLenInByte = 0
; TotalNumSgprs: 0
; NumVgprs: 0
; ScratchSize: 0
; MemoryBound: 0
; FloatMode: 240
; IeeeMode: 1
; LDSByteSize: 0 bytes/workgroup (compile time only)
; SGPRBlocks: 0
; VGPRBlocks: 0
; NumSGPRsForWavesPerEU: 1
; NumVGPRsForWavesPerEU: 1
; Occupancy: 16
; WaveLimiterHint : 0
; COMPUTE_PGM_RSRC2:SCRATCH_EN: 0
; COMPUTE_PGM_RSRC2:USER_SGPR: 2
; COMPUTE_PGM_RSRC2:TRAP_HANDLER: 0
; COMPUTE_PGM_RSRC2:TGID_X_EN: 1
; COMPUTE_PGM_RSRC2:TGID_Y_EN: 0
; COMPUTE_PGM_RSRC2:TGID_Z_EN: 0
; COMPUTE_PGM_RSRC2:TIDIG_COMP_CNT: 0
	.section	.text._ZN7rocprim17ROCPRIM_400000_NS6detail17trampoline_kernelINS0_14default_configENS1_25partition_config_selectorILNS1_17partition_subalgoE5ElNS0_10empty_typeEbEEZZNS1_14partition_implILS5_5ELb0ES3_mN6hipcub16HIPCUB_304000_NS21CountingInputIteratorIllEEPS6_NSA_22TransformInputIteratorIbN2at6native12_GLOBAL__N_19NonZeroOpIfEEPKflEENS0_5tupleIJPlS6_EEENSN_IJSD_SD_EEES6_PiJS6_EEE10hipError_tPvRmT3_T4_T5_T6_T7_T9_mT8_P12ihipStream_tbDpT10_ENKUlT_T0_E_clISt17integral_constantIbLb1EES1A_IbLb0EEEEDaS16_S17_EUlS16_E_NS1_11comp_targetILNS1_3genE3ELNS1_11target_archE908ELNS1_3gpuE7ELNS1_3repE0EEENS1_30default_config_static_selectorELNS0_4arch9wavefront6targetE0EEEvT1_,"axG",@progbits,_ZN7rocprim17ROCPRIM_400000_NS6detail17trampoline_kernelINS0_14default_configENS1_25partition_config_selectorILNS1_17partition_subalgoE5ElNS0_10empty_typeEbEEZZNS1_14partition_implILS5_5ELb0ES3_mN6hipcub16HIPCUB_304000_NS21CountingInputIteratorIllEEPS6_NSA_22TransformInputIteratorIbN2at6native12_GLOBAL__N_19NonZeroOpIfEEPKflEENS0_5tupleIJPlS6_EEENSN_IJSD_SD_EEES6_PiJS6_EEE10hipError_tPvRmT3_T4_T5_T6_T7_T9_mT8_P12ihipStream_tbDpT10_ENKUlT_T0_E_clISt17integral_constantIbLb1EES1A_IbLb0EEEEDaS16_S17_EUlS16_E_NS1_11comp_targetILNS1_3genE3ELNS1_11target_archE908ELNS1_3gpuE7ELNS1_3repE0EEENS1_30default_config_static_selectorELNS0_4arch9wavefront6targetE0EEEvT1_,comdat
	.globl	_ZN7rocprim17ROCPRIM_400000_NS6detail17trampoline_kernelINS0_14default_configENS1_25partition_config_selectorILNS1_17partition_subalgoE5ElNS0_10empty_typeEbEEZZNS1_14partition_implILS5_5ELb0ES3_mN6hipcub16HIPCUB_304000_NS21CountingInputIteratorIllEEPS6_NSA_22TransformInputIteratorIbN2at6native12_GLOBAL__N_19NonZeroOpIfEEPKflEENS0_5tupleIJPlS6_EEENSN_IJSD_SD_EEES6_PiJS6_EEE10hipError_tPvRmT3_T4_T5_T6_T7_T9_mT8_P12ihipStream_tbDpT10_ENKUlT_T0_E_clISt17integral_constantIbLb1EES1A_IbLb0EEEEDaS16_S17_EUlS16_E_NS1_11comp_targetILNS1_3genE3ELNS1_11target_archE908ELNS1_3gpuE7ELNS1_3repE0EEENS1_30default_config_static_selectorELNS0_4arch9wavefront6targetE0EEEvT1_ ; -- Begin function _ZN7rocprim17ROCPRIM_400000_NS6detail17trampoline_kernelINS0_14default_configENS1_25partition_config_selectorILNS1_17partition_subalgoE5ElNS0_10empty_typeEbEEZZNS1_14partition_implILS5_5ELb0ES3_mN6hipcub16HIPCUB_304000_NS21CountingInputIteratorIllEEPS6_NSA_22TransformInputIteratorIbN2at6native12_GLOBAL__N_19NonZeroOpIfEEPKflEENS0_5tupleIJPlS6_EEENSN_IJSD_SD_EEES6_PiJS6_EEE10hipError_tPvRmT3_T4_T5_T6_T7_T9_mT8_P12ihipStream_tbDpT10_ENKUlT_T0_E_clISt17integral_constantIbLb1EES1A_IbLb0EEEEDaS16_S17_EUlS16_E_NS1_11comp_targetILNS1_3genE3ELNS1_11target_archE908ELNS1_3gpuE7ELNS1_3repE0EEENS1_30default_config_static_selectorELNS0_4arch9wavefront6targetE0EEEvT1_
	.p2align	8
	.type	_ZN7rocprim17ROCPRIM_400000_NS6detail17trampoline_kernelINS0_14default_configENS1_25partition_config_selectorILNS1_17partition_subalgoE5ElNS0_10empty_typeEbEEZZNS1_14partition_implILS5_5ELb0ES3_mN6hipcub16HIPCUB_304000_NS21CountingInputIteratorIllEEPS6_NSA_22TransformInputIteratorIbN2at6native12_GLOBAL__N_19NonZeroOpIfEEPKflEENS0_5tupleIJPlS6_EEENSN_IJSD_SD_EEES6_PiJS6_EEE10hipError_tPvRmT3_T4_T5_T6_T7_T9_mT8_P12ihipStream_tbDpT10_ENKUlT_T0_E_clISt17integral_constantIbLb1EES1A_IbLb0EEEEDaS16_S17_EUlS16_E_NS1_11comp_targetILNS1_3genE3ELNS1_11target_archE908ELNS1_3gpuE7ELNS1_3repE0EEENS1_30default_config_static_selectorELNS0_4arch9wavefront6targetE0EEEvT1_,@function
_ZN7rocprim17ROCPRIM_400000_NS6detail17trampoline_kernelINS0_14default_configENS1_25partition_config_selectorILNS1_17partition_subalgoE5ElNS0_10empty_typeEbEEZZNS1_14partition_implILS5_5ELb0ES3_mN6hipcub16HIPCUB_304000_NS21CountingInputIteratorIllEEPS6_NSA_22TransformInputIteratorIbN2at6native12_GLOBAL__N_19NonZeroOpIfEEPKflEENS0_5tupleIJPlS6_EEENSN_IJSD_SD_EEES6_PiJS6_EEE10hipError_tPvRmT3_T4_T5_T6_T7_T9_mT8_P12ihipStream_tbDpT10_ENKUlT_T0_E_clISt17integral_constantIbLb1EES1A_IbLb0EEEEDaS16_S17_EUlS16_E_NS1_11comp_targetILNS1_3genE3ELNS1_11target_archE908ELNS1_3gpuE7ELNS1_3repE0EEENS1_30default_config_static_selectorELNS0_4arch9wavefront6targetE0EEEvT1_: ; @_ZN7rocprim17ROCPRIM_400000_NS6detail17trampoline_kernelINS0_14default_configENS1_25partition_config_selectorILNS1_17partition_subalgoE5ElNS0_10empty_typeEbEEZZNS1_14partition_implILS5_5ELb0ES3_mN6hipcub16HIPCUB_304000_NS21CountingInputIteratorIllEEPS6_NSA_22TransformInputIteratorIbN2at6native12_GLOBAL__N_19NonZeroOpIfEEPKflEENS0_5tupleIJPlS6_EEENSN_IJSD_SD_EEES6_PiJS6_EEE10hipError_tPvRmT3_T4_T5_T6_T7_T9_mT8_P12ihipStream_tbDpT10_ENKUlT_T0_E_clISt17integral_constantIbLb1EES1A_IbLb0EEEEDaS16_S17_EUlS16_E_NS1_11comp_targetILNS1_3genE3ELNS1_11target_archE908ELNS1_3gpuE7ELNS1_3repE0EEENS1_30default_config_static_selectorELNS0_4arch9wavefront6targetE0EEEvT1_
; %bb.0:
	.section	.rodata,"a",@progbits
	.p2align	6, 0x0
	.amdhsa_kernel _ZN7rocprim17ROCPRIM_400000_NS6detail17trampoline_kernelINS0_14default_configENS1_25partition_config_selectorILNS1_17partition_subalgoE5ElNS0_10empty_typeEbEEZZNS1_14partition_implILS5_5ELb0ES3_mN6hipcub16HIPCUB_304000_NS21CountingInputIteratorIllEEPS6_NSA_22TransformInputIteratorIbN2at6native12_GLOBAL__N_19NonZeroOpIfEEPKflEENS0_5tupleIJPlS6_EEENSN_IJSD_SD_EEES6_PiJS6_EEE10hipError_tPvRmT3_T4_T5_T6_T7_T9_mT8_P12ihipStream_tbDpT10_ENKUlT_T0_E_clISt17integral_constantIbLb1EES1A_IbLb0EEEEDaS16_S17_EUlS16_E_NS1_11comp_targetILNS1_3genE3ELNS1_11target_archE908ELNS1_3gpuE7ELNS1_3repE0EEENS1_30default_config_static_selectorELNS0_4arch9wavefront6targetE0EEEvT1_
		.amdhsa_group_segment_fixed_size 0
		.amdhsa_private_segment_fixed_size 0
		.amdhsa_kernarg_size 120
		.amdhsa_user_sgpr_count 2
		.amdhsa_user_sgpr_dispatch_ptr 0
		.amdhsa_user_sgpr_queue_ptr 0
		.amdhsa_user_sgpr_kernarg_segment_ptr 1
		.amdhsa_user_sgpr_dispatch_id 0
		.amdhsa_user_sgpr_private_segment_size 0
		.amdhsa_wavefront_size32 1
		.amdhsa_uses_dynamic_stack 0
		.amdhsa_enable_private_segment 0
		.amdhsa_system_sgpr_workgroup_id_x 1
		.amdhsa_system_sgpr_workgroup_id_y 0
		.amdhsa_system_sgpr_workgroup_id_z 0
		.amdhsa_system_sgpr_workgroup_info 0
		.amdhsa_system_vgpr_workitem_id 0
		.amdhsa_next_free_vgpr 1
		.amdhsa_next_free_sgpr 1
		.amdhsa_reserve_vcc 0
		.amdhsa_float_round_mode_32 0
		.amdhsa_float_round_mode_16_64 0
		.amdhsa_float_denorm_mode_32 3
		.amdhsa_float_denorm_mode_16_64 3
		.amdhsa_fp16_overflow 0
		.amdhsa_workgroup_processor_mode 1
		.amdhsa_memory_ordered 1
		.amdhsa_forward_progress 1
		.amdhsa_inst_pref_size 0
		.amdhsa_round_robin_scheduling 0
		.amdhsa_exception_fp_ieee_invalid_op 0
		.amdhsa_exception_fp_denorm_src 0
		.amdhsa_exception_fp_ieee_div_zero 0
		.amdhsa_exception_fp_ieee_overflow 0
		.amdhsa_exception_fp_ieee_underflow 0
		.amdhsa_exception_fp_ieee_inexact 0
		.amdhsa_exception_int_div_zero 0
	.end_amdhsa_kernel
	.section	.text._ZN7rocprim17ROCPRIM_400000_NS6detail17trampoline_kernelINS0_14default_configENS1_25partition_config_selectorILNS1_17partition_subalgoE5ElNS0_10empty_typeEbEEZZNS1_14partition_implILS5_5ELb0ES3_mN6hipcub16HIPCUB_304000_NS21CountingInputIteratorIllEEPS6_NSA_22TransformInputIteratorIbN2at6native12_GLOBAL__N_19NonZeroOpIfEEPKflEENS0_5tupleIJPlS6_EEENSN_IJSD_SD_EEES6_PiJS6_EEE10hipError_tPvRmT3_T4_T5_T6_T7_T9_mT8_P12ihipStream_tbDpT10_ENKUlT_T0_E_clISt17integral_constantIbLb1EES1A_IbLb0EEEEDaS16_S17_EUlS16_E_NS1_11comp_targetILNS1_3genE3ELNS1_11target_archE908ELNS1_3gpuE7ELNS1_3repE0EEENS1_30default_config_static_selectorELNS0_4arch9wavefront6targetE0EEEvT1_,"axG",@progbits,_ZN7rocprim17ROCPRIM_400000_NS6detail17trampoline_kernelINS0_14default_configENS1_25partition_config_selectorILNS1_17partition_subalgoE5ElNS0_10empty_typeEbEEZZNS1_14partition_implILS5_5ELb0ES3_mN6hipcub16HIPCUB_304000_NS21CountingInputIteratorIllEEPS6_NSA_22TransformInputIteratorIbN2at6native12_GLOBAL__N_19NonZeroOpIfEEPKflEENS0_5tupleIJPlS6_EEENSN_IJSD_SD_EEES6_PiJS6_EEE10hipError_tPvRmT3_T4_T5_T6_T7_T9_mT8_P12ihipStream_tbDpT10_ENKUlT_T0_E_clISt17integral_constantIbLb1EES1A_IbLb0EEEEDaS16_S17_EUlS16_E_NS1_11comp_targetILNS1_3genE3ELNS1_11target_archE908ELNS1_3gpuE7ELNS1_3repE0EEENS1_30default_config_static_selectorELNS0_4arch9wavefront6targetE0EEEvT1_,comdat
.Lfunc_end477:
	.size	_ZN7rocprim17ROCPRIM_400000_NS6detail17trampoline_kernelINS0_14default_configENS1_25partition_config_selectorILNS1_17partition_subalgoE5ElNS0_10empty_typeEbEEZZNS1_14partition_implILS5_5ELb0ES3_mN6hipcub16HIPCUB_304000_NS21CountingInputIteratorIllEEPS6_NSA_22TransformInputIteratorIbN2at6native12_GLOBAL__N_19NonZeroOpIfEEPKflEENS0_5tupleIJPlS6_EEENSN_IJSD_SD_EEES6_PiJS6_EEE10hipError_tPvRmT3_T4_T5_T6_T7_T9_mT8_P12ihipStream_tbDpT10_ENKUlT_T0_E_clISt17integral_constantIbLb1EES1A_IbLb0EEEEDaS16_S17_EUlS16_E_NS1_11comp_targetILNS1_3genE3ELNS1_11target_archE908ELNS1_3gpuE7ELNS1_3repE0EEENS1_30default_config_static_selectorELNS0_4arch9wavefront6targetE0EEEvT1_, .Lfunc_end477-_ZN7rocprim17ROCPRIM_400000_NS6detail17trampoline_kernelINS0_14default_configENS1_25partition_config_selectorILNS1_17partition_subalgoE5ElNS0_10empty_typeEbEEZZNS1_14partition_implILS5_5ELb0ES3_mN6hipcub16HIPCUB_304000_NS21CountingInputIteratorIllEEPS6_NSA_22TransformInputIteratorIbN2at6native12_GLOBAL__N_19NonZeroOpIfEEPKflEENS0_5tupleIJPlS6_EEENSN_IJSD_SD_EEES6_PiJS6_EEE10hipError_tPvRmT3_T4_T5_T6_T7_T9_mT8_P12ihipStream_tbDpT10_ENKUlT_T0_E_clISt17integral_constantIbLb1EES1A_IbLb0EEEEDaS16_S17_EUlS16_E_NS1_11comp_targetILNS1_3genE3ELNS1_11target_archE908ELNS1_3gpuE7ELNS1_3repE0EEENS1_30default_config_static_selectorELNS0_4arch9wavefront6targetE0EEEvT1_
                                        ; -- End function
	.set _ZN7rocprim17ROCPRIM_400000_NS6detail17trampoline_kernelINS0_14default_configENS1_25partition_config_selectorILNS1_17partition_subalgoE5ElNS0_10empty_typeEbEEZZNS1_14partition_implILS5_5ELb0ES3_mN6hipcub16HIPCUB_304000_NS21CountingInputIteratorIllEEPS6_NSA_22TransformInputIteratorIbN2at6native12_GLOBAL__N_19NonZeroOpIfEEPKflEENS0_5tupleIJPlS6_EEENSN_IJSD_SD_EEES6_PiJS6_EEE10hipError_tPvRmT3_T4_T5_T6_T7_T9_mT8_P12ihipStream_tbDpT10_ENKUlT_T0_E_clISt17integral_constantIbLb1EES1A_IbLb0EEEEDaS16_S17_EUlS16_E_NS1_11comp_targetILNS1_3genE3ELNS1_11target_archE908ELNS1_3gpuE7ELNS1_3repE0EEENS1_30default_config_static_selectorELNS0_4arch9wavefront6targetE0EEEvT1_.num_vgpr, 0
	.set _ZN7rocprim17ROCPRIM_400000_NS6detail17trampoline_kernelINS0_14default_configENS1_25partition_config_selectorILNS1_17partition_subalgoE5ElNS0_10empty_typeEbEEZZNS1_14partition_implILS5_5ELb0ES3_mN6hipcub16HIPCUB_304000_NS21CountingInputIteratorIllEEPS6_NSA_22TransformInputIteratorIbN2at6native12_GLOBAL__N_19NonZeroOpIfEEPKflEENS0_5tupleIJPlS6_EEENSN_IJSD_SD_EEES6_PiJS6_EEE10hipError_tPvRmT3_T4_T5_T6_T7_T9_mT8_P12ihipStream_tbDpT10_ENKUlT_T0_E_clISt17integral_constantIbLb1EES1A_IbLb0EEEEDaS16_S17_EUlS16_E_NS1_11comp_targetILNS1_3genE3ELNS1_11target_archE908ELNS1_3gpuE7ELNS1_3repE0EEENS1_30default_config_static_selectorELNS0_4arch9wavefront6targetE0EEEvT1_.num_agpr, 0
	.set _ZN7rocprim17ROCPRIM_400000_NS6detail17trampoline_kernelINS0_14default_configENS1_25partition_config_selectorILNS1_17partition_subalgoE5ElNS0_10empty_typeEbEEZZNS1_14partition_implILS5_5ELb0ES3_mN6hipcub16HIPCUB_304000_NS21CountingInputIteratorIllEEPS6_NSA_22TransformInputIteratorIbN2at6native12_GLOBAL__N_19NonZeroOpIfEEPKflEENS0_5tupleIJPlS6_EEENSN_IJSD_SD_EEES6_PiJS6_EEE10hipError_tPvRmT3_T4_T5_T6_T7_T9_mT8_P12ihipStream_tbDpT10_ENKUlT_T0_E_clISt17integral_constantIbLb1EES1A_IbLb0EEEEDaS16_S17_EUlS16_E_NS1_11comp_targetILNS1_3genE3ELNS1_11target_archE908ELNS1_3gpuE7ELNS1_3repE0EEENS1_30default_config_static_selectorELNS0_4arch9wavefront6targetE0EEEvT1_.numbered_sgpr, 0
	.set _ZN7rocprim17ROCPRIM_400000_NS6detail17trampoline_kernelINS0_14default_configENS1_25partition_config_selectorILNS1_17partition_subalgoE5ElNS0_10empty_typeEbEEZZNS1_14partition_implILS5_5ELb0ES3_mN6hipcub16HIPCUB_304000_NS21CountingInputIteratorIllEEPS6_NSA_22TransformInputIteratorIbN2at6native12_GLOBAL__N_19NonZeroOpIfEEPKflEENS0_5tupleIJPlS6_EEENSN_IJSD_SD_EEES6_PiJS6_EEE10hipError_tPvRmT3_T4_T5_T6_T7_T9_mT8_P12ihipStream_tbDpT10_ENKUlT_T0_E_clISt17integral_constantIbLb1EES1A_IbLb0EEEEDaS16_S17_EUlS16_E_NS1_11comp_targetILNS1_3genE3ELNS1_11target_archE908ELNS1_3gpuE7ELNS1_3repE0EEENS1_30default_config_static_selectorELNS0_4arch9wavefront6targetE0EEEvT1_.num_named_barrier, 0
	.set _ZN7rocprim17ROCPRIM_400000_NS6detail17trampoline_kernelINS0_14default_configENS1_25partition_config_selectorILNS1_17partition_subalgoE5ElNS0_10empty_typeEbEEZZNS1_14partition_implILS5_5ELb0ES3_mN6hipcub16HIPCUB_304000_NS21CountingInputIteratorIllEEPS6_NSA_22TransformInputIteratorIbN2at6native12_GLOBAL__N_19NonZeroOpIfEEPKflEENS0_5tupleIJPlS6_EEENSN_IJSD_SD_EEES6_PiJS6_EEE10hipError_tPvRmT3_T4_T5_T6_T7_T9_mT8_P12ihipStream_tbDpT10_ENKUlT_T0_E_clISt17integral_constantIbLb1EES1A_IbLb0EEEEDaS16_S17_EUlS16_E_NS1_11comp_targetILNS1_3genE3ELNS1_11target_archE908ELNS1_3gpuE7ELNS1_3repE0EEENS1_30default_config_static_selectorELNS0_4arch9wavefront6targetE0EEEvT1_.private_seg_size, 0
	.set _ZN7rocprim17ROCPRIM_400000_NS6detail17trampoline_kernelINS0_14default_configENS1_25partition_config_selectorILNS1_17partition_subalgoE5ElNS0_10empty_typeEbEEZZNS1_14partition_implILS5_5ELb0ES3_mN6hipcub16HIPCUB_304000_NS21CountingInputIteratorIllEEPS6_NSA_22TransformInputIteratorIbN2at6native12_GLOBAL__N_19NonZeroOpIfEEPKflEENS0_5tupleIJPlS6_EEENSN_IJSD_SD_EEES6_PiJS6_EEE10hipError_tPvRmT3_T4_T5_T6_T7_T9_mT8_P12ihipStream_tbDpT10_ENKUlT_T0_E_clISt17integral_constantIbLb1EES1A_IbLb0EEEEDaS16_S17_EUlS16_E_NS1_11comp_targetILNS1_3genE3ELNS1_11target_archE908ELNS1_3gpuE7ELNS1_3repE0EEENS1_30default_config_static_selectorELNS0_4arch9wavefront6targetE0EEEvT1_.uses_vcc, 0
	.set _ZN7rocprim17ROCPRIM_400000_NS6detail17trampoline_kernelINS0_14default_configENS1_25partition_config_selectorILNS1_17partition_subalgoE5ElNS0_10empty_typeEbEEZZNS1_14partition_implILS5_5ELb0ES3_mN6hipcub16HIPCUB_304000_NS21CountingInputIteratorIllEEPS6_NSA_22TransformInputIteratorIbN2at6native12_GLOBAL__N_19NonZeroOpIfEEPKflEENS0_5tupleIJPlS6_EEENSN_IJSD_SD_EEES6_PiJS6_EEE10hipError_tPvRmT3_T4_T5_T6_T7_T9_mT8_P12ihipStream_tbDpT10_ENKUlT_T0_E_clISt17integral_constantIbLb1EES1A_IbLb0EEEEDaS16_S17_EUlS16_E_NS1_11comp_targetILNS1_3genE3ELNS1_11target_archE908ELNS1_3gpuE7ELNS1_3repE0EEENS1_30default_config_static_selectorELNS0_4arch9wavefront6targetE0EEEvT1_.uses_flat_scratch, 0
	.set _ZN7rocprim17ROCPRIM_400000_NS6detail17trampoline_kernelINS0_14default_configENS1_25partition_config_selectorILNS1_17partition_subalgoE5ElNS0_10empty_typeEbEEZZNS1_14partition_implILS5_5ELb0ES3_mN6hipcub16HIPCUB_304000_NS21CountingInputIteratorIllEEPS6_NSA_22TransformInputIteratorIbN2at6native12_GLOBAL__N_19NonZeroOpIfEEPKflEENS0_5tupleIJPlS6_EEENSN_IJSD_SD_EEES6_PiJS6_EEE10hipError_tPvRmT3_T4_T5_T6_T7_T9_mT8_P12ihipStream_tbDpT10_ENKUlT_T0_E_clISt17integral_constantIbLb1EES1A_IbLb0EEEEDaS16_S17_EUlS16_E_NS1_11comp_targetILNS1_3genE3ELNS1_11target_archE908ELNS1_3gpuE7ELNS1_3repE0EEENS1_30default_config_static_selectorELNS0_4arch9wavefront6targetE0EEEvT1_.has_dyn_sized_stack, 0
	.set _ZN7rocprim17ROCPRIM_400000_NS6detail17trampoline_kernelINS0_14default_configENS1_25partition_config_selectorILNS1_17partition_subalgoE5ElNS0_10empty_typeEbEEZZNS1_14partition_implILS5_5ELb0ES3_mN6hipcub16HIPCUB_304000_NS21CountingInputIteratorIllEEPS6_NSA_22TransformInputIteratorIbN2at6native12_GLOBAL__N_19NonZeroOpIfEEPKflEENS0_5tupleIJPlS6_EEENSN_IJSD_SD_EEES6_PiJS6_EEE10hipError_tPvRmT3_T4_T5_T6_T7_T9_mT8_P12ihipStream_tbDpT10_ENKUlT_T0_E_clISt17integral_constantIbLb1EES1A_IbLb0EEEEDaS16_S17_EUlS16_E_NS1_11comp_targetILNS1_3genE3ELNS1_11target_archE908ELNS1_3gpuE7ELNS1_3repE0EEENS1_30default_config_static_selectorELNS0_4arch9wavefront6targetE0EEEvT1_.has_recursion, 0
	.set _ZN7rocprim17ROCPRIM_400000_NS6detail17trampoline_kernelINS0_14default_configENS1_25partition_config_selectorILNS1_17partition_subalgoE5ElNS0_10empty_typeEbEEZZNS1_14partition_implILS5_5ELb0ES3_mN6hipcub16HIPCUB_304000_NS21CountingInputIteratorIllEEPS6_NSA_22TransformInputIteratorIbN2at6native12_GLOBAL__N_19NonZeroOpIfEEPKflEENS0_5tupleIJPlS6_EEENSN_IJSD_SD_EEES6_PiJS6_EEE10hipError_tPvRmT3_T4_T5_T6_T7_T9_mT8_P12ihipStream_tbDpT10_ENKUlT_T0_E_clISt17integral_constantIbLb1EES1A_IbLb0EEEEDaS16_S17_EUlS16_E_NS1_11comp_targetILNS1_3genE3ELNS1_11target_archE908ELNS1_3gpuE7ELNS1_3repE0EEENS1_30default_config_static_selectorELNS0_4arch9wavefront6targetE0EEEvT1_.has_indirect_call, 0
	.section	.AMDGPU.csdata,"",@progbits
; Kernel info:
; codeLenInByte = 0
; TotalNumSgprs: 0
; NumVgprs: 0
; ScratchSize: 0
; MemoryBound: 0
; FloatMode: 240
; IeeeMode: 1
; LDSByteSize: 0 bytes/workgroup (compile time only)
; SGPRBlocks: 0
; VGPRBlocks: 0
; NumSGPRsForWavesPerEU: 1
; NumVGPRsForWavesPerEU: 1
; Occupancy: 16
; WaveLimiterHint : 0
; COMPUTE_PGM_RSRC2:SCRATCH_EN: 0
; COMPUTE_PGM_RSRC2:USER_SGPR: 2
; COMPUTE_PGM_RSRC2:TRAP_HANDLER: 0
; COMPUTE_PGM_RSRC2:TGID_X_EN: 1
; COMPUTE_PGM_RSRC2:TGID_Y_EN: 0
; COMPUTE_PGM_RSRC2:TGID_Z_EN: 0
; COMPUTE_PGM_RSRC2:TIDIG_COMP_CNT: 0
	.section	.text._ZN7rocprim17ROCPRIM_400000_NS6detail17trampoline_kernelINS0_14default_configENS1_25partition_config_selectorILNS1_17partition_subalgoE5ElNS0_10empty_typeEbEEZZNS1_14partition_implILS5_5ELb0ES3_mN6hipcub16HIPCUB_304000_NS21CountingInputIteratorIllEEPS6_NSA_22TransformInputIteratorIbN2at6native12_GLOBAL__N_19NonZeroOpIfEEPKflEENS0_5tupleIJPlS6_EEENSN_IJSD_SD_EEES6_PiJS6_EEE10hipError_tPvRmT3_T4_T5_T6_T7_T9_mT8_P12ihipStream_tbDpT10_ENKUlT_T0_E_clISt17integral_constantIbLb1EES1A_IbLb0EEEEDaS16_S17_EUlS16_E_NS1_11comp_targetILNS1_3genE2ELNS1_11target_archE906ELNS1_3gpuE6ELNS1_3repE0EEENS1_30default_config_static_selectorELNS0_4arch9wavefront6targetE0EEEvT1_,"axG",@progbits,_ZN7rocprim17ROCPRIM_400000_NS6detail17trampoline_kernelINS0_14default_configENS1_25partition_config_selectorILNS1_17partition_subalgoE5ElNS0_10empty_typeEbEEZZNS1_14partition_implILS5_5ELb0ES3_mN6hipcub16HIPCUB_304000_NS21CountingInputIteratorIllEEPS6_NSA_22TransformInputIteratorIbN2at6native12_GLOBAL__N_19NonZeroOpIfEEPKflEENS0_5tupleIJPlS6_EEENSN_IJSD_SD_EEES6_PiJS6_EEE10hipError_tPvRmT3_T4_T5_T6_T7_T9_mT8_P12ihipStream_tbDpT10_ENKUlT_T0_E_clISt17integral_constantIbLb1EES1A_IbLb0EEEEDaS16_S17_EUlS16_E_NS1_11comp_targetILNS1_3genE2ELNS1_11target_archE906ELNS1_3gpuE6ELNS1_3repE0EEENS1_30default_config_static_selectorELNS0_4arch9wavefront6targetE0EEEvT1_,comdat
	.globl	_ZN7rocprim17ROCPRIM_400000_NS6detail17trampoline_kernelINS0_14default_configENS1_25partition_config_selectorILNS1_17partition_subalgoE5ElNS0_10empty_typeEbEEZZNS1_14partition_implILS5_5ELb0ES3_mN6hipcub16HIPCUB_304000_NS21CountingInputIteratorIllEEPS6_NSA_22TransformInputIteratorIbN2at6native12_GLOBAL__N_19NonZeroOpIfEEPKflEENS0_5tupleIJPlS6_EEENSN_IJSD_SD_EEES6_PiJS6_EEE10hipError_tPvRmT3_T4_T5_T6_T7_T9_mT8_P12ihipStream_tbDpT10_ENKUlT_T0_E_clISt17integral_constantIbLb1EES1A_IbLb0EEEEDaS16_S17_EUlS16_E_NS1_11comp_targetILNS1_3genE2ELNS1_11target_archE906ELNS1_3gpuE6ELNS1_3repE0EEENS1_30default_config_static_selectorELNS0_4arch9wavefront6targetE0EEEvT1_ ; -- Begin function _ZN7rocprim17ROCPRIM_400000_NS6detail17trampoline_kernelINS0_14default_configENS1_25partition_config_selectorILNS1_17partition_subalgoE5ElNS0_10empty_typeEbEEZZNS1_14partition_implILS5_5ELb0ES3_mN6hipcub16HIPCUB_304000_NS21CountingInputIteratorIllEEPS6_NSA_22TransformInputIteratorIbN2at6native12_GLOBAL__N_19NonZeroOpIfEEPKflEENS0_5tupleIJPlS6_EEENSN_IJSD_SD_EEES6_PiJS6_EEE10hipError_tPvRmT3_T4_T5_T6_T7_T9_mT8_P12ihipStream_tbDpT10_ENKUlT_T0_E_clISt17integral_constantIbLb1EES1A_IbLb0EEEEDaS16_S17_EUlS16_E_NS1_11comp_targetILNS1_3genE2ELNS1_11target_archE906ELNS1_3gpuE6ELNS1_3repE0EEENS1_30default_config_static_selectorELNS0_4arch9wavefront6targetE0EEEvT1_
	.p2align	8
	.type	_ZN7rocprim17ROCPRIM_400000_NS6detail17trampoline_kernelINS0_14default_configENS1_25partition_config_selectorILNS1_17partition_subalgoE5ElNS0_10empty_typeEbEEZZNS1_14partition_implILS5_5ELb0ES3_mN6hipcub16HIPCUB_304000_NS21CountingInputIteratorIllEEPS6_NSA_22TransformInputIteratorIbN2at6native12_GLOBAL__N_19NonZeroOpIfEEPKflEENS0_5tupleIJPlS6_EEENSN_IJSD_SD_EEES6_PiJS6_EEE10hipError_tPvRmT3_T4_T5_T6_T7_T9_mT8_P12ihipStream_tbDpT10_ENKUlT_T0_E_clISt17integral_constantIbLb1EES1A_IbLb0EEEEDaS16_S17_EUlS16_E_NS1_11comp_targetILNS1_3genE2ELNS1_11target_archE906ELNS1_3gpuE6ELNS1_3repE0EEENS1_30default_config_static_selectorELNS0_4arch9wavefront6targetE0EEEvT1_,@function
_ZN7rocprim17ROCPRIM_400000_NS6detail17trampoline_kernelINS0_14default_configENS1_25partition_config_selectorILNS1_17partition_subalgoE5ElNS0_10empty_typeEbEEZZNS1_14partition_implILS5_5ELb0ES3_mN6hipcub16HIPCUB_304000_NS21CountingInputIteratorIllEEPS6_NSA_22TransformInputIteratorIbN2at6native12_GLOBAL__N_19NonZeroOpIfEEPKflEENS0_5tupleIJPlS6_EEENSN_IJSD_SD_EEES6_PiJS6_EEE10hipError_tPvRmT3_T4_T5_T6_T7_T9_mT8_P12ihipStream_tbDpT10_ENKUlT_T0_E_clISt17integral_constantIbLb1EES1A_IbLb0EEEEDaS16_S17_EUlS16_E_NS1_11comp_targetILNS1_3genE2ELNS1_11target_archE906ELNS1_3gpuE6ELNS1_3repE0EEENS1_30default_config_static_selectorELNS0_4arch9wavefront6targetE0EEEvT1_: ; @_ZN7rocprim17ROCPRIM_400000_NS6detail17trampoline_kernelINS0_14default_configENS1_25partition_config_selectorILNS1_17partition_subalgoE5ElNS0_10empty_typeEbEEZZNS1_14partition_implILS5_5ELb0ES3_mN6hipcub16HIPCUB_304000_NS21CountingInputIteratorIllEEPS6_NSA_22TransformInputIteratorIbN2at6native12_GLOBAL__N_19NonZeroOpIfEEPKflEENS0_5tupleIJPlS6_EEENSN_IJSD_SD_EEES6_PiJS6_EEE10hipError_tPvRmT3_T4_T5_T6_T7_T9_mT8_P12ihipStream_tbDpT10_ENKUlT_T0_E_clISt17integral_constantIbLb1EES1A_IbLb0EEEEDaS16_S17_EUlS16_E_NS1_11comp_targetILNS1_3genE2ELNS1_11target_archE906ELNS1_3gpuE6ELNS1_3repE0EEENS1_30default_config_static_selectorELNS0_4arch9wavefront6targetE0EEEvT1_
; %bb.0:
	.section	.rodata,"a",@progbits
	.p2align	6, 0x0
	.amdhsa_kernel _ZN7rocprim17ROCPRIM_400000_NS6detail17trampoline_kernelINS0_14default_configENS1_25partition_config_selectorILNS1_17partition_subalgoE5ElNS0_10empty_typeEbEEZZNS1_14partition_implILS5_5ELb0ES3_mN6hipcub16HIPCUB_304000_NS21CountingInputIteratorIllEEPS6_NSA_22TransformInputIteratorIbN2at6native12_GLOBAL__N_19NonZeroOpIfEEPKflEENS0_5tupleIJPlS6_EEENSN_IJSD_SD_EEES6_PiJS6_EEE10hipError_tPvRmT3_T4_T5_T6_T7_T9_mT8_P12ihipStream_tbDpT10_ENKUlT_T0_E_clISt17integral_constantIbLb1EES1A_IbLb0EEEEDaS16_S17_EUlS16_E_NS1_11comp_targetILNS1_3genE2ELNS1_11target_archE906ELNS1_3gpuE6ELNS1_3repE0EEENS1_30default_config_static_selectorELNS0_4arch9wavefront6targetE0EEEvT1_
		.amdhsa_group_segment_fixed_size 0
		.amdhsa_private_segment_fixed_size 0
		.amdhsa_kernarg_size 120
		.amdhsa_user_sgpr_count 2
		.amdhsa_user_sgpr_dispatch_ptr 0
		.amdhsa_user_sgpr_queue_ptr 0
		.amdhsa_user_sgpr_kernarg_segment_ptr 1
		.amdhsa_user_sgpr_dispatch_id 0
		.amdhsa_user_sgpr_private_segment_size 0
		.amdhsa_wavefront_size32 1
		.amdhsa_uses_dynamic_stack 0
		.amdhsa_enable_private_segment 0
		.amdhsa_system_sgpr_workgroup_id_x 1
		.amdhsa_system_sgpr_workgroup_id_y 0
		.amdhsa_system_sgpr_workgroup_id_z 0
		.amdhsa_system_sgpr_workgroup_info 0
		.amdhsa_system_vgpr_workitem_id 0
		.amdhsa_next_free_vgpr 1
		.amdhsa_next_free_sgpr 1
		.amdhsa_reserve_vcc 0
		.amdhsa_float_round_mode_32 0
		.amdhsa_float_round_mode_16_64 0
		.amdhsa_float_denorm_mode_32 3
		.amdhsa_float_denorm_mode_16_64 3
		.amdhsa_fp16_overflow 0
		.amdhsa_workgroup_processor_mode 1
		.amdhsa_memory_ordered 1
		.amdhsa_forward_progress 1
		.amdhsa_inst_pref_size 0
		.amdhsa_round_robin_scheduling 0
		.amdhsa_exception_fp_ieee_invalid_op 0
		.amdhsa_exception_fp_denorm_src 0
		.amdhsa_exception_fp_ieee_div_zero 0
		.amdhsa_exception_fp_ieee_overflow 0
		.amdhsa_exception_fp_ieee_underflow 0
		.amdhsa_exception_fp_ieee_inexact 0
		.amdhsa_exception_int_div_zero 0
	.end_amdhsa_kernel
	.section	.text._ZN7rocprim17ROCPRIM_400000_NS6detail17trampoline_kernelINS0_14default_configENS1_25partition_config_selectorILNS1_17partition_subalgoE5ElNS0_10empty_typeEbEEZZNS1_14partition_implILS5_5ELb0ES3_mN6hipcub16HIPCUB_304000_NS21CountingInputIteratorIllEEPS6_NSA_22TransformInputIteratorIbN2at6native12_GLOBAL__N_19NonZeroOpIfEEPKflEENS0_5tupleIJPlS6_EEENSN_IJSD_SD_EEES6_PiJS6_EEE10hipError_tPvRmT3_T4_T5_T6_T7_T9_mT8_P12ihipStream_tbDpT10_ENKUlT_T0_E_clISt17integral_constantIbLb1EES1A_IbLb0EEEEDaS16_S17_EUlS16_E_NS1_11comp_targetILNS1_3genE2ELNS1_11target_archE906ELNS1_3gpuE6ELNS1_3repE0EEENS1_30default_config_static_selectorELNS0_4arch9wavefront6targetE0EEEvT1_,"axG",@progbits,_ZN7rocprim17ROCPRIM_400000_NS6detail17trampoline_kernelINS0_14default_configENS1_25partition_config_selectorILNS1_17partition_subalgoE5ElNS0_10empty_typeEbEEZZNS1_14partition_implILS5_5ELb0ES3_mN6hipcub16HIPCUB_304000_NS21CountingInputIteratorIllEEPS6_NSA_22TransformInputIteratorIbN2at6native12_GLOBAL__N_19NonZeroOpIfEEPKflEENS0_5tupleIJPlS6_EEENSN_IJSD_SD_EEES6_PiJS6_EEE10hipError_tPvRmT3_T4_T5_T6_T7_T9_mT8_P12ihipStream_tbDpT10_ENKUlT_T0_E_clISt17integral_constantIbLb1EES1A_IbLb0EEEEDaS16_S17_EUlS16_E_NS1_11comp_targetILNS1_3genE2ELNS1_11target_archE906ELNS1_3gpuE6ELNS1_3repE0EEENS1_30default_config_static_selectorELNS0_4arch9wavefront6targetE0EEEvT1_,comdat
.Lfunc_end478:
	.size	_ZN7rocprim17ROCPRIM_400000_NS6detail17trampoline_kernelINS0_14default_configENS1_25partition_config_selectorILNS1_17partition_subalgoE5ElNS0_10empty_typeEbEEZZNS1_14partition_implILS5_5ELb0ES3_mN6hipcub16HIPCUB_304000_NS21CountingInputIteratorIllEEPS6_NSA_22TransformInputIteratorIbN2at6native12_GLOBAL__N_19NonZeroOpIfEEPKflEENS0_5tupleIJPlS6_EEENSN_IJSD_SD_EEES6_PiJS6_EEE10hipError_tPvRmT3_T4_T5_T6_T7_T9_mT8_P12ihipStream_tbDpT10_ENKUlT_T0_E_clISt17integral_constantIbLb1EES1A_IbLb0EEEEDaS16_S17_EUlS16_E_NS1_11comp_targetILNS1_3genE2ELNS1_11target_archE906ELNS1_3gpuE6ELNS1_3repE0EEENS1_30default_config_static_selectorELNS0_4arch9wavefront6targetE0EEEvT1_, .Lfunc_end478-_ZN7rocprim17ROCPRIM_400000_NS6detail17trampoline_kernelINS0_14default_configENS1_25partition_config_selectorILNS1_17partition_subalgoE5ElNS0_10empty_typeEbEEZZNS1_14partition_implILS5_5ELb0ES3_mN6hipcub16HIPCUB_304000_NS21CountingInputIteratorIllEEPS6_NSA_22TransformInputIteratorIbN2at6native12_GLOBAL__N_19NonZeroOpIfEEPKflEENS0_5tupleIJPlS6_EEENSN_IJSD_SD_EEES6_PiJS6_EEE10hipError_tPvRmT3_T4_T5_T6_T7_T9_mT8_P12ihipStream_tbDpT10_ENKUlT_T0_E_clISt17integral_constantIbLb1EES1A_IbLb0EEEEDaS16_S17_EUlS16_E_NS1_11comp_targetILNS1_3genE2ELNS1_11target_archE906ELNS1_3gpuE6ELNS1_3repE0EEENS1_30default_config_static_selectorELNS0_4arch9wavefront6targetE0EEEvT1_
                                        ; -- End function
	.set _ZN7rocprim17ROCPRIM_400000_NS6detail17trampoline_kernelINS0_14default_configENS1_25partition_config_selectorILNS1_17partition_subalgoE5ElNS0_10empty_typeEbEEZZNS1_14partition_implILS5_5ELb0ES3_mN6hipcub16HIPCUB_304000_NS21CountingInputIteratorIllEEPS6_NSA_22TransformInputIteratorIbN2at6native12_GLOBAL__N_19NonZeroOpIfEEPKflEENS0_5tupleIJPlS6_EEENSN_IJSD_SD_EEES6_PiJS6_EEE10hipError_tPvRmT3_T4_T5_T6_T7_T9_mT8_P12ihipStream_tbDpT10_ENKUlT_T0_E_clISt17integral_constantIbLb1EES1A_IbLb0EEEEDaS16_S17_EUlS16_E_NS1_11comp_targetILNS1_3genE2ELNS1_11target_archE906ELNS1_3gpuE6ELNS1_3repE0EEENS1_30default_config_static_selectorELNS0_4arch9wavefront6targetE0EEEvT1_.num_vgpr, 0
	.set _ZN7rocprim17ROCPRIM_400000_NS6detail17trampoline_kernelINS0_14default_configENS1_25partition_config_selectorILNS1_17partition_subalgoE5ElNS0_10empty_typeEbEEZZNS1_14partition_implILS5_5ELb0ES3_mN6hipcub16HIPCUB_304000_NS21CountingInputIteratorIllEEPS6_NSA_22TransformInputIteratorIbN2at6native12_GLOBAL__N_19NonZeroOpIfEEPKflEENS0_5tupleIJPlS6_EEENSN_IJSD_SD_EEES6_PiJS6_EEE10hipError_tPvRmT3_T4_T5_T6_T7_T9_mT8_P12ihipStream_tbDpT10_ENKUlT_T0_E_clISt17integral_constantIbLb1EES1A_IbLb0EEEEDaS16_S17_EUlS16_E_NS1_11comp_targetILNS1_3genE2ELNS1_11target_archE906ELNS1_3gpuE6ELNS1_3repE0EEENS1_30default_config_static_selectorELNS0_4arch9wavefront6targetE0EEEvT1_.num_agpr, 0
	.set _ZN7rocprim17ROCPRIM_400000_NS6detail17trampoline_kernelINS0_14default_configENS1_25partition_config_selectorILNS1_17partition_subalgoE5ElNS0_10empty_typeEbEEZZNS1_14partition_implILS5_5ELb0ES3_mN6hipcub16HIPCUB_304000_NS21CountingInputIteratorIllEEPS6_NSA_22TransformInputIteratorIbN2at6native12_GLOBAL__N_19NonZeroOpIfEEPKflEENS0_5tupleIJPlS6_EEENSN_IJSD_SD_EEES6_PiJS6_EEE10hipError_tPvRmT3_T4_T5_T6_T7_T9_mT8_P12ihipStream_tbDpT10_ENKUlT_T0_E_clISt17integral_constantIbLb1EES1A_IbLb0EEEEDaS16_S17_EUlS16_E_NS1_11comp_targetILNS1_3genE2ELNS1_11target_archE906ELNS1_3gpuE6ELNS1_3repE0EEENS1_30default_config_static_selectorELNS0_4arch9wavefront6targetE0EEEvT1_.numbered_sgpr, 0
	.set _ZN7rocprim17ROCPRIM_400000_NS6detail17trampoline_kernelINS0_14default_configENS1_25partition_config_selectorILNS1_17partition_subalgoE5ElNS0_10empty_typeEbEEZZNS1_14partition_implILS5_5ELb0ES3_mN6hipcub16HIPCUB_304000_NS21CountingInputIteratorIllEEPS6_NSA_22TransformInputIteratorIbN2at6native12_GLOBAL__N_19NonZeroOpIfEEPKflEENS0_5tupleIJPlS6_EEENSN_IJSD_SD_EEES6_PiJS6_EEE10hipError_tPvRmT3_T4_T5_T6_T7_T9_mT8_P12ihipStream_tbDpT10_ENKUlT_T0_E_clISt17integral_constantIbLb1EES1A_IbLb0EEEEDaS16_S17_EUlS16_E_NS1_11comp_targetILNS1_3genE2ELNS1_11target_archE906ELNS1_3gpuE6ELNS1_3repE0EEENS1_30default_config_static_selectorELNS0_4arch9wavefront6targetE0EEEvT1_.num_named_barrier, 0
	.set _ZN7rocprim17ROCPRIM_400000_NS6detail17trampoline_kernelINS0_14default_configENS1_25partition_config_selectorILNS1_17partition_subalgoE5ElNS0_10empty_typeEbEEZZNS1_14partition_implILS5_5ELb0ES3_mN6hipcub16HIPCUB_304000_NS21CountingInputIteratorIllEEPS6_NSA_22TransformInputIteratorIbN2at6native12_GLOBAL__N_19NonZeroOpIfEEPKflEENS0_5tupleIJPlS6_EEENSN_IJSD_SD_EEES6_PiJS6_EEE10hipError_tPvRmT3_T4_T5_T6_T7_T9_mT8_P12ihipStream_tbDpT10_ENKUlT_T0_E_clISt17integral_constantIbLb1EES1A_IbLb0EEEEDaS16_S17_EUlS16_E_NS1_11comp_targetILNS1_3genE2ELNS1_11target_archE906ELNS1_3gpuE6ELNS1_3repE0EEENS1_30default_config_static_selectorELNS0_4arch9wavefront6targetE0EEEvT1_.private_seg_size, 0
	.set _ZN7rocprim17ROCPRIM_400000_NS6detail17trampoline_kernelINS0_14default_configENS1_25partition_config_selectorILNS1_17partition_subalgoE5ElNS0_10empty_typeEbEEZZNS1_14partition_implILS5_5ELb0ES3_mN6hipcub16HIPCUB_304000_NS21CountingInputIteratorIllEEPS6_NSA_22TransformInputIteratorIbN2at6native12_GLOBAL__N_19NonZeroOpIfEEPKflEENS0_5tupleIJPlS6_EEENSN_IJSD_SD_EEES6_PiJS6_EEE10hipError_tPvRmT3_T4_T5_T6_T7_T9_mT8_P12ihipStream_tbDpT10_ENKUlT_T0_E_clISt17integral_constantIbLb1EES1A_IbLb0EEEEDaS16_S17_EUlS16_E_NS1_11comp_targetILNS1_3genE2ELNS1_11target_archE906ELNS1_3gpuE6ELNS1_3repE0EEENS1_30default_config_static_selectorELNS0_4arch9wavefront6targetE0EEEvT1_.uses_vcc, 0
	.set _ZN7rocprim17ROCPRIM_400000_NS6detail17trampoline_kernelINS0_14default_configENS1_25partition_config_selectorILNS1_17partition_subalgoE5ElNS0_10empty_typeEbEEZZNS1_14partition_implILS5_5ELb0ES3_mN6hipcub16HIPCUB_304000_NS21CountingInputIteratorIllEEPS6_NSA_22TransformInputIteratorIbN2at6native12_GLOBAL__N_19NonZeroOpIfEEPKflEENS0_5tupleIJPlS6_EEENSN_IJSD_SD_EEES6_PiJS6_EEE10hipError_tPvRmT3_T4_T5_T6_T7_T9_mT8_P12ihipStream_tbDpT10_ENKUlT_T0_E_clISt17integral_constantIbLb1EES1A_IbLb0EEEEDaS16_S17_EUlS16_E_NS1_11comp_targetILNS1_3genE2ELNS1_11target_archE906ELNS1_3gpuE6ELNS1_3repE0EEENS1_30default_config_static_selectorELNS0_4arch9wavefront6targetE0EEEvT1_.uses_flat_scratch, 0
	.set _ZN7rocprim17ROCPRIM_400000_NS6detail17trampoline_kernelINS0_14default_configENS1_25partition_config_selectorILNS1_17partition_subalgoE5ElNS0_10empty_typeEbEEZZNS1_14partition_implILS5_5ELb0ES3_mN6hipcub16HIPCUB_304000_NS21CountingInputIteratorIllEEPS6_NSA_22TransformInputIteratorIbN2at6native12_GLOBAL__N_19NonZeroOpIfEEPKflEENS0_5tupleIJPlS6_EEENSN_IJSD_SD_EEES6_PiJS6_EEE10hipError_tPvRmT3_T4_T5_T6_T7_T9_mT8_P12ihipStream_tbDpT10_ENKUlT_T0_E_clISt17integral_constantIbLb1EES1A_IbLb0EEEEDaS16_S17_EUlS16_E_NS1_11comp_targetILNS1_3genE2ELNS1_11target_archE906ELNS1_3gpuE6ELNS1_3repE0EEENS1_30default_config_static_selectorELNS0_4arch9wavefront6targetE0EEEvT1_.has_dyn_sized_stack, 0
	.set _ZN7rocprim17ROCPRIM_400000_NS6detail17trampoline_kernelINS0_14default_configENS1_25partition_config_selectorILNS1_17partition_subalgoE5ElNS0_10empty_typeEbEEZZNS1_14partition_implILS5_5ELb0ES3_mN6hipcub16HIPCUB_304000_NS21CountingInputIteratorIllEEPS6_NSA_22TransformInputIteratorIbN2at6native12_GLOBAL__N_19NonZeroOpIfEEPKflEENS0_5tupleIJPlS6_EEENSN_IJSD_SD_EEES6_PiJS6_EEE10hipError_tPvRmT3_T4_T5_T6_T7_T9_mT8_P12ihipStream_tbDpT10_ENKUlT_T0_E_clISt17integral_constantIbLb1EES1A_IbLb0EEEEDaS16_S17_EUlS16_E_NS1_11comp_targetILNS1_3genE2ELNS1_11target_archE906ELNS1_3gpuE6ELNS1_3repE0EEENS1_30default_config_static_selectorELNS0_4arch9wavefront6targetE0EEEvT1_.has_recursion, 0
	.set _ZN7rocprim17ROCPRIM_400000_NS6detail17trampoline_kernelINS0_14default_configENS1_25partition_config_selectorILNS1_17partition_subalgoE5ElNS0_10empty_typeEbEEZZNS1_14partition_implILS5_5ELb0ES3_mN6hipcub16HIPCUB_304000_NS21CountingInputIteratorIllEEPS6_NSA_22TransformInputIteratorIbN2at6native12_GLOBAL__N_19NonZeroOpIfEEPKflEENS0_5tupleIJPlS6_EEENSN_IJSD_SD_EEES6_PiJS6_EEE10hipError_tPvRmT3_T4_T5_T6_T7_T9_mT8_P12ihipStream_tbDpT10_ENKUlT_T0_E_clISt17integral_constantIbLb1EES1A_IbLb0EEEEDaS16_S17_EUlS16_E_NS1_11comp_targetILNS1_3genE2ELNS1_11target_archE906ELNS1_3gpuE6ELNS1_3repE0EEENS1_30default_config_static_selectorELNS0_4arch9wavefront6targetE0EEEvT1_.has_indirect_call, 0
	.section	.AMDGPU.csdata,"",@progbits
; Kernel info:
; codeLenInByte = 0
; TotalNumSgprs: 0
; NumVgprs: 0
; ScratchSize: 0
; MemoryBound: 0
; FloatMode: 240
; IeeeMode: 1
; LDSByteSize: 0 bytes/workgroup (compile time only)
; SGPRBlocks: 0
; VGPRBlocks: 0
; NumSGPRsForWavesPerEU: 1
; NumVGPRsForWavesPerEU: 1
; Occupancy: 16
; WaveLimiterHint : 0
; COMPUTE_PGM_RSRC2:SCRATCH_EN: 0
; COMPUTE_PGM_RSRC2:USER_SGPR: 2
; COMPUTE_PGM_RSRC2:TRAP_HANDLER: 0
; COMPUTE_PGM_RSRC2:TGID_X_EN: 1
; COMPUTE_PGM_RSRC2:TGID_Y_EN: 0
; COMPUTE_PGM_RSRC2:TGID_Z_EN: 0
; COMPUTE_PGM_RSRC2:TIDIG_COMP_CNT: 0
	.section	.text._ZN7rocprim17ROCPRIM_400000_NS6detail17trampoline_kernelINS0_14default_configENS1_25partition_config_selectorILNS1_17partition_subalgoE5ElNS0_10empty_typeEbEEZZNS1_14partition_implILS5_5ELb0ES3_mN6hipcub16HIPCUB_304000_NS21CountingInputIteratorIllEEPS6_NSA_22TransformInputIteratorIbN2at6native12_GLOBAL__N_19NonZeroOpIfEEPKflEENS0_5tupleIJPlS6_EEENSN_IJSD_SD_EEES6_PiJS6_EEE10hipError_tPvRmT3_T4_T5_T6_T7_T9_mT8_P12ihipStream_tbDpT10_ENKUlT_T0_E_clISt17integral_constantIbLb1EES1A_IbLb0EEEEDaS16_S17_EUlS16_E_NS1_11comp_targetILNS1_3genE10ELNS1_11target_archE1200ELNS1_3gpuE4ELNS1_3repE0EEENS1_30default_config_static_selectorELNS0_4arch9wavefront6targetE0EEEvT1_,"axG",@progbits,_ZN7rocprim17ROCPRIM_400000_NS6detail17trampoline_kernelINS0_14default_configENS1_25partition_config_selectorILNS1_17partition_subalgoE5ElNS0_10empty_typeEbEEZZNS1_14partition_implILS5_5ELb0ES3_mN6hipcub16HIPCUB_304000_NS21CountingInputIteratorIllEEPS6_NSA_22TransformInputIteratorIbN2at6native12_GLOBAL__N_19NonZeroOpIfEEPKflEENS0_5tupleIJPlS6_EEENSN_IJSD_SD_EEES6_PiJS6_EEE10hipError_tPvRmT3_T4_T5_T6_T7_T9_mT8_P12ihipStream_tbDpT10_ENKUlT_T0_E_clISt17integral_constantIbLb1EES1A_IbLb0EEEEDaS16_S17_EUlS16_E_NS1_11comp_targetILNS1_3genE10ELNS1_11target_archE1200ELNS1_3gpuE4ELNS1_3repE0EEENS1_30default_config_static_selectorELNS0_4arch9wavefront6targetE0EEEvT1_,comdat
	.globl	_ZN7rocprim17ROCPRIM_400000_NS6detail17trampoline_kernelINS0_14default_configENS1_25partition_config_selectorILNS1_17partition_subalgoE5ElNS0_10empty_typeEbEEZZNS1_14partition_implILS5_5ELb0ES3_mN6hipcub16HIPCUB_304000_NS21CountingInputIteratorIllEEPS6_NSA_22TransformInputIteratorIbN2at6native12_GLOBAL__N_19NonZeroOpIfEEPKflEENS0_5tupleIJPlS6_EEENSN_IJSD_SD_EEES6_PiJS6_EEE10hipError_tPvRmT3_T4_T5_T6_T7_T9_mT8_P12ihipStream_tbDpT10_ENKUlT_T0_E_clISt17integral_constantIbLb1EES1A_IbLb0EEEEDaS16_S17_EUlS16_E_NS1_11comp_targetILNS1_3genE10ELNS1_11target_archE1200ELNS1_3gpuE4ELNS1_3repE0EEENS1_30default_config_static_selectorELNS0_4arch9wavefront6targetE0EEEvT1_ ; -- Begin function _ZN7rocprim17ROCPRIM_400000_NS6detail17trampoline_kernelINS0_14default_configENS1_25partition_config_selectorILNS1_17partition_subalgoE5ElNS0_10empty_typeEbEEZZNS1_14partition_implILS5_5ELb0ES3_mN6hipcub16HIPCUB_304000_NS21CountingInputIteratorIllEEPS6_NSA_22TransformInputIteratorIbN2at6native12_GLOBAL__N_19NonZeroOpIfEEPKflEENS0_5tupleIJPlS6_EEENSN_IJSD_SD_EEES6_PiJS6_EEE10hipError_tPvRmT3_T4_T5_T6_T7_T9_mT8_P12ihipStream_tbDpT10_ENKUlT_T0_E_clISt17integral_constantIbLb1EES1A_IbLb0EEEEDaS16_S17_EUlS16_E_NS1_11comp_targetILNS1_3genE10ELNS1_11target_archE1200ELNS1_3gpuE4ELNS1_3repE0EEENS1_30default_config_static_selectorELNS0_4arch9wavefront6targetE0EEEvT1_
	.p2align	8
	.type	_ZN7rocprim17ROCPRIM_400000_NS6detail17trampoline_kernelINS0_14default_configENS1_25partition_config_selectorILNS1_17partition_subalgoE5ElNS0_10empty_typeEbEEZZNS1_14partition_implILS5_5ELb0ES3_mN6hipcub16HIPCUB_304000_NS21CountingInputIteratorIllEEPS6_NSA_22TransformInputIteratorIbN2at6native12_GLOBAL__N_19NonZeroOpIfEEPKflEENS0_5tupleIJPlS6_EEENSN_IJSD_SD_EEES6_PiJS6_EEE10hipError_tPvRmT3_T4_T5_T6_T7_T9_mT8_P12ihipStream_tbDpT10_ENKUlT_T0_E_clISt17integral_constantIbLb1EES1A_IbLb0EEEEDaS16_S17_EUlS16_E_NS1_11comp_targetILNS1_3genE10ELNS1_11target_archE1200ELNS1_3gpuE4ELNS1_3repE0EEENS1_30default_config_static_selectorELNS0_4arch9wavefront6targetE0EEEvT1_,@function
_ZN7rocprim17ROCPRIM_400000_NS6detail17trampoline_kernelINS0_14default_configENS1_25partition_config_selectorILNS1_17partition_subalgoE5ElNS0_10empty_typeEbEEZZNS1_14partition_implILS5_5ELb0ES3_mN6hipcub16HIPCUB_304000_NS21CountingInputIteratorIllEEPS6_NSA_22TransformInputIteratorIbN2at6native12_GLOBAL__N_19NonZeroOpIfEEPKflEENS0_5tupleIJPlS6_EEENSN_IJSD_SD_EEES6_PiJS6_EEE10hipError_tPvRmT3_T4_T5_T6_T7_T9_mT8_P12ihipStream_tbDpT10_ENKUlT_T0_E_clISt17integral_constantIbLb1EES1A_IbLb0EEEEDaS16_S17_EUlS16_E_NS1_11comp_targetILNS1_3genE10ELNS1_11target_archE1200ELNS1_3gpuE4ELNS1_3repE0EEENS1_30default_config_static_selectorELNS0_4arch9wavefront6targetE0EEEvT1_: ; @_ZN7rocprim17ROCPRIM_400000_NS6detail17trampoline_kernelINS0_14default_configENS1_25partition_config_selectorILNS1_17partition_subalgoE5ElNS0_10empty_typeEbEEZZNS1_14partition_implILS5_5ELb0ES3_mN6hipcub16HIPCUB_304000_NS21CountingInputIteratorIllEEPS6_NSA_22TransformInputIteratorIbN2at6native12_GLOBAL__N_19NonZeroOpIfEEPKflEENS0_5tupleIJPlS6_EEENSN_IJSD_SD_EEES6_PiJS6_EEE10hipError_tPvRmT3_T4_T5_T6_T7_T9_mT8_P12ihipStream_tbDpT10_ENKUlT_T0_E_clISt17integral_constantIbLb1EES1A_IbLb0EEEEDaS16_S17_EUlS16_E_NS1_11comp_targetILNS1_3genE10ELNS1_11target_archE1200ELNS1_3gpuE4ELNS1_3repE0EEENS1_30default_config_static_selectorELNS0_4arch9wavefront6targetE0EEEvT1_
; %bb.0:
	s_endpgm
	.section	.rodata,"a",@progbits
	.p2align	6, 0x0
	.amdhsa_kernel _ZN7rocprim17ROCPRIM_400000_NS6detail17trampoline_kernelINS0_14default_configENS1_25partition_config_selectorILNS1_17partition_subalgoE5ElNS0_10empty_typeEbEEZZNS1_14partition_implILS5_5ELb0ES3_mN6hipcub16HIPCUB_304000_NS21CountingInputIteratorIllEEPS6_NSA_22TransformInputIteratorIbN2at6native12_GLOBAL__N_19NonZeroOpIfEEPKflEENS0_5tupleIJPlS6_EEENSN_IJSD_SD_EEES6_PiJS6_EEE10hipError_tPvRmT3_T4_T5_T6_T7_T9_mT8_P12ihipStream_tbDpT10_ENKUlT_T0_E_clISt17integral_constantIbLb1EES1A_IbLb0EEEEDaS16_S17_EUlS16_E_NS1_11comp_targetILNS1_3genE10ELNS1_11target_archE1200ELNS1_3gpuE4ELNS1_3repE0EEENS1_30default_config_static_selectorELNS0_4arch9wavefront6targetE0EEEvT1_
		.amdhsa_group_segment_fixed_size 0
		.amdhsa_private_segment_fixed_size 0
		.amdhsa_kernarg_size 120
		.amdhsa_user_sgpr_count 2
		.amdhsa_user_sgpr_dispatch_ptr 0
		.amdhsa_user_sgpr_queue_ptr 0
		.amdhsa_user_sgpr_kernarg_segment_ptr 1
		.amdhsa_user_sgpr_dispatch_id 0
		.amdhsa_user_sgpr_private_segment_size 0
		.amdhsa_wavefront_size32 1
		.amdhsa_uses_dynamic_stack 0
		.amdhsa_enable_private_segment 0
		.amdhsa_system_sgpr_workgroup_id_x 1
		.amdhsa_system_sgpr_workgroup_id_y 0
		.amdhsa_system_sgpr_workgroup_id_z 0
		.amdhsa_system_sgpr_workgroup_info 0
		.amdhsa_system_vgpr_workitem_id 0
		.amdhsa_next_free_vgpr 1
		.amdhsa_next_free_sgpr 1
		.amdhsa_reserve_vcc 0
		.amdhsa_float_round_mode_32 0
		.amdhsa_float_round_mode_16_64 0
		.amdhsa_float_denorm_mode_32 3
		.amdhsa_float_denorm_mode_16_64 3
		.amdhsa_fp16_overflow 0
		.amdhsa_workgroup_processor_mode 1
		.amdhsa_memory_ordered 1
		.amdhsa_forward_progress 1
		.amdhsa_inst_pref_size 1
		.amdhsa_round_robin_scheduling 0
		.amdhsa_exception_fp_ieee_invalid_op 0
		.amdhsa_exception_fp_denorm_src 0
		.amdhsa_exception_fp_ieee_div_zero 0
		.amdhsa_exception_fp_ieee_overflow 0
		.amdhsa_exception_fp_ieee_underflow 0
		.amdhsa_exception_fp_ieee_inexact 0
		.amdhsa_exception_int_div_zero 0
	.end_amdhsa_kernel
	.section	.text._ZN7rocprim17ROCPRIM_400000_NS6detail17trampoline_kernelINS0_14default_configENS1_25partition_config_selectorILNS1_17partition_subalgoE5ElNS0_10empty_typeEbEEZZNS1_14partition_implILS5_5ELb0ES3_mN6hipcub16HIPCUB_304000_NS21CountingInputIteratorIllEEPS6_NSA_22TransformInputIteratorIbN2at6native12_GLOBAL__N_19NonZeroOpIfEEPKflEENS0_5tupleIJPlS6_EEENSN_IJSD_SD_EEES6_PiJS6_EEE10hipError_tPvRmT3_T4_T5_T6_T7_T9_mT8_P12ihipStream_tbDpT10_ENKUlT_T0_E_clISt17integral_constantIbLb1EES1A_IbLb0EEEEDaS16_S17_EUlS16_E_NS1_11comp_targetILNS1_3genE10ELNS1_11target_archE1200ELNS1_3gpuE4ELNS1_3repE0EEENS1_30default_config_static_selectorELNS0_4arch9wavefront6targetE0EEEvT1_,"axG",@progbits,_ZN7rocprim17ROCPRIM_400000_NS6detail17trampoline_kernelINS0_14default_configENS1_25partition_config_selectorILNS1_17partition_subalgoE5ElNS0_10empty_typeEbEEZZNS1_14partition_implILS5_5ELb0ES3_mN6hipcub16HIPCUB_304000_NS21CountingInputIteratorIllEEPS6_NSA_22TransformInputIteratorIbN2at6native12_GLOBAL__N_19NonZeroOpIfEEPKflEENS0_5tupleIJPlS6_EEENSN_IJSD_SD_EEES6_PiJS6_EEE10hipError_tPvRmT3_T4_T5_T6_T7_T9_mT8_P12ihipStream_tbDpT10_ENKUlT_T0_E_clISt17integral_constantIbLb1EES1A_IbLb0EEEEDaS16_S17_EUlS16_E_NS1_11comp_targetILNS1_3genE10ELNS1_11target_archE1200ELNS1_3gpuE4ELNS1_3repE0EEENS1_30default_config_static_selectorELNS0_4arch9wavefront6targetE0EEEvT1_,comdat
.Lfunc_end479:
	.size	_ZN7rocprim17ROCPRIM_400000_NS6detail17trampoline_kernelINS0_14default_configENS1_25partition_config_selectorILNS1_17partition_subalgoE5ElNS0_10empty_typeEbEEZZNS1_14partition_implILS5_5ELb0ES3_mN6hipcub16HIPCUB_304000_NS21CountingInputIteratorIllEEPS6_NSA_22TransformInputIteratorIbN2at6native12_GLOBAL__N_19NonZeroOpIfEEPKflEENS0_5tupleIJPlS6_EEENSN_IJSD_SD_EEES6_PiJS6_EEE10hipError_tPvRmT3_T4_T5_T6_T7_T9_mT8_P12ihipStream_tbDpT10_ENKUlT_T0_E_clISt17integral_constantIbLb1EES1A_IbLb0EEEEDaS16_S17_EUlS16_E_NS1_11comp_targetILNS1_3genE10ELNS1_11target_archE1200ELNS1_3gpuE4ELNS1_3repE0EEENS1_30default_config_static_selectorELNS0_4arch9wavefront6targetE0EEEvT1_, .Lfunc_end479-_ZN7rocprim17ROCPRIM_400000_NS6detail17trampoline_kernelINS0_14default_configENS1_25partition_config_selectorILNS1_17partition_subalgoE5ElNS0_10empty_typeEbEEZZNS1_14partition_implILS5_5ELb0ES3_mN6hipcub16HIPCUB_304000_NS21CountingInputIteratorIllEEPS6_NSA_22TransformInputIteratorIbN2at6native12_GLOBAL__N_19NonZeroOpIfEEPKflEENS0_5tupleIJPlS6_EEENSN_IJSD_SD_EEES6_PiJS6_EEE10hipError_tPvRmT3_T4_T5_T6_T7_T9_mT8_P12ihipStream_tbDpT10_ENKUlT_T0_E_clISt17integral_constantIbLb1EES1A_IbLb0EEEEDaS16_S17_EUlS16_E_NS1_11comp_targetILNS1_3genE10ELNS1_11target_archE1200ELNS1_3gpuE4ELNS1_3repE0EEENS1_30default_config_static_selectorELNS0_4arch9wavefront6targetE0EEEvT1_
                                        ; -- End function
	.set _ZN7rocprim17ROCPRIM_400000_NS6detail17trampoline_kernelINS0_14default_configENS1_25partition_config_selectorILNS1_17partition_subalgoE5ElNS0_10empty_typeEbEEZZNS1_14partition_implILS5_5ELb0ES3_mN6hipcub16HIPCUB_304000_NS21CountingInputIteratorIllEEPS6_NSA_22TransformInputIteratorIbN2at6native12_GLOBAL__N_19NonZeroOpIfEEPKflEENS0_5tupleIJPlS6_EEENSN_IJSD_SD_EEES6_PiJS6_EEE10hipError_tPvRmT3_T4_T5_T6_T7_T9_mT8_P12ihipStream_tbDpT10_ENKUlT_T0_E_clISt17integral_constantIbLb1EES1A_IbLb0EEEEDaS16_S17_EUlS16_E_NS1_11comp_targetILNS1_3genE10ELNS1_11target_archE1200ELNS1_3gpuE4ELNS1_3repE0EEENS1_30default_config_static_selectorELNS0_4arch9wavefront6targetE0EEEvT1_.num_vgpr, 0
	.set _ZN7rocprim17ROCPRIM_400000_NS6detail17trampoline_kernelINS0_14default_configENS1_25partition_config_selectorILNS1_17partition_subalgoE5ElNS0_10empty_typeEbEEZZNS1_14partition_implILS5_5ELb0ES3_mN6hipcub16HIPCUB_304000_NS21CountingInputIteratorIllEEPS6_NSA_22TransformInputIteratorIbN2at6native12_GLOBAL__N_19NonZeroOpIfEEPKflEENS0_5tupleIJPlS6_EEENSN_IJSD_SD_EEES6_PiJS6_EEE10hipError_tPvRmT3_T4_T5_T6_T7_T9_mT8_P12ihipStream_tbDpT10_ENKUlT_T0_E_clISt17integral_constantIbLb1EES1A_IbLb0EEEEDaS16_S17_EUlS16_E_NS1_11comp_targetILNS1_3genE10ELNS1_11target_archE1200ELNS1_3gpuE4ELNS1_3repE0EEENS1_30default_config_static_selectorELNS0_4arch9wavefront6targetE0EEEvT1_.num_agpr, 0
	.set _ZN7rocprim17ROCPRIM_400000_NS6detail17trampoline_kernelINS0_14default_configENS1_25partition_config_selectorILNS1_17partition_subalgoE5ElNS0_10empty_typeEbEEZZNS1_14partition_implILS5_5ELb0ES3_mN6hipcub16HIPCUB_304000_NS21CountingInputIteratorIllEEPS6_NSA_22TransformInputIteratorIbN2at6native12_GLOBAL__N_19NonZeroOpIfEEPKflEENS0_5tupleIJPlS6_EEENSN_IJSD_SD_EEES6_PiJS6_EEE10hipError_tPvRmT3_T4_T5_T6_T7_T9_mT8_P12ihipStream_tbDpT10_ENKUlT_T0_E_clISt17integral_constantIbLb1EES1A_IbLb0EEEEDaS16_S17_EUlS16_E_NS1_11comp_targetILNS1_3genE10ELNS1_11target_archE1200ELNS1_3gpuE4ELNS1_3repE0EEENS1_30default_config_static_selectorELNS0_4arch9wavefront6targetE0EEEvT1_.numbered_sgpr, 0
	.set _ZN7rocprim17ROCPRIM_400000_NS6detail17trampoline_kernelINS0_14default_configENS1_25partition_config_selectorILNS1_17partition_subalgoE5ElNS0_10empty_typeEbEEZZNS1_14partition_implILS5_5ELb0ES3_mN6hipcub16HIPCUB_304000_NS21CountingInputIteratorIllEEPS6_NSA_22TransformInputIteratorIbN2at6native12_GLOBAL__N_19NonZeroOpIfEEPKflEENS0_5tupleIJPlS6_EEENSN_IJSD_SD_EEES6_PiJS6_EEE10hipError_tPvRmT3_T4_T5_T6_T7_T9_mT8_P12ihipStream_tbDpT10_ENKUlT_T0_E_clISt17integral_constantIbLb1EES1A_IbLb0EEEEDaS16_S17_EUlS16_E_NS1_11comp_targetILNS1_3genE10ELNS1_11target_archE1200ELNS1_3gpuE4ELNS1_3repE0EEENS1_30default_config_static_selectorELNS0_4arch9wavefront6targetE0EEEvT1_.num_named_barrier, 0
	.set _ZN7rocprim17ROCPRIM_400000_NS6detail17trampoline_kernelINS0_14default_configENS1_25partition_config_selectorILNS1_17partition_subalgoE5ElNS0_10empty_typeEbEEZZNS1_14partition_implILS5_5ELb0ES3_mN6hipcub16HIPCUB_304000_NS21CountingInputIteratorIllEEPS6_NSA_22TransformInputIteratorIbN2at6native12_GLOBAL__N_19NonZeroOpIfEEPKflEENS0_5tupleIJPlS6_EEENSN_IJSD_SD_EEES6_PiJS6_EEE10hipError_tPvRmT3_T4_T5_T6_T7_T9_mT8_P12ihipStream_tbDpT10_ENKUlT_T0_E_clISt17integral_constantIbLb1EES1A_IbLb0EEEEDaS16_S17_EUlS16_E_NS1_11comp_targetILNS1_3genE10ELNS1_11target_archE1200ELNS1_3gpuE4ELNS1_3repE0EEENS1_30default_config_static_selectorELNS0_4arch9wavefront6targetE0EEEvT1_.private_seg_size, 0
	.set _ZN7rocprim17ROCPRIM_400000_NS6detail17trampoline_kernelINS0_14default_configENS1_25partition_config_selectorILNS1_17partition_subalgoE5ElNS0_10empty_typeEbEEZZNS1_14partition_implILS5_5ELb0ES3_mN6hipcub16HIPCUB_304000_NS21CountingInputIteratorIllEEPS6_NSA_22TransformInputIteratorIbN2at6native12_GLOBAL__N_19NonZeroOpIfEEPKflEENS0_5tupleIJPlS6_EEENSN_IJSD_SD_EEES6_PiJS6_EEE10hipError_tPvRmT3_T4_T5_T6_T7_T9_mT8_P12ihipStream_tbDpT10_ENKUlT_T0_E_clISt17integral_constantIbLb1EES1A_IbLb0EEEEDaS16_S17_EUlS16_E_NS1_11comp_targetILNS1_3genE10ELNS1_11target_archE1200ELNS1_3gpuE4ELNS1_3repE0EEENS1_30default_config_static_selectorELNS0_4arch9wavefront6targetE0EEEvT1_.uses_vcc, 0
	.set _ZN7rocprim17ROCPRIM_400000_NS6detail17trampoline_kernelINS0_14default_configENS1_25partition_config_selectorILNS1_17partition_subalgoE5ElNS0_10empty_typeEbEEZZNS1_14partition_implILS5_5ELb0ES3_mN6hipcub16HIPCUB_304000_NS21CountingInputIteratorIllEEPS6_NSA_22TransformInputIteratorIbN2at6native12_GLOBAL__N_19NonZeroOpIfEEPKflEENS0_5tupleIJPlS6_EEENSN_IJSD_SD_EEES6_PiJS6_EEE10hipError_tPvRmT3_T4_T5_T6_T7_T9_mT8_P12ihipStream_tbDpT10_ENKUlT_T0_E_clISt17integral_constantIbLb1EES1A_IbLb0EEEEDaS16_S17_EUlS16_E_NS1_11comp_targetILNS1_3genE10ELNS1_11target_archE1200ELNS1_3gpuE4ELNS1_3repE0EEENS1_30default_config_static_selectorELNS0_4arch9wavefront6targetE0EEEvT1_.uses_flat_scratch, 0
	.set _ZN7rocprim17ROCPRIM_400000_NS6detail17trampoline_kernelINS0_14default_configENS1_25partition_config_selectorILNS1_17partition_subalgoE5ElNS0_10empty_typeEbEEZZNS1_14partition_implILS5_5ELb0ES3_mN6hipcub16HIPCUB_304000_NS21CountingInputIteratorIllEEPS6_NSA_22TransformInputIteratorIbN2at6native12_GLOBAL__N_19NonZeroOpIfEEPKflEENS0_5tupleIJPlS6_EEENSN_IJSD_SD_EEES6_PiJS6_EEE10hipError_tPvRmT3_T4_T5_T6_T7_T9_mT8_P12ihipStream_tbDpT10_ENKUlT_T0_E_clISt17integral_constantIbLb1EES1A_IbLb0EEEEDaS16_S17_EUlS16_E_NS1_11comp_targetILNS1_3genE10ELNS1_11target_archE1200ELNS1_3gpuE4ELNS1_3repE0EEENS1_30default_config_static_selectorELNS0_4arch9wavefront6targetE0EEEvT1_.has_dyn_sized_stack, 0
	.set _ZN7rocprim17ROCPRIM_400000_NS6detail17trampoline_kernelINS0_14default_configENS1_25partition_config_selectorILNS1_17partition_subalgoE5ElNS0_10empty_typeEbEEZZNS1_14partition_implILS5_5ELb0ES3_mN6hipcub16HIPCUB_304000_NS21CountingInputIteratorIllEEPS6_NSA_22TransformInputIteratorIbN2at6native12_GLOBAL__N_19NonZeroOpIfEEPKflEENS0_5tupleIJPlS6_EEENSN_IJSD_SD_EEES6_PiJS6_EEE10hipError_tPvRmT3_T4_T5_T6_T7_T9_mT8_P12ihipStream_tbDpT10_ENKUlT_T0_E_clISt17integral_constantIbLb1EES1A_IbLb0EEEEDaS16_S17_EUlS16_E_NS1_11comp_targetILNS1_3genE10ELNS1_11target_archE1200ELNS1_3gpuE4ELNS1_3repE0EEENS1_30default_config_static_selectorELNS0_4arch9wavefront6targetE0EEEvT1_.has_recursion, 0
	.set _ZN7rocprim17ROCPRIM_400000_NS6detail17trampoline_kernelINS0_14default_configENS1_25partition_config_selectorILNS1_17partition_subalgoE5ElNS0_10empty_typeEbEEZZNS1_14partition_implILS5_5ELb0ES3_mN6hipcub16HIPCUB_304000_NS21CountingInputIteratorIllEEPS6_NSA_22TransformInputIteratorIbN2at6native12_GLOBAL__N_19NonZeroOpIfEEPKflEENS0_5tupleIJPlS6_EEENSN_IJSD_SD_EEES6_PiJS6_EEE10hipError_tPvRmT3_T4_T5_T6_T7_T9_mT8_P12ihipStream_tbDpT10_ENKUlT_T0_E_clISt17integral_constantIbLb1EES1A_IbLb0EEEEDaS16_S17_EUlS16_E_NS1_11comp_targetILNS1_3genE10ELNS1_11target_archE1200ELNS1_3gpuE4ELNS1_3repE0EEENS1_30default_config_static_selectorELNS0_4arch9wavefront6targetE0EEEvT1_.has_indirect_call, 0
	.section	.AMDGPU.csdata,"",@progbits
; Kernel info:
; codeLenInByte = 4
; TotalNumSgprs: 0
; NumVgprs: 0
; ScratchSize: 0
; MemoryBound: 0
; FloatMode: 240
; IeeeMode: 1
; LDSByteSize: 0 bytes/workgroup (compile time only)
; SGPRBlocks: 0
; VGPRBlocks: 0
; NumSGPRsForWavesPerEU: 1
; NumVGPRsForWavesPerEU: 1
; Occupancy: 16
; WaveLimiterHint : 0
; COMPUTE_PGM_RSRC2:SCRATCH_EN: 0
; COMPUTE_PGM_RSRC2:USER_SGPR: 2
; COMPUTE_PGM_RSRC2:TRAP_HANDLER: 0
; COMPUTE_PGM_RSRC2:TGID_X_EN: 1
; COMPUTE_PGM_RSRC2:TGID_Y_EN: 0
; COMPUTE_PGM_RSRC2:TGID_Z_EN: 0
; COMPUTE_PGM_RSRC2:TIDIG_COMP_CNT: 0
	.section	.text._ZN7rocprim17ROCPRIM_400000_NS6detail17trampoline_kernelINS0_14default_configENS1_25partition_config_selectorILNS1_17partition_subalgoE5ElNS0_10empty_typeEbEEZZNS1_14partition_implILS5_5ELb0ES3_mN6hipcub16HIPCUB_304000_NS21CountingInputIteratorIllEEPS6_NSA_22TransformInputIteratorIbN2at6native12_GLOBAL__N_19NonZeroOpIfEEPKflEENS0_5tupleIJPlS6_EEENSN_IJSD_SD_EEES6_PiJS6_EEE10hipError_tPvRmT3_T4_T5_T6_T7_T9_mT8_P12ihipStream_tbDpT10_ENKUlT_T0_E_clISt17integral_constantIbLb1EES1A_IbLb0EEEEDaS16_S17_EUlS16_E_NS1_11comp_targetILNS1_3genE9ELNS1_11target_archE1100ELNS1_3gpuE3ELNS1_3repE0EEENS1_30default_config_static_selectorELNS0_4arch9wavefront6targetE0EEEvT1_,"axG",@progbits,_ZN7rocprim17ROCPRIM_400000_NS6detail17trampoline_kernelINS0_14default_configENS1_25partition_config_selectorILNS1_17partition_subalgoE5ElNS0_10empty_typeEbEEZZNS1_14partition_implILS5_5ELb0ES3_mN6hipcub16HIPCUB_304000_NS21CountingInputIteratorIllEEPS6_NSA_22TransformInputIteratorIbN2at6native12_GLOBAL__N_19NonZeroOpIfEEPKflEENS0_5tupleIJPlS6_EEENSN_IJSD_SD_EEES6_PiJS6_EEE10hipError_tPvRmT3_T4_T5_T6_T7_T9_mT8_P12ihipStream_tbDpT10_ENKUlT_T0_E_clISt17integral_constantIbLb1EES1A_IbLb0EEEEDaS16_S17_EUlS16_E_NS1_11comp_targetILNS1_3genE9ELNS1_11target_archE1100ELNS1_3gpuE3ELNS1_3repE0EEENS1_30default_config_static_selectorELNS0_4arch9wavefront6targetE0EEEvT1_,comdat
	.globl	_ZN7rocprim17ROCPRIM_400000_NS6detail17trampoline_kernelINS0_14default_configENS1_25partition_config_selectorILNS1_17partition_subalgoE5ElNS0_10empty_typeEbEEZZNS1_14partition_implILS5_5ELb0ES3_mN6hipcub16HIPCUB_304000_NS21CountingInputIteratorIllEEPS6_NSA_22TransformInputIteratorIbN2at6native12_GLOBAL__N_19NonZeroOpIfEEPKflEENS0_5tupleIJPlS6_EEENSN_IJSD_SD_EEES6_PiJS6_EEE10hipError_tPvRmT3_T4_T5_T6_T7_T9_mT8_P12ihipStream_tbDpT10_ENKUlT_T0_E_clISt17integral_constantIbLb1EES1A_IbLb0EEEEDaS16_S17_EUlS16_E_NS1_11comp_targetILNS1_3genE9ELNS1_11target_archE1100ELNS1_3gpuE3ELNS1_3repE0EEENS1_30default_config_static_selectorELNS0_4arch9wavefront6targetE0EEEvT1_ ; -- Begin function _ZN7rocprim17ROCPRIM_400000_NS6detail17trampoline_kernelINS0_14default_configENS1_25partition_config_selectorILNS1_17partition_subalgoE5ElNS0_10empty_typeEbEEZZNS1_14partition_implILS5_5ELb0ES3_mN6hipcub16HIPCUB_304000_NS21CountingInputIteratorIllEEPS6_NSA_22TransformInputIteratorIbN2at6native12_GLOBAL__N_19NonZeroOpIfEEPKflEENS0_5tupleIJPlS6_EEENSN_IJSD_SD_EEES6_PiJS6_EEE10hipError_tPvRmT3_T4_T5_T6_T7_T9_mT8_P12ihipStream_tbDpT10_ENKUlT_T0_E_clISt17integral_constantIbLb1EES1A_IbLb0EEEEDaS16_S17_EUlS16_E_NS1_11comp_targetILNS1_3genE9ELNS1_11target_archE1100ELNS1_3gpuE3ELNS1_3repE0EEENS1_30default_config_static_selectorELNS0_4arch9wavefront6targetE0EEEvT1_
	.p2align	8
	.type	_ZN7rocprim17ROCPRIM_400000_NS6detail17trampoline_kernelINS0_14default_configENS1_25partition_config_selectorILNS1_17partition_subalgoE5ElNS0_10empty_typeEbEEZZNS1_14partition_implILS5_5ELb0ES3_mN6hipcub16HIPCUB_304000_NS21CountingInputIteratorIllEEPS6_NSA_22TransformInputIteratorIbN2at6native12_GLOBAL__N_19NonZeroOpIfEEPKflEENS0_5tupleIJPlS6_EEENSN_IJSD_SD_EEES6_PiJS6_EEE10hipError_tPvRmT3_T4_T5_T6_T7_T9_mT8_P12ihipStream_tbDpT10_ENKUlT_T0_E_clISt17integral_constantIbLb1EES1A_IbLb0EEEEDaS16_S17_EUlS16_E_NS1_11comp_targetILNS1_3genE9ELNS1_11target_archE1100ELNS1_3gpuE3ELNS1_3repE0EEENS1_30default_config_static_selectorELNS0_4arch9wavefront6targetE0EEEvT1_,@function
_ZN7rocprim17ROCPRIM_400000_NS6detail17trampoline_kernelINS0_14default_configENS1_25partition_config_selectorILNS1_17partition_subalgoE5ElNS0_10empty_typeEbEEZZNS1_14partition_implILS5_5ELb0ES3_mN6hipcub16HIPCUB_304000_NS21CountingInputIteratorIllEEPS6_NSA_22TransformInputIteratorIbN2at6native12_GLOBAL__N_19NonZeroOpIfEEPKflEENS0_5tupleIJPlS6_EEENSN_IJSD_SD_EEES6_PiJS6_EEE10hipError_tPvRmT3_T4_T5_T6_T7_T9_mT8_P12ihipStream_tbDpT10_ENKUlT_T0_E_clISt17integral_constantIbLb1EES1A_IbLb0EEEEDaS16_S17_EUlS16_E_NS1_11comp_targetILNS1_3genE9ELNS1_11target_archE1100ELNS1_3gpuE3ELNS1_3repE0EEENS1_30default_config_static_selectorELNS0_4arch9wavefront6targetE0EEEvT1_: ; @_ZN7rocprim17ROCPRIM_400000_NS6detail17trampoline_kernelINS0_14default_configENS1_25partition_config_selectorILNS1_17partition_subalgoE5ElNS0_10empty_typeEbEEZZNS1_14partition_implILS5_5ELb0ES3_mN6hipcub16HIPCUB_304000_NS21CountingInputIteratorIllEEPS6_NSA_22TransformInputIteratorIbN2at6native12_GLOBAL__N_19NonZeroOpIfEEPKflEENS0_5tupleIJPlS6_EEENSN_IJSD_SD_EEES6_PiJS6_EEE10hipError_tPvRmT3_T4_T5_T6_T7_T9_mT8_P12ihipStream_tbDpT10_ENKUlT_T0_E_clISt17integral_constantIbLb1EES1A_IbLb0EEEEDaS16_S17_EUlS16_E_NS1_11comp_targetILNS1_3genE9ELNS1_11target_archE1100ELNS1_3gpuE3ELNS1_3repE0EEENS1_30default_config_static_selectorELNS0_4arch9wavefront6targetE0EEEvT1_
; %bb.0:
	.section	.rodata,"a",@progbits
	.p2align	6, 0x0
	.amdhsa_kernel _ZN7rocprim17ROCPRIM_400000_NS6detail17trampoline_kernelINS0_14default_configENS1_25partition_config_selectorILNS1_17partition_subalgoE5ElNS0_10empty_typeEbEEZZNS1_14partition_implILS5_5ELb0ES3_mN6hipcub16HIPCUB_304000_NS21CountingInputIteratorIllEEPS6_NSA_22TransformInputIteratorIbN2at6native12_GLOBAL__N_19NonZeroOpIfEEPKflEENS0_5tupleIJPlS6_EEENSN_IJSD_SD_EEES6_PiJS6_EEE10hipError_tPvRmT3_T4_T5_T6_T7_T9_mT8_P12ihipStream_tbDpT10_ENKUlT_T0_E_clISt17integral_constantIbLb1EES1A_IbLb0EEEEDaS16_S17_EUlS16_E_NS1_11comp_targetILNS1_3genE9ELNS1_11target_archE1100ELNS1_3gpuE3ELNS1_3repE0EEENS1_30default_config_static_selectorELNS0_4arch9wavefront6targetE0EEEvT1_
		.amdhsa_group_segment_fixed_size 0
		.amdhsa_private_segment_fixed_size 0
		.amdhsa_kernarg_size 120
		.amdhsa_user_sgpr_count 2
		.amdhsa_user_sgpr_dispatch_ptr 0
		.amdhsa_user_sgpr_queue_ptr 0
		.amdhsa_user_sgpr_kernarg_segment_ptr 1
		.amdhsa_user_sgpr_dispatch_id 0
		.amdhsa_user_sgpr_private_segment_size 0
		.amdhsa_wavefront_size32 1
		.amdhsa_uses_dynamic_stack 0
		.amdhsa_enable_private_segment 0
		.amdhsa_system_sgpr_workgroup_id_x 1
		.amdhsa_system_sgpr_workgroup_id_y 0
		.amdhsa_system_sgpr_workgroup_id_z 0
		.amdhsa_system_sgpr_workgroup_info 0
		.amdhsa_system_vgpr_workitem_id 0
		.amdhsa_next_free_vgpr 1
		.amdhsa_next_free_sgpr 1
		.amdhsa_reserve_vcc 0
		.amdhsa_float_round_mode_32 0
		.amdhsa_float_round_mode_16_64 0
		.amdhsa_float_denorm_mode_32 3
		.amdhsa_float_denorm_mode_16_64 3
		.amdhsa_fp16_overflow 0
		.amdhsa_workgroup_processor_mode 1
		.amdhsa_memory_ordered 1
		.amdhsa_forward_progress 1
		.amdhsa_inst_pref_size 0
		.amdhsa_round_robin_scheduling 0
		.amdhsa_exception_fp_ieee_invalid_op 0
		.amdhsa_exception_fp_denorm_src 0
		.amdhsa_exception_fp_ieee_div_zero 0
		.amdhsa_exception_fp_ieee_overflow 0
		.amdhsa_exception_fp_ieee_underflow 0
		.amdhsa_exception_fp_ieee_inexact 0
		.amdhsa_exception_int_div_zero 0
	.end_amdhsa_kernel
	.section	.text._ZN7rocprim17ROCPRIM_400000_NS6detail17trampoline_kernelINS0_14default_configENS1_25partition_config_selectorILNS1_17partition_subalgoE5ElNS0_10empty_typeEbEEZZNS1_14partition_implILS5_5ELb0ES3_mN6hipcub16HIPCUB_304000_NS21CountingInputIteratorIllEEPS6_NSA_22TransformInputIteratorIbN2at6native12_GLOBAL__N_19NonZeroOpIfEEPKflEENS0_5tupleIJPlS6_EEENSN_IJSD_SD_EEES6_PiJS6_EEE10hipError_tPvRmT3_T4_T5_T6_T7_T9_mT8_P12ihipStream_tbDpT10_ENKUlT_T0_E_clISt17integral_constantIbLb1EES1A_IbLb0EEEEDaS16_S17_EUlS16_E_NS1_11comp_targetILNS1_3genE9ELNS1_11target_archE1100ELNS1_3gpuE3ELNS1_3repE0EEENS1_30default_config_static_selectorELNS0_4arch9wavefront6targetE0EEEvT1_,"axG",@progbits,_ZN7rocprim17ROCPRIM_400000_NS6detail17trampoline_kernelINS0_14default_configENS1_25partition_config_selectorILNS1_17partition_subalgoE5ElNS0_10empty_typeEbEEZZNS1_14partition_implILS5_5ELb0ES3_mN6hipcub16HIPCUB_304000_NS21CountingInputIteratorIllEEPS6_NSA_22TransformInputIteratorIbN2at6native12_GLOBAL__N_19NonZeroOpIfEEPKflEENS0_5tupleIJPlS6_EEENSN_IJSD_SD_EEES6_PiJS6_EEE10hipError_tPvRmT3_T4_T5_T6_T7_T9_mT8_P12ihipStream_tbDpT10_ENKUlT_T0_E_clISt17integral_constantIbLb1EES1A_IbLb0EEEEDaS16_S17_EUlS16_E_NS1_11comp_targetILNS1_3genE9ELNS1_11target_archE1100ELNS1_3gpuE3ELNS1_3repE0EEENS1_30default_config_static_selectorELNS0_4arch9wavefront6targetE0EEEvT1_,comdat
.Lfunc_end480:
	.size	_ZN7rocprim17ROCPRIM_400000_NS6detail17trampoline_kernelINS0_14default_configENS1_25partition_config_selectorILNS1_17partition_subalgoE5ElNS0_10empty_typeEbEEZZNS1_14partition_implILS5_5ELb0ES3_mN6hipcub16HIPCUB_304000_NS21CountingInputIteratorIllEEPS6_NSA_22TransformInputIteratorIbN2at6native12_GLOBAL__N_19NonZeroOpIfEEPKflEENS0_5tupleIJPlS6_EEENSN_IJSD_SD_EEES6_PiJS6_EEE10hipError_tPvRmT3_T4_T5_T6_T7_T9_mT8_P12ihipStream_tbDpT10_ENKUlT_T0_E_clISt17integral_constantIbLb1EES1A_IbLb0EEEEDaS16_S17_EUlS16_E_NS1_11comp_targetILNS1_3genE9ELNS1_11target_archE1100ELNS1_3gpuE3ELNS1_3repE0EEENS1_30default_config_static_selectorELNS0_4arch9wavefront6targetE0EEEvT1_, .Lfunc_end480-_ZN7rocprim17ROCPRIM_400000_NS6detail17trampoline_kernelINS0_14default_configENS1_25partition_config_selectorILNS1_17partition_subalgoE5ElNS0_10empty_typeEbEEZZNS1_14partition_implILS5_5ELb0ES3_mN6hipcub16HIPCUB_304000_NS21CountingInputIteratorIllEEPS6_NSA_22TransformInputIteratorIbN2at6native12_GLOBAL__N_19NonZeroOpIfEEPKflEENS0_5tupleIJPlS6_EEENSN_IJSD_SD_EEES6_PiJS6_EEE10hipError_tPvRmT3_T4_T5_T6_T7_T9_mT8_P12ihipStream_tbDpT10_ENKUlT_T0_E_clISt17integral_constantIbLb1EES1A_IbLb0EEEEDaS16_S17_EUlS16_E_NS1_11comp_targetILNS1_3genE9ELNS1_11target_archE1100ELNS1_3gpuE3ELNS1_3repE0EEENS1_30default_config_static_selectorELNS0_4arch9wavefront6targetE0EEEvT1_
                                        ; -- End function
	.set _ZN7rocprim17ROCPRIM_400000_NS6detail17trampoline_kernelINS0_14default_configENS1_25partition_config_selectorILNS1_17partition_subalgoE5ElNS0_10empty_typeEbEEZZNS1_14partition_implILS5_5ELb0ES3_mN6hipcub16HIPCUB_304000_NS21CountingInputIteratorIllEEPS6_NSA_22TransformInputIteratorIbN2at6native12_GLOBAL__N_19NonZeroOpIfEEPKflEENS0_5tupleIJPlS6_EEENSN_IJSD_SD_EEES6_PiJS6_EEE10hipError_tPvRmT3_T4_T5_T6_T7_T9_mT8_P12ihipStream_tbDpT10_ENKUlT_T0_E_clISt17integral_constantIbLb1EES1A_IbLb0EEEEDaS16_S17_EUlS16_E_NS1_11comp_targetILNS1_3genE9ELNS1_11target_archE1100ELNS1_3gpuE3ELNS1_3repE0EEENS1_30default_config_static_selectorELNS0_4arch9wavefront6targetE0EEEvT1_.num_vgpr, 0
	.set _ZN7rocprim17ROCPRIM_400000_NS6detail17trampoline_kernelINS0_14default_configENS1_25partition_config_selectorILNS1_17partition_subalgoE5ElNS0_10empty_typeEbEEZZNS1_14partition_implILS5_5ELb0ES3_mN6hipcub16HIPCUB_304000_NS21CountingInputIteratorIllEEPS6_NSA_22TransformInputIteratorIbN2at6native12_GLOBAL__N_19NonZeroOpIfEEPKflEENS0_5tupleIJPlS6_EEENSN_IJSD_SD_EEES6_PiJS6_EEE10hipError_tPvRmT3_T4_T5_T6_T7_T9_mT8_P12ihipStream_tbDpT10_ENKUlT_T0_E_clISt17integral_constantIbLb1EES1A_IbLb0EEEEDaS16_S17_EUlS16_E_NS1_11comp_targetILNS1_3genE9ELNS1_11target_archE1100ELNS1_3gpuE3ELNS1_3repE0EEENS1_30default_config_static_selectorELNS0_4arch9wavefront6targetE0EEEvT1_.num_agpr, 0
	.set _ZN7rocprim17ROCPRIM_400000_NS6detail17trampoline_kernelINS0_14default_configENS1_25partition_config_selectorILNS1_17partition_subalgoE5ElNS0_10empty_typeEbEEZZNS1_14partition_implILS5_5ELb0ES3_mN6hipcub16HIPCUB_304000_NS21CountingInputIteratorIllEEPS6_NSA_22TransformInputIteratorIbN2at6native12_GLOBAL__N_19NonZeroOpIfEEPKflEENS0_5tupleIJPlS6_EEENSN_IJSD_SD_EEES6_PiJS6_EEE10hipError_tPvRmT3_T4_T5_T6_T7_T9_mT8_P12ihipStream_tbDpT10_ENKUlT_T0_E_clISt17integral_constantIbLb1EES1A_IbLb0EEEEDaS16_S17_EUlS16_E_NS1_11comp_targetILNS1_3genE9ELNS1_11target_archE1100ELNS1_3gpuE3ELNS1_3repE0EEENS1_30default_config_static_selectorELNS0_4arch9wavefront6targetE0EEEvT1_.numbered_sgpr, 0
	.set _ZN7rocprim17ROCPRIM_400000_NS6detail17trampoline_kernelINS0_14default_configENS1_25partition_config_selectorILNS1_17partition_subalgoE5ElNS0_10empty_typeEbEEZZNS1_14partition_implILS5_5ELb0ES3_mN6hipcub16HIPCUB_304000_NS21CountingInputIteratorIllEEPS6_NSA_22TransformInputIteratorIbN2at6native12_GLOBAL__N_19NonZeroOpIfEEPKflEENS0_5tupleIJPlS6_EEENSN_IJSD_SD_EEES6_PiJS6_EEE10hipError_tPvRmT3_T4_T5_T6_T7_T9_mT8_P12ihipStream_tbDpT10_ENKUlT_T0_E_clISt17integral_constantIbLb1EES1A_IbLb0EEEEDaS16_S17_EUlS16_E_NS1_11comp_targetILNS1_3genE9ELNS1_11target_archE1100ELNS1_3gpuE3ELNS1_3repE0EEENS1_30default_config_static_selectorELNS0_4arch9wavefront6targetE0EEEvT1_.num_named_barrier, 0
	.set _ZN7rocprim17ROCPRIM_400000_NS6detail17trampoline_kernelINS0_14default_configENS1_25partition_config_selectorILNS1_17partition_subalgoE5ElNS0_10empty_typeEbEEZZNS1_14partition_implILS5_5ELb0ES3_mN6hipcub16HIPCUB_304000_NS21CountingInputIteratorIllEEPS6_NSA_22TransformInputIteratorIbN2at6native12_GLOBAL__N_19NonZeroOpIfEEPKflEENS0_5tupleIJPlS6_EEENSN_IJSD_SD_EEES6_PiJS6_EEE10hipError_tPvRmT3_T4_T5_T6_T7_T9_mT8_P12ihipStream_tbDpT10_ENKUlT_T0_E_clISt17integral_constantIbLb1EES1A_IbLb0EEEEDaS16_S17_EUlS16_E_NS1_11comp_targetILNS1_3genE9ELNS1_11target_archE1100ELNS1_3gpuE3ELNS1_3repE0EEENS1_30default_config_static_selectorELNS0_4arch9wavefront6targetE0EEEvT1_.private_seg_size, 0
	.set _ZN7rocprim17ROCPRIM_400000_NS6detail17trampoline_kernelINS0_14default_configENS1_25partition_config_selectorILNS1_17partition_subalgoE5ElNS0_10empty_typeEbEEZZNS1_14partition_implILS5_5ELb0ES3_mN6hipcub16HIPCUB_304000_NS21CountingInputIteratorIllEEPS6_NSA_22TransformInputIteratorIbN2at6native12_GLOBAL__N_19NonZeroOpIfEEPKflEENS0_5tupleIJPlS6_EEENSN_IJSD_SD_EEES6_PiJS6_EEE10hipError_tPvRmT3_T4_T5_T6_T7_T9_mT8_P12ihipStream_tbDpT10_ENKUlT_T0_E_clISt17integral_constantIbLb1EES1A_IbLb0EEEEDaS16_S17_EUlS16_E_NS1_11comp_targetILNS1_3genE9ELNS1_11target_archE1100ELNS1_3gpuE3ELNS1_3repE0EEENS1_30default_config_static_selectorELNS0_4arch9wavefront6targetE0EEEvT1_.uses_vcc, 0
	.set _ZN7rocprim17ROCPRIM_400000_NS6detail17trampoline_kernelINS0_14default_configENS1_25partition_config_selectorILNS1_17partition_subalgoE5ElNS0_10empty_typeEbEEZZNS1_14partition_implILS5_5ELb0ES3_mN6hipcub16HIPCUB_304000_NS21CountingInputIteratorIllEEPS6_NSA_22TransformInputIteratorIbN2at6native12_GLOBAL__N_19NonZeroOpIfEEPKflEENS0_5tupleIJPlS6_EEENSN_IJSD_SD_EEES6_PiJS6_EEE10hipError_tPvRmT3_T4_T5_T6_T7_T9_mT8_P12ihipStream_tbDpT10_ENKUlT_T0_E_clISt17integral_constantIbLb1EES1A_IbLb0EEEEDaS16_S17_EUlS16_E_NS1_11comp_targetILNS1_3genE9ELNS1_11target_archE1100ELNS1_3gpuE3ELNS1_3repE0EEENS1_30default_config_static_selectorELNS0_4arch9wavefront6targetE0EEEvT1_.uses_flat_scratch, 0
	.set _ZN7rocprim17ROCPRIM_400000_NS6detail17trampoline_kernelINS0_14default_configENS1_25partition_config_selectorILNS1_17partition_subalgoE5ElNS0_10empty_typeEbEEZZNS1_14partition_implILS5_5ELb0ES3_mN6hipcub16HIPCUB_304000_NS21CountingInputIteratorIllEEPS6_NSA_22TransformInputIteratorIbN2at6native12_GLOBAL__N_19NonZeroOpIfEEPKflEENS0_5tupleIJPlS6_EEENSN_IJSD_SD_EEES6_PiJS6_EEE10hipError_tPvRmT3_T4_T5_T6_T7_T9_mT8_P12ihipStream_tbDpT10_ENKUlT_T0_E_clISt17integral_constantIbLb1EES1A_IbLb0EEEEDaS16_S17_EUlS16_E_NS1_11comp_targetILNS1_3genE9ELNS1_11target_archE1100ELNS1_3gpuE3ELNS1_3repE0EEENS1_30default_config_static_selectorELNS0_4arch9wavefront6targetE0EEEvT1_.has_dyn_sized_stack, 0
	.set _ZN7rocprim17ROCPRIM_400000_NS6detail17trampoline_kernelINS0_14default_configENS1_25partition_config_selectorILNS1_17partition_subalgoE5ElNS0_10empty_typeEbEEZZNS1_14partition_implILS5_5ELb0ES3_mN6hipcub16HIPCUB_304000_NS21CountingInputIteratorIllEEPS6_NSA_22TransformInputIteratorIbN2at6native12_GLOBAL__N_19NonZeroOpIfEEPKflEENS0_5tupleIJPlS6_EEENSN_IJSD_SD_EEES6_PiJS6_EEE10hipError_tPvRmT3_T4_T5_T6_T7_T9_mT8_P12ihipStream_tbDpT10_ENKUlT_T0_E_clISt17integral_constantIbLb1EES1A_IbLb0EEEEDaS16_S17_EUlS16_E_NS1_11comp_targetILNS1_3genE9ELNS1_11target_archE1100ELNS1_3gpuE3ELNS1_3repE0EEENS1_30default_config_static_selectorELNS0_4arch9wavefront6targetE0EEEvT1_.has_recursion, 0
	.set _ZN7rocprim17ROCPRIM_400000_NS6detail17trampoline_kernelINS0_14default_configENS1_25partition_config_selectorILNS1_17partition_subalgoE5ElNS0_10empty_typeEbEEZZNS1_14partition_implILS5_5ELb0ES3_mN6hipcub16HIPCUB_304000_NS21CountingInputIteratorIllEEPS6_NSA_22TransformInputIteratorIbN2at6native12_GLOBAL__N_19NonZeroOpIfEEPKflEENS0_5tupleIJPlS6_EEENSN_IJSD_SD_EEES6_PiJS6_EEE10hipError_tPvRmT3_T4_T5_T6_T7_T9_mT8_P12ihipStream_tbDpT10_ENKUlT_T0_E_clISt17integral_constantIbLb1EES1A_IbLb0EEEEDaS16_S17_EUlS16_E_NS1_11comp_targetILNS1_3genE9ELNS1_11target_archE1100ELNS1_3gpuE3ELNS1_3repE0EEENS1_30default_config_static_selectorELNS0_4arch9wavefront6targetE0EEEvT1_.has_indirect_call, 0
	.section	.AMDGPU.csdata,"",@progbits
; Kernel info:
; codeLenInByte = 0
; TotalNumSgprs: 0
; NumVgprs: 0
; ScratchSize: 0
; MemoryBound: 0
; FloatMode: 240
; IeeeMode: 1
; LDSByteSize: 0 bytes/workgroup (compile time only)
; SGPRBlocks: 0
; VGPRBlocks: 0
; NumSGPRsForWavesPerEU: 1
; NumVGPRsForWavesPerEU: 1
; Occupancy: 16
; WaveLimiterHint : 0
; COMPUTE_PGM_RSRC2:SCRATCH_EN: 0
; COMPUTE_PGM_RSRC2:USER_SGPR: 2
; COMPUTE_PGM_RSRC2:TRAP_HANDLER: 0
; COMPUTE_PGM_RSRC2:TGID_X_EN: 1
; COMPUTE_PGM_RSRC2:TGID_Y_EN: 0
; COMPUTE_PGM_RSRC2:TGID_Z_EN: 0
; COMPUTE_PGM_RSRC2:TIDIG_COMP_CNT: 0
	.section	.text._ZN7rocprim17ROCPRIM_400000_NS6detail17trampoline_kernelINS0_14default_configENS1_25partition_config_selectorILNS1_17partition_subalgoE5ElNS0_10empty_typeEbEEZZNS1_14partition_implILS5_5ELb0ES3_mN6hipcub16HIPCUB_304000_NS21CountingInputIteratorIllEEPS6_NSA_22TransformInputIteratorIbN2at6native12_GLOBAL__N_19NonZeroOpIfEEPKflEENS0_5tupleIJPlS6_EEENSN_IJSD_SD_EEES6_PiJS6_EEE10hipError_tPvRmT3_T4_T5_T6_T7_T9_mT8_P12ihipStream_tbDpT10_ENKUlT_T0_E_clISt17integral_constantIbLb1EES1A_IbLb0EEEEDaS16_S17_EUlS16_E_NS1_11comp_targetILNS1_3genE8ELNS1_11target_archE1030ELNS1_3gpuE2ELNS1_3repE0EEENS1_30default_config_static_selectorELNS0_4arch9wavefront6targetE0EEEvT1_,"axG",@progbits,_ZN7rocprim17ROCPRIM_400000_NS6detail17trampoline_kernelINS0_14default_configENS1_25partition_config_selectorILNS1_17partition_subalgoE5ElNS0_10empty_typeEbEEZZNS1_14partition_implILS5_5ELb0ES3_mN6hipcub16HIPCUB_304000_NS21CountingInputIteratorIllEEPS6_NSA_22TransformInputIteratorIbN2at6native12_GLOBAL__N_19NonZeroOpIfEEPKflEENS0_5tupleIJPlS6_EEENSN_IJSD_SD_EEES6_PiJS6_EEE10hipError_tPvRmT3_T4_T5_T6_T7_T9_mT8_P12ihipStream_tbDpT10_ENKUlT_T0_E_clISt17integral_constantIbLb1EES1A_IbLb0EEEEDaS16_S17_EUlS16_E_NS1_11comp_targetILNS1_3genE8ELNS1_11target_archE1030ELNS1_3gpuE2ELNS1_3repE0EEENS1_30default_config_static_selectorELNS0_4arch9wavefront6targetE0EEEvT1_,comdat
	.globl	_ZN7rocprim17ROCPRIM_400000_NS6detail17trampoline_kernelINS0_14default_configENS1_25partition_config_selectorILNS1_17partition_subalgoE5ElNS0_10empty_typeEbEEZZNS1_14partition_implILS5_5ELb0ES3_mN6hipcub16HIPCUB_304000_NS21CountingInputIteratorIllEEPS6_NSA_22TransformInputIteratorIbN2at6native12_GLOBAL__N_19NonZeroOpIfEEPKflEENS0_5tupleIJPlS6_EEENSN_IJSD_SD_EEES6_PiJS6_EEE10hipError_tPvRmT3_T4_T5_T6_T7_T9_mT8_P12ihipStream_tbDpT10_ENKUlT_T0_E_clISt17integral_constantIbLb1EES1A_IbLb0EEEEDaS16_S17_EUlS16_E_NS1_11comp_targetILNS1_3genE8ELNS1_11target_archE1030ELNS1_3gpuE2ELNS1_3repE0EEENS1_30default_config_static_selectorELNS0_4arch9wavefront6targetE0EEEvT1_ ; -- Begin function _ZN7rocprim17ROCPRIM_400000_NS6detail17trampoline_kernelINS0_14default_configENS1_25partition_config_selectorILNS1_17partition_subalgoE5ElNS0_10empty_typeEbEEZZNS1_14partition_implILS5_5ELb0ES3_mN6hipcub16HIPCUB_304000_NS21CountingInputIteratorIllEEPS6_NSA_22TransformInputIteratorIbN2at6native12_GLOBAL__N_19NonZeroOpIfEEPKflEENS0_5tupleIJPlS6_EEENSN_IJSD_SD_EEES6_PiJS6_EEE10hipError_tPvRmT3_T4_T5_T6_T7_T9_mT8_P12ihipStream_tbDpT10_ENKUlT_T0_E_clISt17integral_constantIbLb1EES1A_IbLb0EEEEDaS16_S17_EUlS16_E_NS1_11comp_targetILNS1_3genE8ELNS1_11target_archE1030ELNS1_3gpuE2ELNS1_3repE0EEENS1_30default_config_static_selectorELNS0_4arch9wavefront6targetE0EEEvT1_
	.p2align	8
	.type	_ZN7rocprim17ROCPRIM_400000_NS6detail17trampoline_kernelINS0_14default_configENS1_25partition_config_selectorILNS1_17partition_subalgoE5ElNS0_10empty_typeEbEEZZNS1_14partition_implILS5_5ELb0ES3_mN6hipcub16HIPCUB_304000_NS21CountingInputIteratorIllEEPS6_NSA_22TransformInputIteratorIbN2at6native12_GLOBAL__N_19NonZeroOpIfEEPKflEENS0_5tupleIJPlS6_EEENSN_IJSD_SD_EEES6_PiJS6_EEE10hipError_tPvRmT3_T4_T5_T6_T7_T9_mT8_P12ihipStream_tbDpT10_ENKUlT_T0_E_clISt17integral_constantIbLb1EES1A_IbLb0EEEEDaS16_S17_EUlS16_E_NS1_11comp_targetILNS1_3genE8ELNS1_11target_archE1030ELNS1_3gpuE2ELNS1_3repE0EEENS1_30default_config_static_selectorELNS0_4arch9wavefront6targetE0EEEvT1_,@function
_ZN7rocprim17ROCPRIM_400000_NS6detail17trampoline_kernelINS0_14default_configENS1_25partition_config_selectorILNS1_17partition_subalgoE5ElNS0_10empty_typeEbEEZZNS1_14partition_implILS5_5ELb0ES3_mN6hipcub16HIPCUB_304000_NS21CountingInputIteratorIllEEPS6_NSA_22TransformInputIteratorIbN2at6native12_GLOBAL__N_19NonZeroOpIfEEPKflEENS0_5tupleIJPlS6_EEENSN_IJSD_SD_EEES6_PiJS6_EEE10hipError_tPvRmT3_T4_T5_T6_T7_T9_mT8_P12ihipStream_tbDpT10_ENKUlT_T0_E_clISt17integral_constantIbLb1EES1A_IbLb0EEEEDaS16_S17_EUlS16_E_NS1_11comp_targetILNS1_3genE8ELNS1_11target_archE1030ELNS1_3gpuE2ELNS1_3repE0EEENS1_30default_config_static_selectorELNS0_4arch9wavefront6targetE0EEEvT1_: ; @_ZN7rocprim17ROCPRIM_400000_NS6detail17trampoline_kernelINS0_14default_configENS1_25partition_config_selectorILNS1_17partition_subalgoE5ElNS0_10empty_typeEbEEZZNS1_14partition_implILS5_5ELb0ES3_mN6hipcub16HIPCUB_304000_NS21CountingInputIteratorIllEEPS6_NSA_22TransformInputIteratorIbN2at6native12_GLOBAL__N_19NonZeroOpIfEEPKflEENS0_5tupleIJPlS6_EEENSN_IJSD_SD_EEES6_PiJS6_EEE10hipError_tPvRmT3_T4_T5_T6_T7_T9_mT8_P12ihipStream_tbDpT10_ENKUlT_T0_E_clISt17integral_constantIbLb1EES1A_IbLb0EEEEDaS16_S17_EUlS16_E_NS1_11comp_targetILNS1_3genE8ELNS1_11target_archE1030ELNS1_3gpuE2ELNS1_3repE0EEENS1_30default_config_static_selectorELNS0_4arch9wavefront6targetE0EEEvT1_
; %bb.0:
	.section	.rodata,"a",@progbits
	.p2align	6, 0x0
	.amdhsa_kernel _ZN7rocprim17ROCPRIM_400000_NS6detail17trampoline_kernelINS0_14default_configENS1_25partition_config_selectorILNS1_17partition_subalgoE5ElNS0_10empty_typeEbEEZZNS1_14partition_implILS5_5ELb0ES3_mN6hipcub16HIPCUB_304000_NS21CountingInputIteratorIllEEPS6_NSA_22TransformInputIteratorIbN2at6native12_GLOBAL__N_19NonZeroOpIfEEPKflEENS0_5tupleIJPlS6_EEENSN_IJSD_SD_EEES6_PiJS6_EEE10hipError_tPvRmT3_T4_T5_T6_T7_T9_mT8_P12ihipStream_tbDpT10_ENKUlT_T0_E_clISt17integral_constantIbLb1EES1A_IbLb0EEEEDaS16_S17_EUlS16_E_NS1_11comp_targetILNS1_3genE8ELNS1_11target_archE1030ELNS1_3gpuE2ELNS1_3repE0EEENS1_30default_config_static_selectorELNS0_4arch9wavefront6targetE0EEEvT1_
		.amdhsa_group_segment_fixed_size 0
		.amdhsa_private_segment_fixed_size 0
		.amdhsa_kernarg_size 120
		.amdhsa_user_sgpr_count 2
		.amdhsa_user_sgpr_dispatch_ptr 0
		.amdhsa_user_sgpr_queue_ptr 0
		.amdhsa_user_sgpr_kernarg_segment_ptr 1
		.amdhsa_user_sgpr_dispatch_id 0
		.amdhsa_user_sgpr_private_segment_size 0
		.amdhsa_wavefront_size32 1
		.amdhsa_uses_dynamic_stack 0
		.amdhsa_enable_private_segment 0
		.amdhsa_system_sgpr_workgroup_id_x 1
		.amdhsa_system_sgpr_workgroup_id_y 0
		.amdhsa_system_sgpr_workgroup_id_z 0
		.amdhsa_system_sgpr_workgroup_info 0
		.amdhsa_system_vgpr_workitem_id 0
		.amdhsa_next_free_vgpr 1
		.amdhsa_next_free_sgpr 1
		.amdhsa_reserve_vcc 0
		.amdhsa_float_round_mode_32 0
		.amdhsa_float_round_mode_16_64 0
		.amdhsa_float_denorm_mode_32 3
		.amdhsa_float_denorm_mode_16_64 3
		.amdhsa_fp16_overflow 0
		.amdhsa_workgroup_processor_mode 1
		.amdhsa_memory_ordered 1
		.amdhsa_forward_progress 1
		.amdhsa_inst_pref_size 0
		.amdhsa_round_robin_scheduling 0
		.amdhsa_exception_fp_ieee_invalid_op 0
		.amdhsa_exception_fp_denorm_src 0
		.amdhsa_exception_fp_ieee_div_zero 0
		.amdhsa_exception_fp_ieee_overflow 0
		.amdhsa_exception_fp_ieee_underflow 0
		.amdhsa_exception_fp_ieee_inexact 0
		.amdhsa_exception_int_div_zero 0
	.end_amdhsa_kernel
	.section	.text._ZN7rocprim17ROCPRIM_400000_NS6detail17trampoline_kernelINS0_14default_configENS1_25partition_config_selectorILNS1_17partition_subalgoE5ElNS0_10empty_typeEbEEZZNS1_14partition_implILS5_5ELb0ES3_mN6hipcub16HIPCUB_304000_NS21CountingInputIteratorIllEEPS6_NSA_22TransformInputIteratorIbN2at6native12_GLOBAL__N_19NonZeroOpIfEEPKflEENS0_5tupleIJPlS6_EEENSN_IJSD_SD_EEES6_PiJS6_EEE10hipError_tPvRmT3_T4_T5_T6_T7_T9_mT8_P12ihipStream_tbDpT10_ENKUlT_T0_E_clISt17integral_constantIbLb1EES1A_IbLb0EEEEDaS16_S17_EUlS16_E_NS1_11comp_targetILNS1_3genE8ELNS1_11target_archE1030ELNS1_3gpuE2ELNS1_3repE0EEENS1_30default_config_static_selectorELNS0_4arch9wavefront6targetE0EEEvT1_,"axG",@progbits,_ZN7rocprim17ROCPRIM_400000_NS6detail17trampoline_kernelINS0_14default_configENS1_25partition_config_selectorILNS1_17partition_subalgoE5ElNS0_10empty_typeEbEEZZNS1_14partition_implILS5_5ELb0ES3_mN6hipcub16HIPCUB_304000_NS21CountingInputIteratorIllEEPS6_NSA_22TransformInputIteratorIbN2at6native12_GLOBAL__N_19NonZeroOpIfEEPKflEENS0_5tupleIJPlS6_EEENSN_IJSD_SD_EEES6_PiJS6_EEE10hipError_tPvRmT3_T4_T5_T6_T7_T9_mT8_P12ihipStream_tbDpT10_ENKUlT_T0_E_clISt17integral_constantIbLb1EES1A_IbLb0EEEEDaS16_S17_EUlS16_E_NS1_11comp_targetILNS1_3genE8ELNS1_11target_archE1030ELNS1_3gpuE2ELNS1_3repE0EEENS1_30default_config_static_selectorELNS0_4arch9wavefront6targetE0EEEvT1_,comdat
.Lfunc_end481:
	.size	_ZN7rocprim17ROCPRIM_400000_NS6detail17trampoline_kernelINS0_14default_configENS1_25partition_config_selectorILNS1_17partition_subalgoE5ElNS0_10empty_typeEbEEZZNS1_14partition_implILS5_5ELb0ES3_mN6hipcub16HIPCUB_304000_NS21CountingInputIteratorIllEEPS6_NSA_22TransformInputIteratorIbN2at6native12_GLOBAL__N_19NonZeroOpIfEEPKflEENS0_5tupleIJPlS6_EEENSN_IJSD_SD_EEES6_PiJS6_EEE10hipError_tPvRmT3_T4_T5_T6_T7_T9_mT8_P12ihipStream_tbDpT10_ENKUlT_T0_E_clISt17integral_constantIbLb1EES1A_IbLb0EEEEDaS16_S17_EUlS16_E_NS1_11comp_targetILNS1_3genE8ELNS1_11target_archE1030ELNS1_3gpuE2ELNS1_3repE0EEENS1_30default_config_static_selectorELNS0_4arch9wavefront6targetE0EEEvT1_, .Lfunc_end481-_ZN7rocprim17ROCPRIM_400000_NS6detail17trampoline_kernelINS0_14default_configENS1_25partition_config_selectorILNS1_17partition_subalgoE5ElNS0_10empty_typeEbEEZZNS1_14partition_implILS5_5ELb0ES3_mN6hipcub16HIPCUB_304000_NS21CountingInputIteratorIllEEPS6_NSA_22TransformInputIteratorIbN2at6native12_GLOBAL__N_19NonZeroOpIfEEPKflEENS0_5tupleIJPlS6_EEENSN_IJSD_SD_EEES6_PiJS6_EEE10hipError_tPvRmT3_T4_T5_T6_T7_T9_mT8_P12ihipStream_tbDpT10_ENKUlT_T0_E_clISt17integral_constantIbLb1EES1A_IbLb0EEEEDaS16_S17_EUlS16_E_NS1_11comp_targetILNS1_3genE8ELNS1_11target_archE1030ELNS1_3gpuE2ELNS1_3repE0EEENS1_30default_config_static_selectorELNS0_4arch9wavefront6targetE0EEEvT1_
                                        ; -- End function
	.set _ZN7rocprim17ROCPRIM_400000_NS6detail17trampoline_kernelINS0_14default_configENS1_25partition_config_selectorILNS1_17partition_subalgoE5ElNS0_10empty_typeEbEEZZNS1_14partition_implILS5_5ELb0ES3_mN6hipcub16HIPCUB_304000_NS21CountingInputIteratorIllEEPS6_NSA_22TransformInputIteratorIbN2at6native12_GLOBAL__N_19NonZeroOpIfEEPKflEENS0_5tupleIJPlS6_EEENSN_IJSD_SD_EEES6_PiJS6_EEE10hipError_tPvRmT3_T4_T5_T6_T7_T9_mT8_P12ihipStream_tbDpT10_ENKUlT_T0_E_clISt17integral_constantIbLb1EES1A_IbLb0EEEEDaS16_S17_EUlS16_E_NS1_11comp_targetILNS1_3genE8ELNS1_11target_archE1030ELNS1_3gpuE2ELNS1_3repE0EEENS1_30default_config_static_selectorELNS0_4arch9wavefront6targetE0EEEvT1_.num_vgpr, 0
	.set _ZN7rocprim17ROCPRIM_400000_NS6detail17trampoline_kernelINS0_14default_configENS1_25partition_config_selectorILNS1_17partition_subalgoE5ElNS0_10empty_typeEbEEZZNS1_14partition_implILS5_5ELb0ES3_mN6hipcub16HIPCUB_304000_NS21CountingInputIteratorIllEEPS6_NSA_22TransformInputIteratorIbN2at6native12_GLOBAL__N_19NonZeroOpIfEEPKflEENS0_5tupleIJPlS6_EEENSN_IJSD_SD_EEES6_PiJS6_EEE10hipError_tPvRmT3_T4_T5_T6_T7_T9_mT8_P12ihipStream_tbDpT10_ENKUlT_T0_E_clISt17integral_constantIbLb1EES1A_IbLb0EEEEDaS16_S17_EUlS16_E_NS1_11comp_targetILNS1_3genE8ELNS1_11target_archE1030ELNS1_3gpuE2ELNS1_3repE0EEENS1_30default_config_static_selectorELNS0_4arch9wavefront6targetE0EEEvT1_.num_agpr, 0
	.set _ZN7rocprim17ROCPRIM_400000_NS6detail17trampoline_kernelINS0_14default_configENS1_25partition_config_selectorILNS1_17partition_subalgoE5ElNS0_10empty_typeEbEEZZNS1_14partition_implILS5_5ELb0ES3_mN6hipcub16HIPCUB_304000_NS21CountingInputIteratorIllEEPS6_NSA_22TransformInputIteratorIbN2at6native12_GLOBAL__N_19NonZeroOpIfEEPKflEENS0_5tupleIJPlS6_EEENSN_IJSD_SD_EEES6_PiJS6_EEE10hipError_tPvRmT3_T4_T5_T6_T7_T9_mT8_P12ihipStream_tbDpT10_ENKUlT_T0_E_clISt17integral_constantIbLb1EES1A_IbLb0EEEEDaS16_S17_EUlS16_E_NS1_11comp_targetILNS1_3genE8ELNS1_11target_archE1030ELNS1_3gpuE2ELNS1_3repE0EEENS1_30default_config_static_selectorELNS0_4arch9wavefront6targetE0EEEvT1_.numbered_sgpr, 0
	.set _ZN7rocprim17ROCPRIM_400000_NS6detail17trampoline_kernelINS0_14default_configENS1_25partition_config_selectorILNS1_17partition_subalgoE5ElNS0_10empty_typeEbEEZZNS1_14partition_implILS5_5ELb0ES3_mN6hipcub16HIPCUB_304000_NS21CountingInputIteratorIllEEPS6_NSA_22TransformInputIteratorIbN2at6native12_GLOBAL__N_19NonZeroOpIfEEPKflEENS0_5tupleIJPlS6_EEENSN_IJSD_SD_EEES6_PiJS6_EEE10hipError_tPvRmT3_T4_T5_T6_T7_T9_mT8_P12ihipStream_tbDpT10_ENKUlT_T0_E_clISt17integral_constantIbLb1EES1A_IbLb0EEEEDaS16_S17_EUlS16_E_NS1_11comp_targetILNS1_3genE8ELNS1_11target_archE1030ELNS1_3gpuE2ELNS1_3repE0EEENS1_30default_config_static_selectorELNS0_4arch9wavefront6targetE0EEEvT1_.num_named_barrier, 0
	.set _ZN7rocprim17ROCPRIM_400000_NS6detail17trampoline_kernelINS0_14default_configENS1_25partition_config_selectorILNS1_17partition_subalgoE5ElNS0_10empty_typeEbEEZZNS1_14partition_implILS5_5ELb0ES3_mN6hipcub16HIPCUB_304000_NS21CountingInputIteratorIllEEPS6_NSA_22TransformInputIteratorIbN2at6native12_GLOBAL__N_19NonZeroOpIfEEPKflEENS0_5tupleIJPlS6_EEENSN_IJSD_SD_EEES6_PiJS6_EEE10hipError_tPvRmT3_T4_T5_T6_T7_T9_mT8_P12ihipStream_tbDpT10_ENKUlT_T0_E_clISt17integral_constantIbLb1EES1A_IbLb0EEEEDaS16_S17_EUlS16_E_NS1_11comp_targetILNS1_3genE8ELNS1_11target_archE1030ELNS1_3gpuE2ELNS1_3repE0EEENS1_30default_config_static_selectorELNS0_4arch9wavefront6targetE0EEEvT1_.private_seg_size, 0
	.set _ZN7rocprim17ROCPRIM_400000_NS6detail17trampoline_kernelINS0_14default_configENS1_25partition_config_selectorILNS1_17partition_subalgoE5ElNS0_10empty_typeEbEEZZNS1_14partition_implILS5_5ELb0ES3_mN6hipcub16HIPCUB_304000_NS21CountingInputIteratorIllEEPS6_NSA_22TransformInputIteratorIbN2at6native12_GLOBAL__N_19NonZeroOpIfEEPKflEENS0_5tupleIJPlS6_EEENSN_IJSD_SD_EEES6_PiJS6_EEE10hipError_tPvRmT3_T4_T5_T6_T7_T9_mT8_P12ihipStream_tbDpT10_ENKUlT_T0_E_clISt17integral_constantIbLb1EES1A_IbLb0EEEEDaS16_S17_EUlS16_E_NS1_11comp_targetILNS1_3genE8ELNS1_11target_archE1030ELNS1_3gpuE2ELNS1_3repE0EEENS1_30default_config_static_selectorELNS0_4arch9wavefront6targetE0EEEvT1_.uses_vcc, 0
	.set _ZN7rocprim17ROCPRIM_400000_NS6detail17trampoline_kernelINS0_14default_configENS1_25partition_config_selectorILNS1_17partition_subalgoE5ElNS0_10empty_typeEbEEZZNS1_14partition_implILS5_5ELb0ES3_mN6hipcub16HIPCUB_304000_NS21CountingInputIteratorIllEEPS6_NSA_22TransformInputIteratorIbN2at6native12_GLOBAL__N_19NonZeroOpIfEEPKflEENS0_5tupleIJPlS6_EEENSN_IJSD_SD_EEES6_PiJS6_EEE10hipError_tPvRmT3_T4_T5_T6_T7_T9_mT8_P12ihipStream_tbDpT10_ENKUlT_T0_E_clISt17integral_constantIbLb1EES1A_IbLb0EEEEDaS16_S17_EUlS16_E_NS1_11comp_targetILNS1_3genE8ELNS1_11target_archE1030ELNS1_3gpuE2ELNS1_3repE0EEENS1_30default_config_static_selectorELNS0_4arch9wavefront6targetE0EEEvT1_.uses_flat_scratch, 0
	.set _ZN7rocprim17ROCPRIM_400000_NS6detail17trampoline_kernelINS0_14default_configENS1_25partition_config_selectorILNS1_17partition_subalgoE5ElNS0_10empty_typeEbEEZZNS1_14partition_implILS5_5ELb0ES3_mN6hipcub16HIPCUB_304000_NS21CountingInputIteratorIllEEPS6_NSA_22TransformInputIteratorIbN2at6native12_GLOBAL__N_19NonZeroOpIfEEPKflEENS0_5tupleIJPlS6_EEENSN_IJSD_SD_EEES6_PiJS6_EEE10hipError_tPvRmT3_T4_T5_T6_T7_T9_mT8_P12ihipStream_tbDpT10_ENKUlT_T0_E_clISt17integral_constantIbLb1EES1A_IbLb0EEEEDaS16_S17_EUlS16_E_NS1_11comp_targetILNS1_3genE8ELNS1_11target_archE1030ELNS1_3gpuE2ELNS1_3repE0EEENS1_30default_config_static_selectorELNS0_4arch9wavefront6targetE0EEEvT1_.has_dyn_sized_stack, 0
	.set _ZN7rocprim17ROCPRIM_400000_NS6detail17trampoline_kernelINS0_14default_configENS1_25partition_config_selectorILNS1_17partition_subalgoE5ElNS0_10empty_typeEbEEZZNS1_14partition_implILS5_5ELb0ES3_mN6hipcub16HIPCUB_304000_NS21CountingInputIteratorIllEEPS6_NSA_22TransformInputIteratorIbN2at6native12_GLOBAL__N_19NonZeroOpIfEEPKflEENS0_5tupleIJPlS6_EEENSN_IJSD_SD_EEES6_PiJS6_EEE10hipError_tPvRmT3_T4_T5_T6_T7_T9_mT8_P12ihipStream_tbDpT10_ENKUlT_T0_E_clISt17integral_constantIbLb1EES1A_IbLb0EEEEDaS16_S17_EUlS16_E_NS1_11comp_targetILNS1_3genE8ELNS1_11target_archE1030ELNS1_3gpuE2ELNS1_3repE0EEENS1_30default_config_static_selectorELNS0_4arch9wavefront6targetE0EEEvT1_.has_recursion, 0
	.set _ZN7rocprim17ROCPRIM_400000_NS6detail17trampoline_kernelINS0_14default_configENS1_25partition_config_selectorILNS1_17partition_subalgoE5ElNS0_10empty_typeEbEEZZNS1_14partition_implILS5_5ELb0ES3_mN6hipcub16HIPCUB_304000_NS21CountingInputIteratorIllEEPS6_NSA_22TransformInputIteratorIbN2at6native12_GLOBAL__N_19NonZeroOpIfEEPKflEENS0_5tupleIJPlS6_EEENSN_IJSD_SD_EEES6_PiJS6_EEE10hipError_tPvRmT3_T4_T5_T6_T7_T9_mT8_P12ihipStream_tbDpT10_ENKUlT_T0_E_clISt17integral_constantIbLb1EES1A_IbLb0EEEEDaS16_S17_EUlS16_E_NS1_11comp_targetILNS1_3genE8ELNS1_11target_archE1030ELNS1_3gpuE2ELNS1_3repE0EEENS1_30default_config_static_selectorELNS0_4arch9wavefront6targetE0EEEvT1_.has_indirect_call, 0
	.section	.AMDGPU.csdata,"",@progbits
; Kernel info:
; codeLenInByte = 0
; TotalNumSgprs: 0
; NumVgprs: 0
; ScratchSize: 0
; MemoryBound: 0
; FloatMode: 240
; IeeeMode: 1
; LDSByteSize: 0 bytes/workgroup (compile time only)
; SGPRBlocks: 0
; VGPRBlocks: 0
; NumSGPRsForWavesPerEU: 1
; NumVGPRsForWavesPerEU: 1
; Occupancy: 16
; WaveLimiterHint : 0
; COMPUTE_PGM_RSRC2:SCRATCH_EN: 0
; COMPUTE_PGM_RSRC2:USER_SGPR: 2
; COMPUTE_PGM_RSRC2:TRAP_HANDLER: 0
; COMPUTE_PGM_RSRC2:TGID_X_EN: 1
; COMPUTE_PGM_RSRC2:TGID_Y_EN: 0
; COMPUTE_PGM_RSRC2:TGID_Z_EN: 0
; COMPUTE_PGM_RSRC2:TIDIG_COMP_CNT: 0
	.section	.text._ZN7rocprim17ROCPRIM_400000_NS6detail17trampoline_kernelINS0_14default_configENS1_25partition_config_selectorILNS1_17partition_subalgoE5ElNS0_10empty_typeEbEEZZNS1_14partition_implILS5_5ELb0ES3_mN6hipcub16HIPCUB_304000_NS21CountingInputIteratorIllEEPS6_NSA_22TransformInputIteratorIbN2at6native12_GLOBAL__N_19NonZeroOpIfEEPKflEENS0_5tupleIJPlS6_EEENSN_IJSD_SD_EEES6_PiJS6_EEE10hipError_tPvRmT3_T4_T5_T6_T7_T9_mT8_P12ihipStream_tbDpT10_ENKUlT_T0_E_clISt17integral_constantIbLb0EES1A_IbLb1EEEEDaS16_S17_EUlS16_E_NS1_11comp_targetILNS1_3genE0ELNS1_11target_archE4294967295ELNS1_3gpuE0ELNS1_3repE0EEENS1_30default_config_static_selectorELNS0_4arch9wavefront6targetE0EEEvT1_,"axG",@progbits,_ZN7rocprim17ROCPRIM_400000_NS6detail17trampoline_kernelINS0_14default_configENS1_25partition_config_selectorILNS1_17partition_subalgoE5ElNS0_10empty_typeEbEEZZNS1_14partition_implILS5_5ELb0ES3_mN6hipcub16HIPCUB_304000_NS21CountingInputIteratorIllEEPS6_NSA_22TransformInputIteratorIbN2at6native12_GLOBAL__N_19NonZeroOpIfEEPKflEENS0_5tupleIJPlS6_EEENSN_IJSD_SD_EEES6_PiJS6_EEE10hipError_tPvRmT3_T4_T5_T6_T7_T9_mT8_P12ihipStream_tbDpT10_ENKUlT_T0_E_clISt17integral_constantIbLb0EES1A_IbLb1EEEEDaS16_S17_EUlS16_E_NS1_11comp_targetILNS1_3genE0ELNS1_11target_archE4294967295ELNS1_3gpuE0ELNS1_3repE0EEENS1_30default_config_static_selectorELNS0_4arch9wavefront6targetE0EEEvT1_,comdat
	.globl	_ZN7rocprim17ROCPRIM_400000_NS6detail17trampoline_kernelINS0_14default_configENS1_25partition_config_selectorILNS1_17partition_subalgoE5ElNS0_10empty_typeEbEEZZNS1_14partition_implILS5_5ELb0ES3_mN6hipcub16HIPCUB_304000_NS21CountingInputIteratorIllEEPS6_NSA_22TransformInputIteratorIbN2at6native12_GLOBAL__N_19NonZeroOpIfEEPKflEENS0_5tupleIJPlS6_EEENSN_IJSD_SD_EEES6_PiJS6_EEE10hipError_tPvRmT3_T4_T5_T6_T7_T9_mT8_P12ihipStream_tbDpT10_ENKUlT_T0_E_clISt17integral_constantIbLb0EES1A_IbLb1EEEEDaS16_S17_EUlS16_E_NS1_11comp_targetILNS1_3genE0ELNS1_11target_archE4294967295ELNS1_3gpuE0ELNS1_3repE0EEENS1_30default_config_static_selectorELNS0_4arch9wavefront6targetE0EEEvT1_ ; -- Begin function _ZN7rocprim17ROCPRIM_400000_NS6detail17trampoline_kernelINS0_14default_configENS1_25partition_config_selectorILNS1_17partition_subalgoE5ElNS0_10empty_typeEbEEZZNS1_14partition_implILS5_5ELb0ES3_mN6hipcub16HIPCUB_304000_NS21CountingInputIteratorIllEEPS6_NSA_22TransformInputIteratorIbN2at6native12_GLOBAL__N_19NonZeroOpIfEEPKflEENS0_5tupleIJPlS6_EEENSN_IJSD_SD_EEES6_PiJS6_EEE10hipError_tPvRmT3_T4_T5_T6_T7_T9_mT8_P12ihipStream_tbDpT10_ENKUlT_T0_E_clISt17integral_constantIbLb0EES1A_IbLb1EEEEDaS16_S17_EUlS16_E_NS1_11comp_targetILNS1_3genE0ELNS1_11target_archE4294967295ELNS1_3gpuE0ELNS1_3repE0EEENS1_30default_config_static_selectorELNS0_4arch9wavefront6targetE0EEEvT1_
	.p2align	8
	.type	_ZN7rocprim17ROCPRIM_400000_NS6detail17trampoline_kernelINS0_14default_configENS1_25partition_config_selectorILNS1_17partition_subalgoE5ElNS0_10empty_typeEbEEZZNS1_14partition_implILS5_5ELb0ES3_mN6hipcub16HIPCUB_304000_NS21CountingInputIteratorIllEEPS6_NSA_22TransformInputIteratorIbN2at6native12_GLOBAL__N_19NonZeroOpIfEEPKflEENS0_5tupleIJPlS6_EEENSN_IJSD_SD_EEES6_PiJS6_EEE10hipError_tPvRmT3_T4_T5_T6_T7_T9_mT8_P12ihipStream_tbDpT10_ENKUlT_T0_E_clISt17integral_constantIbLb0EES1A_IbLb1EEEEDaS16_S17_EUlS16_E_NS1_11comp_targetILNS1_3genE0ELNS1_11target_archE4294967295ELNS1_3gpuE0ELNS1_3repE0EEENS1_30default_config_static_selectorELNS0_4arch9wavefront6targetE0EEEvT1_,@function
_ZN7rocprim17ROCPRIM_400000_NS6detail17trampoline_kernelINS0_14default_configENS1_25partition_config_selectorILNS1_17partition_subalgoE5ElNS0_10empty_typeEbEEZZNS1_14partition_implILS5_5ELb0ES3_mN6hipcub16HIPCUB_304000_NS21CountingInputIteratorIllEEPS6_NSA_22TransformInputIteratorIbN2at6native12_GLOBAL__N_19NonZeroOpIfEEPKflEENS0_5tupleIJPlS6_EEENSN_IJSD_SD_EEES6_PiJS6_EEE10hipError_tPvRmT3_T4_T5_T6_T7_T9_mT8_P12ihipStream_tbDpT10_ENKUlT_T0_E_clISt17integral_constantIbLb0EES1A_IbLb1EEEEDaS16_S17_EUlS16_E_NS1_11comp_targetILNS1_3genE0ELNS1_11target_archE4294967295ELNS1_3gpuE0ELNS1_3repE0EEENS1_30default_config_static_selectorELNS0_4arch9wavefront6targetE0EEEvT1_: ; @_ZN7rocprim17ROCPRIM_400000_NS6detail17trampoline_kernelINS0_14default_configENS1_25partition_config_selectorILNS1_17partition_subalgoE5ElNS0_10empty_typeEbEEZZNS1_14partition_implILS5_5ELb0ES3_mN6hipcub16HIPCUB_304000_NS21CountingInputIteratorIllEEPS6_NSA_22TransformInputIteratorIbN2at6native12_GLOBAL__N_19NonZeroOpIfEEPKflEENS0_5tupleIJPlS6_EEENSN_IJSD_SD_EEES6_PiJS6_EEE10hipError_tPvRmT3_T4_T5_T6_T7_T9_mT8_P12ihipStream_tbDpT10_ENKUlT_T0_E_clISt17integral_constantIbLb0EES1A_IbLb1EEEEDaS16_S17_EUlS16_E_NS1_11comp_targetILNS1_3genE0ELNS1_11target_archE4294967295ELNS1_3gpuE0ELNS1_3repE0EEENS1_30default_config_static_selectorELNS0_4arch9wavefront6targetE0EEEvT1_
; %bb.0:
	.section	.rodata,"a",@progbits
	.p2align	6, 0x0
	.amdhsa_kernel _ZN7rocprim17ROCPRIM_400000_NS6detail17trampoline_kernelINS0_14default_configENS1_25partition_config_selectorILNS1_17partition_subalgoE5ElNS0_10empty_typeEbEEZZNS1_14partition_implILS5_5ELb0ES3_mN6hipcub16HIPCUB_304000_NS21CountingInputIteratorIllEEPS6_NSA_22TransformInputIteratorIbN2at6native12_GLOBAL__N_19NonZeroOpIfEEPKflEENS0_5tupleIJPlS6_EEENSN_IJSD_SD_EEES6_PiJS6_EEE10hipError_tPvRmT3_T4_T5_T6_T7_T9_mT8_P12ihipStream_tbDpT10_ENKUlT_T0_E_clISt17integral_constantIbLb0EES1A_IbLb1EEEEDaS16_S17_EUlS16_E_NS1_11comp_targetILNS1_3genE0ELNS1_11target_archE4294967295ELNS1_3gpuE0ELNS1_3repE0EEENS1_30default_config_static_selectorELNS0_4arch9wavefront6targetE0EEEvT1_
		.amdhsa_group_segment_fixed_size 0
		.amdhsa_private_segment_fixed_size 0
		.amdhsa_kernarg_size 136
		.amdhsa_user_sgpr_count 2
		.amdhsa_user_sgpr_dispatch_ptr 0
		.amdhsa_user_sgpr_queue_ptr 0
		.amdhsa_user_sgpr_kernarg_segment_ptr 1
		.amdhsa_user_sgpr_dispatch_id 0
		.amdhsa_user_sgpr_private_segment_size 0
		.amdhsa_wavefront_size32 1
		.amdhsa_uses_dynamic_stack 0
		.amdhsa_enable_private_segment 0
		.amdhsa_system_sgpr_workgroup_id_x 1
		.amdhsa_system_sgpr_workgroup_id_y 0
		.amdhsa_system_sgpr_workgroup_id_z 0
		.amdhsa_system_sgpr_workgroup_info 0
		.amdhsa_system_vgpr_workitem_id 0
		.amdhsa_next_free_vgpr 1
		.amdhsa_next_free_sgpr 1
		.amdhsa_reserve_vcc 0
		.amdhsa_float_round_mode_32 0
		.amdhsa_float_round_mode_16_64 0
		.amdhsa_float_denorm_mode_32 3
		.amdhsa_float_denorm_mode_16_64 3
		.amdhsa_fp16_overflow 0
		.amdhsa_workgroup_processor_mode 1
		.amdhsa_memory_ordered 1
		.amdhsa_forward_progress 1
		.amdhsa_inst_pref_size 0
		.amdhsa_round_robin_scheduling 0
		.amdhsa_exception_fp_ieee_invalid_op 0
		.amdhsa_exception_fp_denorm_src 0
		.amdhsa_exception_fp_ieee_div_zero 0
		.amdhsa_exception_fp_ieee_overflow 0
		.amdhsa_exception_fp_ieee_underflow 0
		.amdhsa_exception_fp_ieee_inexact 0
		.amdhsa_exception_int_div_zero 0
	.end_amdhsa_kernel
	.section	.text._ZN7rocprim17ROCPRIM_400000_NS6detail17trampoline_kernelINS0_14default_configENS1_25partition_config_selectorILNS1_17partition_subalgoE5ElNS0_10empty_typeEbEEZZNS1_14partition_implILS5_5ELb0ES3_mN6hipcub16HIPCUB_304000_NS21CountingInputIteratorIllEEPS6_NSA_22TransformInputIteratorIbN2at6native12_GLOBAL__N_19NonZeroOpIfEEPKflEENS0_5tupleIJPlS6_EEENSN_IJSD_SD_EEES6_PiJS6_EEE10hipError_tPvRmT3_T4_T5_T6_T7_T9_mT8_P12ihipStream_tbDpT10_ENKUlT_T0_E_clISt17integral_constantIbLb0EES1A_IbLb1EEEEDaS16_S17_EUlS16_E_NS1_11comp_targetILNS1_3genE0ELNS1_11target_archE4294967295ELNS1_3gpuE0ELNS1_3repE0EEENS1_30default_config_static_selectorELNS0_4arch9wavefront6targetE0EEEvT1_,"axG",@progbits,_ZN7rocprim17ROCPRIM_400000_NS6detail17trampoline_kernelINS0_14default_configENS1_25partition_config_selectorILNS1_17partition_subalgoE5ElNS0_10empty_typeEbEEZZNS1_14partition_implILS5_5ELb0ES3_mN6hipcub16HIPCUB_304000_NS21CountingInputIteratorIllEEPS6_NSA_22TransformInputIteratorIbN2at6native12_GLOBAL__N_19NonZeroOpIfEEPKflEENS0_5tupleIJPlS6_EEENSN_IJSD_SD_EEES6_PiJS6_EEE10hipError_tPvRmT3_T4_T5_T6_T7_T9_mT8_P12ihipStream_tbDpT10_ENKUlT_T0_E_clISt17integral_constantIbLb0EES1A_IbLb1EEEEDaS16_S17_EUlS16_E_NS1_11comp_targetILNS1_3genE0ELNS1_11target_archE4294967295ELNS1_3gpuE0ELNS1_3repE0EEENS1_30default_config_static_selectorELNS0_4arch9wavefront6targetE0EEEvT1_,comdat
.Lfunc_end482:
	.size	_ZN7rocprim17ROCPRIM_400000_NS6detail17trampoline_kernelINS0_14default_configENS1_25partition_config_selectorILNS1_17partition_subalgoE5ElNS0_10empty_typeEbEEZZNS1_14partition_implILS5_5ELb0ES3_mN6hipcub16HIPCUB_304000_NS21CountingInputIteratorIllEEPS6_NSA_22TransformInputIteratorIbN2at6native12_GLOBAL__N_19NonZeroOpIfEEPKflEENS0_5tupleIJPlS6_EEENSN_IJSD_SD_EEES6_PiJS6_EEE10hipError_tPvRmT3_T4_T5_T6_T7_T9_mT8_P12ihipStream_tbDpT10_ENKUlT_T0_E_clISt17integral_constantIbLb0EES1A_IbLb1EEEEDaS16_S17_EUlS16_E_NS1_11comp_targetILNS1_3genE0ELNS1_11target_archE4294967295ELNS1_3gpuE0ELNS1_3repE0EEENS1_30default_config_static_selectorELNS0_4arch9wavefront6targetE0EEEvT1_, .Lfunc_end482-_ZN7rocprim17ROCPRIM_400000_NS6detail17trampoline_kernelINS0_14default_configENS1_25partition_config_selectorILNS1_17partition_subalgoE5ElNS0_10empty_typeEbEEZZNS1_14partition_implILS5_5ELb0ES3_mN6hipcub16HIPCUB_304000_NS21CountingInputIteratorIllEEPS6_NSA_22TransformInputIteratorIbN2at6native12_GLOBAL__N_19NonZeroOpIfEEPKflEENS0_5tupleIJPlS6_EEENSN_IJSD_SD_EEES6_PiJS6_EEE10hipError_tPvRmT3_T4_T5_T6_T7_T9_mT8_P12ihipStream_tbDpT10_ENKUlT_T0_E_clISt17integral_constantIbLb0EES1A_IbLb1EEEEDaS16_S17_EUlS16_E_NS1_11comp_targetILNS1_3genE0ELNS1_11target_archE4294967295ELNS1_3gpuE0ELNS1_3repE0EEENS1_30default_config_static_selectorELNS0_4arch9wavefront6targetE0EEEvT1_
                                        ; -- End function
	.set _ZN7rocprim17ROCPRIM_400000_NS6detail17trampoline_kernelINS0_14default_configENS1_25partition_config_selectorILNS1_17partition_subalgoE5ElNS0_10empty_typeEbEEZZNS1_14partition_implILS5_5ELb0ES3_mN6hipcub16HIPCUB_304000_NS21CountingInputIteratorIllEEPS6_NSA_22TransformInputIteratorIbN2at6native12_GLOBAL__N_19NonZeroOpIfEEPKflEENS0_5tupleIJPlS6_EEENSN_IJSD_SD_EEES6_PiJS6_EEE10hipError_tPvRmT3_T4_T5_T6_T7_T9_mT8_P12ihipStream_tbDpT10_ENKUlT_T0_E_clISt17integral_constantIbLb0EES1A_IbLb1EEEEDaS16_S17_EUlS16_E_NS1_11comp_targetILNS1_3genE0ELNS1_11target_archE4294967295ELNS1_3gpuE0ELNS1_3repE0EEENS1_30default_config_static_selectorELNS0_4arch9wavefront6targetE0EEEvT1_.num_vgpr, 0
	.set _ZN7rocprim17ROCPRIM_400000_NS6detail17trampoline_kernelINS0_14default_configENS1_25partition_config_selectorILNS1_17partition_subalgoE5ElNS0_10empty_typeEbEEZZNS1_14partition_implILS5_5ELb0ES3_mN6hipcub16HIPCUB_304000_NS21CountingInputIteratorIllEEPS6_NSA_22TransformInputIteratorIbN2at6native12_GLOBAL__N_19NonZeroOpIfEEPKflEENS0_5tupleIJPlS6_EEENSN_IJSD_SD_EEES6_PiJS6_EEE10hipError_tPvRmT3_T4_T5_T6_T7_T9_mT8_P12ihipStream_tbDpT10_ENKUlT_T0_E_clISt17integral_constantIbLb0EES1A_IbLb1EEEEDaS16_S17_EUlS16_E_NS1_11comp_targetILNS1_3genE0ELNS1_11target_archE4294967295ELNS1_3gpuE0ELNS1_3repE0EEENS1_30default_config_static_selectorELNS0_4arch9wavefront6targetE0EEEvT1_.num_agpr, 0
	.set _ZN7rocprim17ROCPRIM_400000_NS6detail17trampoline_kernelINS0_14default_configENS1_25partition_config_selectorILNS1_17partition_subalgoE5ElNS0_10empty_typeEbEEZZNS1_14partition_implILS5_5ELb0ES3_mN6hipcub16HIPCUB_304000_NS21CountingInputIteratorIllEEPS6_NSA_22TransformInputIteratorIbN2at6native12_GLOBAL__N_19NonZeroOpIfEEPKflEENS0_5tupleIJPlS6_EEENSN_IJSD_SD_EEES6_PiJS6_EEE10hipError_tPvRmT3_T4_T5_T6_T7_T9_mT8_P12ihipStream_tbDpT10_ENKUlT_T0_E_clISt17integral_constantIbLb0EES1A_IbLb1EEEEDaS16_S17_EUlS16_E_NS1_11comp_targetILNS1_3genE0ELNS1_11target_archE4294967295ELNS1_3gpuE0ELNS1_3repE0EEENS1_30default_config_static_selectorELNS0_4arch9wavefront6targetE0EEEvT1_.numbered_sgpr, 0
	.set _ZN7rocprim17ROCPRIM_400000_NS6detail17trampoline_kernelINS0_14default_configENS1_25partition_config_selectorILNS1_17partition_subalgoE5ElNS0_10empty_typeEbEEZZNS1_14partition_implILS5_5ELb0ES3_mN6hipcub16HIPCUB_304000_NS21CountingInputIteratorIllEEPS6_NSA_22TransformInputIteratorIbN2at6native12_GLOBAL__N_19NonZeroOpIfEEPKflEENS0_5tupleIJPlS6_EEENSN_IJSD_SD_EEES6_PiJS6_EEE10hipError_tPvRmT3_T4_T5_T6_T7_T9_mT8_P12ihipStream_tbDpT10_ENKUlT_T0_E_clISt17integral_constantIbLb0EES1A_IbLb1EEEEDaS16_S17_EUlS16_E_NS1_11comp_targetILNS1_3genE0ELNS1_11target_archE4294967295ELNS1_3gpuE0ELNS1_3repE0EEENS1_30default_config_static_selectorELNS0_4arch9wavefront6targetE0EEEvT1_.num_named_barrier, 0
	.set _ZN7rocprim17ROCPRIM_400000_NS6detail17trampoline_kernelINS0_14default_configENS1_25partition_config_selectorILNS1_17partition_subalgoE5ElNS0_10empty_typeEbEEZZNS1_14partition_implILS5_5ELb0ES3_mN6hipcub16HIPCUB_304000_NS21CountingInputIteratorIllEEPS6_NSA_22TransformInputIteratorIbN2at6native12_GLOBAL__N_19NonZeroOpIfEEPKflEENS0_5tupleIJPlS6_EEENSN_IJSD_SD_EEES6_PiJS6_EEE10hipError_tPvRmT3_T4_T5_T6_T7_T9_mT8_P12ihipStream_tbDpT10_ENKUlT_T0_E_clISt17integral_constantIbLb0EES1A_IbLb1EEEEDaS16_S17_EUlS16_E_NS1_11comp_targetILNS1_3genE0ELNS1_11target_archE4294967295ELNS1_3gpuE0ELNS1_3repE0EEENS1_30default_config_static_selectorELNS0_4arch9wavefront6targetE0EEEvT1_.private_seg_size, 0
	.set _ZN7rocprim17ROCPRIM_400000_NS6detail17trampoline_kernelINS0_14default_configENS1_25partition_config_selectorILNS1_17partition_subalgoE5ElNS0_10empty_typeEbEEZZNS1_14partition_implILS5_5ELb0ES3_mN6hipcub16HIPCUB_304000_NS21CountingInputIteratorIllEEPS6_NSA_22TransformInputIteratorIbN2at6native12_GLOBAL__N_19NonZeroOpIfEEPKflEENS0_5tupleIJPlS6_EEENSN_IJSD_SD_EEES6_PiJS6_EEE10hipError_tPvRmT3_T4_T5_T6_T7_T9_mT8_P12ihipStream_tbDpT10_ENKUlT_T0_E_clISt17integral_constantIbLb0EES1A_IbLb1EEEEDaS16_S17_EUlS16_E_NS1_11comp_targetILNS1_3genE0ELNS1_11target_archE4294967295ELNS1_3gpuE0ELNS1_3repE0EEENS1_30default_config_static_selectorELNS0_4arch9wavefront6targetE0EEEvT1_.uses_vcc, 0
	.set _ZN7rocprim17ROCPRIM_400000_NS6detail17trampoline_kernelINS0_14default_configENS1_25partition_config_selectorILNS1_17partition_subalgoE5ElNS0_10empty_typeEbEEZZNS1_14partition_implILS5_5ELb0ES3_mN6hipcub16HIPCUB_304000_NS21CountingInputIteratorIllEEPS6_NSA_22TransformInputIteratorIbN2at6native12_GLOBAL__N_19NonZeroOpIfEEPKflEENS0_5tupleIJPlS6_EEENSN_IJSD_SD_EEES6_PiJS6_EEE10hipError_tPvRmT3_T4_T5_T6_T7_T9_mT8_P12ihipStream_tbDpT10_ENKUlT_T0_E_clISt17integral_constantIbLb0EES1A_IbLb1EEEEDaS16_S17_EUlS16_E_NS1_11comp_targetILNS1_3genE0ELNS1_11target_archE4294967295ELNS1_3gpuE0ELNS1_3repE0EEENS1_30default_config_static_selectorELNS0_4arch9wavefront6targetE0EEEvT1_.uses_flat_scratch, 0
	.set _ZN7rocprim17ROCPRIM_400000_NS6detail17trampoline_kernelINS0_14default_configENS1_25partition_config_selectorILNS1_17partition_subalgoE5ElNS0_10empty_typeEbEEZZNS1_14partition_implILS5_5ELb0ES3_mN6hipcub16HIPCUB_304000_NS21CountingInputIteratorIllEEPS6_NSA_22TransformInputIteratorIbN2at6native12_GLOBAL__N_19NonZeroOpIfEEPKflEENS0_5tupleIJPlS6_EEENSN_IJSD_SD_EEES6_PiJS6_EEE10hipError_tPvRmT3_T4_T5_T6_T7_T9_mT8_P12ihipStream_tbDpT10_ENKUlT_T0_E_clISt17integral_constantIbLb0EES1A_IbLb1EEEEDaS16_S17_EUlS16_E_NS1_11comp_targetILNS1_3genE0ELNS1_11target_archE4294967295ELNS1_3gpuE0ELNS1_3repE0EEENS1_30default_config_static_selectorELNS0_4arch9wavefront6targetE0EEEvT1_.has_dyn_sized_stack, 0
	.set _ZN7rocprim17ROCPRIM_400000_NS6detail17trampoline_kernelINS0_14default_configENS1_25partition_config_selectorILNS1_17partition_subalgoE5ElNS0_10empty_typeEbEEZZNS1_14partition_implILS5_5ELb0ES3_mN6hipcub16HIPCUB_304000_NS21CountingInputIteratorIllEEPS6_NSA_22TransformInputIteratorIbN2at6native12_GLOBAL__N_19NonZeroOpIfEEPKflEENS0_5tupleIJPlS6_EEENSN_IJSD_SD_EEES6_PiJS6_EEE10hipError_tPvRmT3_T4_T5_T6_T7_T9_mT8_P12ihipStream_tbDpT10_ENKUlT_T0_E_clISt17integral_constantIbLb0EES1A_IbLb1EEEEDaS16_S17_EUlS16_E_NS1_11comp_targetILNS1_3genE0ELNS1_11target_archE4294967295ELNS1_3gpuE0ELNS1_3repE0EEENS1_30default_config_static_selectorELNS0_4arch9wavefront6targetE0EEEvT1_.has_recursion, 0
	.set _ZN7rocprim17ROCPRIM_400000_NS6detail17trampoline_kernelINS0_14default_configENS1_25partition_config_selectorILNS1_17partition_subalgoE5ElNS0_10empty_typeEbEEZZNS1_14partition_implILS5_5ELb0ES3_mN6hipcub16HIPCUB_304000_NS21CountingInputIteratorIllEEPS6_NSA_22TransformInputIteratorIbN2at6native12_GLOBAL__N_19NonZeroOpIfEEPKflEENS0_5tupleIJPlS6_EEENSN_IJSD_SD_EEES6_PiJS6_EEE10hipError_tPvRmT3_T4_T5_T6_T7_T9_mT8_P12ihipStream_tbDpT10_ENKUlT_T0_E_clISt17integral_constantIbLb0EES1A_IbLb1EEEEDaS16_S17_EUlS16_E_NS1_11comp_targetILNS1_3genE0ELNS1_11target_archE4294967295ELNS1_3gpuE0ELNS1_3repE0EEENS1_30default_config_static_selectorELNS0_4arch9wavefront6targetE0EEEvT1_.has_indirect_call, 0
	.section	.AMDGPU.csdata,"",@progbits
; Kernel info:
; codeLenInByte = 0
; TotalNumSgprs: 0
; NumVgprs: 0
; ScratchSize: 0
; MemoryBound: 0
; FloatMode: 240
; IeeeMode: 1
; LDSByteSize: 0 bytes/workgroup (compile time only)
; SGPRBlocks: 0
; VGPRBlocks: 0
; NumSGPRsForWavesPerEU: 1
; NumVGPRsForWavesPerEU: 1
; Occupancy: 16
; WaveLimiterHint : 0
; COMPUTE_PGM_RSRC2:SCRATCH_EN: 0
; COMPUTE_PGM_RSRC2:USER_SGPR: 2
; COMPUTE_PGM_RSRC2:TRAP_HANDLER: 0
; COMPUTE_PGM_RSRC2:TGID_X_EN: 1
; COMPUTE_PGM_RSRC2:TGID_Y_EN: 0
; COMPUTE_PGM_RSRC2:TGID_Z_EN: 0
; COMPUTE_PGM_RSRC2:TIDIG_COMP_CNT: 0
	.section	.text._ZN7rocprim17ROCPRIM_400000_NS6detail17trampoline_kernelINS0_14default_configENS1_25partition_config_selectorILNS1_17partition_subalgoE5ElNS0_10empty_typeEbEEZZNS1_14partition_implILS5_5ELb0ES3_mN6hipcub16HIPCUB_304000_NS21CountingInputIteratorIllEEPS6_NSA_22TransformInputIteratorIbN2at6native12_GLOBAL__N_19NonZeroOpIfEEPKflEENS0_5tupleIJPlS6_EEENSN_IJSD_SD_EEES6_PiJS6_EEE10hipError_tPvRmT3_T4_T5_T6_T7_T9_mT8_P12ihipStream_tbDpT10_ENKUlT_T0_E_clISt17integral_constantIbLb0EES1A_IbLb1EEEEDaS16_S17_EUlS16_E_NS1_11comp_targetILNS1_3genE5ELNS1_11target_archE942ELNS1_3gpuE9ELNS1_3repE0EEENS1_30default_config_static_selectorELNS0_4arch9wavefront6targetE0EEEvT1_,"axG",@progbits,_ZN7rocprim17ROCPRIM_400000_NS6detail17trampoline_kernelINS0_14default_configENS1_25partition_config_selectorILNS1_17partition_subalgoE5ElNS0_10empty_typeEbEEZZNS1_14partition_implILS5_5ELb0ES3_mN6hipcub16HIPCUB_304000_NS21CountingInputIteratorIllEEPS6_NSA_22TransformInputIteratorIbN2at6native12_GLOBAL__N_19NonZeroOpIfEEPKflEENS0_5tupleIJPlS6_EEENSN_IJSD_SD_EEES6_PiJS6_EEE10hipError_tPvRmT3_T4_T5_T6_T7_T9_mT8_P12ihipStream_tbDpT10_ENKUlT_T0_E_clISt17integral_constantIbLb0EES1A_IbLb1EEEEDaS16_S17_EUlS16_E_NS1_11comp_targetILNS1_3genE5ELNS1_11target_archE942ELNS1_3gpuE9ELNS1_3repE0EEENS1_30default_config_static_selectorELNS0_4arch9wavefront6targetE0EEEvT1_,comdat
	.globl	_ZN7rocprim17ROCPRIM_400000_NS6detail17trampoline_kernelINS0_14default_configENS1_25partition_config_selectorILNS1_17partition_subalgoE5ElNS0_10empty_typeEbEEZZNS1_14partition_implILS5_5ELb0ES3_mN6hipcub16HIPCUB_304000_NS21CountingInputIteratorIllEEPS6_NSA_22TransformInputIteratorIbN2at6native12_GLOBAL__N_19NonZeroOpIfEEPKflEENS0_5tupleIJPlS6_EEENSN_IJSD_SD_EEES6_PiJS6_EEE10hipError_tPvRmT3_T4_T5_T6_T7_T9_mT8_P12ihipStream_tbDpT10_ENKUlT_T0_E_clISt17integral_constantIbLb0EES1A_IbLb1EEEEDaS16_S17_EUlS16_E_NS1_11comp_targetILNS1_3genE5ELNS1_11target_archE942ELNS1_3gpuE9ELNS1_3repE0EEENS1_30default_config_static_selectorELNS0_4arch9wavefront6targetE0EEEvT1_ ; -- Begin function _ZN7rocprim17ROCPRIM_400000_NS6detail17trampoline_kernelINS0_14default_configENS1_25partition_config_selectorILNS1_17partition_subalgoE5ElNS0_10empty_typeEbEEZZNS1_14partition_implILS5_5ELb0ES3_mN6hipcub16HIPCUB_304000_NS21CountingInputIteratorIllEEPS6_NSA_22TransformInputIteratorIbN2at6native12_GLOBAL__N_19NonZeroOpIfEEPKflEENS0_5tupleIJPlS6_EEENSN_IJSD_SD_EEES6_PiJS6_EEE10hipError_tPvRmT3_T4_T5_T6_T7_T9_mT8_P12ihipStream_tbDpT10_ENKUlT_T0_E_clISt17integral_constantIbLb0EES1A_IbLb1EEEEDaS16_S17_EUlS16_E_NS1_11comp_targetILNS1_3genE5ELNS1_11target_archE942ELNS1_3gpuE9ELNS1_3repE0EEENS1_30default_config_static_selectorELNS0_4arch9wavefront6targetE0EEEvT1_
	.p2align	8
	.type	_ZN7rocprim17ROCPRIM_400000_NS6detail17trampoline_kernelINS0_14default_configENS1_25partition_config_selectorILNS1_17partition_subalgoE5ElNS0_10empty_typeEbEEZZNS1_14partition_implILS5_5ELb0ES3_mN6hipcub16HIPCUB_304000_NS21CountingInputIteratorIllEEPS6_NSA_22TransformInputIteratorIbN2at6native12_GLOBAL__N_19NonZeroOpIfEEPKflEENS0_5tupleIJPlS6_EEENSN_IJSD_SD_EEES6_PiJS6_EEE10hipError_tPvRmT3_T4_T5_T6_T7_T9_mT8_P12ihipStream_tbDpT10_ENKUlT_T0_E_clISt17integral_constantIbLb0EES1A_IbLb1EEEEDaS16_S17_EUlS16_E_NS1_11comp_targetILNS1_3genE5ELNS1_11target_archE942ELNS1_3gpuE9ELNS1_3repE0EEENS1_30default_config_static_selectorELNS0_4arch9wavefront6targetE0EEEvT1_,@function
_ZN7rocprim17ROCPRIM_400000_NS6detail17trampoline_kernelINS0_14default_configENS1_25partition_config_selectorILNS1_17partition_subalgoE5ElNS0_10empty_typeEbEEZZNS1_14partition_implILS5_5ELb0ES3_mN6hipcub16HIPCUB_304000_NS21CountingInputIteratorIllEEPS6_NSA_22TransformInputIteratorIbN2at6native12_GLOBAL__N_19NonZeroOpIfEEPKflEENS0_5tupleIJPlS6_EEENSN_IJSD_SD_EEES6_PiJS6_EEE10hipError_tPvRmT3_T4_T5_T6_T7_T9_mT8_P12ihipStream_tbDpT10_ENKUlT_T0_E_clISt17integral_constantIbLb0EES1A_IbLb1EEEEDaS16_S17_EUlS16_E_NS1_11comp_targetILNS1_3genE5ELNS1_11target_archE942ELNS1_3gpuE9ELNS1_3repE0EEENS1_30default_config_static_selectorELNS0_4arch9wavefront6targetE0EEEvT1_: ; @_ZN7rocprim17ROCPRIM_400000_NS6detail17trampoline_kernelINS0_14default_configENS1_25partition_config_selectorILNS1_17partition_subalgoE5ElNS0_10empty_typeEbEEZZNS1_14partition_implILS5_5ELb0ES3_mN6hipcub16HIPCUB_304000_NS21CountingInputIteratorIllEEPS6_NSA_22TransformInputIteratorIbN2at6native12_GLOBAL__N_19NonZeroOpIfEEPKflEENS0_5tupleIJPlS6_EEENSN_IJSD_SD_EEES6_PiJS6_EEE10hipError_tPvRmT3_T4_T5_T6_T7_T9_mT8_P12ihipStream_tbDpT10_ENKUlT_T0_E_clISt17integral_constantIbLb0EES1A_IbLb1EEEEDaS16_S17_EUlS16_E_NS1_11comp_targetILNS1_3genE5ELNS1_11target_archE942ELNS1_3gpuE9ELNS1_3repE0EEENS1_30default_config_static_selectorELNS0_4arch9wavefront6targetE0EEEvT1_
; %bb.0:
	.section	.rodata,"a",@progbits
	.p2align	6, 0x0
	.amdhsa_kernel _ZN7rocprim17ROCPRIM_400000_NS6detail17trampoline_kernelINS0_14default_configENS1_25partition_config_selectorILNS1_17partition_subalgoE5ElNS0_10empty_typeEbEEZZNS1_14partition_implILS5_5ELb0ES3_mN6hipcub16HIPCUB_304000_NS21CountingInputIteratorIllEEPS6_NSA_22TransformInputIteratorIbN2at6native12_GLOBAL__N_19NonZeroOpIfEEPKflEENS0_5tupleIJPlS6_EEENSN_IJSD_SD_EEES6_PiJS6_EEE10hipError_tPvRmT3_T4_T5_T6_T7_T9_mT8_P12ihipStream_tbDpT10_ENKUlT_T0_E_clISt17integral_constantIbLb0EES1A_IbLb1EEEEDaS16_S17_EUlS16_E_NS1_11comp_targetILNS1_3genE5ELNS1_11target_archE942ELNS1_3gpuE9ELNS1_3repE0EEENS1_30default_config_static_selectorELNS0_4arch9wavefront6targetE0EEEvT1_
		.amdhsa_group_segment_fixed_size 0
		.amdhsa_private_segment_fixed_size 0
		.amdhsa_kernarg_size 136
		.amdhsa_user_sgpr_count 2
		.amdhsa_user_sgpr_dispatch_ptr 0
		.amdhsa_user_sgpr_queue_ptr 0
		.amdhsa_user_sgpr_kernarg_segment_ptr 1
		.amdhsa_user_sgpr_dispatch_id 0
		.amdhsa_user_sgpr_private_segment_size 0
		.amdhsa_wavefront_size32 1
		.amdhsa_uses_dynamic_stack 0
		.amdhsa_enable_private_segment 0
		.amdhsa_system_sgpr_workgroup_id_x 1
		.amdhsa_system_sgpr_workgroup_id_y 0
		.amdhsa_system_sgpr_workgroup_id_z 0
		.amdhsa_system_sgpr_workgroup_info 0
		.amdhsa_system_vgpr_workitem_id 0
		.amdhsa_next_free_vgpr 1
		.amdhsa_next_free_sgpr 1
		.amdhsa_reserve_vcc 0
		.amdhsa_float_round_mode_32 0
		.amdhsa_float_round_mode_16_64 0
		.amdhsa_float_denorm_mode_32 3
		.amdhsa_float_denorm_mode_16_64 3
		.amdhsa_fp16_overflow 0
		.amdhsa_workgroup_processor_mode 1
		.amdhsa_memory_ordered 1
		.amdhsa_forward_progress 1
		.amdhsa_inst_pref_size 0
		.amdhsa_round_robin_scheduling 0
		.amdhsa_exception_fp_ieee_invalid_op 0
		.amdhsa_exception_fp_denorm_src 0
		.amdhsa_exception_fp_ieee_div_zero 0
		.amdhsa_exception_fp_ieee_overflow 0
		.amdhsa_exception_fp_ieee_underflow 0
		.amdhsa_exception_fp_ieee_inexact 0
		.amdhsa_exception_int_div_zero 0
	.end_amdhsa_kernel
	.section	.text._ZN7rocprim17ROCPRIM_400000_NS6detail17trampoline_kernelINS0_14default_configENS1_25partition_config_selectorILNS1_17partition_subalgoE5ElNS0_10empty_typeEbEEZZNS1_14partition_implILS5_5ELb0ES3_mN6hipcub16HIPCUB_304000_NS21CountingInputIteratorIllEEPS6_NSA_22TransformInputIteratorIbN2at6native12_GLOBAL__N_19NonZeroOpIfEEPKflEENS0_5tupleIJPlS6_EEENSN_IJSD_SD_EEES6_PiJS6_EEE10hipError_tPvRmT3_T4_T5_T6_T7_T9_mT8_P12ihipStream_tbDpT10_ENKUlT_T0_E_clISt17integral_constantIbLb0EES1A_IbLb1EEEEDaS16_S17_EUlS16_E_NS1_11comp_targetILNS1_3genE5ELNS1_11target_archE942ELNS1_3gpuE9ELNS1_3repE0EEENS1_30default_config_static_selectorELNS0_4arch9wavefront6targetE0EEEvT1_,"axG",@progbits,_ZN7rocprim17ROCPRIM_400000_NS6detail17trampoline_kernelINS0_14default_configENS1_25partition_config_selectorILNS1_17partition_subalgoE5ElNS0_10empty_typeEbEEZZNS1_14partition_implILS5_5ELb0ES3_mN6hipcub16HIPCUB_304000_NS21CountingInputIteratorIllEEPS6_NSA_22TransformInputIteratorIbN2at6native12_GLOBAL__N_19NonZeroOpIfEEPKflEENS0_5tupleIJPlS6_EEENSN_IJSD_SD_EEES6_PiJS6_EEE10hipError_tPvRmT3_T4_T5_T6_T7_T9_mT8_P12ihipStream_tbDpT10_ENKUlT_T0_E_clISt17integral_constantIbLb0EES1A_IbLb1EEEEDaS16_S17_EUlS16_E_NS1_11comp_targetILNS1_3genE5ELNS1_11target_archE942ELNS1_3gpuE9ELNS1_3repE0EEENS1_30default_config_static_selectorELNS0_4arch9wavefront6targetE0EEEvT1_,comdat
.Lfunc_end483:
	.size	_ZN7rocprim17ROCPRIM_400000_NS6detail17trampoline_kernelINS0_14default_configENS1_25partition_config_selectorILNS1_17partition_subalgoE5ElNS0_10empty_typeEbEEZZNS1_14partition_implILS5_5ELb0ES3_mN6hipcub16HIPCUB_304000_NS21CountingInputIteratorIllEEPS6_NSA_22TransformInputIteratorIbN2at6native12_GLOBAL__N_19NonZeroOpIfEEPKflEENS0_5tupleIJPlS6_EEENSN_IJSD_SD_EEES6_PiJS6_EEE10hipError_tPvRmT3_T4_T5_T6_T7_T9_mT8_P12ihipStream_tbDpT10_ENKUlT_T0_E_clISt17integral_constantIbLb0EES1A_IbLb1EEEEDaS16_S17_EUlS16_E_NS1_11comp_targetILNS1_3genE5ELNS1_11target_archE942ELNS1_3gpuE9ELNS1_3repE0EEENS1_30default_config_static_selectorELNS0_4arch9wavefront6targetE0EEEvT1_, .Lfunc_end483-_ZN7rocprim17ROCPRIM_400000_NS6detail17trampoline_kernelINS0_14default_configENS1_25partition_config_selectorILNS1_17partition_subalgoE5ElNS0_10empty_typeEbEEZZNS1_14partition_implILS5_5ELb0ES3_mN6hipcub16HIPCUB_304000_NS21CountingInputIteratorIllEEPS6_NSA_22TransformInputIteratorIbN2at6native12_GLOBAL__N_19NonZeroOpIfEEPKflEENS0_5tupleIJPlS6_EEENSN_IJSD_SD_EEES6_PiJS6_EEE10hipError_tPvRmT3_T4_T5_T6_T7_T9_mT8_P12ihipStream_tbDpT10_ENKUlT_T0_E_clISt17integral_constantIbLb0EES1A_IbLb1EEEEDaS16_S17_EUlS16_E_NS1_11comp_targetILNS1_3genE5ELNS1_11target_archE942ELNS1_3gpuE9ELNS1_3repE0EEENS1_30default_config_static_selectorELNS0_4arch9wavefront6targetE0EEEvT1_
                                        ; -- End function
	.set _ZN7rocprim17ROCPRIM_400000_NS6detail17trampoline_kernelINS0_14default_configENS1_25partition_config_selectorILNS1_17partition_subalgoE5ElNS0_10empty_typeEbEEZZNS1_14partition_implILS5_5ELb0ES3_mN6hipcub16HIPCUB_304000_NS21CountingInputIteratorIllEEPS6_NSA_22TransformInputIteratorIbN2at6native12_GLOBAL__N_19NonZeroOpIfEEPKflEENS0_5tupleIJPlS6_EEENSN_IJSD_SD_EEES6_PiJS6_EEE10hipError_tPvRmT3_T4_T5_T6_T7_T9_mT8_P12ihipStream_tbDpT10_ENKUlT_T0_E_clISt17integral_constantIbLb0EES1A_IbLb1EEEEDaS16_S17_EUlS16_E_NS1_11comp_targetILNS1_3genE5ELNS1_11target_archE942ELNS1_3gpuE9ELNS1_3repE0EEENS1_30default_config_static_selectorELNS0_4arch9wavefront6targetE0EEEvT1_.num_vgpr, 0
	.set _ZN7rocprim17ROCPRIM_400000_NS6detail17trampoline_kernelINS0_14default_configENS1_25partition_config_selectorILNS1_17partition_subalgoE5ElNS0_10empty_typeEbEEZZNS1_14partition_implILS5_5ELb0ES3_mN6hipcub16HIPCUB_304000_NS21CountingInputIteratorIllEEPS6_NSA_22TransformInputIteratorIbN2at6native12_GLOBAL__N_19NonZeroOpIfEEPKflEENS0_5tupleIJPlS6_EEENSN_IJSD_SD_EEES6_PiJS6_EEE10hipError_tPvRmT3_T4_T5_T6_T7_T9_mT8_P12ihipStream_tbDpT10_ENKUlT_T0_E_clISt17integral_constantIbLb0EES1A_IbLb1EEEEDaS16_S17_EUlS16_E_NS1_11comp_targetILNS1_3genE5ELNS1_11target_archE942ELNS1_3gpuE9ELNS1_3repE0EEENS1_30default_config_static_selectorELNS0_4arch9wavefront6targetE0EEEvT1_.num_agpr, 0
	.set _ZN7rocprim17ROCPRIM_400000_NS6detail17trampoline_kernelINS0_14default_configENS1_25partition_config_selectorILNS1_17partition_subalgoE5ElNS0_10empty_typeEbEEZZNS1_14partition_implILS5_5ELb0ES3_mN6hipcub16HIPCUB_304000_NS21CountingInputIteratorIllEEPS6_NSA_22TransformInputIteratorIbN2at6native12_GLOBAL__N_19NonZeroOpIfEEPKflEENS0_5tupleIJPlS6_EEENSN_IJSD_SD_EEES6_PiJS6_EEE10hipError_tPvRmT3_T4_T5_T6_T7_T9_mT8_P12ihipStream_tbDpT10_ENKUlT_T0_E_clISt17integral_constantIbLb0EES1A_IbLb1EEEEDaS16_S17_EUlS16_E_NS1_11comp_targetILNS1_3genE5ELNS1_11target_archE942ELNS1_3gpuE9ELNS1_3repE0EEENS1_30default_config_static_selectorELNS0_4arch9wavefront6targetE0EEEvT1_.numbered_sgpr, 0
	.set _ZN7rocprim17ROCPRIM_400000_NS6detail17trampoline_kernelINS0_14default_configENS1_25partition_config_selectorILNS1_17partition_subalgoE5ElNS0_10empty_typeEbEEZZNS1_14partition_implILS5_5ELb0ES3_mN6hipcub16HIPCUB_304000_NS21CountingInputIteratorIllEEPS6_NSA_22TransformInputIteratorIbN2at6native12_GLOBAL__N_19NonZeroOpIfEEPKflEENS0_5tupleIJPlS6_EEENSN_IJSD_SD_EEES6_PiJS6_EEE10hipError_tPvRmT3_T4_T5_T6_T7_T9_mT8_P12ihipStream_tbDpT10_ENKUlT_T0_E_clISt17integral_constantIbLb0EES1A_IbLb1EEEEDaS16_S17_EUlS16_E_NS1_11comp_targetILNS1_3genE5ELNS1_11target_archE942ELNS1_3gpuE9ELNS1_3repE0EEENS1_30default_config_static_selectorELNS0_4arch9wavefront6targetE0EEEvT1_.num_named_barrier, 0
	.set _ZN7rocprim17ROCPRIM_400000_NS6detail17trampoline_kernelINS0_14default_configENS1_25partition_config_selectorILNS1_17partition_subalgoE5ElNS0_10empty_typeEbEEZZNS1_14partition_implILS5_5ELb0ES3_mN6hipcub16HIPCUB_304000_NS21CountingInputIteratorIllEEPS6_NSA_22TransformInputIteratorIbN2at6native12_GLOBAL__N_19NonZeroOpIfEEPKflEENS0_5tupleIJPlS6_EEENSN_IJSD_SD_EEES6_PiJS6_EEE10hipError_tPvRmT3_T4_T5_T6_T7_T9_mT8_P12ihipStream_tbDpT10_ENKUlT_T0_E_clISt17integral_constantIbLb0EES1A_IbLb1EEEEDaS16_S17_EUlS16_E_NS1_11comp_targetILNS1_3genE5ELNS1_11target_archE942ELNS1_3gpuE9ELNS1_3repE0EEENS1_30default_config_static_selectorELNS0_4arch9wavefront6targetE0EEEvT1_.private_seg_size, 0
	.set _ZN7rocprim17ROCPRIM_400000_NS6detail17trampoline_kernelINS0_14default_configENS1_25partition_config_selectorILNS1_17partition_subalgoE5ElNS0_10empty_typeEbEEZZNS1_14partition_implILS5_5ELb0ES3_mN6hipcub16HIPCUB_304000_NS21CountingInputIteratorIllEEPS6_NSA_22TransformInputIteratorIbN2at6native12_GLOBAL__N_19NonZeroOpIfEEPKflEENS0_5tupleIJPlS6_EEENSN_IJSD_SD_EEES6_PiJS6_EEE10hipError_tPvRmT3_T4_T5_T6_T7_T9_mT8_P12ihipStream_tbDpT10_ENKUlT_T0_E_clISt17integral_constantIbLb0EES1A_IbLb1EEEEDaS16_S17_EUlS16_E_NS1_11comp_targetILNS1_3genE5ELNS1_11target_archE942ELNS1_3gpuE9ELNS1_3repE0EEENS1_30default_config_static_selectorELNS0_4arch9wavefront6targetE0EEEvT1_.uses_vcc, 0
	.set _ZN7rocprim17ROCPRIM_400000_NS6detail17trampoline_kernelINS0_14default_configENS1_25partition_config_selectorILNS1_17partition_subalgoE5ElNS0_10empty_typeEbEEZZNS1_14partition_implILS5_5ELb0ES3_mN6hipcub16HIPCUB_304000_NS21CountingInputIteratorIllEEPS6_NSA_22TransformInputIteratorIbN2at6native12_GLOBAL__N_19NonZeroOpIfEEPKflEENS0_5tupleIJPlS6_EEENSN_IJSD_SD_EEES6_PiJS6_EEE10hipError_tPvRmT3_T4_T5_T6_T7_T9_mT8_P12ihipStream_tbDpT10_ENKUlT_T0_E_clISt17integral_constantIbLb0EES1A_IbLb1EEEEDaS16_S17_EUlS16_E_NS1_11comp_targetILNS1_3genE5ELNS1_11target_archE942ELNS1_3gpuE9ELNS1_3repE0EEENS1_30default_config_static_selectorELNS0_4arch9wavefront6targetE0EEEvT1_.uses_flat_scratch, 0
	.set _ZN7rocprim17ROCPRIM_400000_NS6detail17trampoline_kernelINS0_14default_configENS1_25partition_config_selectorILNS1_17partition_subalgoE5ElNS0_10empty_typeEbEEZZNS1_14partition_implILS5_5ELb0ES3_mN6hipcub16HIPCUB_304000_NS21CountingInputIteratorIllEEPS6_NSA_22TransformInputIteratorIbN2at6native12_GLOBAL__N_19NonZeroOpIfEEPKflEENS0_5tupleIJPlS6_EEENSN_IJSD_SD_EEES6_PiJS6_EEE10hipError_tPvRmT3_T4_T5_T6_T7_T9_mT8_P12ihipStream_tbDpT10_ENKUlT_T0_E_clISt17integral_constantIbLb0EES1A_IbLb1EEEEDaS16_S17_EUlS16_E_NS1_11comp_targetILNS1_3genE5ELNS1_11target_archE942ELNS1_3gpuE9ELNS1_3repE0EEENS1_30default_config_static_selectorELNS0_4arch9wavefront6targetE0EEEvT1_.has_dyn_sized_stack, 0
	.set _ZN7rocprim17ROCPRIM_400000_NS6detail17trampoline_kernelINS0_14default_configENS1_25partition_config_selectorILNS1_17partition_subalgoE5ElNS0_10empty_typeEbEEZZNS1_14partition_implILS5_5ELb0ES3_mN6hipcub16HIPCUB_304000_NS21CountingInputIteratorIllEEPS6_NSA_22TransformInputIteratorIbN2at6native12_GLOBAL__N_19NonZeroOpIfEEPKflEENS0_5tupleIJPlS6_EEENSN_IJSD_SD_EEES6_PiJS6_EEE10hipError_tPvRmT3_T4_T5_T6_T7_T9_mT8_P12ihipStream_tbDpT10_ENKUlT_T0_E_clISt17integral_constantIbLb0EES1A_IbLb1EEEEDaS16_S17_EUlS16_E_NS1_11comp_targetILNS1_3genE5ELNS1_11target_archE942ELNS1_3gpuE9ELNS1_3repE0EEENS1_30default_config_static_selectorELNS0_4arch9wavefront6targetE0EEEvT1_.has_recursion, 0
	.set _ZN7rocprim17ROCPRIM_400000_NS6detail17trampoline_kernelINS0_14default_configENS1_25partition_config_selectorILNS1_17partition_subalgoE5ElNS0_10empty_typeEbEEZZNS1_14partition_implILS5_5ELb0ES3_mN6hipcub16HIPCUB_304000_NS21CountingInputIteratorIllEEPS6_NSA_22TransformInputIteratorIbN2at6native12_GLOBAL__N_19NonZeroOpIfEEPKflEENS0_5tupleIJPlS6_EEENSN_IJSD_SD_EEES6_PiJS6_EEE10hipError_tPvRmT3_T4_T5_T6_T7_T9_mT8_P12ihipStream_tbDpT10_ENKUlT_T0_E_clISt17integral_constantIbLb0EES1A_IbLb1EEEEDaS16_S17_EUlS16_E_NS1_11comp_targetILNS1_3genE5ELNS1_11target_archE942ELNS1_3gpuE9ELNS1_3repE0EEENS1_30default_config_static_selectorELNS0_4arch9wavefront6targetE0EEEvT1_.has_indirect_call, 0
	.section	.AMDGPU.csdata,"",@progbits
; Kernel info:
; codeLenInByte = 0
; TotalNumSgprs: 0
; NumVgprs: 0
; ScratchSize: 0
; MemoryBound: 0
; FloatMode: 240
; IeeeMode: 1
; LDSByteSize: 0 bytes/workgroup (compile time only)
; SGPRBlocks: 0
; VGPRBlocks: 0
; NumSGPRsForWavesPerEU: 1
; NumVGPRsForWavesPerEU: 1
; Occupancy: 16
; WaveLimiterHint : 0
; COMPUTE_PGM_RSRC2:SCRATCH_EN: 0
; COMPUTE_PGM_RSRC2:USER_SGPR: 2
; COMPUTE_PGM_RSRC2:TRAP_HANDLER: 0
; COMPUTE_PGM_RSRC2:TGID_X_EN: 1
; COMPUTE_PGM_RSRC2:TGID_Y_EN: 0
; COMPUTE_PGM_RSRC2:TGID_Z_EN: 0
; COMPUTE_PGM_RSRC2:TIDIG_COMP_CNT: 0
	.section	.text._ZN7rocprim17ROCPRIM_400000_NS6detail17trampoline_kernelINS0_14default_configENS1_25partition_config_selectorILNS1_17partition_subalgoE5ElNS0_10empty_typeEbEEZZNS1_14partition_implILS5_5ELb0ES3_mN6hipcub16HIPCUB_304000_NS21CountingInputIteratorIllEEPS6_NSA_22TransformInputIteratorIbN2at6native12_GLOBAL__N_19NonZeroOpIfEEPKflEENS0_5tupleIJPlS6_EEENSN_IJSD_SD_EEES6_PiJS6_EEE10hipError_tPvRmT3_T4_T5_T6_T7_T9_mT8_P12ihipStream_tbDpT10_ENKUlT_T0_E_clISt17integral_constantIbLb0EES1A_IbLb1EEEEDaS16_S17_EUlS16_E_NS1_11comp_targetILNS1_3genE4ELNS1_11target_archE910ELNS1_3gpuE8ELNS1_3repE0EEENS1_30default_config_static_selectorELNS0_4arch9wavefront6targetE0EEEvT1_,"axG",@progbits,_ZN7rocprim17ROCPRIM_400000_NS6detail17trampoline_kernelINS0_14default_configENS1_25partition_config_selectorILNS1_17partition_subalgoE5ElNS0_10empty_typeEbEEZZNS1_14partition_implILS5_5ELb0ES3_mN6hipcub16HIPCUB_304000_NS21CountingInputIteratorIllEEPS6_NSA_22TransformInputIteratorIbN2at6native12_GLOBAL__N_19NonZeroOpIfEEPKflEENS0_5tupleIJPlS6_EEENSN_IJSD_SD_EEES6_PiJS6_EEE10hipError_tPvRmT3_T4_T5_T6_T7_T9_mT8_P12ihipStream_tbDpT10_ENKUlT_T0_E_clISt17integral_constantIbLb0EES1A_IbLb1EEEEDaS16_S17_EUlS16_E_NS1_11comp_targetILNS1_3genE4ELNS1_11target_archE910ELNS1_3gpuE8ELNS1_3repE0EEENS1_30default_config_static_selectorELNS0_4arch9wavefront6targetE0EEEvT1_,comdat
	.globl	_ZN7rocprim17ROCPRIM_400000_NS6detail17trampoline_kernelINS0_14default_configENS1_25partition_config_selectorILNS1_17partition_subalgoE5ElNS0_10empty_typeEbEEZZNS1_14partition_implILS5_5ELb0ES3_mN6hipcub16HIPCUB_304000_NS21CountingInputIteratorIllEEPS6_NSA_22TransformInputIteratorIbN2at6native12_GLOBAL__N_19NonZeroOpIfEEPKflEENS0_5tupleIJPlS6_EEENSN_IJSD_SD_EEES6_PiJS6_EEE10hipError_tPvRmT3_T4_T5_T6_T7_T9_mT8_P12ihipStream_tbDpT10_ENKUlT_T0_E_clISt17integral_constantIbLb0EES1A_IbLb1EEEEDaS16_S17_EUlS16_E_NS1_11comp_targetILNS1_3genE4ELNS1_11target_archE910ELNS1_3gpuE8ELNS1_3repE0EEENS1_30default_config_static_selectorELNS0_4arch9wavefront6targetE0EEEvT1_ ; -- Begin function _ZN7rocprim17ROCPRIM_400000_NS6detail17trampoline_kernelINS0_14default_configENS1_25partition_config_selectorILNS1_17partition_subalgoE5ElNS0_10empty_typeEbEEZZNS1_14partition_implILS5_5ELb0ES3_mN6hipcub16HIPCUB_304000_NS21CountingInputIteratorIllEEPS6_NSA_22TransformInputIteratorIbN2at6native12_GLOBAL__N_19NonZeroOpIfEEPKflEENS0_5tupleIJPlS6_EEENSN_IJSD_SD_EEES6_PiJS6_EEE10hipError_tPvRmT3_T4_T5_T6_T7_T9_mT8_P12ihipStream_tbDpT10_ENKUlT_T0_E_clISt17integral_constantIbLb0EES1A_IbLb1EEEEDaS16_S17_EUlS16_E_NS1_11comp_targetILNS1_3genE4ELNS1_11target_archE910ELNS1_3gpuE8ELNS1_3repE0EEENS1_30default_config_static_selectorELNS0_4arch9wavefront6targetE0EEEvT1_
	.p2align	8
	.type	_ZN7rocprim17ROCPRIM_400000_NS6detail17trampoline_kernelINS0_14default_configENS1_25partition_config_selectorILNS1_17partition_subalgoE5ElNS0_10empty_typeEbEEZZNS1_14partition_implILS5_5ELb0ES3_mN6hipcub16HIPCUB_304000_NS21CountingInputIteratorIllEEPS6_NSA_22TransformInputIteratorIbN2at6native12_GLOBAL__N_19NonZeroOpIfEEPKflEENS0_5tupleIJPlS6_EEENSN_IJSD_SD_EEES6_PiJS6_EEE10hipError_tPvRmT3_T4_T5_T6_T7_T9_mT8_P12ihipStream_tbDpT10_ENKUlT_T0_E_clISt17integral_constantIbLb0EES1A_IbLb1EEEEDaS16_S17_EUlS16_E_NS1_11comp_targetILNS1_3genE4ELNS1_11target_archE910ELNS1_3gpuE8ELNS1_3repE0EEENS1_30default_config_static_selectorELNS0_4arch9wavefront6targetE0EEEvT1_,@function
_ZN7rocprim17ROCPRIM_400000_NS6detail17trampoline_kernelINS0_14default_configENS1_25partition_config_selectorILNS1_17partition_subalgoE5ElNS0_10empty_typeEbEEZZNS1_14partition_implILS5_5ELb0ES3_mN6hipcub16HIPCUB_304000_NS21CountingInputIteratorIllEEPS6_NSA_22TransformInputIteratorIbN2at6native12_GLOBAL__N_19NonZeroOpIfEEPKflEENS0_5tupleIJPlS6_EEENSN_IJSD_SD_EEES6_PiJS6_EEE10hipError_tPvRmT3_T4_T5_T6_T7_T9_mT8_P12ihipStream_tbDpT10_ENKUlT_T0_E_clISt17integral_constantIbLb0EES1A_IbLb1EEEEDaS16_S17_EUlS16_E_NS1_11comp_targetILNS1_3genE4ELNS1_11target_archE910ELNS1_3gpuE8ELNS1_3repE0EEENS1_30default_config_static_selectorELNS0_4arch9wavefront6targetE0EEEvT1_: ; @_ZN7rocprim17ROCPRIM_400000_NS6detail17trampoline_kernelINS0_14default_configENS1_25partition_config_selectorILNS1_17partition_subalgoE5ElNS0_10empty_typeEbEEZZNS1_14partition_implILS5_5ELb0ES3_mN6hipcub16HIPCUB_304000_NS21CountingInputIteratorIllEEPS6_NSA_22TransformInputIteratorIbN2at6native12_GLOBAL__N_19NonZeroOpIfEEPKflEENS0_5tupleIJPlS6_EEENSN_IJSD_SD_EEES6_PiJS6_EEE10hipError_tPvRmT3_T4_T5_T6_T7_T9_mT8_P12ihipStream_tbDpT10_ENKUlT_T0_E_clISt17integral_constantIbLb0EES1A_IbLb1EEEEDaS16_S17_EUlS16_E_NS1_11comp_targetILNS1_3genE4ELNS1_11target_archE910ELNS1_3gpuE8ELNS1_3repE0EEENS1_30default_config_static_selectorELNS0_4arch9wavefront6targetE0EEEvT1_
; %bb.0:
	.section	.rodata,"a",@progbits
	.p2align	6, 0x0
	.amdhsa_kernel _ZN7rocprim17ROCPRIM_400000_NS6detail17trampoline_kernelINS0_14default_configENS1_25partition_config_selectorILNS1_17partition_subalgoE5ElNS0_10empty_typeEbEEZZNS1_14partition_implILS5_5ELb0ES3_mN6hipcub16HIPCUB_304000_NS21CountingInputIteratorIllEEPS6_NSA_22TransformInputIteratorIbN2at6native12_GLOBAL__N_19NonZeroOpIfEEPKflEENS0_5tupleIJPlS6_EEENSN_IJSD_SD_EEES6_PiJS6_EEE10hipError_tPvRmT3_T4_T5_T6_T7_T9_mT8_P12ihipStream_tbDpT10_ENKUlT_T0_E_clISt17integral_constantIbLb0EES1A_IbLb1EEEEDaS16_S17_EUlS16_E_NS1_11comp_targetILNS1_3genE4ELNS1_11target_archE910ELNS1_3gpuE8ELNS1_3repE0EEENS1_30default_config_static_selectorELNS0_4arch9wavefront6targetE0EEEvT1_
		.amdhsa_group_segment_fixed_size 0
		.amdhsa_private_segment_fixed_size 0
		.amdhsa_kernarg_size 136
		.amdhsa_user_sgpr_count 2
		.amdhsa_user_sgpr_dispatch_ptr 0
		.amdhsa_user_sgpr_queue_ptr 0
		.amdhsa_user_sgpr_kernarg_segment_ptr 1
		.amdhsa_user_sgpr_dispatch_id 0
		.amdhsa_user_sgpr_private_segment_size 0
		.amdhsa_wavefront_size32 1
		.amdhsa_uses_dynamic_stack 0
		.amdhsa_enable_private_segment 0
		.amdhsa_system_sgpr_workgroup_id_x 1
		.amdhsa_system_sgpr_workgroup_id_y 0
		.amdhsa_system_sgpr_workgroup_id_z 0
		.amdhsa_system_sgpr_workgroup_info 0
		.amdhsa_system_vgpr_workitem_id 0
		.amdhsa_next_free_vgpr 1
		.amdhsa_next_free_sgpr 1
		.amdhsa_reserve_vcc 0
		.amdhsa_float_round_mode_32 0
		.amdhsa_float_round_mode_16_64 0
		.amdhsa_float_denorm_mode_32 3
		.amdhsa_float_denorm_mode_16_64 3
		.amdhsa_fp16_overflow 0
		.amdhsa_workgroup_processor_mode 1
		.amdhsa_memory_ordered 1
		.amdhsa_forward_progress 1
		.amdhsa_inst_pref_size 0
		.amdhsa_round_robin_scheduling 0
		.amdhsa_exception_fp_ieee_invalid_op 0
		.amdhsa_exception_fp_denorm_src 0
		.amdhsa_exception_fp_ieee_div_zero 0
		.amdhsa_exception_fp_ieee_overflow 0
		.amdhsa_exception_fp_ieee_underflow 0
		.amdhsa_exception_fp_ieee_inexact 0
		.amdhsa_exception_int_div_zero 0
	.end_amdhsa_kernel
	.section	.text._ZN7rocprim17ROCPRIM_400000_NS6detail17trampoline_kernelINS0_14default_configENS1_25partition_config_selectorILNS1_17partition_subalgoE5ElNS0_10empty_typeEbEEZZNS1_14partition_implILS5_5ELb0ES3_mN6hipcub16HIPCUB_304000_NS21CountingInputIteratorIllEEPS6_NSA_22TransformInputIteratorIbN2at6native12_GLOBAL__N_19NonZeroOpIfEEPKflEENS0_5tupleIJPlS6_EEENSN_IJSD_SD_EEES6_PiJS6_EEE10hipError_tPvRmT3_T4_T5_T6_T7_T9_mT8_P12ihipStream_tbDpT10_ENKUlT_T0_E_clISt17integral_constantIbLb0EES1A_IbLb1EEEEDaS16_S17_EUlS16_E_NS1_11comp_targetILNS1_3genE4ELNS1_11target_archE910ELNS1_3gpuE8ELNS1_3repE0EEENS1_30default_config_static_selectorELNS0_4arch9wavefront6targetE0EEEvT1_,"axG",@progbits,_ZN7rocprim17ROCPRIM_400000_NS6detail17trampoline_kernelINS0_14default_configENS1_25partition_config_selectorILNS1_17partition_subalgoE5ElNS0_10empty_typeEbEEZZNS1_14partition_implILS5_5ELb0ES3_mN6hipcub16HIPCUB_304000_NS21CountingInputIteratorIllEEPS6_NSA_22TransformInputIteratorIbN2at6native12_GLOBAL__N_19NonZeroOpIfEEPKflEENS0_5tupleIJPlS6_EEENSN_IJSD_SD_EEES6_PiJS6_EEE10hipError_tPvRmT3_T4_T5_T6_T7_T9_mT8_P12ihipStream_tbDpT10_ENKUlT_T0_E_clISt17integral_constantIbLb0EES1A_IbLb1EEEEDaS16_S17_EUlS16_E_NS1_11comp_targetILNS1_3genE4ELNS1_11target_archE910ELNS1_3gpuE8ELNS1_3repE0EEENS1_30default_config_static_selectorELNS0_4arch9wavefront6targetE0EEEvT1_,comdat
.Lfunc_end484:
	.size	_ZN7rocprim17ROCPRIM_400000_NS6detail17trampoline_kernelINS0_14default_configENS1_25partition_config_selectorILNS1_17partition_subalgoE5ElNS0_10empty_typeEbEEZZNS1_14partition_implILS5_5ELb0ES3_mN6hipcub16HIPCUB_304000_NS21CountingInputIteratorIllEEPS6_NSA_22TransformInputIteratorIbN2at6native12_GLOBAL__N_19NonZeroOpIfEEPKflEENS0_5tupleIJPlS6_EEENSN_IJSD_SD_EEES6_PiJS6_EEE10hipError_tPvRmT3_T4_T5_T6_T7_T9_mT8_P12ihipStream_tbDpT10_ENKUlT_T0_E_clISt17integral_constantIbLb0EES1A_IbLb1EEEEDaS16_S17_EUlS16_E_NS1_11comp_targetILNS1_3genE4ELNS1_11target_archE910ELNS1_3gpuE8ELNS1_3repE0EEENS1_30default_config_static_selectorELNS0_4arch9wavefront6targetE0EEEvT1_, .Lfunc_end484-_ZN7rocprim17ROCPRIM_400000_NS6detail17trampoline_kernelINS0_14default_configENS1_25partition_config_selectorILNS1_17partition_subalgoE5ElNS0_10empty_typeEbEEZZNS1_14partition_implILS5_5ELb0ES3_mN6hipcub16HIPCUB_304000_NS21CountingInputIteratorIllEEPS6_NSA_22TransformInputIteratorIbN2at6native12_GLOBAL__N_19NonZeroOpIfEEPKflEENS0_5tupleIJPlS6_EEENSN_IJSD_SD_EEES6_PiJS6_EEE10hipError_tPvRmT3_T4_T5_T6_T7_T9_mT8_P12ihipStream_tbDpT10_ENKUlT_T0_E_clISt17integral_constantIbLb0EES1A_IbLb1EEEEDaS16_S17_EUlS16_E_NS1_11comp_targetILNS1_3genE4ELNS1_11target_archE910ELNS1_3gpuE8ELNS1_3repE0EEENS1_30default_config_static_selectorELNS0_4arch9wavefront6targetE0EEEvT1_
                                        ; -- End function
	.set _ZN7rocprim17ROCPRIM_400000_NS6detail17trampoline_kernelINS0_14default_configENS1_25partition_config_selectorILNS1_17partition_subalgoE5ElNS0_10empty_typeEbEEZZNS1_14partition_implILS5_5ELb0ES3_mN6hipcub16HIPCUB_304000_NS21CountingInputIteratorIllEEPS6_NSA_22TransformInputIteratorIbN2at6native12_GLOBAL__N_19NonZeroOpIfEEPKflEENS0_5tupleIJPlS6_EEENSN_IJSD_SD_EEES6_PiJS6_EEE10hipError_tPvRmT3_T4_T5_T6_T7_T9_mT8_P12ihipStream_tbDpT10_ENKUlT_T0_E_clISt17integral_constantIbLb0EES1A_IbLb1EEEEDaS16_S17_EUlS16_E_NS1_11comp_targetILNS1_3genE4ELNS1_11target_archE910ELNS1_3gpuE8ELNS1_3repE0EEENS1_30default_config_static_selectorELNS0_4arch9wavefront6targetE0EEEvT1_.num_vgpr, 0
	.set _ZN7rocprim17ROCPRIM_400000_NS6detail17trampoline_kernelINS0_14default_configENS1_25partition_config_selectorILNS1_17partition_subalgoE5ElNS0_10empty_typeEbEEZZNS1_14partition_implILS5_5ELb0ES3_mN6hipcub16HIPCUB_304000_NS21CountingInputIteratorIllEEPS6_NSA_22TransformInputIteratorIbN2at6native12_GLOBAL__N_19NonZeroOpIfEEPKflEENS0_5tupleIJPlS6_EEENSN_IJSD_SD_EEES6_PiJS6_EEE10hipError_tPvRmT3_T4_T5_T6_T7_T9_mT8_P12ihipStream_tbDpT10_ENKUlT_T0_E_clISt17integral_constantIbLb0EES1A_IbLb1EEEEDaS16_S17_EUlS16_E_NS1_11comp_targetILNS1_3genE4ELNS1_11target_archE910ELNS1_3gpuE8ELNS1_3repE0EEENS1_30default_config_static_selectorELNS0_4arch9wavefront6targetE0EEEvT1_.num_agpr, 0
	.set _ZN7rocprim17ROCPRIM_400000_NS6detail17trampoline_kernelINS0_14default_configENS1_25partition_config_selectorILNS1_17partition_subalgoE5ElNS0_10empty_typeEbEEZZNS1_14partition_implILS5_5ELb0ES3_mN6hipcub16HIPCUB_304000_NS21CountingInputIteratorIllEEPS6_NSA_22TransformInputIteratorIbN2at6native12_GLOBAL__N_19NonZeroOpIfEEPKflEENS0_5tupleIJPlS6_EEENSN_IJSD_SD_EEES6_PiJS6_EEE10hipError_tPvRmT3_T4_T5_T6_T7_T9_mT8_P12ihipStream_tbDpT10_ENKUlT_T0_E_clISt17integral_constantIbLb0EES1A_IbLb1EEEEDaS16_S17_EUlS16_E_NS1_11comp_targetILNS1_3genE4ELNS1_11target_archE910ELNS1_3gpuE8ELNS1_3repE0EEENS1_30default_config_static_selectorELNS0_4arch9wavefront6targetE0EEEvT1_.numbered_sgpr, 0
	.set _ZN7rocprim17ROCPRIM_400000_NS6detail17trampoline_kernelINS0_14default_configENS1_25partition_config_selectorILNS1_17partition_subalgoE5ElNS0_10empty_typeEbEEZZNS1_14partition_implILS5_5ELb0ES3_mN6hipcub16HIPCUB_304000_NS21CountingInputIteratorIllEEPS6_NSA_22TransformInputIteratorIbN2at6native12_GLOBAL__N_19NonZeroOpIfEEPKflEENS0_5tupleIJPlS6_EEENSN_IJSD_SD_EEES6_PiJS6_EEE10hipError_tPvRmT3_T4_T5_T6_T7_T9_mT8_P12ihipStream_tbDpT10_ENKUlT_T0_E_clISt17integral_constantIbLb0EES1A_IbLb1EEEEDaS16_S17_EUlS16_E_NS1_11comp_targetILNS1_3genE4ELNS1_11target_archE910ELNS1_3gpuE8ELNS1_3repE0EEENS1_30default_config_static_selectorELNS0_4arch9wavefront6targetE0EEEvT1_.num_named_barrier, 0
	.set _ZN7rocprim17ROCPRIM_400000_NS6detail17trampoline_kernelINS0_14default_configENS1_25partition_config_selectorILNS1_17partition_subalgoE5ElNS0_10empty_typeEbEEZZNS1_14partition_implILS5_5ELb0ES3_mN6hipcub16HIPCUB_304000_NS21CountingInputIteratorIllEEPS6_NSA_22TransformInputIteratorIbN2at6native12_GLOBAL__N_19NonZeroOpIfEEPKflEENS0_5tupleIJPlS6_EEENSN_IJSD_SD_EEES6_PiJS6_EEE10hipError_tPvRmT3_T4_T5_T6_T7_T9_mT8_P12ihipStream_tbDpT10_ENKUlT_T0_E_clISt17integral_constantIbLb0EES1A_IbLb1EEEEDaS16_S17_EUlS16_E_NS1_11comp_targetILNS1_3genE4ELNS1_11target_archE910ELNS1_3gpuE8ELNS1_3repE0EEENS1_30default_config_static_selectorELNS0_4arch9wavefront6targetE0EEEvT1_.private_seg_size, 0
	.set _ZN7rocprim17ROCPRIM_400000_NS6detail17trampoline_kernelINS0_14default_configENS1_25partition_config_selectorILNS1_17partition_subalgoE5ElNS0_10empty_typeEbEEZZNS1_14partition_implILS5_5ELb0ES3_mN6hipcub16HIPCUB_304000_NS21CountingInputIteratorIllEEPS6_NSA_22TransformInputIteratorIbN2at6native12_GLOBAL__N_19NonZeroOpIfEEPKflEENS0_5tupleIJPlS6_EEENSN_IJSD_SD_EEES6_PiJS6_EEE10hipError_tPvRmT3_T4_T5_T6_T7_T9_mT8_P12ihipStream_tbDpT10_ENKUlT_T0_E_clISt17integral_constantIbLb0EES1A_IbLb1EEEEDaS16_S17_EUlS16_E_NS1_11comp_targetILNS1_3genE4ELNS1_11target_archE910ELNS1_3gpuE8ELNS1_3repE0EEENS1_30default_config_static_selectorELNS0_4arch9wavefront6targetE0EEEvT1_.uses_vcc, 0
	.set _ZN7rocprim17ROCPRIM_400000_NS6detail17trampoline_kernelINS0_14default_configENS1_25partition_config_selectorILNS1_17partition_subalgoE5ElNS0_10empty_typeEbEEZZNS1_14partition_implILS5_5ELb0ES3_mN6hipcub16HIPCUB_304000_NS21CountingInputIteratorIllEEPS6_NSA_22TransformInputIteratorIbN2at6native12_GLOBAL__N_19NonZeroOpIfEEPKflEENS0_5tupleIJPlS6_EEENSN_IJSD_SD_EEES6_PiJS6_EEE10hipError_tPvRmT3_T4_T5_T6_T7_T9_mT8_P12ihipStream_tbDpT10_ENKUlT_T0_E_clISt17integral_constantIbLb0EES1A_IbLb1EEEEDaS16_S17_EUlS16_E_NS1_11comp_targetILNS1_3genE4ELNS1_11target_archE910ELNS1_3gpuE8ELNS1_3repE0EEENS1_30default_config_static_selectorELNS0_4arch9wavefront6targetE0EEEvT1_.uses_flat_scratch, 0
	.set _ZN7rocprim17ROCPRIM_400000_NS6detail17trampoline_kernelINS0_14default_configENS1_25partition_config_selectorILNS1_17partition_subalgoE5ElNS0_10empty_typeEbEEZZNS1_14partition_implILS5_5ELb0ES3_mN6hipcub16HIPCUB_304000_NS21CountingInputIteratorIllEEPS6_NSA_22TransformInputIteratorIbN2at6native12_GLOBAL__N_19NonZeroOpIfEEPKflEENS0_5tupleIJPlS6_EEENSN_IJSD_SD_EEES6_PiJS6_EEE10hipError_tPvRmT3_T4_T5_T6_T7_T9_mT8_P12ihipStream_tbDpT10_ENKUlT_T0_E_clISt17integral_constantIbLb0EES1A_IbLb1EEEEDaS16_S17_EUlS16_E_NS1_11comp_targetILNS1_3genE4ELNS1_11target_archE910ELNS1_3gpuE8ELNS1_3repE0EEENS1_30default_config_static_selectorELNS0_4arch9wavefront6targetE0EEEvT1_.has_dyn_sized_stack, 0
	.set _ZN7rocprim17ROCPRIM_400000_NS6detail17trampoline_kernelINS0_14default_configENS1_25partition_config_selectorILNS1_17partition_subalgoE5ElNS0_10empty_typeEbEEZZNS1_14partition_implILS5_5ELb0ES3_mN6hipcub16HIPCUB_304000_NS21CountingInputIteratorIllEEPS6_NSA_22TransformInputIteratorIbN2at6native12_GLOBAL__N_19NonZeroOpIfEEPKflEENS0_5tupleIJPlS6_EEENSN_IJSD_SD_EEES6_PiJS6_EEE10hipError_tPvRmT3_T4_T5_T6_T7_T9_mT8_P12ihipStream_tbDpT10_ENKUlT_T0_E_clISt17integral_constantIbLb0EES1A_IbLb1EEEEDaS16_S17_EUlS16_E_NS1_11comp_targetILNS1_3genE4ELNS1_11target_archE910ELNS1_3gpuE8ELNS1_3repE0EEENS1_30default_config_static_selectorELNS0_4arch9wavefront6targetE0EEEvT1_.has_recursion, 0
	.set _ZN7rocprim17ROCPRIM_400000_NS6detail17trampoline_kernelINS0_14default_configENS1_25partition_config_selectorILNS1_17partition_subalgoE5ElNS0_10empty_typeEbEEZZNS1_14partition_implILS5_5ELb0ES3_mN6hipcub16HIPCUB_304000_NS21CountingInputIteratorIllEEPS6_NSA_22TransformInputIteratorIbN2at6native12_GLOBAL__N_19NonZeroOpIfEEPKflEENS0_5tupleIJPlS6_EEENSN_IJSD_SD_EEES6_PiJS6_EEE10hipError_tPvRmT3_T4_T5_T6_T7_T9_mT8_P12ihipStream_tbDpT10_ENKUlT_T0_E_clISt17integral_constantIbLb0EES1A_IbLb1EEEEDaS16_S17_EUlS16_E_NS1_11comp_targetILNS1_3genE4ELNS1_11target_archE910ELNS1_3gpuE8ELNS1_3repE0EEENS1_30default_config_static_selectorELNS0_4arch9wavefront6targetE0EEEvT1_.has_indirect_call, 0
	.section	.AMDGPU.csdata,"",@progbits
; Kernel info:
; codeLenInByte = 0
; TotalNumSgprs: 0
; NumVgprs: 0
; ScratchSize: 0
; MemoryBound: 0
; FloatMode: 240
; IeeeMode: 1
; LDSByteSize: 0 bytes/workgroup (compile time only)
; SGPRBlocks: 0
; VGPRBlocks: 0
; NumSGPRsForWavesPerEU: 1
; NumVGPRsForWavesPerEU: 1
; Occupancy: 16
; WaveLimiterHint : 0
; COMPUTE_PGM_RSRC2:SCRATCH_EN: 0
; COMPUTE_PGM_RSRC2:USER_SGPR: 2
; COMPUTE_PGM_RSRC2:TRAP_HANDLER: 0
; COMPUTE_PGM_RSRC2:TGID_X_EN: 1
; COMPUTE_PGM_RSRC2:TGID_Y_EN: 0
; COMPUTE_PGM_RSRC2:TGID_Z_EN: 0
; COMPUTE_PGM_RSRC2:TIDIG_COMP_CNT: 0
	.section	.text._ZN7rocprim17ROCPRIM_400000_NS6detail17trampoline_kernelINS0_14default_configENS1_25partition_config_selectorILNS1_17partition_subalgoE5ElNS0_10empty_typeEbEEZZNS1_14partition_implILS5_5ELb0ES3_mN6hipcub16HIPCUB_304000_NS21CountingInputIteratorIllEEPS6_NSA_22TransformInputIteratorIbN2at6native12_GLOBAL__N_19NonZeroOpIfEEPKflEENS0_5tupleIJPlS6_EEENSN_IJSD_SD_EEES6_PiJS6_EEE10hipError_tPvRmT3_T4_T5_T6_T7_T9_mT8_P12ihipStream_tbDpT10_ENKUlT_T0_E_clISt17integral_constantIbLb0EES1A_IbLb1EEEEDaS16_S17_EUlS16_E_NS1_11comp_targetILNS1_3genE3ELNS1_11target_archE908ELNS1_3gpuE7ELNS1_3repE0EEENS1_30default_config_static_selectorELNS0_4arch9wavefront6targetE0EEEvT1_,"axG",@progbits,_ZN7rocprim17ROCPRIM_400000_NS6detail17trampoline_kernelINS0_14default_configENS1_25partition_config_selectorILNS1_17partition_subalgoE5ElNS0_10empty_typeEbEEZZNS1_14partition_implILS5_5ELb0ES3_mN6hipcub16HIPCUB_304000_NS21CountingInputIteratorIllEEPS6_NSA_22TransformInputIteratorIbN2at6native12_GLOBAL__N_19NonZeroOpIfEEPKflEENS0_5tupleIJPlS6_EEENSN_IJSD_SD_EEES6_PiJS6_EEE10hipError_tPvRmT3_T4_T5_T6_T7_T9_mT8_P12ihipStream_tbDpT10_ENKUlT_T0_E_clISt17integral_constantIbLb0EES1A_IbLb1EEEEDaS16_S17_EUlS16_E_NS1_11comp_targetILNS1_3genE3ELNS1_11target_archE908ELNS1_3gpuE7ELNS1_3repE0EEENS1_30default_config_static_selectorELNS0_4arch9wavefront6targetE0EEEvT1_,comdat
	.globl	_ZN7rocprim17ROCPRIM_400000_NS6detail17trampoline_kernelINS0_14default_configENS1_25partition_config_selectorILNS1_17partition_subalgoE5ElNS0_10empty_typeEbEEZZNS1_14partition_implILS5_5ELb0ES3_mN6hipcub16HIPCUB_304000_NS21CountingInputIteratorIllEEPS6_NSA_22TransformInputIteratorIbN2at6native12_GLOBAL__N_19NonZeroOpIfEEPKflEENS0_5tupleIJPlS6_EEENSN_IJSD_SD_EEES6_PiJS6_EEE10hipError_tPvRmT3_T4_T5_T6_T7_T9_mT8_P12ihipStream_tbDpT10_ENKUlT_T0_E_clISt17integral_constantIbLb0EES1A_IbLb1EEEEDaS16_S17_EUlS16_E_NS1_11comp_targetILNS1_3genE3ELNS1_11target_archE908ELNS1_3gpuE7ELNS1_3repE0EEENS1_30default_config_static_selectorELNS0_4arch9wavefront6targetE0EEEvT1_ ; -- Begin function _ZN7rocprim17ROCPRIM_400000_NS6detail17trampoline_kernelINS0_14default_configENS1_25partition_config_selectorILNS1_17partition_subalgoE5ElNS0_10empty_typeEbEEZZNS1_14partition_implILS5_5ELb0ES3_mN6hipcub16HIPCUB_304000_NS21CountingInputIteratorIllEEPS6_NSA_22TransformInputIteratorIbN2at6native12_GLOBAL__N_19NonZeroOpIfEEPKflEENS0_5tupleIJPlS6_EEENSN_IJSD_SD_EEES6_PiJS6_EEE10hipError_tPvRmT3_T4_T5_T6_T7_T9_mT8_P12ihipStream_tbDpT10_ENKUlT_T0_E_clISt17integral_constantIbLb0EES1A_IbLb1EEEEDaS16_S17_EUlS16_E_NS1_11comp_targetILNS1_3genE3ELNS1_11target_archE908ELNS1_3gpuE7ELNS1_3repE0EEENS1_30default_config_static_selectorELNS0_4arch9wavefront6targetE0EEEvT1_
	.p2align	8
	.type	_ZN7rocprim17ROCPRIM_400000_NS6detail17trampoline_kernelINS0_14default_configENS1_25partition_config_selectorILNS1_17partition_subalgoE5ElNS0_10empty_typeEbEEZZNS1_14partition_implILS5_5ELb0ES3_mN6hipcub16HIPCUB_304000_NS21CountingInputIteratorIllEEPS6_NSA_22TransformInputIteratorIbN2at6native12_GLOBAL__N_19NonZeroOpIfEEPKflEENS0_5tupleIJPlS6_EEENSN_IJSD_SD_EEES6_PiJS6_EEE10hipError_tPvRmT3_T4_T5_T6_T7_T9_mT8_P12ihipStream_tbDpT10_ENKUlT_T0_E_clISt17integral_constantIbLb0EES1A_IbLb1EEEEDaS16_S17_EUlS16_E_NS1_11comp_targetILNS1_3genE3ELNS1_11target_archE908ELNS1_3gpuE7ELNS1_3repE0EEENS1_30default_config_static_selectorELNS0_4arch9wavefront6targetE0EEEvT1_,@function
_ZN7rocprim17ROCPRIM_400000_NS6detail17trampoline_kernelINS0_14default_configENS1_25partition_config_selectorILNS1_17partition_subalgoE5ElNS0_10empty_typeEbEEZZNS1_14partition_implILS5_5ELb0ES3_mN6hipcub16HIPCUB_304000_NS21CountingInputIteratorIllEEPS6_NSA_22TransformInputIteratorIbN2at6native12_GLOBAL__N_19NonZeroOpIfEEPKflEENS0_5tupleIJPlS6_EEENSN_IJSD_SD_EEES6_PiJS6_EEE10hipError_tPvRmT3_T4_T5_T6_T7_T9_mT8_P12ihipStream_tbDpT10_ENKUlT_T0_E_clISt17integral_constantIbLb0EES1A_IbLb1EEEEDaS16_S17_EUlS16_E_NS1_11comp_targetILNS1_3genE3ELNS1_11target_archE908ELNS1_3gpuE7ELNS1_3repE0EEENS1_30default_config_static_selectorELNS0_4arch9wavefront6targetE0EEEvT1_: ; @_ZN7rocprim17ROCPRIM_400000_NS6detail17trampoline_kernelINS0_14default_configENS1_25partition_config_selectorILNS1_17partition_subalgoE5ElNS0_10empty_typeEbEEZZNS1_14partition_implILS5_5ELb0ES3_mN6hipcub16HIPCUB_304000_NS21CountingInputIteratorIllEEPS6_NSA_22TransformInputIteratorIbN2at6native12_GLOBAL__N_19NonZeroOpIfEEPKflEENS0_5tupleIJPlS6_EEENSN_IJSD_SD_EEES6_PiJS6_EEE10hipError_tPvRmT3_T4_T5_T6_T7_T9_mT8_P12ihipStream_tbDpT10_ENKUlT_T0_E_clISt17integral_constantIbLb0EES1A_IbLb1EEEEDaS16_S17_EUlS16_E_NS1_11comp_targetILNS1_3genE3ELNS1_11target_archE908ELNS1_3gpuE7ELNS1_3repE0EEENS1_30default_config_static_selectorELNS0_4arch9wavefront6targetE0EEEvT1_
; %bb.0:
	.section	.rodata,"a",@progbits
	.p2align	6, 0x0
	.amdhsa_kernel _ZN7rocprim17ROCPRIM_400000_NS6detail17trampoline_kernelINS0_14default_configENS1_25partition_config_selectorILNS1_17partition_subalgoE5ElNS0_10empty_typeEbEEZZNS1_14partition_implILS5_5ELb0ES3_mN6hipcub16HIPCUB_304000_NS21CountingInputIteratorIllEEPS6_NSA_22TransformInputIteratorIbN2at6native12_GLOBAL__N_19NonZeroOpIfEEPKflEENS0_5tupleIJPlS6_EEENSN_IJSD_SD_EEES6_PiJS6_EEE10hipError_tPvRmT3_T4_T5_T6_T7_T9_mT8_P12ihipStream_tbDpT10_ENKUlT_T0_E_clISt17integral_constantIbLb0EES1A_IbLb1EEEEDaS16_S17_EUlS16_E_NS1_11comp_targetILNS1_3genE3ELNS1_11target_archE908ELNS1_3gpuE7ELNS1_3repE0EEENS1_30default_config_static_selectorELNS0_4arch9wavefront6targetE0EEEvT1_
		.amdhsa_group_segment_fixed_size 0
		.amdhsa_private_segment_fixed_size 0
		.amdhsa_kernarg_size 136
		.amdhsa_user_sgpr_count 2
		.amdhsa_user_sgpr_dispatch_ptr 0
		.amdhsa_user_sgpr_queue_ptr 0
		.amdhsa_user_sgpr_kernarg_segment_ptr 1
		.amdhsa_user_sgpr_dispatch_id 0
		.amdhsa_user_sgpr_private_segment_size 0
		.amdhsa_wavefront_size32 1
		.amdhsa_uses_dynamic_stack 0
		.amdhsa_enable_private_segment 0
		.amdhsa_system_sgpr_workgroup_id_x 1
		.amdhsa_system_sgpr_workgroup_id_y 0
		.amdhsa_system_sgpr_workgroup_id_z 0
		.amdhsa_system_sgpr_workgroup_info 0
		.amdhsa_system_vgpr_workitem_id 0
		.amdhsa_next_free_vgpr 1
		.amdhsa_next_free_sgpr 1
		.amdhsa_reserve_vcc 0
		.amdhsa_float_round_mode_32 0
		.amdhsa_float_round_mode_16_64 0
		.amdhsa_float_denorm_mode_32 3
		.amdhsa_float_denorm_mode_16_64 3
		.amdhsa_fp16_overflow 0
		.amdhsa_workgroup_processor_mode 1
		.amdhsa_memory_ordered 1
		.amdhsa_forward_progress 1
		.amdhsa_inst_pref_size 0
		.amdhsa_round_robin_scheduling 0
		.amdhsa_exception_fp_ieee_invalid_op 0
		.amdhsa_exception_fp_denorm_src 0
		.amdhsa_exception_fp_ieee_div_zero 0
		.amdhsa_exception_fp_ieee_overflow 0
		.amdhsa_exception_fp_ieee_underflow 0
		.amdhsa_exception_fp_ieee_inexact 0
		.amdhsa_exception_int_div_zero 0
	.end_amdhsa_kernel
	.section	.text._ZN7rocprim17ROCPRIM_400000_NS6detail17trampoline_kernelINS0_14default_configENS1_25partition_config_selectorILNS1_17partition_subalgoE5ElNS0_10empty_typeEbEEZZNS1_14partition_implILS5_5ELb0ES3_mN6hipcub16HIPCUB_304000_NS21CountingInputIteratorIllEEPS6_NSA_22TransformInputIteratorIbN2at6native12_GLOBAL__N_19NonZeroOpIfEEPKflEENS0_5tupleIJPlS6_EEENSN_IJSD_SD_EEES6_PiJS6_EEE10hipError_tPvRmT3_T4_T5_T6_T7_T9_mT8_P12ihipStream_tbDpT10_ENKUlT_T0_E_clISt17integral_constantIbLb0EES1A_IbLb1EEEEDaS16_S17_EUlS16_E_NS1_11comp_targetILNS1_3genE3ELNS1_11target_archE908ELNS1_3gpuE7ELNS1_3repE0EEENS1_30default_config_static_selectorELNS0_4arch9wavefront6targetE0EEEvT1_,"axG",@progbits,_ZN7rocprim17ROCPRIM_400000_NS6detail17trampoline_kernelINS0_14default_configENS1_25partition_config_selectorILNS1_17partition_subalgoE5ElNS0_10empty_typeEbEEZZNS1_14partition_implILS5_5ELb0ES3_mN6hipcub16HIPCUB_304000_NS21CountingInputIteratorIllEEPS6_NSA_22TransformInputIteratorIbN2at6native12_GLOBAL__N_19NonZeroOpIfEEPKflEENS0_5tupleIJPlS6_EEENSN_IJSD_SD_EEES6_PiJS6_EEE10hipError_tPvRmT3_T4_T5_T6_T7_T9_mT8_P12ihipStream_tbDpT10_ENKUlT_T0_E_clISt17integral_constantIbLb0EES1A_IbLb1EEEEDaS16_S17_EUlS16_E_NS1_11comp_targetILNS1_3genE3ELNS1_11target_archE908ELNS1_3gpuE7ELNS1_3repE0EEENS1_30default_config_static_selectorELNS0_4arch9wavefront6targetE0EEEvT1_,comdat
.Lfunc_end485:
	.size	_ZN7rocprim17ROCPRIM_400000_NS6detail17trampoline_kernelINS0_14default_configENS1_25partition_config_selectorILNS1_17partition_subalgoE5ElNS0_10empty_typeEbEEZZNS1_14partition_implILS5_5ELb0ES3_mN6hipcub16HIPCUB_304000_NS21CountingInputIteratorIllEEPS6_NSA_22TransformInputIteratorIbN2at6native12_GLOBAL__N_19NonZeroOpIfEEPKflEENS0_5tupleIJPlS6_EEENSN_IJSD_SD_EEES6_PiJS6_EEE10hipError_tPvRmT3_T4_T5_T6_T7_T9_mT8_P12ihipStream_tbDpT10_ENKUlT_T0_E_clISt17integral_constantIbLb0EES1A_IbLb1EEEEDaS16_S17_EUlS16_E_NS1_11comp_targetILNS1_3genE3ELNS1_11target_archE908ELNS1_3gpuE7ELNS1_3repE0EEENS1_30default_config_static_selectorELNS0_4arch9wavefront6targetE0EEEvT1_, .Lfunc_end485-_ZN7rocprim17ROCPRIM_400000_NS6detail17trampoline_kernelINS0_14default_configENS1_25partition_config_selectorILNS1_17partition_subalgoE5ElNS0_10empty_typeEbEEZZNS1_14partition_implILS5_5ELb0ES3_mN6hipcub16HIPCUB_304000_NS21CountingInputIteratorIllEEPS6_NSA_22TransformInputIteratorIbN2at6native12_GLOBAL__N_19NonZeroOpIfEEPKflEENS0_5tupleIJPlS6_EEENSN_IJSD_SD_EEES6_PiJS6_EEE10hipError_tPvRmT3_T4_T5_T6_T7_T9_mT8_P12ihipStream_tbDpT10_ENKUlT_T0_E_clISt17integral_constantIbLb0EES1A_IbLb1EEEEDaS16_S17_EUlS16_E_NS1_11comp_targetILNS1_3genE3ELNS1_11target_archE908ELNS1_3gpuE7ELNS1_3repE0EEENS1_30default_config_static_selectorELNS0_4arch9wavefront6targetE0EEEvT1_
                                        ; -- End function
	.set _ZN7rocprim17ROCPRIM_400000_NS6detail17trampoline_kernelINS0_14default_configENS1_25partition_config_selectorILNS1_17partition_subalgoE5ElNS0_10empty_typeEbEEZZNS1_14partition_implILS5_5ELb0ES3_mN6hipcub16HIPCUB_304000_NS21CountingInputIteratorIllEEPS6_NSA_22TransformInputIteratorIbN2at6native12_GLOBAL__N_19NonZeroOpIfEEPKflEENS0_5tupleIJPlS6_EEENSN_IJSD_SD_EEES6_PiJS6_EEE10hipError_tPvRmT3_T4_T5_T6_T7_T9_mT8_P12ihipStream_tbDpT10_ENKUlT_T0_E_clISt17integral_constantIbLb0EES1A_IbLb1EEEEDaS16_S17_EUlS16_E_NS1_11comp_targetILNS1_3genE3ELNS1_11target_archE908ELNS1_3gpuE7ELNS1_3repE0EEENS1_30default_config_static_selectorELNS0_4arch9wavefront6targetE0EEEvT1_.num_vgpr, 0
	.set _ZN7rocprim17ROCPRIM_400000_NS6detail17trampoline_kernelINS0_14default_configENS1_25partition_config_selectorILNS1_17partition_subalgoE5ElNS0_10empty_typeEbEEZZNS1_14partition_implILS5_5ELb0ES3_mN6hipcub16HIPCUB_304000_NS21CountingInputIteratorIllEEPS6_NSA_22TransformInputIteratorIbN2at6native12_GLOBAL__N_19NonZeroOpIfEEPKflEENS0_5tupleIJPlS6_EEENSN_IJSD_SD_EEES6_PiJS6_EEE10hipError_tPvRmT3_T4_T5_T6_T7_T9_mT8_P12ihipStream_tbDpT10_ENKUlT_T0_E_clISt17integral_constantIbLb0EES1A_IbLb1EEEEDaS16_S17_EUlS16_E_NS1_11comp_targetILNS1_3genE3ELNS1_11target_archE908ELNS1_3gpuE7ELNS1_3repE0EEENS1_30default_config_static_selectorELNS0_4arch9wavefront6targetE0EEEvT1_.num_agpr, 0
	.set _ZN7rocprim17ROCPRIM_400000_NS6detail17trampoline_kernelINS0_14default_configENS1_25partition_config_selectorILNS1_17partition_subalgoE5ElNS0_10empty_typeEbEEZZNS1_14partition_implILS5_5ELb0ES3_mN6hipcub16HIPCUB_304000_NS21CountingInputIteratorIllEEPS6_NSA_22TransformInputIteratorIbN2at6native12_GLOBAL__N_19NonZeroOpIfEEPKflEENS0_5tupleIJPlS6_EEENSN_IJSD_SD_EEES6_PiJS6_EEE10hipError_tPvRmT3_T4_T5_T6_T7_T9_mT8_P12ihipStream_tbDpT10_ENKUlT_T0_E_clISt17integral_constantIbLb0EES1A_IbLb1EEEEDaS16_S17_EUlS16_E_NS1_11comp_targetILNS1_3genE3ELNS1_11target_archE908ELNS1_3gpuE7ELNS1_3repE0EEENS1_30default_config_static_selectorELNS0_4arch9wavefront6targetE0EEEvT1_.numbered_sgpr, 0
	.set _ZN7rocprim17ROCPRIM_400000_NS6detail17trampoline_kernelINS0_14default_configENS1_25partition_config_selectorILNS1_17partition_subalgoE5ElNS0_10empty_typeEbEEZZNS1_14partition_implILS5_5ELb0ES3_mN6hipcub16HIPCUB_304000_NS21CountingInputIteratorIllEEPS6_NSA_22TransformInputIteratorIbN2at6native12_GLOBAL__N_19NonZeroOpIfEEPKflEENS0_5tupleIJPlS6_EEENSN_IJSD_SD_EEES6_PiJS6_EEE10hipError_tPvRmT3_T4_T5_T6_T7_T9_mT8_P12ihipStream_tbDpT10_ENKUlT_T0_E_clISt17integral_constantIbLb0EES1A_IbLb1EEEEDaS16_S17_EUlS16_E_NS1_11comp_targetILNS1_3genE3ELNS1_11target_archE908ELNS1_3gpuE7ELNS1_3repE0EEENS1_30default_config_static_selectorELNS0_4arch9wavefront6targetE0EEEvT1_.num_named_barrier, 0
	.set _ZN7rocprim17ROCPRIM_400000_NS6detail17trampoline_kernelINS0_14default_configENS1_25partition_config_selectorILNS1_17partition_subalgoE5ElNS0_10empty_typeEbEEZZNS1_14partition_implILS5_5ELb0ES3_mN6hipcub16HIPCUB_304000_NS21CountingInputIteratorIllEEPS6_NSA_22TransformInputIteratorIbN2at6native12_GLOBAL__N_19NonZeroOpIfEEPKflEENS0_5tupleIJPlS6_EEENSN_IJSD_SD_EEES6_PiJS6_EEE10hipError_tPvRmT3_T4_T5_T6_T7_T9_mT8_P12ihipStream_tbDpT10_ENKUlT_T0_E_clISt17integral_constantIbLb0EES1A_IbLb1EEEEDaS16_S17_EUlS16_E_NS1_11comp_targetILNS1_3genE3ELNS1_11target_archE908ELNS1_3gpuE7ELNS1_3repE0EEENS1_30default_config_static_selectorELNS0_4arch9wavefront6targetE0EEEvT1_.private_seg_size, 0
	.set _ZN7rocprim17ROCPRIM_400000_NS6detail17trampoline_kernelINS0_14default_configENS1_25partition_config_selectorILNS1_17partition_subalgoE5ElNS0_10empty_typeEbEEZZNS1_14partition_implILS5_5ELb0ES3_mN6hipcub16HIPCUB_304000_NS21CountingInputIteratorIllEEPS6_NSA_22TransformInputIteratorIbN2at6native12_GLOBAL__N_19NonZeroOpIfEEPKflEENS0_5tupleIJPlS6_EEENSN_IJSD_SD_EEES6_PiJS6_EEE10hipError_tPvRmT3_T4_T5_T6_T7_T9_mT8_P12ihipStream_tbDpT10_ENKUlT_T0_E_clISt17integral_constantIbLb0EES1A_IbLb1EEEEDaS16_S17_EUlS16_E_NS1_11comp_targetILNS1_3genE3ELNS1_11target_archE908ELNS1_3gpuE7ELNS1_3repE0EEENS1_30default_config_static_selectorELNS0_4arch9wavefront6targetE0EEEvT1_.uses_vcc, 0
	.set _ZN7rocprim17ROCPRIM_400000_NS6detail17trampoline_kernelINS0_14default_configENS1_25partition_config_selectorILNS1_17partition_subalgoE5ElNS0_10empty_typeEbEEZZNS1_14partition_implILS5_5ELb0ES3_mN6hipcub16HIPCUB_304000_NS21CountingInputIteratorIllEEPS6_NSA_22TransformInputIteratorIbN2at6native12_GLOBAL__N_19NonZeroOpIfEEPKflEENS0_5tupleIJPlS6_EEENSN_IJSD_SD_EEES6_PiJS6_EEE10hipError_tPvRmT3_T4_T5_T6_T7_T9_mT8_P12ihipStream_tbDpT10_ENKUlT_T0_E_clISt17integral_constantIbLb0EES1A_IbLb1EEEEDaS16_S17_EUlS16_E_NS1_11comp_targetILNS1_3genE3ELNS1_11target_archE908ELNS1_3gpuE7ELNS1_3repE0EEENS1_30default_config_static_selectorELNS0_4arch9wavefront6targetE0EEEvT1_.uses_flat_scratch, 0
	.set _ZN7rocprim17ROCPRIM_400000_NS6detail17trampoline_kernelINS0_14default_configENS1_25partition_config_selectorILNS1_17partition_subalgoE5ElNS0_10empty_typeEbEEZZNS1_14partition_implILS5_5ELb0ES3_mN6hipcub16HIPCUB_304000_NS21CountingInputIteratorIllEEPS6_NSA_22TransformInputIteratorIbN2at6native12_GLOBAL__N_19NonZeroOpIfEEPKflEENS0_5tupleIJPlS6_EEENSN_IJSD_SD_EEES6_PiJS6_EEE10hipError_tPvRmT3_T4_T5_T6_T7_T9_mT8_P12ihipStream_tbDpT10_ENKUlT_T0_E_clISt17integral_constantIbLb0EES1A_IbLb1EEEEDaS16_S17_EUlS16_E_NS1_11comp_targetILNS1_3genE3ELNS1_11target_archE908ELNS1_3gpuE7ELNS1_3repE0EEENS1_30default_config_static_selectorELNS0_4arch9wavefront6targetE0EEEvT1_.has_dyn_sized_stack, 0
	.set _ZN7rocprim17ROCPRIM_400000_NS6detail17trampoline_kernelINS0_14default_configENS1_25partition_config_selectorILNS1_17partition_subalgoE5ElNS0_10empty_typeEbEEZZNS1_14partition_implILS5_5ELb0ES3_mN6hipcub16HIPCUB_304000_NS21CountingInputIteratorIllEEPS6_NSA_22TransformInputIteratorIbN2at6native12_GLOBAL__N_19NonZeroOpIfEEPKflEENS0_5tupleIJPlS6_EEENSN_IJSD_SD_EEES6_PiJS6_EEE10hipError_tPvRmT3_T4_T5_T6_T7_T9_mT8_P12ihipStream_tbDpT10_ENKUlT_T0_E_clISt17integral_constantIbLb0EES1A_IbLb1EEEEDaS16_S17_EUlS16_E_NS1_11comp_targetILNS1_3genE3ELNS1_11target_archE908ELNS1_3gpuE7ELNS1_3repE0EEENS1_30default_config_static_selectorELNS0_4arch9wavefront6targetE0EEEvT1_.has_recursion, 0
	.set _ZN7rocprim17ROCPRIM_400000_NS6detail17trampoline_kernelINS0_14default_configENS1_25partition_config_selectorILNS1_17partition_subalgoE5ElNS0_10empty_typeEbEEZZNS1_14partition_implILS5_5ELb0ES3_mN6hipcub16HIPCUB_304000_NS21CountingInputIteratorIllEEPS6_NSA_22TransformInputIteratorIbN2at6native12_GLOBAL__N_19NonZeroOpIfEEPKflEENS0_5tupleIJPlS6_EEENSN_IJSD_SD_EEES6_PiJS6_EEE10hipError_tPvRmT3_T4_T5_T6_T7_T9_mT8_P12ihipStream_tbDpT10_ENKUlT_T0_E_clISt17integral_constantIbLb0EES1A_IbLb1EEEEDaS16_S17_EUlS16_E_NS1_11comp_targetILNS1_3genE3ELNS1_11target_archE908ELNS1_3gpuE7ELNS1_3repE0EEENS1_30default_config_static_selectorELNS0_4arch9wavefront6targetE0EEEvT1_.has_indirect_call, 0
	.section	.AMDGPU.csdata,"",@progbits
; Kernel info:
; codeLenInByte = 0
; TotalNumSgprs: 0
; NumVgprs: 0
; ScratchSize: 0
; MemoryBound: 0
; FloatMode: 240
; IeeeMode: 1
; LDSByteSize: 0 bytes/workgroup (compile time only)
; SGPRBlocks: 0
; VGPRBlocks: 0
; NumSGPRsForWavesPerEU: 1
; NumVGPRsForWavesPerEU: 1
; Occupancy: 16
; WaveLimiterHint : 0
; COMPUTE_PGM_RSRC2:SCRATCH_EN: 0
; COMPUTE_PGM_RSRC2:USER_SGPR: 2
; COMPUTE_PGM_RSRC2:TRAP_HANDLER: 0
; COMPUTE_PGM_RSRC2:TGID_X_EN: 1
; COMPUTE_PGM_RSRC2:TGID_Y_EN: 0
; COMPUTE_PGM_RSRC2:TGID_Z_EN: 0
; COMPUTE_PGM_RSRC2:TIDIG_COMP_CNT: 0
	.section	.text._ZN7rocprim17ROCPRIM_400000_NS6detail17trampoline_kernelINS0_14default_configENS1_25partition_config_selectorILNS1_17partition_subalgoE5ElNS0_10empty_typeEbEEZZNS1_14partition_implILS5_5ELb0ES3_mN6hipcub16HIPCUB_304000_NS21CountingInputIteratorIllEEPS6_NSA_22TransformInputIteratorIbN2at6native12_GLOBAL__N_19NonZeroOpIfEEPKflEENS0_5tupleIJPlS6_EEENSN_IJSD_SD_EEES6_PiJS6_EEE10hipError_tPvRmT3_T4_T5_T6_T7_T9_mT8_P12ihipStream_tbDpT10_ENKUlT_T0_E_clISt17integral_constantIbLb0EES1A_IbLb1EEEEDaS16_S17_EUlS16_E_NS1_11comp_targetILNS1_3genE2ELNS1_11target_archE906ELNS1_3gpuE6ELNS1_3repE0EEENS1_30default_config_static_selectorELNS0_4arch9wavefront6targetE0EEEvT1_,"axG",@progbits,_ZN7rocprim17ROCPRIM_400000_NS6detail17trampoline_kernelINS0_14default_configENS1_25partition_config_selectorILNS1_17partition_subalgoE5ElNS0_10empty_typeEbEEZZNS1_14partition_implILS5_5ELb0ES3_mN6hipcub16HIPCUB_304000_NS21CountingInputIteratorIllEEPS6_NSA_22TransformInputIteratorIbN2at6native12_GLOBAL__N_19NonZeroOpIfEEPKflEENS0_5tupleIJPlS6_EEENSN_IJSD_SD_EEES6_PiJS6_EEE10hipError_tPvRmT3_T4_T5_T6_T7_T9_mT8_P12ihipStream_tbDpT10_ENKUlT_T0_E_clISt17integral_constantIbLb0EES1A_IbLb1EEEEDaS16_S17_EUlS16_E_NS1_11comp_targetILNS1_3genE2ELNS1_11target_archE906ELNS1_3gpuE6ELNS1_3repE0EEENS1_30default_config_static_selectorELNS0_4arch9wavefront6targetE0EEEvT1_,comdat
	.globl	_ZN7rocprim17ROCPRIM_400000_NS6detail17trampoline_kernelINS0_14default_configENS1_25partition_config_selectorILNS1_17partition_subalgoE5ElNS0_10empty_typeEbEEZZNS1_14partition_implILS5_5ELb0ES3_mN6hipcub16HIPCUB_304000_NS21CountingInputIteratorIllEEPS6_NSA_22TransformInputIteratorIbN2at6native12_GLOBAL__N_19NonZeroOpIfEEPKflEENS0_5tupleIJPlS6_EEENSN_IJSD_SD_EEES6_PiJS6_EEE10hipError_tPvRmT3_T4_T5_T6_T7_T9_mT8_P12ihipStream_tbDpT10_ENKUlT_T0_E_clISt17integral_constantIbLb0EES1A_IbLb1EEEEDaS16_S17_EUlS16_E_NS1_11comp_targetILNS1_3genE2ELNS1_11target_archE906ELNS1_3gpuE6ELNS1_3repE0EEENS1_30default_config_static_selectorELNS0_4arch9wavefront6targetE0EEEvT1_ ; -- Begin function _ZN7rocprim17ROCPRIM_400000_NS6detail17trampoline_kernelINS0_14default_configENS1_25partition_config_selectorILNS1_17partition_subalgoE5ElNS0_10empty_typeEbEEZZNS1_14partition_implILS5_5ELb0ES3_mN6hipcub16HIPCUB_304000_NS21CountingInputIteratorIllEEPS6_NSA_22TransformInputIteratorIbN2at6native12_GLOBAL__N_19NonZeroOpIfEEPKflEENS0_5tupleIJPlS6_EEENSN_IJSD_SD_EEES6_PiJS6_EEE10hipError_tPvRmT3_T4_T5_T6_T7_T9_mT8_P12ihipStream_tbDpT10_ENKUlT_T0_E_clISt17integral_constantIbLb0EES1A_IbLb1EEEEDaS16_S17_EUlS16_E_NS1_11comp_targetILNS1_3genE2ELNS1_11target_archE906ELNS1_3gpuE6ELNS1_3repE0EEENS1_30default_config_static_selectorELNS0_4arch9wavefront6targetE0EEEvT1_
	.p2align	8
	.type	_ZN7rocprim17ROCPRIM_400000_NS6detail17trampoline_kernelINS0_14default_configENS1_25partition_config_selectorILNS1_17partition_subalgoE5ElNS0_10empty_typeEbEEZZNS1_14partition_implILS5_5ELb0ES3_mN6hipcub16HIPCUB_304000_NS21CountingInputIteratorIllEEPS6_NSA_22TransformInputIteratorIbN2at6native12_GLOBAL__N_19NonZeroOpIfEEPKflEENS0_5tupleIJPlS6_EEENSN_IJSD_SD_EEES6_PiJS6_EEE10hipError_tPvRmT3_T4_T5_T6_T7_T9_mT8_P12ihipStream_tbDpT10_ENKUlT_T0_E_clISt17integral_constantIbLb0EES1A_IbLb1EEEEDaS16_S17_EUlS16_E_NS1_11comp_targetILNS1_3genE2ELNS1_11target_archE906ELNS1_3gpuE6ELNS1_3repE0EEENS1_30default_config_static_selectorELNS0_4arch9wavefront6targetE0EEEvT1_,@function
_ZN7rocprim17ROCPRIM_400000_NS6detail17trampoline_kernelINS0_14default_configENS1_25partition_config_selectorILNS1_17partition_subalgoE5ElNS0_10empty_typeEbEEZZNS1_14partition_implILS5_5ELb0ES3_mN6hipcub16HIPCUB_304000_NS21CountingInputIteratorIllEEPS6_NSA_22TransformInputIteratorIbN2at6native12_GLOBAL__N_19NonZeroOpIfEEPKflEENS0_5tupleIJPlS6_EEENSN_IJSD_SD_EEES6_PiJS6_EEE10hipError_tPvRmT3_T4_T5_T6_T7_T9_mT8_P12ihipStream_tbDpT10_ENKUlT_T0_E_clISt17integral_constantIbLb0EES1A_IbLb1EEEEDaS16_S17_EUlS16_E_NS1_11comp_targetILNS1_3genE2ELNS1_11target_archE906ELNS1_3gpuE6ELNS1_3repE0EEENS1_30default_config_static_selectorELNS0_4arch9wavefront6targetE0EEEvT1_: ; @_ZN7rocprim17ROCPRIM_400000_NS6detail17trampoline_kernelINS0_14default_configENS1_25partition_config_selectorILNS1_17partition_subalgoE5ElNS0_10empty_typeEbEEZZNS1_14partition_implILS5_5ELb0ES3_mN6hipcub16HIPCUB_304000_NS21CountingInputIteratorIllEEPS6_NSA_22TransformInputIteratorIbN2at6native12_GLOBAL__N_19NonZeroOpIfEEPKflEENS0_5tupleIJPlS6_EEENSN_IJSD_SD_EEES6_PiJS6_EEE10hipError_tPvRmT3_T4_T5_T6_T7_T9_mT8_P12ihipStream_tbDpT10_ENKUlT_T0_E_clISt17integral_constantIbLb0EES1A_IbLb1EEEEDaS16_S17_EUlS16_E_NS1_11comp_targetILNS1_3genE2ELNS1_11target_archE906ELNS1_3gpuE6ELNS1_3repE0EEENS1_30default_config_static_selectorELNS0_4arch9wavefront6targetE0EEEvT1_
; %bb.0:
	.section	.rodata,"a",@progbits
	.p2align	6, 0x0
	.amdhsa_kernel _ZN7rocprim17ROCPRIM_400000_NS6detail17trampoline_kernelINS0_14default_configENS1_25partition_config_selectorILNS1_17partition_subalgoE5ElNS0_10empty_typeEbEEZZNS1_14partition_implILS5_5ELb0ES3_mN6hipcub16HIPCUB_304000_NS21CountingInputIteratorIllEEPS6_NSA_22TransformInputIteratorIbN2at6native12_GLOBAL__N_19NonZeroOpIfEEPKflEENS0_5tupleIJPlS6_EEENSN_IJSD_SD_EEES6_PiJS6_EEE10hipError_tPvRmT3_T4_T5_T6_T7_T9_mT8_P12ihipStream_tbDpT10_ENKUlT_T0_E_clISt17integral_constantIbLb0EES1A_IbLb1EEEEDaS16_S17_EUlS16_E_NS1_11comp_targetILNS1_3genE2ELNS1_11target_archE906ELNS1_3gpuE6ELNS1_3repE0EEENS1_30default_config_static_selectorELNS0_4arch9wavefront6targetE0EEEvT1_
		.amdhsa_group_segment_fixed_size 0
		.amdhsa_private_segment_fixed_size 0
		.amdhsa_kernarg_size 136
		.amdhsa_user_sgpr_count 2
		.amdhsa_user_sgpr_dispatch_ptr 0
		.amdhsa_user_sgpr_queue_ptr 0
		.amdhsa_user_sgpr_kernarg_segment_ptr 1
		.amdhsa_user_sgpr_dispatch_id 0
		.amdhsa_user_sgpr_private_segment_size 0
		.amdhsa_wavefront_size32 1
		.amdhsa_uses_dynamic_stack 0
		.amdhsa_enable_private_segment 0
		.amdhsa_system_sgpr_workgroup_id_x 1
		.amdhsa_system_sgpr_workgroup_id_y 0
		.amdhsa_system_sgpr_workgroup_id_z 0
		.amdhsa_system_sgpr_workgroup_info 0
		.amdhsa_system_vgpr_workitem_id 0
		.amdhsa_next_free_vgpr 1
		.amdhsa_next_free_sgpr 1
		.amdhsa_reserve_vcc 0
		.amdhsa_float_round_mode_32 0
		.amdhsa_float_round_mode_16_64 0
		.amdhsa_float_denorm_mode_32 3
		.amdhsa_float_denorm_mode_16_64 3
		.amdhsa_fp16_overflow 0
		.amdhsa_workgroup_processor_mode 1
		.amdhsa_memory_ordered 1
		.amdhsa_forward_progress 1
		.amdhsa_inst_pref_size 0
		.amdhsa_round_robin_scheduling 0
		.amdhsa_exception_fp_ieee_invalid_op 0
		.amdhsa_exception_fp_denorm_src 0
		.amdhsa_exception_fp_ieee_div_zero 0
		.amdhsa_exception_fp_ieee_overflow 0
		.amdhsa_exception_fp_ieee_underflow 0
		.amdhsa_exception_fp_ieee_inexact 0
		.amdhsa_exception_int_div_zero 0
	.end_amdhsa_kernel
	.section	.text._ZN7rocprim17ROCPRIM_400000_NS6detail17trampoline_kernelINS0_14default_configENS1_25partition_config_selectorILNS1_17partition_subalgoE5ElNS0_10empty_typeEbEEZZNS1_14partition_implILS5_5ELb0ES3_mN6hipcub16HIPCUB_304000_NS21CountingInputIteratorIllEEPS6_NSA_22TransformInputIteratorIbN2at6native12_GLOBAL__N_19NonZeroOpIfEEPKflEENS0_5tupleIJPlS6_EEENSN_IJSD_SD_EEES6_PiJS6_EEE10hipError_tPvRmT3_T4_T5_T6_T7_T9_mT8_P12ihipStream_tbDpT10_ENKUlT_T0_E_clISt17integral_constantIbLb0EES1A_IbLb1EEEEDaS16_S17_EUlS16_E_NS1_11comp_targetILNS1_3genE2ELNS1_11target_archE906ELNS1_3gpuE6ELNS1_3repE0EEENS1_30default_config_static_selectorELNS0_4arch9wavefront6targetE0EEEvT1_,"axG",@progbits,_ZN7rocprim17ROCPRIM_400000_NS6detail17trampoline_kernelINS0_14default_configENS1_25partition_config_selectorILNS1_17partition_subalgoE5ElNS0_10empty_typeEbEEZZNS1_14partition_implILS5_5ELb0ES3_mN6hipcub16HIPCUB_304000_NS21CountingInputIteratorIllEEPS6_NSA_22TransformInputIteratorIbN2at6native12_GLOBAL__N_19NonZeroOpIfEEPKflEENS0_5tupleIJPlS6_EEENSN_IJSD_SD_EEES6_PiJS6_EEE10hipError_tPvRmT3_T4_T5_T6_T7_T9_mT8_P12ihipStream_tbDpT10_ENKUlT_T0_E_clISt17integral_constantIbLb0EES1A_IbLb1EEEEDaS16_S17_EUlS16_E_NS1_11comp_targetILNS1_3genE2ELNS1_11target_archE906ELNS1_3gpuE6ELNS1_3repE0EEENS1_30default_config_static_selectorELNS0_4arch9wavefront6targetE0EEEvT1_,comdat
.Lfunc_end486:
	.size	_ZN7rocprim17ROCPRIM_400000_NS6detail17trampoline_kernelINS0_14default_configENS1_25partition_config_selectorILNS1_17partition_subalgoE5ElNS0_10empty_typeEbEEZZNS1_14partition_implILS5_5ELb0ES3_mN6hipcub16HIPCUB_304000_NS21CountingInputIteratorIllEEPS6_NSA_22TransformInputIteratorIbN2at6native12_GLOBAL__N_19NonZeroOpIfEEPKflEENS0_5tupleIJPlS6_EEENSN_IJSD_SD_EEES6_PiJS6_EEE10hipError_tPvRmT3_T4_T5_T6_T7_T9_mT8_P12ihipStream_tbDpT10_ENKUlT_T0_E_clISt17integral_constantIbLb0EES1A_IbLb1EEEEDaS16_S17_EUlS16_E_NS1_11comp_targetILNS1_3genE2ELNS1_11target_archE906ELNS1_3gpuE6ELNS1_3repE0EEENS1_30default_config_static_selectorELNS0_4arch9wavefront6targetE0EEEvT1_, .Lfunc_end486-_ZN7rocprim17ROCPRIM_400000_NS6detail17trampoline_kernelINS0_14default_configENS1_25partition_config_selectorILNS1_17partition_subalgoE5ElNS0_10empty_typeEbEEZZNS1_14partition_implILS5_5ELb0ES3_mN6hipcub16HIPCUB_304000_NS21CountingInputIteratorIllEEPS6_NSA_22TransformInputIteratorIbN2at6native12_GLOBAL__N_19NonZeroOpIfEEPKflEENS0_5tupleIJPlS6_EEENSN_IJSD_SD_EEES6_PiJS6_EEE10hipError_tPvRmT3_T4_T5_T6_T7_T9_mT8_P12ihipStream_tbDpT10_ENKUlT_T0_E_clISt17integral_constantIbLb0EES1A_IbLb1EEEEDaS16_S17_EUlS16_E_NS1_11comp_targetILNS1_3genE2ELNS1_11target_archE906ELNS1_3gpuE6ELNS1_3repE0EEENS1_30default_config_static_selectorELNS0_4arch9wavefront6targetE0EEEvT1_
                                        ; -- End function
	.set _ZN7rocprim17ROCPRIM_400000_NS6detail17trampoline_kernelINS0_14default_configENS1_25partition_config_selectorILNS1_17partition_subalgoE5ElNS0_10empty_typeEbEEZZNS1_14partition_implILS5_5ELb0ES3_mN6hipcub16HIPCUB_304000_NS21CountingInputIteratorIllEEPS6_NSA_22TransformInputIteratorIbN2at6native12_GLOBAL__N_19NonZeroOpIfEEPKflEENS0_5tupleIJPlS6_EEENSN_IJSD_SD_EEES6_PiJS6_EEE10hipError_tPvRmT3_T4_T5_T6_T7_T9_mT8_P12ihipStream_tbDpT10_ENKUlT_T0_E_clISt17integral_constantIbLb0EES1A_IbLb1EEEEDaS16_S17_EUlS16_E_NS1_11comp_targetILNS1_3genE2ELNS1_11target_archE906ELNS1_3gpuE6ELNS1_3repE0EEENS1_30default_config_static_selectorELNS0_4arch9wavefront6targetE0EEEvT1_.num_vgpr, 0
	.set _ZN7rocprim17ROCPRIM_400000_NS6detail17trampoline_kernelINS0_14default_configENS1_25partition_config_selectorILNS1_17partition_subalgoE5ElNS0_10empty_typeEbEEZZNS1_14partition_implILS5_5ELb0ES3_mN6hipcub16HIPCUB_304000_NS21CountingInputIteratorIllEEPS6_NSA_22TransformInputIteratorIbN2at6native12_GLOBAL__N_19NonZeroOpIfEEPKflEENS0_5tupleIJPlS6_EEENSN_IJSD_SD_EEES6_PiJS6_EEE10hipError_tPvRmT3_T4_T5_T6_T7_T9_mT8_P12ihipStream_tbDpT10_ENKUlT_T0_E_clISt17integral_constantIbLb0EES1A_IbLb1EEEEDaS16_S17_EUlS16_E_NS1_11comp_targetILNS1_3genE2ELNS1_11target_archE906ELNS1_3gpuE6ELNS1_3repE0EEENS1_30default_config_static_selectorELNS0_4arch9wavefront6targetE0EEEvT1_.num_agpr, 0
	.set _ZN7rocprim17ROCPRIM_400000_NS6detail17trampoline_kernelINS0_14default_configENS1_25partition_config_selectorILNS1_17partition_subalgoE5ElNS0_10empty_typeEbEEZZNS1_14partition_implILS5_5ELb0ES3_mN6hipcub16HIPCUB_304000_NS21CountingInputIteratorIllEEPS6_NSA_22TransformInputIteratorIbN2at6native12_GLOBAL__N_19NonZeroOpIfEEPKflEENS0_5tupleIJPlS6_EEENSN_IJSD_SD_EEES6_PiJS6_EEE10hipError_tPvRmT3_T4_T5_T6_T7_T9_mT8_P12ihipStream_tbDpT10_ENKUlT_T0_E_clISt17integral_constantIbLb0EES1A_IbLb1EEEEDaS16_S17_EUlS16_E_NS1_11comp_targetILNS1_3genE2ELNS1_11target_archE906ELNS1_3gpuE6ELNS1_3repE0EEENS1_30default_config_static_selectorELNS0_4arch9wavefront6targetE0EEEvT1_.numbered_sgpr, 0
	.set _ZN7rocprim17ROCPRIM_400000_NS6detail17trampoline_kernelINS0_14default_configENS1_25partition_config_selectorILNS1_17partition_subalgoE5ElNS0_10empty_typeEbEEZZNS1_14partition_implILS5_5ELb0ES3_mN6hipcub16HIPCUB_304000_NS21CountingInputIteratorIllEEPS6_NSA_22TransformInputIteratorIbN2at6native12_GLOBAL__N_19NonZeroOpIfEEPKflEENS0_5tupleIJPlS6_EEENSN_IJSD_SD_EEES6_PiJS6_EEE10hipError_tPvRmT3_T4_T5_T6_T7_T9_mT8_P12ihipStream_tbDpT10_ENKUlT_T0_E_clISt17integral_constantIbLb0EES1A_IbLb1EEEEDaS16_S17_EUlS16_E_NS1_11comp_targetILNS1_3genE2ELNS1_11target_archE906ELNS1_3gpuE6ELNS1_3repE0EEENS1_30default_config_static_selectorELNS0_4arch9wavefront6targetE0EEEvT1_.num_named_barrier, 0
	.set _ZN7rocprim17ROCPRIM_400000_NS6detail17trampoline_kernelINS0_14default_configENS1_25partition_config_selectorILNS1_17partition_subalgoE5ElNS0_10empty_typeEbEEZZNS1_14partition_implILS5_5ELb0ES3_mN6hipcub16HIPCUB_304000_NS21CountingInputIteratorIllEEPS6_NSA_22TransformInputIteratorIbN2at6native12_GLOBAL__N_19NonZeroOpIfEEPKflEENS0_5tupleIJPlS6_EEENSN_IJSD_SD_EEES6_PiJS6_EEE10hipError_tPvRmT3_T4_T5_T6_T7_T9_mT8_P12ihipStream_tbDpT10_ENKUlT_T0_E_clISt17integral_constantIbLb0EES1A_IbLb1EEEEDaS16_S17_EUlS16_E_NS1_11comp_targetILNS1_3genE2ELNS1_11target_archE906ELNS1_3gpuE6ELNS1_3repE0EEENS1_30default_config_static_selectorELNS0_4arch9wavefront6targetE0EEEvT1_.private_seg_size, 0
	.set _ZN7rocprim17ROCPRIM_400000_NS6detail17trampoline_kernelINS0_14default_configENS1_25partition_config_selectorILNS1_17partition_subalgoE5ElNS0_10empty_typeEbEEZZNS1_14partition_implILS5_5ELb0ES3_mN6hipcub16HIPCUB_304000_NS21CountingInputIteratorIllEEPS6_NSA_22TransformInputIteratorIbN2at6native12_GLOBAL__N_19NonZeroOpIfEEPKflEENS0_5tupleIJPlS6_EEENSN_IJSD_SD_EEES6_PiJS6_EEE10hipError_tPvRmT3_T4_T5_T6_T7_T9_mT8_P12ihipStream_tbDpT10_ENKUlT_T0_E_clISt17integral_constantIbLb0EES1A_IbLb1EEEEDaS16_S17_EUlS16_E_NS1_11comp_targetILNS1_3genE2ELNS1_11target_archE906ELNS1_3gpuE6ELNS1_3repE0EEENS1_30default_config_static_selectorELNS0_4arch9wavefront6targetE0EEEvT1_.uses_vcc, 0
	.set _ZN7rocprim17ROCPRIM_400000_NS6detail17trampoline_kernelINS0_14default_configENS1_25partition_config_selectorILNS1_17partition_subalgoE5ElNS0_10empty_typeEbEEZZNS1_14partition_implILS5_5ELb0ES3_mN6hipcub16HIPCUB_304000_NS21CountingInputIteratorIllEEPS6_NSA_22TransformInputIteratorIbN2at6native12_GLOBAL__N_19NonZeroOpIfEEPKflEENS0_5tupleIJPlS6_EEENSN_IJSD_SD_EEES6_PiJS6_EEE10hipError_tPvRmT3_T4_T5_T6_T7_T9_mT8_P12ihipStream_tbDpT10_ENKUlT_T0_E_clISt17integral_constantIbLb0EES1A_IbLb1EEEEDaS16_S17_EUlS16_E_NS1_11comp_targetILNS1_3genE2ELNS1_11target_archE906ELNS1_3gpuE6ELNS1_3repE0EEENS1_30default_config_static_selectorELNS0_4arch9wavefront6targetE0EEEvT1_.uses_flat_scratch, 0
	.set _ZN7rocprim17ROCPRIM_400000_NS6detail17trampoline_kernelINS0_14default_configENS1_25partition_config_selectorILNS1_17partition_subalgoE5ElNS0_10empty_typeEbEEZZNS1_14partition_implILS5_5ELb0ES3_mN6hipcub16HIPCUB_304000_NS21CountingInputIteratorIllEEPS6_NSA_22TransformInputIteratorIbN2at6native12_GLOBAL__N_19NonZeroOpIfEEPKflEENS0_5tupleIJPlS6_EEENSN_IJSD_SD_EEES6_PiJS6_EEE10hipError_tPvRmT3_T4_T5_T6_T7_T9_mT8_P12ihipStream_tbDpT10_ENKUlT_T0_E_clISt17integral_constantIbLb0EES1A_IbLb1EEEEDaS16_S17_EUlS16_E_NS1_11comp_targetILNS1_3genE2ELNS1_11target_archE906ELNS1_3gpuE6ELNS1_3repE0EEENS1_30default_config_static_selectorELNS0_4arch9wavefront6targetE0EEEvT1_.has_dyn_sized_stack, 0
	.set _ZN7rocprim17ROCPRIM_400000_NS6detail17trampoline_kernelINS0_14default_configENS1_25partition_config_selectorILNS1_17partition_subalgoE5ElNS0_10empty_typeEbEEZZNS1_14partition_implILS5_5ELb0ES3_mN6hipcub16HIPCUB_304000_NS21CountingInputIteratorIllEEPS6_NSA_22TransformInputIteratorIbN2at6native12_GLOBAL__N_19NonZeroOpIfEEPKflEENS0_5tupleIJPlS6_EEENSN_IJSD_SD_EEES6_PiJS6_EEE10hipError_tPvRmT3_T4_T5_T6_T7_T9_mT8_P12ihipStream_tbDpT10_ENKUlT_T0_E_clISt17integral_constantIbLb0EES1A_IbLb1EEEEDaS16_S17_EUlS16_E_NS1_11comp_targetILNS1_3genE2ELNS1_11target_archE906ELNS1_3gpuE6ELNS1_3repE0EEENS1_30default_config_static_selectorELNS0_4arch9wavefront6targetE0EEEvT1_.has_recursion, 0
	.set _ZN7rocprim17ROCPRIM_400000_NS6detail17trampoline_kernelINS0_14default_configENS1_25partition_config_selectorILNS1_17partition_subalgoE5ElNS0_10empty_typeEbEEZZNS1_14partition_implILS5_5ELb0ES3_mN6hipcub16HIPCUB_304000_NS21CountingInputIteratorIllEEPS6_NSA_22TransformInputIteratorIbN2at6native12_GLOBAL__N_19NonZeroOpIfEEPKflEENS0_5tupleIJPlS6_EEENSN_IJSD_SD_EEES6_PiJS6_EEE10hipError_tPvRmT3_T4_T5_T6_T7_T9_mT8_P12ihipStream_tbDpT10_ENKUlT_T0_E_clISt17integral_constantIbLb0EES1A_IbLb1EEEEDaS16_S17_EUlS16_E_NS1_11comp_targetILNS1_3genE2ELNS1_11target_archE906ELNS1_3gpuE6ELNS1_3repE0EEENS1_30default_config_static_selectorELNS0_4arch9wavefront6targetE0EEEvT1_.has_indirect_call, 0
	.section	.AMDGPU.csdata,"",@progbits
; Kernel info:
; codeLenInByte = 0
; TotalNumSgprs: 0
; NumVgprs: 0
; ScratchSize: 0
; MemoryBound: 0
; FloatMode: 240
; IeeeMode: 1
; LDSByteSize: 0 bytes/workgroup (compile time only)
; SGPRBlocks: 0
; VGPRBlocks: 0
; NumSGPRsForWavesPerEU: 1
; NumVGPRsForWavesPerEU: 1
; Occupancy: 16
; WaveLimiterHint : 0
; COMPUTE_PGM_RSRC2:SCRATCH_EN: 0
; COMPUTE_PGM_RSRC2:USER_SGPR: 2
; COMPUTE_PGM_RSRC2:TRAP_HANDLER: 0
; COMPUTE_PGM_RSRC2:TGID_X_EN: 1
; COMPUTE_PGM_RSRC2:TGID_Y_EN: 0
; COMPUTE_PGM_RSRC2:TGID_Z_EN: 0
; COMPUTE_PGM_RSRC2:TIDIG_COMP_CNT: 0
	.section	.text._ZN7rocprim17ROCPRIM_400000_NS6detail17trampoline_kernelINS0_14default_configENS1_25partition_config_selectorILNS1_17partition_subalgoE5ElNS0_10empty_typeEbEEZZNS1_14partition_implILS5_5ELb0ES3_mN6hipcub16HIPCUB_304000_NS21CountingInputIteratorIllEEPS6_NSA_22TransformInputIteratorIbN2at6native12_GLOBAL__N_19NonZeroOpIfEEPKflEENS0_5tupleIJPlS6_EEENSN_IJSD_SD_EEES6_PiJS6_EEE10hipError_tPvRmT3_T4_T5_T6_T7_T9_mT8_P12ihipStream_tbDpT10_ENKUlT_T0_E_clISt17integral_constantIbLb0EES1A_IbLb1EEEEDaS16_S17_EUlS16_E_NS1_11comp_targetILNS1_3genE10ELNS1_11target_archE1200ELNS1_3gpuE4ELNS1_3repE0EEENS1_30default_config_static_selectorELNS0_4arch9wavefront6targetE0EEEvT1_,"axG",@progbits,_ZN7rocprim17ROCPRIM_400000_NS6detail17trampoline_kernelINS0_14default_configENS1_25partition_config_selectorILNS1_17partition_subalgoE5ElNS0_10empty_typeEbEEZZNS1_14partition_implILS5_5ELb0ES3_mN6hipcub16HIPCUB_304000_NS21CountingInputIteratorIllEEPS6_NSA_22TransformInputIteratorIbN2at6native12_GLOBAL__N_19NonZeroOpIfEEPKflEENS0_5tupleIJPlS6_EEENSN_IJSD_SD_EEES6_PiJS6_EEE10hipError_tPvRmT3_T4_T5_T6_T7_T9_mT8_P12ihipStream_tbDpT10_ENKUlT_T0_E_clISt17integral_constantIbLb0EES1A_IbLb1EEEEDaS16_S17_EUlS16_E_NS1_11comp_targetILNS1_3genE10ELNS1_11target_archE1200ELNS1_3gpuE4ELNS1_3repE0EEENS1_30default_config_static_selectorELNS0_4arch9wavefront6targetE0EEEvT1_,comdat
	.globl	_ZN7rocprim17ROCPRIM_400000_NS6detail17trampoline_kernelINS0_14default_configENS1_25partition_config_selectorILNS1_17partition_subalgoE5ElNS0_10empty_typeEbEEZZNS1_14partition_implILS5_5ELb0ES3_mN6hipcub16HIPCUB_304000_NS21CountingInputIteratorIllEEPS6_NSA_22TransformInputIteratorIbN2at6native12_GLOBAL__N_19NonZeroOpIfEEPKflEENS0_5tupleIJPlS6_EEENSN_IJSD_SD_EEES6_PiJS6_EEE10hipError_tPvRmT3_T4_T5_T6_T7_T9_mT8_P12ihipStream_tbDpT10_ENKUlT_T0_E_clISt17integral_constantIbLb0EES1A_IbLb1EEEEDaS16_S17_EUlS16_E_NS1_11comp_targetILNS1_3genE10ELNS1_11target_archE1200ELNS1_3gpuE4ELNS1_3repE0EEENS1_30default_config_static_selectorELNS0_4arch9wavefront6targetE0EEEvT1_ ; -- Begin function _ZN7rocprim17ROCPRIM_400000_NS6detail17trampoline_kernelINS0_14default_configENS1_25partition_config_selectorILNS1_17partition_subalgoE5ElNS0_10empty_typeEbEEZZNS1_14partition_implILS5_5ELb0ES3_mN6hipcub16HIPCUB_304000_NS21CountingInputIteratorIllEEPS6_NSA_22TransformInputIteratorIbN2at6native12_GLOBAL__N_19NonZeroOpIfEEPKflEENS0_5tupleIJPlS6_EEENSN_IJSD_SD_EEES6_PiJS6_EEE10hipError_tPvRmT3_T4_T5_T6_T7_T9_mT8_P12ihipStream_tbDpT10_ENKUlT_T0_E_clISt17integral_constantIbLb0EES1A_IbLb1EEEEDaS16_S17_EUlS16_E_NS1_11comp_targetILNS1_3genE10ELNS1_11target_archE1200ELNS1_3gpuE4ELNS1_3repE0EEENS1_30default_config_static_selectorELNS0_4arch9wavefront6targetE0EEEvT1_
	.p2align	8
	.type	_ZN7rocprim17ROCPRIM_400000_NS6detail17trampoline_kernelINS0_14default_configENS1_25partition_config_selectorILNS1_17partition_subalgoE5ElNS0_10empty_typeEbEEZZNS1_14partition_implILS5_5ELb0ES3_mN6hipcub16HIPCUB_304000_NS21CountingInputIteratorIllEEPS6_NSA_22TransformInputIteratorIbN2at6native12_GLOBAL__N_19NonZeroOpIfEEPKflEENS0_5tupleIJPlS6_EEENSN_IJSD_SD_EEES6_PiJS6_EEE10hipError_tPvRmT3_T4_T5_T6_T7_T9_mT8_P12ihipStream_tbDpT10_ENKUlT_T0_E_clISt17integral_constantIbLb0EES1A_IbLb1EEEEDaS16_S17_EUlS16_E_NS1_11comp_targetILNS1_3genE10ELNS1_11target_archE1200ELNS1_3gpuE4ELNS1_3repE0EEENS1_30default_config_static_selectorELNS0_4arch9wavefront6targetE0EEEvT1_,@function
_ZN7rocprim17ROCPRIM_400000_NS6detail17trampoline_kernelINS0_14default_configENS1_25partition_config_selectorILNS1_17partition_subalgoE5ElNS0_10empty_typeEbEEZZNS1_14partition_implILS5_5ELb0ES3_mN6hipcub16HIPCUB_304000_NS21CountingInputIteratorIllEEPS6_NSA_22TransformInputIteratorIbN2at6native12_GLOBAL__N_19NonZeroOpIfEEPKflEENS0_5tupleIJPlS6_EEENSN_IJSD_SD_EEES6_PiJS6_EEE10hipError_tPvRmT3_T4_T5_T6_T7_T9_mT8_P12ihipStream_tbDpT10_ENKUlT_T0_E_clISt17integral_constantIbLb0EES1A_IbLb1EEEEDaS16_S17_EUlS16_E_NS1_11comp_targetILNS1_3genE10ELNS1_11target_archE1200ELNS1_3gpuE4ELNS1_3repE0EEENS1_30default_config_static_selectorELNS0_4arch9wavefront6targetE0EEEvT1_: ; @_ZN7rocprim17ROCPRIM_400000_NS6detail17trampoline_kernelINS0_14default_configENS1_25partition_config_selectorILNS1_17partition_subalgoE5ElNS0_10empty_typeEbEEZZNS1_14partition_implILS5_5ELb0ES3_mN6hipcub16HIPCUB_304000_NS21CountingInputIteratorIllEEPS6_NSA_22TransformInputIteratorIbN2at6native12_GLOBAL__N_19NonZeroOpIfEEPKflEENS0_5tupleIJPlS6_EEENSN_IJSD_SD_EEES6_PiJS6_EEE10hipError_tPvRmT3_T4_T5_T6_T7_T9_mT8_P12ihipStream_tbDpT10_ENKUlT_T0_E_clISt17integral_constantIbLb0EES1A_IbLb1EEEEDaS16_S17_EUlS16_E_NS1_11comp_targetILNS1_3genE10ELNS1_11target_archE1200ELNS1_3gpuE4ELNS1_3repE0EEENS1_30default_config_static_selectorELNS0_4arch9wavefront6targetE0EEEvT1_
; %bb.0:
	s_clause 0x3
	s_load_b64 s[12:13], s[0:1], 0x30
	s_load_b128 s[4:7], s[0:1], 0x48
	s_load_b64 s[18:19], s[0:1], 0x58
	s_load_b64 s[14:15], s[0:1], 0x68
	v_cmp_eq_u32_e64 s2, 0, v0
	s_and_saveexec_b32 s3, s2
	s_cbranch_execz .LBB487_4
; %bb.1:
	s_mov_b32 s9, exec_lo
	s_mov_b32 s8, exec_lo
	v_mbcnt_lo_u32_b32 v1, s9, 0
                                        ; implicit-def: $vgpr2
	s_delay_alu instid0(VALU_DEP_1)
	v_cmpx_eq_u32_e32 0, v1
	s_cbranch_execz .LBB487_3
; %bb.2:
	s_load_b64 s[10:11], s[0:1], 0x78
	s_bcnt1_i32_b32 s9, s9
	s_wait_alu 0xfffe
	v_dual_mov_b32 v2, 0 :: v_dual_mov_b32 v3, s9
	s_wait_kmcnt 0x0
	global_atomic_add_u32 v2, v2, v3, s[10:11] th:TH_ATOMIC_RETURN scope:SCOPE_DEV
.LBB487_3:
	s_or_b32 exec_lo, exec_lo, s8
	s_wait_loadcnt 0x0
	v_readfirstlane_b32 s8, v2
	s_wait_alu 0xf1ff
	s_delay_alu instid0(VALU_DEP_1)
	v_dual_mov_b32 v2, 0 :: v_dual_add_nc_u32 v1, s8, v1
	ds_store_b32 v2, v1
.LBB487_4:
	s_or_b32 exec_lo, exec_lo, s3
	v_mov_b32_e32 v1, 0
	s_clause 0x2
	s_load_b128 s[8:11], s[0:1], 0x8
	s_load_b64 s[16:17], s[0:1], 0x20
	s_load_b32 s0, s[0:1], 0x70
	s_wait_dscnt 0x0
	s_barrier_signal -1
	s_barrier_wait -1
	global_inv scope:SCOPE_SE
	ds_load_b32 v2, v1
	s_wait_loadcnt_dscnt 0x0
	s_barrier_signal -1
	s_barrier_wait -1
	global_inv scope:SCOPE_SE
	s_wait_kmcnt 0x0
	global_load_b64 v[17:18], v1, s[6:7]
	s_mov_b32 s7, 0
	v_lshrrev_b32_e32 v1, 2, v0
	v_or_b32_e32 v10, 0x200, v0
	v_or_b32_e32 v9, 0x300, v0
	s_add_nc_u64 s[8:9], s[10:11], s[8:9]
	s_lshl_b32 s6, s0, 10
	s_add_co_i32 s20, s0, -1
	s_add_nc_u64 s[0:1], s[10:11], s[6:7]
	s_lshl_b32 s6, s20, 10
	v_cmp_le_u64_e64 s1, s[18:19], s[0:1]
	v_readfirstlane_b32 s21, v2
	s_add_co_i32 s0, s10, s6
	s_lshl_b32 s3, s21, 10
	s_cmp_eq_u32 s21, s20
	s_mov_b32 s6, s3
	s_cselect_b32 s19, -1, 0
	s_wait_alu 0xfffe
	s_and_b32 s1, s1, s19
	s_wait_alu 0xfffe
	s_xor_b32 s20, s1, -1
	s_mov_b32 s1, -1
	s_and_b32 vcc_lo, exec_lo, s20
	s_cbranch_vccz .LBB487_6
; %bb.5:
	v_or_b32_e32 v8, 0x100, v0
	s_add_nc_u64 s[22:23], s[6:7], s[8:9]
	v_lshrrev_b32_e32 v11, 2, v10
	v_add_co_u32 v2, s1, s22, v0
	s_delay_alu instid0(VALU_DEP_3)
	v_lshrrev_b32_e32 v8, 2, v8
	v_lshrrev_b32_e32 v12, 2, v9
	s_wait_alu 0xf1fe
	v_add_co_ci_u32_e64 v3, null, s23, 0, s1
	v_and_b32_e32 v13, 56, v1
	v_lshlrev_b32_e32 v14, 3, v0
	v_and_b32_e32 v8, 0x78, v8
	v_add_co_u32 v4, vcc_lo, 0x100, v2
	v_and_b32_e32 v15, 0xb8, v11
	v_and_b32_e32 v16, 0xf8, v12
	v_add_co_ci_u32_e64 v5, null, 0, v3, vcc_lo
	v_add_co_u32 v6, vcc_lo, 0x200, v2
	v_add_nc_u32_e32 v13, v13, v14
	s_wait_alu 0xfffd
	v_add_co_ci_u32_e64 v7, null, 0, v3, vcc_lo
	v_add_co_u32 v11, vcc_lo, 0x300, v2
	v_add_nc_u32_e32 v8, v8, v14
	v_add_nc_u32_e32 v15, v15, v14
	s_wait_alu 0xfffd
	v_add_co_ci_u32_e64 v12, null, 0, v3, vcc_lo
	v_add_nc_u32_e32 v14, v16, v14
	ds_store_b64 v13, v[2:3]
	ds_store_b64 v8, v[4:5] offset:2048
	ds_store_b64 v15, v[6:7] offset:4096
	ds_store_b64 v14, v[11:12] offset:6144
	s_wait_loadcnt_dscnt 0x0
	s_barrier_signal -1
	s_mov_b32 s1, s7
	s_barrier_wait -1
.LBB487_6:
	s_sub_co_i32 s3, s18, s0
	s_wait_alu 0xfffe
	s_and_not1_b32 vcc_lo, exec_lo, s1
	v_cmp_gt_u32_e64 s0, s3, v0
	s_wait_alu 0xfffe
	s_cbranch_vccnz .LBB487_8
; %bb.7:
	v_or_b32_e32 v8, 0x100, v0
	s_add_nc_u64 s[8:9], s[8:9], s[6:7]
	v_lshrrev_b32_e32 v13, 2, v10
	s_wait_alu 0xfffe
	v_add_co_u32 v2, s1, s8, v0
	s_wait_alu 0xf1ff
	v_add_co_ci_u32_e64 v3, null, s9, 0, s1
	v_add_co_u32 v4, s1, s8, v8
	s_wait_alu 0xf1ff
	v_add_co_ci_u32_e64 v5, null, s9, 0, s1
	v_cmp_gt_u32_e32 vcc_lo, s3, v8
	v_add_co_u32 v11, s1, s8, v9
	s_wait_alu 0xf1ff
	v_add_co_ci_u32_e64 v12, null, s9, 0, s1
	s_wait_alu 0xfffd
	v_dual_cndmask_b32 v5, 0, v5 :: v_dual_cndmask_b32 v4, 0, v4
	v_cmp_gt_u32_e32 vcc_lo, s3, v9
	v_lshrrev_b32_e32 v8, 2, v8
	v_lshrrev_b32_e32 v14, 2, v9
	v_cndmask_b32_e64 v3, 0, v3, s0
	v_cndmask_b32_e64 v2, 0, v2, s0
	v_add_co_u32 v6, s0, s8, v10
	s_wait_alu 0xfffd
	v_dual_cndmask_b32 v12, 0, v12 :: v_dual_and_b32 v1, 56, v1
	v_lshlrev_b32_e32 v15, 3, v0
	v_dual_cndmask_b32 v11, 0, v11 :: v_dual_and_b32 v8, 0x78, v8
	s_wait_alu 0xf1ff
	v_add_co_ci_u32_e64 v7, null, s9, 0, s0
	v_cmp_gt_u32_e64 s0, s3, v10
	v_and_b32_e32 v13, 0xb8, v13
	v_and_b32_e32 v14, 0xf8, v14
	v_add_nc_u32_e32 v1, v1, v15
	v_add_nc_u32_e32 v8, v8, v15
	s_wait_alu 0xf1ff
	v_cndmask_b32_e64 v7, 0, v7, s0
	v_cndmask_b32_e64 v6, 0, v6, s0
	v_add_nc_u32_e32 v13, v13, v15
	v_add_nc_u32_e32 v14, v14, v15
	ds_store_b64 v1, v[2:3]
	ds_store_b64 v8, v[4:5] offset:2048
	ds_store_b64 v13, v[6:7] offset:4096
	;; [unrolled: 1-line block ×3, first 2 shown]
	s_wait_loadcnt_dscnt 0x0
	s_barrier_signal -1
	s_barrier_wait -1
.LBB487_8:
	v_and_b32_e32 v1, 0xf8, v0
	s_wait_loadcnt 0x0
	global_inv scope:SCOPE_SE
	s_lshl_b64 s[0:1], s[10:11], 2
	v_lshlrev_b32_e32 v11, 2, v0
	v_lshrrev_b32_e32 v28, 5, v0
	v_lshl_add_u32 v1, v0, 5, v1
	s_wait_alu 0xfffe
	s_add_nc_u64 s[0:1], s[16:17], s[0:1]
	s_lshl_b64 s[6:7], s[6:7], 2
	s_and_b32 vcc_lo, exec_lo, s20
	s_wait_alu 0xfffe
	s_add_nc_u64 s[0:1], s[0:1], s[6:7]
	ds_load_2addr_b64 v[5:8], v1 offset1:1
	ds_load_2addr_b64 v[1:4], v1 offset0:2 offset1:3
	s_mov_b32 s6, -1
	s_wait_loadcnt_dscnt 0x0
	s_barrier_signal -1
	s_barrier_wait -1
	global_inv scope:SCOPE_SE
	s_cbranch_vccz .LBB487_10
; %bb.9:
	s_clause 0x3
	global_load_b32 v12, v11, s[0:1]
	global_load_b32 v13, v11, s[0:1] offset:1024
	global_load_b32 v14, v11, s[0:1] offset:2048
	;; [unrolled: 1-line block ×3, first 2 shown]
	v_or_b32_e32 v16, 0x100, v0
	v_lshrrev_b32_e32 v19, 5, v10
	v_lshrrev_b32_e32 v20, 5, v9
	v_and_b32_e32 v21, 4, v28
	s_mov_b32 s6, 0
	v_lshrrev_b32_e32 v16, 5, v16
	v_and_b32_e32 v19, 20, v19
	v_and_b32_e32 v20, 28, v20
	v_add_nc_u32_e32 v21, v21, v0
	s_delay_alu instid0(VALU_DEP_4) | instskip(NEXT) | instid1(VALU_DEP_4)
	v_and_b32_e32 v16, 12, v16
	v_add_nc_u32_e32 v19, v19, v0
	s_delay_alu instid0(VALU_DEP_4) | instskip(NEXT) | instid1(VALU_DEP_3)
	v_add_nc_u32_e32 v20, v20, v0
	v_add_nc_u32_e32 v16, v16, v0
	s_wait_loadcnt 0x3
	v_cmp_neq_f32_e32 vcc_lo, 0, v12
	s_wait_alu 0xfffd
	v_cndmask_b32_e64 v12, 0, 1, vcc_lo
	s_wait_loadcnt 0x2
	v_cmp_neq_f32_e32 vcc_lo, 0, v13
	s_wait_alu 0xfffd
	v_cndmask_b32_e64 v13, 0, 1, vcc_lo
	;; [unrolled: 4-line block ×4, first 2 shown]
	ds_store_b8 v21, v12
	ds_store_b8 v16, v13 offset:256
	ds_store_b8 v19, v14 offset:512
	;; [unrolled: 1-line block ×3, first 2 shown]
	s_wait_dscnt 0x0
	s_barrier_signal -1
	s_barrier_wait -1
.LBB487_10:
	v_lshrrev_b32_e32 v12, 3, v0
	s_and_not1_b32 vcc_lo, exec_lo, s6
	s_wait_alu 0xfffe
	s_cbranch_vccnz .LBB487_18
; %bb.11:
	v_dual_mov_b32 v13, 0 :: v_dual_mov_b32 v14, 0
	s_mov_b32 s6, exec_lo
	v_cmpx_gt_u32_e64 s3, v0
	s_cbranch_execz .LBB487_13
; %bb.12:
	global_load_b32 v13, v11, s[0:1]
	s_wait_loadcnt 0x0
	v_cmp_neq_f32_e32 vcc_lo, 0, v13
	s_wait_alu 0xfffd
	v_cndmask_b32_e64 v13, 0, 1, vcc_lo
	v_cndmask_b32_e64 v14, 0, 1, vcc_lo
.LBB487_13:
	s_or_b32 exec_lo, exec_lo, s6
	v_or_b32_e32 v15, 0x100, v0
	s_mov_b32 s6, exec_lo
	s_delay_alu instid0(VALU_DEP_1)
	v_cmpx_gt_u32_e64 s3, v15
	s_cbranch_execnz .LBB487_132
; %bb.14:
	s_or_b32 exec_lo, exec_lo, s6
	s_delay_alu instid0(SALU_CYCLE_1)
	s_mov_b32 s6, exec_lo
	v_cmpx_gt_u32_e64 s3, v10
	s_cbranch_execnz .LBB487_133
.LBB487_15:
	s_or_b32 exec_lo, exec_lo, s6
	v_cmp_gt_u32_e32 vcc_lo, s3, v9
	s_and_saveexec_b32 s3, vcc_lo
	s_cbranch_execz .LBB487_17
.LBB487_16:
	global_load_b32 v16, v11, s[0:1] offset:3072
	v_lshrrev_b32_e32 v19, 16, v14
	s_wait_loadcnt 0x0
	v_cmp_neq_f32_e32 vcc_lo, 0, v16
	s_wait_alu 0xfffd
	v_cndmask_b32_e64 v16, 0, 1, vcc_lo
	s_delay_alu instid0(VALU_DEP_1) | instskip(NEXT) | instid1(VALU_DEP_1)
	v_lshlrev_b16 v16, 8, v16
	v_or_b32_e32 v16, v19, v16
	s_delay_alu instid0(VALU_DEP_1) | instskip(NEXT) | instid1(VALU_DEP_1)
	v_lshlrev_b32_e32 v16, 16, v16
	v_and_or_b32 v14, 0xffff, v14, v16
.LBB487_17:
	s_wait_alu 0xfffe
	s_or_b32 exec_lo, exec_lo, s3
	v_lshrrev_b32_e32 v15, 5, v15
	v_lshrrev_b32_e32 v10, 5, v10
	;; [unrolled: 1-line block ×3, first 2 shown]
	v_and_b32_e32 v16, 4, v28
	v_lshrrev_b32_e32 v19, 8, v14
	v_and_b32_e32 v15, 12, v15
	v_and_b32_e32 v10, 28, v10
	;; [unrolled: 1-line block ×3, first 2 shown]
	v_add_nc_u32_e32 v16, v16, v0
	v_lshrrev_b32_e32 v20, 24, v14
	v_add_nc_u32_e32 v15, v15, v0
	v_add_nc_u32_e32 v10, v10, v0
	;; [unrolled: 1-line block ×3, first 2 shown]
	ds_store_b8 v16, v13
	ds_store_b8 v15, v19 offset:256
	ds_store_b8_d16_hi v10, v14 offset:512
	ds_store_b8 v9, v20 offset:768
	s_wait_loadcnt_dscnt 0x0
	s_barrier_signal -1
	s_barrier_wait -1
.LBB487_18:
	s_delay_alu instid0(VALU_DEP_1)
	v_dual_mov_b32 v10, 0 :: v_dual_and_b32 v9, 28, v12
	s_wait_loadcnt 0x0
	global_inv scope:SCOPE_SE
	v_mbcnt_lo_u32_b32 v33, -1, 0
	s_cmp_lg_u32 s21, 0
	v_add_nc_u32_e32 v9, v9, v11
	s_mov_b32 s1, -1
	s_delay_alu instid0(VALU_DEP_2)
	v_and_b32_e32 v34, 15, v33
	ds_load_b32 v29, v9
	s_wait_loadcnt_dscnt 0x0
	s_barrier_signal -1
	s_barrier_wait -1
	global_inv scope:SCOPE_SE
	v_and_b32_e32 v32, 0xff, v29
	v_bfe_u32 v31, v29, 8, 8
	v_bfe_u32 v30, v29, 16, 8
	v_lshrrev_b32_e32 v27, 24, v29
	s_delay_alu instid0(VALU_DEP_2) | instskip(NEXT) | instid1(VALU_DEP_1)
	v_add3_u32 v9, v31, v32, v30
	v_add_co_u32 v19, s0, v9, v27
	s_wait_alu 0xf1ff
	v_add_co_ci_u32_e64 v20, null, 0, 0, s0
	v_cmp_ne_u32_e64 s0, 0, v34
	s_cbranch_scc0 .LBB487_75
; %bb.19:
	v_mov_b32_e32 v11, v19
	v_mov_b32_dpp v9, v19 row_shr:1 row_mask:0xf bank_mask:0xf
	v_mov_b32_dpp v14, v10 row_shr:1 row_mask:0xf bank_mask:0xf
	v_dual_mov_b32 v13, v19 :: v_dual_mov_b32 v12, v20
	s_and_saveexec_b32 s1, s0
; %bb.20:
	s_delay_alu instid0(VALU_DEP_3) | instskip(SKIP_2) | instid1(VALU_DEP_2)
	v_add_co_u32 v13, vcc_lo, v19, v9
	s_wait_alu 0xfffd
	v_add_co_ci_u32_e64 v10, null, 0, v20, vcc_lo
	v_add_co_u32 v9, vcc_lo, 0, v13
	s_wait_alu 0xfffd
	s_delay_alu instid0(VALU_DEP_2) | instskip(NEXT) | instid1(VALU_DEP_1)
	v_add_co_ci_u32_e64 v10, null, v14, v10, vcc_lo
	v_dual_mov_b32 v12, v10 :: v_dual_mov_b32 v11, v9
; %bb.21:
	s_wait_alu 0xfffe
	s_or_b32 exec_lo, exec_lo, s1
	v_mov_b32_dpp v9, v13 row_shr:2 row_mask:0xf bank_mask:0xf
	v_mov_b32_dpp v14, v10 row_shr:2 row_mask:0xf bank_mask:0xf
	s_mov_b32 s1, exec_lo
	v_cmpx_lt_u32_e32 1, v34
; %bb.22:
	s_delay_alu instid0(VALU_DEP_3) | instskip(SKIP_2) | instid1(VALU_DEP_2)
	v_add_co_u32 v13, vcc_lo, v11, v9
	s_wait_alu 0xfffd
	v_add_co_ci_u32_e64 v10, null, 0, v12, vcc_lo
	v_add_co_u32 v9, vcc_lo, 0, v13
	s_wait_alu 0xfffd
	s_delay_alu instid0(VALU_DEP_2) | instskip(NEXT) | instid1(VALU_DEP_1)
	v_add_co_ci_u32_e64 v10, null, v14, v10, vcc_lo
	v_dual_mov_b32 v12, v10 :: v_dual_mov_b32 v11, v9
; %bb.23:
	s_wait_alu 0xfffe
	s_or_b32 exec_lo, exec_lo, s1
	v_mov_b32_dpp v9, v13 row_shr:4 row_mask:0xf bank_mask:0xf
	v_mov_b32_dpp v14, v10 row_shr:4 row_mask:0xf bank_mask:0xf
	s_mov_b32 s1, exec_lo
	v_cmpx_lt_u32_e32 3, v34
	;; [unrolled: 17-line block ×3, first 2 shown]
; %bb.26:
	s_delay_alu instid0(VALU_DEP_3) | instskip(SKIP_2) | instid1(VALU_DEP_2)
	v_add_co_u32 v13, vcc_lo, v11, v14
	s_wait_alu 0xfffd
	v_add_co_ci_u32_e64 v10, null, 0, v12, vcc_lo
	v_add_co_u32 v11, vcc_lo, 0, v13
	s_wait_alu 0xfffd
	s_delay_alu instid0(VALU_DEP_2) | instskip(NEXT) | instid1(VALU_DEP_1)
	v_add_co_ci_u32_e64 v12, null, v9, v10, vcc_lo
	v_mov_b32_e32 v10, v12
; %bb.27:
	s_wait_alu 0xfffe
	s_or_b32 exec_lo, exec_lo, s1
	ds_swizzle_b32 v9, v13 offset:swizzle(BROADCAST,32,15)
	ds_swizzle_b32 v14, v10 offset:swizzle(BROADCAST,32,15)
	v_and_b32_e32 v15, 16, v33
	s_mov_b32 s1, exec_lo
	s_delay_alu instid0(VALU_DEP_1)
	v_cmpx_ne_u32_e32 0, v15
	s_cbranch_execz .LBB487_29
; %bb.28:
	s_wait_dscnt 0x1
	v_add_co_u32 v13, vcc_lo, v11, v9
	s_wait_alu 0xfffd
	v_add_co_ci_u32_e64 v10, null, 0, v12, vcc_lo
	s_delay_alu instid0(VALU_DEP_2) | instskip(SKIP_2) | instid1(VALU_DEP_2)
	v_add_co_u32 v9, vcc_lo, 0, v13
	s_wait_dscnt 0x0
	s_wait_alu 0xfffd
	v_add_co_ci_u32_e64 v10, null, v14, v10, vcc_lo
	s_delay_alu instid0(VALU_DEP_1)
	v_dual_mov_b32 v12, v10 :: v_dual_mov_b32 v11, v9
.LBB487_29:
	s_wait_alu 0xfffe
	s_or_b32 exec_lo, exec_lo, s1
	s_wait_dscnt 0x1
	v_or_b32_e32 v9, 31, v0
	s_mov_b32 s1, exec_lo
	s_delay_alu instid0(VALU_DEP_1)
	v_cmpx_eq_u32_e64 v0, v9
; %bb.30:
	v_lshlrev_b32_e32 v9, 3, v28
	ds_store_b64 v9, v[11:12]
; %bb.31:
	s_wait_alu 0xfffe
	s_or_b32 exec_lo, exec_lo, s1
	s_delay_alu instid0(SALU_CYCLE_1)
	s_mov_b32 s1, exec_lo
	s_wait_loadcnt_dscnt 0x0
	s_barrier_signal -1
	s_barrier_wait -1
	global_inv scope:SCOPE_SE
	v_cmpx_gt_u32_e32 8, v0
	s_cbranch_execz .LBB487_39
; %bb.32:
	v_lshlrev_b32_e32 v9, 3, v0
	s_mov_b32 s3, exec_lo
	ds_load_b64 v[11:12], v9
	s_wait_dscnt 0x0
	v_dual_mov_b32 v15, v11 :: v_dual_and_b32 v14, 7, v33
	v_mov_b32_dpp v21, v11 row_shr:1 row_mask:0xf bank_mask:0xf
	v_mov_b32_dpp v16, v12 row_shr:1 row_mask:0xf bank_mask:0xf
	s_delay_alu instid0(VALU_DEP_3)
	v_cmpx_ne_u32_e32 0, v14
; %bb.33:
	s_delay_alu instid0(VALU_DEP_3) | instskip(SKIP_2) | instid1(VALU_DEP_2)
	v_add_co_u32 v15, vcc_lo, v11, v21
	s_wait_alu 0xfffd
	v_add_co_ci_u32_e64 v12, null, 0, v12, vcc_lo
	v_add_co_u32 v11, vcc_lo, 0, v15
	s_wait_alu 0xfffd
	s_delay_alu instid0(VALU_DEP_2)
	v_add_co_ci_u32_e64 v12, null, v16, v12, vcc_lo
; %bb.34:
	s_wait_alu 0xfffe
	s_or_b32 exec_lo, exec_lo, s3
	v_mov_b32_dpp v21, v15 row_shr:2 row_mask:0xf bank_mask:0xf
	s_delay_alu instid0(VALU_DEP_2)
	v_mov_b32_dpp v16, v12 row_shr:2 row_mask:0xf bank_mask:0xf
	s_mov_b32 s3, exec_lo
	v_cmpx_lt_u32_e32 1, v14
; %bb.35:
	s_delay_alu instid0(VALU_DEP_3) | instskip(SKIP_2) | instid1(VALU_DEP_2)
	v_add_co_u32 v15, vcc_lo, v11, v21
	s_wait_alu 0xfffd
	v_add_co_ci_u32_e64 v12, null, 0, v12, vcc_lo
	v_add_co_u32 v11, vcc_lo, 0, v15
	s_wait_alu 0xfffd
	s_delay_alu instid0(VALU_DEP_2)
	v_add_co_ci_u32_e64 v12, null, v16, v12, vcc_lo
; %bb.36:
	s_wait_alu 0xfffe
	s_or_b32 exec_lo, exec_lo, s3
	v_mov_b32_dpp v16, v15 row_shr:4 row_mask:0xf bank_mask:0xf
	s_delay_alu instid0(VALU_DEP_2)
	v_mov_b32_dpp v15, v12 row_shr:4 row_mask:0xf bank_mask:0xf
	s_mov_b32 s3, exec_lo
	v_cmpx_lt_u32_e32 3, v14
; %bb.37:
	s_delay_alu instid0(VALU_DEP_3) | instskip(SKIP_2) | instid1(VALU_DEP_2)
	v_add_co_u32 v11, vcc_lo, v11, v16
	s_wait_alu 0xfffd
	v_add_co_ci_u32_e64 v12, null, 0, v12, vcc_lo
	v_add_co_u32 v11, vcc_lo, v11, 0
	s_wait_alu 0xfffd
	s_delay_alu instid0(VALU_DEP_2)
	v_add_co_ci_u32_e64 v12, null, v12, v15, vcc_lo
; %bb.38:
	s_wait_alu 0xfffe
	s_or_b32 exec_lo, exec_lo, s3
	ds_store_b64 v9, v[11:12]
.LBB487_39:
	s_wait_alu 0xfffe
	s_or_b32 exec_lo, exec_lo, s1
	s_delay_alu instid0(SALU_CYCLE_1)
	s_mov_b32 s3, exec_lo
	v_cmp_gt_u32_e32 vcc_lo, 32, v0
	s_wait_loadcnt_dscnt 0x0
	s_barrier_signal -1
	s_barrier_wait -1
	global_inv scope:SCOPE_SE
                                        ; implicit-def: $vgpr21_vgpr22
	v_cmpx_lt_u32_e32 31, v0
	s_cbranch_execz .LBB487_41
; %bb.40:
	v_lshl_add_u32 v9, v28, 3, -8
	ds_load_b64 v[21:22], v9
	s_wait_dscnt 0x0
	v_add_co_u32 v13, s1, v13, v21
	s_wait_alu 0xf1ff
	v_add_co_ci_u32_e64 v10, null, v10, v22, s1
.LBB487_41:
	s_wait_alu 0xfffe
	s_or_b32 exec_lo, exec_lo, s3
	v_sub_co_u32 v9, s1, v33, 1
	s_delay_alu instid0(VALU_DEP_1) | instskip(SKIP_1) | instid1(VALU_DEP_1)
	v_cmp_gt_i32_e64 s3, 0, v9
	s_wait_alu 0xf1ff
	v_cndmask_b32_e64 v9, v9, v33, s3
	s_delay_alu instid0(VALU_DEP_1)
	v_lshlrev_b32_e32 v9, 2, v9
	ds_bpermute_b32 v35, v9, v13
	ds_bpermute_b32 v36, v9, v10
	s_and_saveexec_b32 s3, vcc_lo
	s_cbranch_execz .LBB487_80
; %bb.42:
	v_mov_b32_e32 v12, 0
	ds_load_b64 v[9:10], v12 offset:56
	s_and_saveexec_b32 s6, s1
	s_cbranch_execz .LBB487_44
; %bb.43:
	s_add_co_i32 s8, s21, 32
	s_mov_b32 s9, 0
	s_wait_alu 0xfffe
	s_lshl_b64 s[8:9], s[8:9], 4
	s_wait_alu 0xfffe
	s_add_nc_u64 s[8:9], s[14:15], s[8:9]
	s_wait_alu 0xfffe
	v_dual_mov_b32 v11, 1 :: v_dual_mov_b32 v14, s9
	v_mov_b32_e32 v13, s8
	s_wait_dscnt 0x0
	;;#ASMSTART
	global_store_b128 v[13:14], v[9:12] off scope:SCOPE_DEV	
s_wait_storecnt 0x0
	;;#ASMEND
.LBB487_44:
	s_or_b32 exec_lo, exec_lo, s6
	v_xad_u32 v23, v33, -1, s21
	s_mov_b32 s7, 0
	s_mov_b32 s6, exec_lo
	s_delay_alu instid0(VALU_DEP_1) | instskip(NEXT) | instid1(VALU_DEP_1)
	v_add_nc_u32_e32 v11, 32, v23
	v_lshlrev_b64_e32 v[11:12], 4, v[11:12]
	s_delay_alu instid0(VALU_DEP_1) | instskip(SKIP_1) | instid1(VALU_DEP_2)
	v_add_co_u32 v11, vcc_lo, s14, v11
	s_wait_alu 0xfffd
	v_add_co_ci_u32_e64 v12, null, s15, v12, vcc_lo
	;;#ASMSTART
	global_load_b128 v[13:16], v[11:12] off scope:SCOPE_DEV	
s_wait_loadcnt 0x0
	;;#ASMEND
	v_and_b32_e32 v16, 0xff, v15
	s_delay_alu instid0(VALU_DEP_1)
	v_cmpx_eq_u16_e32 0, v16
	s_cbranch_execz .LBB487_47
.LBB487_45:                             ; =>This Inner Loop Header: Depth=1
	;;#ASMSTART
	global_load_b128 v[13:16], v[11:12] off scope:SCOPE_DEV	
s_wait_loadcnt 0x0
	;;#ASMEND
	v_and_b32_e32 v16, 0xff, v15
	s_delay_alu instid0(VALU_DEP_1) | instskip(SKIP_1) | instid1(SALU_CYCLE_1)
	v_cmp_ne_u16_e32 vcc_lo, 0, v16
	s_or_b32 s7, vcc_lo, s7
	s_and_not1_b32 exec_lo, exec_lo, s7
	s_cbranch_execnz .LBB487_45
; %bb.46:
	s_or_b32 exec_lo, exec_lo, s7
.LBB487_47:
	s_delay_alu instid0(SALU_CYCLE_1)
	s_or_b32 exec_lo, exec_lo, s6
	v_cmp_ne_u32_e32 vcc_lo, 31, v33
	v_and_b32_e32 v12, 0xff, v15
	v_lshlrev_b32_e64 v38, v33, -1
	s_mov_b32 s6, exec_lo
	s_wait_alu 0xfffd
	v_add_co_ci_u32_e64 v11, null, 0, v33, vcc_lo
	v_cmp_eq_u16_e32 vcc_lo, 2, v12
	s_delay_alu instid0(VALU_DEP_2)
	v_dual_mov_b32 v12, v13 :: v_dual_lshlrev_b32 v37, 2, v11
	s_wait_alu 0xfffd
	v_and_or_b32 v11, vcc_lo, v38, 0x80000000
	ds_bpermute_b32 v24, v37, v13
	ds_bpermute_b32 v16, v37, v14
	v_ctz_i32_b32_e32 v11, v11
	s_delay_alu instid0(VALU_DEP_1)
	v_cmpx_lt_u32_e64 v33, v11
	s_cbranch_execz .LBB487_49
; %bb.48:
	s_wait_dscnt 0x1
	v_add_co_u32 v12, vcc_lo, v13, v24
	s_wait_alu 0xfffd
	v_add_co_ci_u32_e64 v14, null, 0, v14, vcc_lo
	s_delay_alu instid0(VALU_DEP_2) | instskip(SKIP_2) | instid1(VALU_DEP_2)
	v_add_co_u32 v13, vcc_lo, 0, v12
	s_wait_dscnt 0x0
	s_wait_alu 0xfffd
	v_add_co_ci_u32_e64 v14, null, v16, v14, vcc_lo
.LBB487_49:
	s_or_b32 exec_lo, exec_lo, s6
	v_cmp_gt_u32_e32 vcc_lo, 30, v33
	v_add_nc_u32_e32 v40, 2, v33
	s_mov_b32 s6, exec_lo
	s_wait_dscnt 0x0
	s_wait_alu 0xfffd
	v_cndmask_b32_e64 v16, 0, 2, vcc_lo
	s_delay_alu instid0(VALU_DEP_1)
	v_add_lshl_u32 v39, v16, v33, 2
	ds_bpermute_b32 v24, v39, v12
	ds_bpermute_b32 v16, v39, v14
	v_cmpx_le_u32_e64 v40, v11
	s_cbranch_execz .LBB487_51
; %bb.50:
	s_wait_dscnt 0x1
	v_add_co_u32 v12, vcc_lo, v13, v24
	s_wait_alu 0xfffd
	v_add_co_ci_u32_e64 v14, null, 0, v14, vcc_lo
	s_delay_alu instid0(VALU_DEP_2) | instskip(SKIP_2) | instid1(VALU_DEP_2)
	v_add_co_u32 v13, vcc_lo, 0, v12
	s_wait_dscnt 0x0
	s_wait_alu 0xfffd
	v_add_co_ci_u32_e64 v14, null, v16, v14, vcc_lo
.LBB487_51:
	s_or_b32 exec_lo, exec_lo, s6
	v_cmp_gt_u32_e32 vcc_lo, 28, v33
	v_add_nc_u32_e32 v42, 4, v33
	s_mov_b32 s6, exec_lo
	s_wait_dscnt 0x0
	s_wait_alu 0xfffd
	v_cndmask_b32_e64 v16, 0, 4, vcc_lo
	s_delay_alu instid0(VALU_DEP_1)
	v_add_lshl_u32 v41, v16, v33, 2
	ds_bpermute_b32 v24, v41, v12
	ds_bpermute_b32 v16, v41, v14
	v_cmpx_le_u32_e64 v42, v11
	;; [unrolled: 24-line block ×3, first 2 shown]
	s_cbranch_execz .LBB487_55
; %bb.54:
	s_wait_dscnt 0x1
	v_add_co_u32 v12, vcc_lo, v13, v24
	s_wait_alu 0xfffd
	v_add_co_ci_u32_e64 v14, null, 0, v14, vcc_lo
	s_delay_alu instid0(VALU_DEP_2) | instskip(SKIP_2) | instid1(VALU_DEP_2)
	v_add_co_u32 v13, vcc_lo, 0, v12
	s_wait_dscnt 0x0
	s_wait_alu 0xfffd
	v_add_co_ci_u32_e64 v14, null, v16, v14, vcc_lo
.LBB487_55:
	s_or_b32 exec_lo, exec_lo, s6
	v_lshl_or_b32 v45, v33, 2, 64
	v_add_nc_u32_e32 v46, 16, v33
	s_mov_b32 s6, exec_lo
	s_wait_dscnt 0x0
	ds_bpermute_b32 v16, v45, v12
	ds_bpermute_b32 v12, v45, v14
	v_cmpx_le_u32_e64 v46, v11
	s_cbranch_execz .LBB487_57
; %bb.56:
	s_wait_dscnt 0x1
	v_add_co_u32 v11, vcc_lo, v13, v16
	s_wait_alu 0xfffd
	v_add_co_ci_u32_e64 v14, null, 0, v14, vcc_lo
	s_delay_alu instid0(VALU_DEP_2) | instskip(SKIP_2) | instid1(VALU_DEP_2)
	v_add_co_u32 v13, vcc_lo, v11, 0
	s_wait_dscnt 0x0
	s_wait_alu 0xfffd
	v_add_co_ci_u32_e64 v14, null, v14, v12, vcc_lo
.LBB487_57:
	s_or_b32 exec_lo, exec_lo, s6
	v_mov_b32_e32 v24, 0
	s_branch .LBB487_60
.LBB487_58:                             ;   in Loop: Header=BB487_60 Depth=1
	s_or_b32 exec_lo, exec_lo, s6
	v_add_co_u32 v13, vcc_lo, v13, v11
	v_subrev_nc_u32_e32 v23, 32, v23
	s_wait_alu 0xfffd
	v_add_co_ci_u32_e64 v14, null, v14, v12, vcc_lo
	s_mov_b32 s6, 0
.LBB487_59:                             ;   in Loop: Header=BB487_60 Depth=1
	s_delay_alu instid0(SALU_CYCLE_1)
	s_and_b32 vcc_lo, exec_lo, s6
	s_wait_alu 0xfffe
	s_cbranch_vccnz .LBB487_76
.LBB487_60:                             ; =>This Loop Header: Depth=1
                                        ;     Child Loop BB487_63 Depth 2
	v_and_b32_e32 v11, 0xff, v15
	s_mov_b32 s6, -1
	s_delay_alu instid0(VALU_DEP_1)
	v_cmp_ne_u16_e32 vcc_lo, 2, v11
	s_wait_dscnt 0x0
	v_dual_mov_b32 v11, v13 :: v_dual_mov_b32 v12, v14
                                        ; implicit-def: $vgpr13_vgpr14
	s_cmp_lg_u32 vcc_lo, exec_lo
	s_cbranch_scc1 .LBB487_59
; %bb.61:                               ;   in Loop: Header=BB487_60 Depth=1
	v_lshlrev_b64_e32 v[13:14], 4, v[23:24]
	s_mov_b32 s6, exec_lo
	s_delay_alu instid0(VALU_DEP_1) | instskip(SKIP_1) | instid1(VALU_DEP_2)
	v_add_co_u32 v25, vcc_lo, s14, v13
	s_wait_alu 0xfffd
	v_add_co_ci_u32_e64 v26, null, s15, v14, vcc_lo
	;;#ASMSTART
	global_load_b128 v[13:16], v[25:26] off scope:SCOPE_DEV	
s_wait_loadcnt 0x0
	;;#ASMEND
	v_and_b32_e32 v16, 0xff, v15
	s_delay_alu instid0(VALU_DEP_1)
	v_cmpx_eq_u16_e32 0, v16
	s_cbranch_execz .LBB487_65
; %bb.62:                               ;   in Loop: Header=BB487_60 Depth=1
	s_mov_b32 s7, 0
.LBB487_63:                             ;   Parent Loop BB487_60 Depth=1
                                        ; =>  This Inner Loop Header: Depth=2
	;;#ASMSTART
	global_load_b128 v[13:16], v[25:26] off scope:SCOPE_DEV	
s_wait_loadcnt 0x0
	;;#ASMEND
	v_and_b32_e32 v16, 0xff, v15
	s_delay_alu instid0(VALU_DEP_1) | instskip(SKIP_1) | instid1(SALU_CYCLE_1)
	v_cmp_ne_u16_e32 vcc_lo, 0, v16
	s_or_b32 s7, vcc_lo, s7
	s_and_not1_b32 exec_lo, exec_lo, s7
	s_cbranch_execnz .LBB487_63
; %bb.64:                               ;   in Loop: Header=BB487_60 Depth=1
	s_or_b32 exec_lo, exec_lo, s7
.LBB487_65:                             ;   in Loop: Header=BB487_60 Depth=1
	s_delay_alu instid0(SALU_CYCLE_1)
	s_or_b32 exec_lo, exec_lo, s6
	v_dual_mov_b32 v25, v13 :: v_dual_and_b32 v16, 0xff, v15
	ds_bpermute_b32 v47, v37, v13
	ds_bpermute_b32 v26, v37, v14
	s_mov_b32 s6, exec_lo
	v_cmp_eq_u16_e32 vcc_lo, 2, v16
	s_wait_alu 0xfffd
	v_and_or_b32 v16, vcc_lo, v38, 0x80000000
	s_delay_alu instid0(VALU_DEP_1) | instskip(NEXT) | instid1(VALU_DEP_1)
	v_ctz_i32_b32_e32 v16, v16
	v_cmpx_lt_u32_e64 v33, v16
	s_cbranch_execz .LBB487_67
; %bb.66:                               ;   in Loop: Header=BB487_60 Depth=1
	s_wait_dscnt 0x1
	v_add_co_u32 v25, vcc_lo, v13, v47
	s_wait_alu 0xfffd
	v_add_co_ci_u32_e64 v14, null, 0, v14, vcc_lo
	s_delay_alu instid0(VALU_DEP_2) | instskip(SKIP_2) | instid1(VALU_DEP_2)
	v_add_co_u32 v13, vcc_lo, 0, v25
	s_wait_dscnt 0x0
	s_wait_alu 0xfffd
	v_add_co_ci_u32_e64 v14, null, v26, v14, vcc_lo
.LBB487_67:                             ;   in Loop: Header=BB487_60 Depth=1
	s_or_b32 exec_lo, exec_lo, s6
	s_wait_dscnt 0x1
	ds_bpermute_b32 v47, v39, v25
	s_wait_dscnt 0x1
	ds_bpermute_b32 v26, v39, v14
	s_mov_b32 s6, exec_lo
	v_cmpx_le_u32_e64 v40, v16
	s_cbranch_execz .LBB487_69
; %bb.68:                               ;   in Loop: Header=BB487_60 Depth=1
	s_wait_dscnt 0x1
	v_add_co_u32 v25, vcc_lo, v13, v47
	s_wait_alu 0xfffd
	v_add_co_ci_u32_e64 v14, null, 0, v14, vcc_lo
	s_delay_alu instid0(VALU_DEP_2) | instskip(SKIP_2) | instid1(VALU_DEP_2)
	v_add_co_u32 v13, vcc_lo, 0, v25
	s_wait_dscnt 0x0
	s_wait_alu 0xfffd
	v_add_co_ci_u32_e64 v14, null, v26, v14, vcc_lo
.LBB487_69:                             ;   in Loop: Header=BB487_60 Depth=1
	s_or_b32 exec_lo, exec_lo, s6
	s_wait_dscnt 0x1
	ds_bpermute_b32 v47, v41, v25
	s_wait_dscnt 0x1
	ds_bpermute_b32 v26, v41, v14
	s_mov_b32 s6, exec_lo
	v_cmpx_le_u32_e64 v42, v16
	;; [unrolled: 19-line block ×3, first 2 shown]
	s_cbranch_execz .LBB487_73
; %bb.72:                               ;   in Loop: Header=BB487_60 Depth=1
	s_wait_dscnt 0x1
	v_add_co_u32 v25, vcc_lo, v13, v47
	s_wait_alu 0xfffd
	v_add_co_ci_u32_e64 v14, null, 0, v14, vcc_lo
	s_delay_alu instid0(VALU_DEP_2) | instskip(SKIP_2) | instid1(VALU_DEP_2)
	v_add_co_u32 v13, vcc_lo, 0, v25
	s_wait_dscnt 0x0
	s_wait_alu 0xfffd
	v_add_co_ci_u32_e64 v14, null, v26, v14, vcc_lo
.LBB487_73:                             ;   in Loop: Header=BB487_60 Depth=1
	s_or_b32 exec_lo, exec_lo, s6
	s_wait_dscnt 0x0
	ds_bpermute_b32 v26, v45, v25
	ds_bpermute_b32 v25, v45, v14
	s_mov_b32 s6, exec_lo
	v_cmpx_le_u32_e64 v46, v16
	s_cbranch_execz .LBB487_58
; %bb.74:                               ;   in Loop: Header=BB487_60 Depth=1
	s_wait_dscnt 0x1
	v_add_co_u32 v13, vcc_lo, v13, v26
	s_wait_alu 0xfffd
	v_add_co_ci_u32_e64 v14, null, 0, v14, vcc_lo
	s_delay_alu instid0(VALU_DEP_2) | instskip(SKIP_2) | instid1(VALU_DEP_2)
	v_add_co_u32 v13, vcc_lo, v13, 0
	s_wait_dscnt 0x0
	s_wait_alu 0xfffd
	v_add_co_ci_u32_e64 v14, null, v14, v25, vcc_lo
	s_branch .LBB487_58
.LBB487_75:
                                        ; implicit-def: $vgpr15_vgpr16
                                        ; implicit-def: $vgpr13_vgpr14
                                        ; implicit-def: $vgpr21_vgpr22
                                        ; implicit-def: $vgpr23_vgpr24
                                        ; implicit-def: $vgpr11_vgpr12
	s_wait_alu 0xfffe
	s_and_b32 vcc_lo, exec_lo, s1
	s_wait_alu 0xfffe
	s_cbranch_vccnz .LBB487_81
	s_branch .LBB487_106
.LBB487_76:
	s_and_saveexec_b32 s6, s1
	s_cbranch_execz .LBB487_78
; %bb.77:
	s_add_co_i32 s8, s21, 32
	s_mov_b32 s9, 0
	v_add_co_u32 v13, vcc_lo, v11, v9
	s_wait_alu 0xfffe
	s_lshl_b64 s[8:9], s[8:9], 4
	v_dual_mov_b32 v15, 2 :: v_dual_mov_b32 v16, 0
	s_wait_alu 0xfffe
	s_add_nc_u64 s[8:9], s[14:15], s[8:9]
	s_wait_alu 0xfffd
	v_add_co_ci_u32_e64 v14, null, v12, v10, vcc_lo
	s_wait_alu 0xfffe
	v_dual_mov_b32 v24, s9 :: v_dual_mov_b32 v23, s8
	;;#ASMSTART
	global_store_b128 v[23:24], v[13:16] off scope:SCOPE_DEV	
s_wait_storecnt 0x0
	;;#ASMEND
	ds_store_b128 v16, v[9:12] offset:8448
.LBB487_78:
	s_or_b32 exec_lo, exec_lo, s6
	s_delay_alu instid0(SALU_CYCLE_1)
	s_and_b32 exec_lo, exec_lo, s2
; %bb.79:
	v_mov_b32_e32 v9, 0
	ds_store_b64 v9, v[11:12] offset:56
.LBB487_80:
	s_wait_alu 0xfffe
	s_or_b32 exec_lo, exec_lo, s3
	v_mov_b32_e32 v9, 0
	s_wait_loadcnt_dscnt 0x0
	s_barrier_signal -1
	s_barrier_wait -1
	global_inv scope:SCOPE_SE
	ds_load_b64 v[13:14], v9 offset:56
	v_cndmask_b32_e64 v11, v35, v21, s1
	v_cndmask_b32_e64 v10, v36, v22, s1
	s_wait_loadcnt_dscnt 0x0
	s_barrier_signal -1
	s_barrier_wait -1
	v_cndmask_b32_e64 v16, v11, 0, s2
	v_cndmask_b32_e64 v15, v10, 0, s2
	global_inv scope:SCOPE_SE
	ds_load_b128 v[9:12], v9 offset:8448
	v_add_co_u32 v23, vcc_lo, v13, v16
	s_wait_alu 0xfffd
	v_add_co_ci_u32_e64 v24, null, v14, v15, vcc_lo
	s_delay_alu instid0(VALU_DEP_2) | instskip(SKIP_1) | instid1(VALU_DEP_2)
	v_add_co_u32 v21, vcc_lo, v23, v32
	s_wait_alu 0xfffd
	v_add_co_ci_u32_e64 v22, null, 0, v24, vcc_lo
	s_delay_alu instid0(VALU_DEP_2) | instskip(SKIP_1) | instid1(VALU_DEP_2)
	;; [unrolled: 4-line block ×3, first 2 shown]
	v_add_co_u32 v15, vcc_lo, v13, v30
	s_wait_alu 0xfffd
	v_add_co_ci_u32_e64 v16, null, 0, v14, vcc_lo
	s_branch .LBB487_106
.LBB487_81:
	s_wait_dscnt 0x0
	v_dual_mov_b32 v10, 0 :: v_dual_mov_b32 v11, v19
	v_mov_b32_dpp v12, v19 row_shr:1 row_mask:0xf bank_mask:0xf
	s_delay_alu instid0(VALU_DEP_2)
	v_mov_b32_dpp v9, v10 row_shr:1 row_mask:0xf bank_mask:0xf
	s_and_saveexec_b32 s1, s0
; %bb.82:
	s_delay_alu instid0(VALU_DEP_2) | instskip(SKIP_2) | instid1(VALU_DEP_2)
	v_add_co_u32 v11, vcc_lo, v19, v12
	s_wait_alu 0xfffd
	v_add_co_ci_u32_e64 v10, null, 0, v20, vcc_lo
	v_add_co_u32 v19, vcc_lo, 0, v11
	s_wait_alu 0xfffd
	s_delay_alu instid0(VALU_DEP_2) | instskip(NEXT) | instid1(VALU_DEP_1)
	v_add_co_ci_u32_e64 v20, null, v9, v10, vcc_lo
	v_mov_b32_e32 v10, v20
; %bb.83:
	s_wait_alu 0xfffe
	s_or_b32 exec_lo, exec_lo, s1
	v_mov_b32_dpp v9, v11 row_shr:2 row_mask:0xf bank_mask:0xf
	s_delay_alu instid0(VALU_DEP_2)
	v_mov_b32_dpp v12, v10 row_shr:2 row_mask:0xf bank_mask:0xf
	s_mov_b32 s0, exec_lo
	v_cmpx_lt_u32_e32 1, v34
; %bb.84:
	s_delay_alu instid0(VALU_DEP_3) | instskip(SKIP_2) | instid1(VALU_DEP_2)
	v_add_co_u32 v11, vcc_lo, v19, v9
	s_wait_alu 0xfffd
	v_add_co_ci_u32_e64 v10, null, 0, v20, vcc_lo
	v_add_co_u32 v9, vcc_lo, 0, v11
	s_wait_alu 0xfffd
	s_delay_alu instid0(VALU_DEP_2) | instskip(NEXT) | instid1(VALU_DEP_1)
	v_add_co_ci_u32_e64 v10, null, v12, v10, vcc_lo
	v_dual_mov_b32 v20, v10 :: v_dual_mov_b32 v19, v9
; %bb.85:
	s_wait_alu 0xfffe
	s_or_b32 exec_lo, exec_lo, s0
	v_mov_b32_dpp v9, v11 row_shr:4 row_mask:0xf bank_mask:0xf
	v_mov_b32_dpp v12, v10 row_shr:4 row_mask:0xf bank_mask:0xf
	s_mov_b32 s0, exec_lo
	v_cmpx_lt_u32_e32 3, v34
; %bb.86:
	s_delay_alu instid0(VALU_DEP_3) | instskip(SKIP_2) | instid1(VALU_DEP_2)
	v_add_co_u32 v11, vcc_lo, v19, v9
	s_wait_alu 0xfffd
	v_add_co_ci_u32_e64 v10, null, 0, v20, vcc_lo
	v_add_co_u32 v9, vcc_lo, 0, v11
	s_wait_alu 0xfffd
	s_delay_alu instid0(VALU_DEP_2) | instskip(NEXT) | instid1(VALU_DEP_1)
	v_add_co_ci_u32_e64 v10, null, v12, v10, vcc_lo
	v_dual_mov_b32 v20, v10 :: v_dual_mov_b32 v19, v9
; %bb.87:
	s_wait_alu 0xfffe
	s_or_b32 exec_lo, exec_lo, s0
	v_mov_b32_dpp v12, v11 row_shr:8 row_mask:0xf bank_mask:0xf
	v_mov_b32_dpp v9, v10 row_shr:8 row_mask:0xf bank_mask:0xf
	s_mov_b32 s0, exec_lo
	v_cmpx_lt_u32_e32 7, v34
; %bb.88:
	s_delay_alu instid0(VALU_DEP_3) | instskip(SKIP_2) | instid1(VALU_DEP_2)
	v_add_co_u32 v11, vcc_lo, v19, v12
	s_wait_alu 0xfffd
	v_add_co_ci_u32_e64 v10, null, 0, v20, vcc_lo
	v_add_co_u32 v19, vcc_lo, 0, v11
	s_wait_alu 0xfffd
	s_delay_alu instid0(VALU_DEP_2) | instskip(NEXT) | instid1(VALU_DEP_1)
	v_add_co_ci_u32_e64 v20, null, v9, v10, vcc_lo
	v_mov_b32_e32 v10, v20
; %bb.89:
	s_wait_alu 0xfffe
	s_or_b32 exec_lo, exec_lo, s0
	ds_swizzle_b32 v11, v11 offset:swizzle(BROADCAST,32,15)
	ds_swizzle_b32 v9, v10 offset:swizzle(BROADCAST,32,15)
	v_and_b32_e32 v10, 16, v33
	s_mov_b32 s0, exec_lo
	s_delay_alu instid0(VALU_DEP_1)
	v_cmpx_ne_u32_e32 0, v10
	s_cbranch_execz .LBB487_91
; %bb.90:
	s_wait_dscnt 0x1
	v_add_co_u32 v10, vcc_lo, v19, v11
	s_wait_alu 0xfffd
	v_add_co_ci_u32_e64 v11, null, 0, v20, vcc_lo
	s_delay_alu instid0(VALU_DEP_2) | instskip(SKIP_2) | instid1(VALU_DEP_2)
	v_add_co_u32 v19, vcc_lo, v10, 0
	s_wait_dscnt 0x0
	s_wait_alu 0xfffd
	v_add_co_ci_u32_e64 v20, null, v11, v9, vcc_lo
.LBB487_91:
	s_wait_alu 0xfffe
	s_or_b32 exec_lo, exec_lo, s0
	s_wait_dscnt 0x0
	v_or_b32_e32 v9, 31, v0
	s_mov_b32 s0, exec_lo
	s_delay_alu instid0(VALU_DEP_1)
	v_cmpx_eq_u32_e64 v0, v9
; %bb.92:
	v_lshlrev_b32_e32 v9, 3, v28
	ds_store_b64 v9, v[19:20]
; %bb.93:
	s_wait_alu 0xfffe
	s_or_b32 exec_lo, exec_lo, s0
	s_delay_alu instid0(SALU_CYCLE_1)
	s_mov_b32 s0, exec_lo
	s_wait_loadcnt_dscnt 0x0
	s_barrier_signal -1
	s_barrier_wait -1
	global_inv scope:SCOPE_SE
	v_cmpx_gt_u32_e32 8, v0
	s_cbranch_execz .LBB487_101
; %bb.94:
	v_lshlrev_b32_e32 v11, 3, v0
	s_mov_b32 s1, exec_lo
	ds_load_b64 v[9:10], v11
	s_wait_dscnt 0x0
	v_dual_mov_b32 v13, v9 :: v_dual_and_b32 v12, 7, v33
	v_mov_b32_dpp v15, v9 row_shr:1 row_mask:0xf bank_mask:0xf
	v_mov_b32_dpp v14, v10 row_shr:1 row_mask:0xf bank_mask:0xf
	s_delay_alu instid0(VALU_DEP_3)
	v_cmpx_ne_u32_e32 0, v12
; %bb.95:
	s_delay_alu instid0(VALU_DEP_3) | instskip(SKIP_2) | instid1(VALU_DEP_2)
	v_add_co_u32 v13, vcc_lo, v9, v15
	s_wait_alu 0xfffd
	v_add_co_ci_u32_e64 v10, null, 0, v10, vcc_lo
	v_add_co_u32 v9, vcc_lo, 0, v13
	s_wait_alu 0xfffd
	s_delay_alu instid0(VALU_DEP_2)
	v_add_co_ci_u32_e64 v10, null, v14, v10, vcc_lo
; %bb.96:
	s_wait_alu 0xfffe
	s_or_b32 exec_lo, exec_lo, s1
	v_mov_b32_dpp v15, v13 row_shr:2 row_mask:0xf bank_mask:0xf
	s_delay_alu instid0(VALU_DEP_2)
	v_mov_b32_dpp v14, v10 row_shr:2 row_mask:0xf bank_mask:0xf
	s_mov_b32 s1, exec_lo
	v_cmpx_lt_u32_e32 1, v12
; %bb.97:
	s_delay_alu instid0(VALU_DEP_3) | instskip(SKIP_2) | instid1(VALU_DEP_2)
	v_add_co_u32 v13, vcc_lo, v9, v15
	s_wait_alu 0xfffd
	v_add_co_ci_u32_e64 v10, null, 0, v10, vcc_lo
	v_add_co_u32 v9, vcc_lo, 0, v13
	s_wait_alu 0xfffd
	s_delay_alu instid0(VALU_DEP_2)
	v_add_co_ci_u32_e64 v10, null, v14, v10, vcc_lo
; %bb.98:
	s_wait_alu 0xfffe
	s_or_b32 exec_lo, exec_lo, s1
	v_mov_b32_dpp v14, v13 row_shr:4 row_mask:0xf bank_mask:0xf
	s_delay_alu instid0(VALU_DEP_2)
	v_mov_b32_dpp v13, v10 row_shr:4 row_mask:0xf bank_mask:0xf
	s_mov_b32 s1, exec_lo
	v_cmpx_lt_u32_e32 3, v12
; %bb.99:
	s_delay_alu instid0(VALU_DEP_3) | instskip(SKIP_2) | instid1(VALU_DEP_2)
	v_add_co_u32 v9, vcc_lo, v9, v14
	s_wait_alu 0xfffd
	v_add_co_ci_u32_e64 v10, null, 0, v10, vcc_lo
	v_add_co_u32 v9, vcc_lo, v9, 0
	s_wait_alu 0xfffd
	s_delay_alu instid0(VALU_DEP_2)
	v_add_co_ci_u32_e64 v10, null, v10, v13, vcc_lo
; %bb.100:
	s_wait_alu 0xfffe
	s_or_b32 exec_lo, exec_lo, s1
	ds_store_b64 v11, v[9:10]
.LBB487_101:
	s_wait_alu 0xfffe
	s_or_b32 exec_lo, exec_lo, s0
	v_mov_b32_e32 v13, 0
	v_mov_b32_e32 v14, 0
	s_mov_b32 s0, exec_lo
	s_wait_loadcnt_dscnt 0x0
	s_barrier_signal -1
	s_barrier_wait -1
	global_inv scope:SCOPE_SE
	v_cmpx_lt_u32_e32 31, v0
; %bb.102:
	v_lshl_add_u32 v9, v28, 3, -8
	ds_load_b64 v[13:14], v9
; %bb.103:
	s_wait_alu 0xfffe
	s_or_b32 exec_lo, exec_lo, s0
	v_sub_co_u32 v9, vcc_lo, v33, 1
	v_mov_b32_e32 v12, 0
	s_delay_alu instid0(VALU_DEP_2) | instskip(SKIP_1) | instid1(VALU_DEP_1)
	v_cmp_gt_i32_e64 s0, 0, v9
	s_wait_alu 0xf1ff
	v_cndmask_b32_e64 v9, v9, v33, s0
	s_wait_dscnt 0x0
	v_add_co_u32 v10, s0, v13, v19
	s_wait_alu 0xf1ff
	v_add_co_ci_u32_e64 v11, null, v14, v20, s0
	v_lshlrev_b32_e32 v9, 2, v9
	ds_bpermute_b32 v15, v9, v10
	ds_bpermute_b32 v16, v9, v11
	ds_load_b64 v[9:10], v12 offset:56
	s_and_saveexec_b32 s0, s2
	s_cbranch_execz .LBB487_105
; %bb.104:
	s_add_nc_u64 s[6:7], s[14:15], 0x200
	s_delay_alu instid0(SALU_CYCLE_1)
	v_dual_mov_b32 v11, 2 :: v_dual_mov_b32 v20, s7
	v_mov_b32_e32 v19, s6
	s_wait_dscnt 0x0
	;;#ASMSTART
	global_store_b128 v[19:20], v[9:12] off scope:SCOPE_DEV	
s_wait_storecnt 0x0
	;;#ASMEND
.LBB487_105:
	s_wait_alu 0xfffe
	s_or_b32 exec_lo, exec_lo, s0
	s_wait_dscnt 0x1
	s_wait_alu 0xfffd
	v_dual_cndmask_b32 v11, v15, v13 :: v_dual_cndmask_b32 v12, v16, v14
	s_wait_loadcnt_dscnt 0x0
	s_barrier_signal -1
	s_barrier_wait -1
	s_delay_alu instid0(VALU_DEP_1)
	v_cndmask_b32_e64 v23, v11, 0, s2
	v_cndmask_b32_e64 v24, v12, 0, s2
	v_mov_b32_e32 v11, 0
	v_mov_b32_e32 v12, 0
	global_inv scope:SCOPE_SE
	v_add_co_u32 v21, vcc_lo, v23, v32
	s_wait_alu 0xfffd
	v_add_co_ci_u32_e64 v22, null, 0, v24, vcc_lo
	s_delay_alu instid0(VALU_DEP_2) | instskip(SKIP_1) | instid1(VALU_DEP_2)
	v_add_co_u32 v13, vcc_lo, v21, v31
	s_wait_alu 0xfffd
	v_add_co_ci_u32_e64 v14, null, 0, v22, vcc_lo
	s_delay_alu instid0(VALU_DEP_2) | instskip(SKIP_1) | instid1(VALU_DEP_2)
	v_add_co_u32 v15, vcc_lo, v13, v30
	s_wait_alu 0xfffd
	v_add_co_ci_u32_e64 v16, null, 0, v14, vcc_lo
.LBB487_106:
	v_and_b32_e32 v28, 1, v29
	s_wait_dscnt 0x0
	v_cmp_gt_u64_e32 vcc_lo, 0x101, v[9:10]
	v_lshrrev_b32_e32 v25, 16, v29
	v_lshrrev_b32_e32 v26, 8, v29
	s_mov_b32 s1, -1
	v_cmp_eq_u32_e64 s0, 1, v28
	s_cbranch_vccnz .LBB487_110
; %bb.107:
	s_wait_alu 0xfffe
	s_and_b32 vcc_lo, exec_lo, s1
	s_wait_alu 0xfffe
	s_cbranch_vccnz .LBB487_119
.LBB487_108:
	s_and_b32 s0, s2, s19
	s_wait_alu 0xfffe
	s_and_saveexec_b32 s1, s0
	s_cbranch_execnz .LBB487_131
.LBB487_109:
	s_endpgm
.LBB487_110:
	v_add_co_u32 v19, vcc_lo, v11, v9
	s_wait_alu 0xfffd
	v_add_co_ci_u32_e64 v20, null, v12, v10, vcc_lo
	s_delay_alu instid0(VALU_DEP_1)
	v_cmp_lt_u64_e32 vcc_lo, v[23:24], v[19:20]
	s_or_b32 s1, s20, vcc_lo
	s_wait_alu 0xfffe
	s_and_b32 s1, s1, s0
	s_wait_alu 0xfffe
	s_and_saveexec_b32 s0, s1
	s_cbranch_execz .LBB487_112
; %bb.111:
	v_lshlrev_b64_e32 v[29:30], 3, v[17:18]
	v_lshlrev_b64_e32 v[31:32], 3, v[23:24]
	s_delay_alu instid0(VALU_DEP_2) | instskip(SKIP_1) | instid1(VALU_DEP_3)
	v_add_co_u32 v24, vcc_lo, s12, v29
	s_wait_alu 0xfffd
	v_add_co_ci_u32_e64 v30, null, s13, v30, vcc_lo
	s_delay_alu instid0(VALU_DEP_2) | instskip(SKIP_1) | instid1(VALU_DEP_2)
	v_add_co_u32 v29, vcc_lo, v24, v31
	s_wait_alu 0xfffd
	v_add_co_ci_u32_e64 v30, null, v30, v32, vcc_lo
	global_store_b64 v[29:30], v[5:6], off
.LBB487_112:
	s_wait_alu 0xfffe
	s_or_b32 exec_lo, exec_lo, s0
	v_and_b32_e32 v24, 1, v26
	v_cmp_lt_u64_e32 vcc_lo, v[21:22], v[19:20]
	s_delay_alu instid0(VALU_DEP_2)
	v_cmp_eq_u32_e64 s0, 1, v24
	s_or_b32 s1, s20, vcc_lo
	s_wait_alu 0xfffe
	s_and_b32 s1, s1, s0
	s_wait_alu 0xfffe
	s_and_saveexec_b32 s0, s1
	s_cbranch_execz .LBB487_114
; %bb.113:
	v_lshlrev_b64_e32 v[29:30], 3, v[17:18]
	v_lshlrev_b64_e32 v[31:32], 3, v[21:22]
	s_delay_alu instid0(VALU_DEP_2) | instskip(SKIP_1) | instid1(VALU_DEP_3)
	v_add_co_u32 v22, vcc_lo, s12, v29
	s_wait_alu 0xfffd
	v_add_co_ci_u32_e64 v24, null, s13, v30, vcc_lo
	s_delay_alu instid0(VALU_DEP_2) | instskip(SKIP_1) | instid1(VALU_DEP_2)
	v_add_co_u32 v29, vcc_lo, v22, v31
	s_wait_alu 0xfffd
	v_add_co_ci_u32_e64 v30, null, v24, v32, vcc_lo
	global_store_b64 v[29:30], v[7:8], off
.LBB487_114:
	s_wait_alu 0xfffe
	s_or_b32 exec_lo, exec_lo, s0
	v_and_b32_e32 v22, 1, v25
	v_cmp_lt_u64_e32 vcc_lo, v[13:14], v[19:20]
	s_delay_alu instid0(VALU_DEP_2)
	v_cmp_eq_u32_e64 s0, 1, v22
	s_or_b32 s1, s20, vcc_lo
	s_wait_alu 0xfffe
	s_and_b32 s1, s1, s0
	s_wait_alu 0xfffe
	s_and_saveexec_b32 s0, s1
	s_cbranch_execz .LBB487_116
; %bb.115:
	v_lshlrev_b64_e32 v[29:30], 3, v[17:18]
	v_lshlrev_b64_e32 v[31:32], 3, v[13:14]
	s_delay_alu instid0(VALU_DEP_2) | instskip(SKIP_1) | instid1(VALU_DEP_3)
	v_add_co_u32 v14, vcc_lo, s12, v29
	s_wait_alu 0xfffd
	v_add_co_ci_u32_e64 v22, null, s13, v30, vcc_lo
	s_delay_alu instid0(VALU_DEP_2) | instskip(SKIP_1) | instid1(VALU_DEP_2)
	v_add_co_u32 v29, vcc_lo, v14, v31
	s_wait_alu 0xfffd
	v_add_co_ci_u32_e64 v30, null, v22, v32, vcc_lo
	global_store_b64 v[29:30], v[1:2], off
.LBB487_116:
	s_wait_alu 0xfffe
	s_or_b32 exec_lo, exec_lo, s0
	v_and_b32_e32 v14, 1, v27
	v_cmp_lt_u64_e32 vcc_lo, v[15:16], v[19:20]
	s_delay_alu instid0(VALU_DEP_2)
	v_cmp_eq_u32_e64 s0, 1, v14
	s_or_b32 s1, s20, vcc_lo
	s_wait_alu 0xfffe
	s_and_b32 s1, s1, s0
	s_wait_alu 0xfffe
	s_and_saveexec_b32 s0, s1
	s_cbranch_execz .LBB487_118
; %bb.117:
	v_lshlrev_b64_e32 v[19:20], 3, v[17:18]
	v_lshlrev_b64_e32 v[29:30], 3, v[15:16]
	s_delay_alu instid0(VALU_DEP_2) | instskip(SKIP_1) | instid1(VALU_DEP_3)
	v_add_co_u32 v14, vcc_lo, s12, v19
	s_wait_alu 0xfffd
	v_add_co_ci_u32_e64 v16, null, s13, v20, vcc_lo
	s_delay_alu instid0(VALU_DEP_2) | instskip(SKIP_1) | instid1(VALU_DEP_2)
	v_add_co_u32 v19, vcc_lo, v14, v29
	s_wait_alu 0xfffd
	v_add_co_ci_u32_e64 v20, null, v16, v30, vcc_lo
	global_store_b64 v[19:20], v[3:4], off
.LBB487_118:
	s_wait_alu 0xfffe
	s_or_b32 exec_lo, exec_lo, s0
	s_branch .LBB487_108
.LBB487_119:
	s_mov_b32 s0, exec_lo
	v_cmpx_eq_u32_e32 1, v28
; %bb.120:
	v_sub_nc_u32_e32 v14, v23, v11
	s_delay_alu instid0(VALU_DEP_1)
	v_lshlrev_b32_e32 v14, 3, v14
	ds_store_b64 v14, v[5:6]
; %bb.121:
	s_wait_alu 0xfffe
	s_or_b32 exec_lo, exec_lo, s0
	v_and_b32_e32 v5, 1, v26
	s_mov_b32 s0, exec_lo
	s_delay_alu instid0(VALU_DEP_1)
	v_cmpx_eq_u32_e32 1, v5
; %bb.122:
	v_sub_nc_u32_e32 v5, v21, v11
	s_delay_alu instid0(VALU_DEP_1)
	v_lshlrev_b32_e32 v5, 3, v5
	ds_store_b64 v5, v[7:8]
; %bb.123:
	s_wait_alu 0xfffe
	s_or_b32 exec_lo, exec_lo, s0
	v_and_b32_e32 v5, 1, v25
	s_mov_b32 s0, exec_lo
	s_delay_alu instid0(VALU_DEP_1)
	;; [unrolled: 12-line block ×3, first 2 shown]
	v_cmpx_eq_u32_e32 1, v1
; %bb.126:
	v_sub_nc_u32_e32 v1, v15, v11
	s_delay_alu instid0(VALU_DEP_1)
	v_lshlrev_b32_e32 v1, 3, v1
	ds_store_b64 v1, v[3:4]
; %bb.127:
	s_wait_alu 0xfffe
	s_or_b32 exec_lo, exec_lo, s0
	v_mov_b32_e32 v1, 0
	s_mov_b32 s1, exec_lo
	s_wait_storecnt 0x0
	s_wait_loadcnt_dscnt 0x0
	s_barrier_signal -1
	s_barrier_wait -1
	global_inv scope:SCOPE_SE
	v_cmpx_gt_u64_e64 v[9:10], v[0:1]
	s_cbranch_execz .LBB487_130
; %bb.128:
	v_lshlrev_b64_e32 v[2:3], 3, v[11:12]
	v_lshlrev_b64_e32 v[4:5], 3, v[17:18]
	s_mov_b32 s3, 0
	s_delay_alu instid0(VALU_DEP_2) | instskip(SKIP_1) | instid1(VALU_DEP_3)
	v_add_co_u32 v6, vcc_lo, s12, v2
	s_wait_alu 0xfffd
	v_add_co_ci_u32_e64 v7, null, s13, v3, vcc_lo
	v_dual_mov_b32 v3, v1 :: v_dual_mov_b32 v2, v0
	s_delay_alu instid0(VALU_DEP_3) | instskip(SKIP_1) | instid1(VALU_DEP_3)
	v_add_co_u32 v4, vcc_lo, v6, v4
	s_wait_alu 0xfffd
	v_add_co_ci_u32_e64 v5, null, v7, v5, vcc_lo
	v_or_b32_e32 v0, 0x100, v0
.LBB487_129:                            ; =>This Inner Loop Header: Depth=1
	v_lshlrev_b32_e32 v6, 3, v2
	v_lshlrev_b64_e32 v[13:14], 3, v[2:3]
	v_mov_b32_e32 v3, v1
	s_delay_alu instid0(VALU_DEP_4)
	v_cmp_le_u64_e32 vcc_lo, v[9:10], v[0:1]
	v_mov_b32_e32 v2, v0
	ds_load_b64 v[6:7], v6
	v_add_nc_u32_e32 v0, 0x100, v0
	v_add_co_u32 v13, s0, v4, v13
	s_wait_alu 0xf1ff
	v_add_co_ci_u32_e64 v14, null, v5, v14, s0
	s_wait_alu 0xfffe
	s_or_b32 s3, vcc_lo, s3
	s_wait_dscnt 0x0
	global_store_b64 v[13:14], v[6:7], off
	s_wait_alu 0xfffe
	s_and_not1_b32 exec_lo, exec_lo, s3
	s_cbranch_execnz .LBB487_129
.LBB487_130:
	s_wait_alu 0xfffe
	s_or_b32 exec_lo, exec_lo, s1
	s_and_b32 s0, s2, s19
	s_wait_alu 0xfffe
	s_and_saveexec_b32 s1, s0
	s_cbranch_execz .LBB487_109
.LBB487_131:
	v_add_co_u32 v0, vcc_lo, v11, v9
	s_wait_alu 0xfffd
	v_add_co_ci_u32_e64 v1, null, v12, v10, vcc_lo
	v_mov_b32_e32 v2, 0
	s_delay_alu instid0(VALU_DEP_3) | instskip(SKIP_1) | instid1(VALU_DEP_3)
	v_add_co_u32 v0, vcc_lo, v0, v17
	s_wait_alu 0xfffd
	v_add_co_ci_u32_e64 v1, null, v1, v18, vcc_lo
	global_store_b64 v2, v[0:1], s[4:5]
	s_endpgm
.LBB487_132:
	global_load_b32 v16, v11, s[0:1] offset:1024
	s_wait_loadcnt 0x0
	v_cmp_neq_f32_e32 vcc_lo, 0, v16
	s_wait_alu 0xfffd
	v_cndmask_b32_e64 v16, 0, 1, vcc_lo
	s_delay_alu instid0(VALU_DEP_1) | instskip(NEXT) | instid1(VALU_DEP_1)
	v_lshlrev_b16 v16, 8, v16
	v_or_b32_e32 v14, v14, v16
	s_delay_alu instid0(VALU_DEP_1) | instskip(SKIP_1) | instid1(SALU_CYCLE_1)
	v_and_b32_e32 v14, 0xffff, v14
	s_or_b32 exec_lo, exec_lo, s6
	s_mov_b32 s6, exec_lo
	v_cmpx_gt_u32_e64 s3, v10
	s_cbranch_execz .LBB487_15
.LBB487_133:
	global_load_b32 v16, v11, s[0:1] offset:2048
	s_wait_loadcnt 0x0
	v_cmp_neq_f32_e32 vcc_lo, 0, v16
	s_wait_alu 0xfffd
	v_cndmask_b32_e64 v16, 0, 1, vcc_lo
	s_delay_alu instid0(VALU_DEP_1)
	v_lshl_or_b32 v14, v16, 16, v14
	s_or_b32 exec_lo, exec_lo, s6
	v_cmp_gt_u32_e32 vcc_lo, s3, v9
	s_and_saveexec_b32 s3, vcc_lo
	s_cbranch_execnz .LBB487_16
	s_branch .LBB487_17
	.section	.rodata,"a",@progbits
	.p2align	6, 0x0
	.amdhsa_kernel _ZN7rocprim17ROCPRIM_400000_NS6detail17trampoline_kernelINS0_14default_configENS1_25partition_config_selectorILNS1_17partition_subalgoE5ElNS0_10empty_typeEbEEZZNS1_14partition_implILS5_5ELb0ES3_mN6hipcub16HIPCUB_304000_NS21CountingInputIteratorIllEEPS6_NSA_22TransformInputIteratorIbN2at6native12_GLOBAL__N_19NonZeroOpIfEEPKflEENS0_5tupleIJPlS6_EEENSN_IJSD_SD_EEES6_PiJS6_EEE10hipError_tPvRmT3_T4_T5_T6_T7_T9_mT8_P12ihipStream_tbDpT10_ENKUlT_T0_E_clISt17integral_constantIbLb0EES1A_IbLb1EEEEDaS16_S17_EUlS16_E_NS1_11comp_targetILNS1_3genE10ELNS1_11target_archE1200ELNS1_3gpuE4ELNS1_3repE0EEENS1_30default_config_static_selectorELNS0_4arch9wavefront6targetE0EEEvT1_
		.amdhsa_group_segment_fixed_size 8464
		.amdhsa_private_segment_fixed_size 0
		.amdhsa_kernarg_size 136
		.amdhsa_user_sgpr_count 2
		.amdhsa_user_sgpr_dispatch_ptr 0
		.amdhsa_user_sgpr_queue_ptr 0
		.amdhsa_user_sgpr_kernarg_segment_ptr 1
		.amdhsa_user_sgpr_dispatch_id 0
		.amdhsa_user_sgpr_private_segment_size 0
		.amdhsa_wavefront_size32 1
		.amdhsa_uses_dynamic_stack 0
		.amdhsa_enable_private_segment 0
		.amdhsa_system_sgpr_workgroup_id_x 1
		.amdhsa_system_sgpr_workgroup_id_y 0
		.amdhsa_system_sgpr_workgroup_id_z 0
		.amdhsa_system_sgpr_workgroup_info 0
		.amdhsa_system_vgpr_workitem_id 0
		.amdhsa_next_free_vgpr 48
		.amdhsa_next_free_sgpr 24
		.amdhsa_reserve_vcc 1
		.amdhsa_float_round_mode_32 0
		.amdhsa_float_round_mode_16_64 0
		.amdhsa_float_denorm_mode_32 3
		.amdhsa_float_denorm_mode_16_64 3
		.amdhsa_fp16_overflow 0
		.amdhsa_workgroup_processor_mode 1
		.amdhsa_memory_ordered 1
		.amdhsa_forward_progress 1
		.amdhsa_inst_pref_size 55
		.amdhsa_round_robin_scheduling 0
		.amdhsa_exception_fp_ieee_invalid_op 0
		.amdhsa_exception_fp_denorm_src 0
		.amdhsa_exception_fp_ieee_div_zero 0
		.amdhsa_exception_fp_ieee_overflow 0
		.amdhsa_exception_fp_ieee_underflow 0
		.amdhsa_exception_fp_ieee_inexact 0
		.amdhsa_exception_int_div_zero 0
	.end_amdhsa_kernel
	.section	.text._ZN7rocprim17ROCPRIM_400000_NS6detail17trampoline_kernelINS0_14default_configENS1_25partition_config_selectorILNS1_17partition_subalgoE5ElNS0_10empty_typeEbEEZZNS1_14partition_implILS5_5ELb0ES3_mN6hipcub16HIPCUB_304000_NS21CountingInputIteratorIllEEPS6_NSA_22TransformInputIteratorIbN2at6native12_GLOBAL__N_19NonZeroOpIfEEPKflEENS0_5tupleIJPlS6_EEENSN_IJSD_SD_EEES6_PiJS6_EEE10hipError_tPvRmT3_T4_T5_T6_T7_T9_mT8_P12ihipStream_tbDpT10_ENKUlT_T0_E_clISt17integral_constantIbLb0EES1A_IbLb1EEEEDaS16_S17_EUlS16_E_NS1_11comp_targetILNS1_3genE10ELNS1_11target_archE1200ELNS1_3gpuE4ELNS1_3repE0EEENS1_30default_config_static_selectorELNS0_4arch9wavefront6targetE0EEEvT1_,"axG",@progbits,_ZN7rocprim17ROCPRIM_400000_NS6detail17trampoline_kernelINS0_14default_configENS1_25partition_config_selectorILNS1_17partition_subalgoE5ElNS0_10empty_typeEbEEZZNS1_14partition_implILS5_5ELb0ES3_mN6hipcub16HIPCUB_304000_NS21CountingInputIteratorIllEEPS6_NSA_22TransformInputIteratorIbN2at6native12_GLOBAL__N_19NonZeroOpIfEEPKflEENS0_5tupleIJPlS6_EEENSN_IJSD_SD_EEES6_PiJS6_EEE10hipError_tPvRmT3_T4_T5_T6_T7_T9_mT8_P12ihipStream_tbDpT10_ENKUlT_T0_E_clISt17integral_constantIbLb0EES1A_IbLb1EEEEDaS16_S17_EUlS16_E_NS1_11comp_targetILNS1_3genE10ELNS1_11target_archE1200ELNS1_3gpuE4ELNS1_3repE0EEENS1_30default_config_static_selectorELNS0_4arch9wavefront6targetE0EEEvT1_,comdat
.Lfunc_end487:
	.size	_ZN7rocprim17ROCPRIM_400000_NS6detail17trampoline_kernelINS0_14default_configENS1_25partition_config_selectorILNS1_17partition_subalgoE5ElNS0_10empty_typeEbEEZZNS1_14partition_implILS5_5ELb0ES3_mN6hipcub16HIPCUB_304000_NS21CountingInputIteratorIllEEPS6_NSA_22TransformInputIteratorIbN2at6native12_GLOBAL__N_19NonZeroOpIfEEPKflEENS0_5tupleIJPlS6_EEENSN_IJSD_SD_EEES6_PiJS6_EEE10hipError_tPvRmT3_T4_T5_T6_T7_T9_mT8_P12ihipStream_tbDpT10_ENKUlT_T0_E_clISt17integral_constantIbLb0EES1A_IbLb1EEEEDaS16_S17_EUlS16_E_NS1_11comp_targetILNS1_3genE10ELNS1_11target_archE1200ELNS1_3gpuE4ELNS1_3repE0EEENS1_30default_config_static_selectorELNS0_4arch9wavefront6targetE0EEEvT1_, .Lfunc_end487-_ZN7rocprim17ROCPRIM_400000_NS6detail17trampoline_kernelINS0_14default_configENS1_25partition_config_selectorILNS1_17partition_subalgoE5ElNS0_10empty_typeEbEEZZNS1_14partition_implILS5_5ELb0ES3_mN6hipcub16HIPCUB_304000_NS21CountingInputIteratorIllEEPS6_NSA_22TransformInputIteratorIbN2at6native12_GLOBAL__N_19NonZeroOpIfEEPKflEENS0_5tupleIJPlS6_EEENSN_IJSD_SD_EEES6_PiJS6_EEE10hipError_tPvRmT3_T4_T5_T6_T7_T9_mT8_P12ihipStream_tbDpT10_ENKUlT_T0_E_clISt17integral_constantIbLb0EES1A_IbLb1EEEEDaS16_S17_EUlS16_E_NS1_11comp_targetILNS1_3genE10ELNS1_11target_archE1200ELNS1_3gpuE4ELNS1_3repE0EEENS1_30default_config_static_selectorELNS0_4arch9wavefront6targetE0EEEvT1_
                                        ; -- End function
	.set _ZN7rocprim17ROCPRIM_400000_NS6detail17trampoline_kernelINS0_14default_configENS1_25partition_config_selectorILNS1_17partition_subalgoE5ElNS0_10empty_typeEbEEZZNS1_14partition_implILS5_5ELb0ES3_mN6hipcub16HIPCUB_304000_NS21CountingInputIteratorIllEEPS6_NSA_22TransformInputIteratorIbN2at6native12_GLOBAL__N_19NonZeroOpIfEEPKflEENS0_5tupleIJPlS6_EEENSN_IJSD_SD_EEES6_PiJS6_EEE10hipError_tPvRmT3_T4_T5_T6_T7_T9_mT8_P12ihipStream_tbDpT10_ENKUlT_T0_E_clISt17integral_constantIbLb0EES1A_IbLb1EEEEDaS16_S17_EUlS16_E_NS1_11comp_targetILNS1_3genE10ELNS1_11target_archE1200ELNS1_3gpuE4ELNS1_3repE0EEENS1_30default_config_static_selectorELNS0_4arch9wavefront6targetE0EEEvT1_.num_vgpr, 48
	.set _ZN7rocprim17ROCPRIM_400000_NS6detail17trampoline_kernelINS0_14default_configENS1_25partition_config_selectorILNS1_17partition_subalgoE5ElNS0_10empty_typeEbEEZZNS1_14partition_implILS5_5ELb0ES3_mN6hipcub16HIPCUB_304000_NS21CountingInputIteratorIllEEPS6_NSA_22TransformInputIteratorIbN2at6native12_GLOBAL__N_19NonZeroOpIfEEPKflEENS0_5tupleIJPlS6_EEENSN_IJSD_SD_EEES6_PiJS6_EEE10hipError_tPvRmT3_T4_T5_T6_T7_T9_mT8_P12ihipStream_tbDpT10_ENKUlT_T0_E_clISt17integral_constantIbLb0EES1A_IbLb1EEEEDaS16_S17_EUlS16_E_NS1_11comp_targetILNS1_3genE10ELNS1_11target_archE1200ELNS1_3gpuE4ELNS1_3repE0EEENS1_30default_config_static_selectorELNS0_4arch9wavefront6targetE0EEEvT1_.num_agpr, 0
	.set _ZN7rocprim17ROCPRIM_400000_NS6detail17trampoline_kernelINS0_14default_configENS1_25partition_config_selectorILNS1_17partition_subalgoE5ElNS0_10empty_typeEbEEZZNS1_14partition_implILS5_5ELb0ES3_mN6hipcub16HIPCUB_304000_NS21CountingInputIteratorIllEEPS6_NSA_22TransformInputIteratorIbN2at6native12_GLOBAL__N_19NonZeroOpIfEEPKflEENS0_5tupleIJPlS6_EEENSN_IJSD_SD_EEES6_PiJS6_EEE10hipError_tPvRmT3_T4_T5_T6_T7_T9_mT8_P12ihipStream_tbDpT10_ENKUlT_T0_E_clISt17integral_constantIbLb0EES1A_IbLb1EEEEDaS16_S17_EUlS16_E_NS1_11comp_targetILNS1_3genE10ELNS1_11target_archE1200ELNS1_3gpuE4ELNS1_3repE0EEENS1_30default_config_static_selectorELNS0_4arch9wavefront6targetE0EEEvT1_.numbered_sgpr, 24
	.set _ZN7rocprim17ROCPRIM_400000_NS6detail17trampoline_kernelINS0_14default_configENS1_25partition_config_selectorILNS1_17partition_subalgoE5ElNS0_10empty_typeEbEEZZNS1_14partition_implILS5_5ELb0ES3_mN6hipcub16HIPCUB_304000_NS21CountingInputIteratorIllEEPS6_NSA_22TransformInputIteratorIbN2at6native12_GLOBAL__N_19NonZeroOpIfEEPKflEENS0_5tupleIJPlS6_EEENSN_IJSD_SD_EEES6_PiJS6_EEE10hipError_tPvRmT3_T4_T5_T6_T7_T9_mT8_P12ihipStream_tbDpT10_ENKUlT_T0_E_clISt17integral_constantIbLb0EES1A_IbLb1EEEEDaS16_S17_EUlS16_E_NS1_11comp_targetILNS1_3genE10ELNS1_11target_archE1200ELNS1_3gpuE4ELNS1_3repE0EEENS1_30default_config_static_selectorELNS0_4arch9wavefront6targetE0EEEvT1_.num_named_barrier, 0
	.set _ZN7rocprim17ROCPRIM_400000_NS6detail17trampoline_kernelINS0_14default_configENS1_25partition_config_selectorILNS1_17partition_subalgoE5ElNS0_10empty_typeEbEEZZNS1_14partition_implILS5_5ELb0ES3_mN6hipcub16HIPCUB_304000_NS21CountingInputIteratorIllEEPS6_NSA_22TransformInputIteratorIbN2at6native12_GLOBAL__N_19NonZeroOpIfEEPKflEENS0_5tupleIJPlS6_EEENSN_IJSD_SD_EEES6_PiJS6_EEE10hipError_tPvRmT3_T4_T5_T6_T7_T9_mT8_P12ihipStream_tbDpT10_ENKUlT_T0_E_clISt17integral_constantIbLb0EES1A_IbLb1EEEEDaS16_S17_EUlS16_E_NS1_11comp_targetILNS1_3genE10ELNS1_11target_archE1200ELNS1_3gpuE4ELNS1_3repE0EEENS1_30default_config_static_selectorELNS0_4arch9wavefront6targetE0EEEvT1_.private_seg_size, 0
	.set _ZN7rocprim17ROCPRIM_400000_NS6detail17trampoline_kernelINS0_14default_configENS1_25partition_config_selectorILNS1_17partition_subalgoE5ElNS0_10empty_typeEbEEZZNS1_14partition_implILS5_5ELb0ES3_mN6hipcub16HIPCUB_304000_NS21CountingInputIteratorIllEEPS6_NSA_22TransformInputIteratorIbN2at6native12_GLOBAL__N_19NonZeroOpIfEEPKflEENS0_5tupleIJPlS6_EEENSN_IJSD_SD_EEES6_PiJS6_EEE10hipError_tPvRmT3_T4_T5_T6_T7_T9_mT8_P12ihipStream_tbDpT10_ENKUlT_T0_E_clISt17integral_constantIbLb0EES1A_IbLb1EEEEDaS16_S17_EUlS16_E_NS1_11comp_targetILNS1_3genE10ELNS1_11target_archE1200ELNS1_3gpuE4ELNS1_3repE0EEENS1_30default_config_static_selectorELNS0_4arch9wavefront6targetE0EEEvT1_.uses_vcc, 1
	.set _ZN7rocprim17ROCPRIM_400000_NS6detail17trampoline_kernelINS0_14default_configENS1_25partition_config_selectorILNS1_17partition_subalgoE5ElNS0_10empty_typeEbEEZZNS1_14partition_implILS5_5ELb0ES3_mN6hipcub16HIPCUB_304000_NS21CountingInputIteratorIllEEPS6_NSA_22TransformInputIteratorIbN2at6native12_GLOBAL__N_19NonZeroOpIfEEPKflEENS0_5tupleIJPlS6_EEENSN_IJSD_SD_EEES6_PiJS6_EEE10hipError_tPvRmT3_T4_T5_T6_T7_T9_mT8_P12ihipStream_tbDpT10_ENKUlT_T0_E_clISt17integral_constantIbLb0EES1A_IbLb1EEEEDaS16_S17_EUlS16_E_NS1_11comp_targetILNS1_3genE10ELNS1_11target_archE1200ELNS1_3gpuE4ELNS1_3repE0EEENS1_30default_config_static_selectorELNS0_4arch9wavefront6targetE0EEEvT1_.uses_flat_scratch, 0
	.set _ZN7rocprim17ROCPRIM_400000_NS6detail17trampoline_kernelINS0_14default_configENS1_25partition_config_selectorILNS1_17partition_subalgoE5ElNS0_10empty_typeEbEEZZNS1_14partition_implILS5_5ELb0ES3_mN6hipcub16HIPCUB_304000_NS21CountingInputIteratorIllEEPS6_NSA_22TransformInputIteratorIbN2at6native12_GLOBAL__N_19NonZeroOpIfEEPKflEENS0_5tupleIJPlS6_EEENSN_IJSD_SD_EEES6_PiJS6_EEE10hipError_tPvRmT3_T4_T5_T6_T7_T9_mT8_P12ihipStream_tbDpT10_ENKUlT_T0_E_clISt17integral_constantIbLb0EES1A_IbLb1EEEEDaS16_S17_EUlS16_E_NS1_11comp_targetILNS1_3genE10ELNS1_11target_archE1200ELNS1_3gpuE4ELNS1_3repE0EEENS1_30default_config_static_selectorELNS0_4arch9wavefront6targetE0EEEvT1_.has_dyn_sized_stack, 0
	.set _ZN7rocprim17ROCPRIM_400000_NS6detail17trampoline_kernelINS0_14default_configENS1_25partition_config_selectorILNS1_17partition_subalgoE5ElNS0_10empty_typeEbEEZZNS1_14partition_implILS5_5ELb0ES3_mN6hipcub16HIPCUB_304000_NS21CountingInputIteratorIllEEPS6_NSA_22TransformInputIteratorIbN2at6native12_GLOBAL__N_19NonZeroOpIfEEPKflEENS0_5tupleIJPlS6_EEENSN_IJSD_SD_EEES6_PiJS6_EEE10hipError_tPvRmT3_T4_T5_T6_T7_T9_mT8_P12ihipStream_tbDpT10_ENKUlT_T0_E_clISt17integral_constantIbLb0EES1A_IbLb1EEEEDaS16_S17_EUlS16_E_NS1_11comp_targetILNS1_3genE10ELNS1_11target_archE1200ELNS1_3gpuE4ELNS1_3repE0EEENS1_30default_config_static_selectorELNS0_4arch9wavefront6targetE0EEEvT1_.has_recursion, 0
	.set _ZN7rocprim17ROCPRIM_400000_NS6detail17trampoline_kernelINS0_14default_configENS1_25partition_config_selectorILNS1_17partition_subalgoE5ElNS0_10empty_typeEbEEZZNS1_14partition_implILS5_5ELb0ES3_mN6hipcub16HIPCUB_304000_NS21CountingInputIteratorIllEEPS6_NSA_22TransformInputIteratorIbN2at6native12_GLOBAL__N_19NonZeroOpIfEEPKflEENS0_5tupleIJPlS6_EEENSN_IJSD_SD_EEES6_PiJS6_EEE10hipError_tPvRmT3_T4_T5_T6_T7_T9_mT8_P12ihipStream_tbDpT10_ENKUlT_T0_E_clISt17integral_constantIbLb0EES1A_IbLb1EEEEDaS16_S17_EUlS16_E_NS1_11comp_targetILNS1_3genE10ELNS1_11target_archE1200ELNS1_3gpuE4ELNS1_3repE0EEENS1_30default_config_static_selectorELNS0_4arch9wavefront6targetE0EEEvT1_.has_indirect_call, 0
	.section	.AMDGPU.csdata,"",@progbits
; Kernel info:
; codeLenInByte = 6920
; TotalNumSgprs: 26
; NumVgprs: 48
; ScratchSize: 0
; MemoryBound: 0
; FloatMode: 240
; IeeeMode: 1
; LDSByteSize: 8464 bytes/workgroup (compile time only)
; SGPRBlocks: 0
; VGPRBlocks: 5
; NumSGPRsForWavesPerEU: 26
; NumVGPRsForWavesPerEU: 48
; Occupancy: 16
; WaveLimiterHint : 1
; COMPUTE_PGM_RSRC2:SCRATCH_EN: 0
; COMPUTE_PGM_RSRC2:USER_SGPR: 2
; COMPUTE_PGM_RSRC2:TRAP_HANDLER: 0
; COMPUTE_PGM_RSRC2:TGID_X_EN: 1
; COMPUTE_PGM_RSRC2:TGID_Y_EN: 0
; COMPUTE_PGM_RSRC2:TGID_Z_EN: 0
; COMPUTE_PGM_RSRC2:TIDIG_COMP_CNT: 0
	.section	.text._ZN7rocprim17ROCPRIM_400000_NS6detail17trampoline_kernelINS0_14default_configENS1_25partition_config_selectorILNS1_17partition_subalgoE5ElNS0_10empty_typeEbEEZZNS1_14partition_implILS5_5ELb0ES3_mN6hipcub16HIPCUB_304000_NS21CountingInputIteratorIllEEPS6_NSA_22TransformInputIteratorIbN2at6native12_GLOBAL__N_19NonZeroOpIfEEPKflEENS0_5tupleIJPlS6_EEENSN_IJSD_SD_EEES6_PiJS6_EEE10hipError_tPvRmT3_T4_T5_T6_T7_T9_mT8_P12ihipStream_tbDpT10_ENKUlT_T0_E_clISt17integral_constantIbLb0EES1A_IbLb1EEEEDaS16_S17_EUlS16_E_NS1_11comp_targetILNS1_3genE9ELNS1_11target_archE1100ELNS1_3gpuE3ELNS1_3repE0EEENS1_30default_config_static_selectorELNS0_4arch9wavefront6targetE0EEEvT1_,"axG",@progbits,_ZN7rocprim17ROCPRIM_400000_NS6detail17trampoline_kernelINS0_14default_configENS1_25partition_config_selectorILNS1_17partition_subalgoE5ElNS0_10empty_typeEbEEZZNS1_14partition_implILS5_5ELb0ES3_mN6hipcub16HIPCUB_304000_NS21CountingInputIteratorIllEEPS6_NSA_22TransformInputIteratorIbN2at6native12_GLOBAL__N_19NonZeroOpIfEEPKflEENS0_5tupleIJPlS6_EEENSN_IJSD_SD_EEES6_PiJS6_EEE10hipError_tPvRmT3_T4_T5_T6_T7_T9_mT8_P12ihipStream_tbDpT10_ENKUlT_T0_E_clISt17integral_constantIbLb0EES1A_IbLb1EEEEDaS16_S17_EUlS16_E_NS1_11comp_targetILNS1_3genE9ELNS1_11target_archE1100ELNS1_3gpuE3ELNS1_3repE0EEENS1_30default_config_static_selectorELNS0_4arch9wavefront6targetE0EEEvT1_,comdat
	.globl	_ZN7rocprim17ROCPRIM_400000_NS6detail17trampoline_kernelINS0_14default_configENS1_25partition_config_selectorILNS1_17partition_subalgoE5ElNS0_10empty_typeEbEEZZNS1_14partition_implILS5_5ELb0ES3_mN6hipcub16HIPCUB_304000_NS21CountingInputIteratorIllEEPS6_NSA_22TransformInputIteratorIbN2at6native12_GLOBAL__N_19NonZeroOpIfEEPKflEENS0_5tupleIJPlS6_EEENSN_IJSD_SD_EEES6_PiJS6_EEE10hipError_tPvRmT3_T4_T5_T6_T7_T9_mT8_P12ihipStream_tbDpT10_ENKUlT_T0_E_clISt17integral_constantIbLb0EES1A_IbLb1EEEEDaS16_S17_EUlS16_E_NS1_11comp_targetILNS1_3genE9ELNS1_11target_archE1100ELNS1_3gpuE3ELNS1_3repE0EEENS1_30default_config_static_selectorELNS0_4arch9wavefront6targetE0EEEvT1_ ; -- Begin function _ZN7rocprim17ROCPRIM_400000_NS6detail17trampoline_kernelINS0_14default_configENS1_25partition_config_selectorILNS1_17partition_subalgoE5ElNS0_10empty_typeEbEEZZNS1_14partition_implILS5_5ELb0ES3_mN6hipcub16HIPCUB_304000_NS21CountingInputIteratorIllEEPS6_NSA_22TransformInputIteratorIbN2at6native12_GLOBAL__N_19NonZeroOpIfEEPKflEENS0_5tupleIJPlS6_EEENSN_IJSD_SD_EEES6_PiJS6_EEE10hipError_tPvRmT3_T4_T5_T6_T7_T9_mT8_P12ihipStream_tbDpT10_ENKUlT_T0_E_clISt17integral_constantIbLb0EES1A_IbLb1EEEEDaS16_S17_EUlS16_E_NS1_11comp_targetILNS1_3genE9ELNS1_11target_archE1100ELNS1_3gpuE3ELNS1_3repE0EEENS1_30default_config_static_selectorELNS0_4arch9wavefront6targetE0EEEvT1_
	.p2align	8
	.type	_ZN7rocprim17ROCPRIM_400000_NS6detail17trampoline_kernelINS0_14default_configENS1_25partition_config_selectorILNS1_17partition_subalgoE5ElNS0_10empty_typeEbEEZZNS1_14partition_implILS5_5ELb0ES3_mN6hipcub16HIPCUB_304000_NS21CountingInputIteratorIllEEPS6_NSA_22TransformInputIteratorIbN2at6native12_GLOBAL__N_19NonZeroOpIfEEPKflEENS0_5tupleIJPlS6_EEENSN_IJSD_SD_EEES6_PiJS6_EEE10hipError_tPvRmT3_T4_T5_T6_T7_T9_mT8_P12ihipStream_tbDpT10_ENKUlT_T0_E_clISt17integral_constantIbLb0EES1A_IbLb1EEEEDaS16_S17_EUlS16_E_NS1_11comp_targetILNS1_3genE9ELNS1_11target_archE1100ELNS1_3gpuE3ELNS1_3repE0EEENS1_30default_config_static_selectorELNS0_4arch9wavefront6targetE0EEEvT1_,@function
_ZN7rocprim17ROCPRIM_400000_NS6detail17trampoline_kernelINS0_14default_configENS1_25partition_config_selectorILNS1_17partition_subalgoE5ElNS0_10empty_typeEbEEZZNS1_14partition_implILS5_5ELb0ES3_mN6hipcub16HIPCUB_304000_NS21CountingInputIteratorIllEEPS6_NSA_22TransformInputIteratorIbN2at6native12_GLOBAL__N_19NonZeroOpIfEEPKflEENS0_5tupleIJPlS6_EEENSN_IJSD_SD_EEES6_PiJS6_EEE10hipError_tPvRmT3_T4_T5_T6_T7_T9_mT8_P12ihipStream_tbDpT10_ENKUlT_T0_E_clISt17integral_constantIbLb0EES1A_IbLb1EEEEDaS16_S17_EUlS16_E_NS1_11comp_targetILNS1_3genE9ELNS1_11target_archE1100ELNS1_3gpuE3ELNS1_3repE0EEENS1_30default_config_static_selectorELNS0_4arch9wavefront6targetE0EEEvT1_: ; @_ZN7rocprim17ROCPRIM_400000_NS6detail17trampoline_kernelINS0_14default_configENS1_25partition_config_selectorILNS1_17partition_subalgoE5ElNS0_10empty_typeEbEEZZNS1_14partition_implILS5_5ELb0ES3_mN6hipcub16HIPCUB_304000_NS21CountingInputIteratorIllEEPS6_NSA_22TransformInputIteratorIbN2at6native12_GLOBAL__N_19NonZeroOpIfEEPKflEENS0_5tupleIJPlS6_EEENSN_IJSD_SD_EEES6_PiJS6_EEE10hipError_tPvRmT3_T4_T5_T6_T7_T9_mT8_P12ihipStream_tbDpT10_ENKUlT_T0_E_clISt17integral_constantIbLb0EES1A_IbLb1EEEEDaS16_S17_EUlS16_E_NS1_11comp_targetILNS1_3genE9ELNS1_11target_archE1100ELNS1_3gpuE3ELNS1_3repE0EEENS1_30default_config_static_selectorELNS0_4arch9wavefront6targetE0EEEvT1_
; %bb.0:
	.section	.rodata,"a",@progbits
	.p2align	6, 0x0
	.amdhsa_kernel _ZN7rocprim17ROCPRIM_400000_NS6detail17trampoline_kernelINS0_14default_configENS1_25partition_config_selectorILNS1_17partition_subalgoE5ElNS0_10empty_typeEbEEZZNS1_14partition_implILS5_5ELb0ES3_mN6hipcub16HIPCUB_304000_NS21CountingInputIteratorIllEEPS6_NSA_22TransformInputIteratorIbN2at6native12_GLOBAL__N_19NonZeroOpIfEEPKflEENS0_5tupleIJPlS6_EEENSN_IJSD_SD_EEES6_PiJS6_EEE10hipError_tPvRmT3_T4_T5_T6_T7_T9_mT8_P12ihipStream_tbDpT10_ENKUlT_T0_E_clISt17integral_constantIbLb0EES1A_IbLb1EEEEDaS16_S17_EUlS16_E_NS1_11comp_targetILNS1_3genE9ELNS1_11target_archE1100ELNS1_3gpuE3ELNS1_3repE0EEENS1_30default_config_static_selectorELNS0_4arch9wavefront6targetE0EEEvT1_
		.amdhsa_group_segment_fixed_size 0
		.amdhsa_private_segment_fixed_size 0
		.amdhsa_kernarg_size 136
		.amdhsa_user_sgpr_count 2
		.amdhsa_user_sgpr_dispatch_ptr 0
		.amdhsa_user_sgpr_queue_ptr 0
		.amdhsa_user_sgpr_kernarg_segment_ptr 1
		.amdhsa_user_sgpr_dispatch_id 0
		.amdhsa_user_sgpr_private_segment_size 0
		.amdhsa_wavefront_size32 1
		.amdhsa_uses_dynamic_stack 0
		.amdhsa_enable_private_segment 0
		.amdhsa_system_sgpr_workgroup_id_x 1
		.amdhsa_system_sgpr_workgroup_id_y 0
		.amdhsa_system_sgpr_workgroup_id_z 0
		.amdhsa_system_sgpr_workgroup_info 0
		.amdhsa_system_vgpr_workitem_id 0
		.amdhsa_next_free_vgpr 1
		.amdhsa_next_free_sgpr 1
		.amdhsa_reserve_vcc 0
		.amdhsa_float_round_mode_32 0
		.amdhsa_float_round_mode_16_64 0
		.amdhsa_float_denorm_mode_32 3
		.amdhsa_float_denorm_mode_16_64 3
		.amdhsa_fp16_overflow 0
		.amdhsa_workgroup_processor_mode 1
		.amdhsa_memory_ordered 1
		.amdhsa_forward_progress 1
		.amdhsa_inst_pref_size 0
		.amdhsa_round_robin_scheduling 0
		.amdhsa_exception_fp_ieee_invalid_op 0
		.amdhsa_exception_fp_denorm_src 0
		.amdhsa_exception_fp_ieee_div_zero 0
		.amdhsa_exception_fp_ieee_overflow 0
		.amdhsa_exception_fp_ieee_underflow 0
		.amdhsa_exception_fp_ieee_inexact 0
		.amdhsa_exception_int_div_zero 0
	.end_amdhsa_kernel
	.section	.text._ZN7rocprim17ROCPRIM_400000_NS6detail17trampoline_kernelINS0_14default_configENS1_25partition_config_selectorILNS1_17partition_subalgoE5ElNS0_10empty_typeEbEEZZNS1_14partition_implILS5_5ELb0ES3_mN6hipcub16HIPCUB_304000_NS21CountingInputIteratorIllEEPS6_NSA_22TransformInputIteratorIbN2at6native12_GLOBAL__N_19NonZeroOpIfEEPKflEENS0_5tupleIJPlS6_EEENSN_IJSD_SD_EEES6_PiJS6_EEE10hipError_tPvRmT3_T4_T5_T6_T7_T9_mT8_P12ihipStream_tbDpT10_ENKUlT_T0_E_clISt17integral_constantIbLb0EES1A_IbLb1EEEEDaS16_S17_EUlS16_E_NS1_11comp_targetILNS1_3genE9ELNS1_11target_archE1100ELNS1_3gpuE3ELNS1_3repE0EEENS1_30default_config_static_selectorELNS0_4arch9wavefront6targetE0EEEvT1_,"axG",@progbits,_ZN7rocprim17ROCPRIM_400000_NS6detail17trampoline_kernelINS0_14default_configENS1_25partition_config_selectorILNS1_17partition_subalgoE5ElNS0_10empty_typeEbEEZZNS1_14partition_implILS5_5ELb0ES3_mN6hipcub16HIPCUB_304000_NS21CountingInputIteratorIllEEPS6_NSA_22TransformInputIteratorIbN2at6native12_GLOBAL__N_19NonZeroOpIfEEPKflEENS0_5tupleIJPlS6_EEENSN_IJSD_SD_EEES6_PiJS6_EEE10hipError_tPvRmT3_T4_T5_T6_T7_T9_mT8_P12ihipStream_tbDpT10_ENKUlT_T0_E_clISt17integral_constantIbLb0EES1A_IbLb1EEEEDaS16_S17_EUlS16_E_NS1_11comp_targetILNS1_3genE9ELNS1_11target_archE1100ELNS1_3gpuE3ELNS1_3repE0EEENS1_30default_config_static_selectorELNS0_4arch9wavefront6targetE0EEEvT1_,comdat
.Lfunc_end488:
	.size	_ZN7rocprim17ROCPRIM_400000_NS6detail17trampoline_kernelINS0_14default_configENS1_25partition_config_selectorILNS1_17partition_subalgoE5ElNS0_10empty_typeEbEEZZNS1_14partition_implILS5_5ELb0ES3_mN6hipcub16HIPCUB_304000_NS21CountingInputIteratorIllEEPS6_NSA_22TransformInputIteratorIbN2at6native12_GLOBAL__N_19NonZeroOpIfEEPKflEENS0_5tupleIJPlS6_EEENSN_IJSD_SD_EEES6_PiJS6_EEE10hipError_tPvRmT3_T4_T5_T6_T7_T9_mT8_P12ihipStream_tbDpT10_ENKUlT_T0_E_clISt17integral_constantIbLb0EES1A_IbLb1EEEEDaS16_S17_EUlS16_E_NS1_11comp_targetILNS1_3genE9ELNS1_11target_archE1100ELNS1_3gpuE3ELNS1_3repE0EEENS1_30default_config_static_selectorELNS0_4arch9wavefront6targetE0EEEvT1_, .Lfunc_end488-_ZN7rocprim17ROCPRIM_400000_NS6detail17trampoline_kernelINS0_14default_configENS1_25partition_config_selectorILNS1_17partition_subalgoE5ElNS0_10empty_typeEbEEZZNS1_14partition_implILS5_5ELb0ES3_mN6hipcub16HIPCUB_304000_NS21CountingInputIteratorIllEEPS6_NSA_22TransformInputIteratorIbN2at6native12_GLOBAL__N_19NonZeroOpIfEEPKflEENS0_5tupleIJPlS6_EEENSN_IJSD_SD_EEES6_PiJS6_EEE10hipError_tPvRmT3_T4_T5_T6_T7_T9_mT8_P12ihipStream_tbDpT10_ENKUlT_T0_E_clISt17integral_constantIbLb0EES1A_IbLb1EEEEDaS16_S17_EUlS16_E_NS1_11comp_targetILNS1_3genE9ELNS1_11target_archE1100ELNS1_3gpuE3ELNS1_3repE0EEENS1_30default_config_static_selectorELNS0_4arch9wavefront6targetE0EEEvT1_
                                        ; -- End function
	.set _ZN7rocprim17ROCPRIM_400000_NS6detail17trampoline_kernelINS0_14default_configENS1_25partition_config_selectorILNS1_17partition_subalgoE5ElNS0_10empty_typeEbEEZZNS1_14partition_implILS5_5ELb0ES3_mN6hipcub16HIPCUB_304000_NS21CountingInputIteratorIllEEPS6_NSA_22TransformInputIteratorIbN2at6native12_GLOBAL__N_19NonZeroOpIfEEPKflEENS0_5tupleIJPlS6_EEENSN_IJSD_SD_EEES6_PiJS6_EEE10hipError_tPvRmT3_T4_T5_T6_T7_T9_mT8_P12ihipStream_tbDpT10_ENKUlT_T0_E_clISt17integral_constantIbLb0EES1A_IbLb1EEEEDaS16_S17_EUlS16_E_NS1_11comp_targetILNS1_3genE9ELNS1_11target_archE1100ELNS1_3gpuE3ELNS1_3repE0EEENS1_30default_config_static_selectorELNS0_4arch9wavefront6targetE0EEEvT1_.num_vgpr, 0
	.set _ZN7rocprim17ROCPRIM_400000_NS6detail17trampoline_kernelINS0_14default_configENS1_25partition_config_selectorILNS1_17partition_subalgoE5ElNS0_10empty_typeEbEEZZNS1_14partition_implILS5_5ELb0ES3_mN6hipcub16HIPCUB_304000_NS21CountingInputIteratorIllEEPS6_NSA_22TransformInputIteratorIbN2at6native12_GLOBAL__N_19NonZeroOpIfEEPKflEENS0_5tupleIJPlS6_EEENSN_IJSD_SD_EEES6_PiJS6_EEE10hipError_tPvRmT3_T4_T5_T6_T7_T9_mT8_P12ihipStream_tbDpT10_ENKUlT_T0_E_clISt17integral_constantIbLb0EES1A_IbLb1EEEEDaS16_S17_EUlS16_E_NS1_11comp_targetILNS1_3genE9ELNS1_11target_archE1100ELNS1_3gpuE3ELNS1_3repE0EEENS1_30default_config_static_selectorELNS0_4arch9wavefront6targetE0EEEvT1_.num_agpr, 0
	.set _ZN7rocprim17ROCPRIM_400000_NS6detail17trampoline_kernelINS0_14default_configENS1_25partition_config_selectorILNS1_17partition_subalgoE5ElNS0_10empty_typeEbEEZZNS1_14partition_implILS5_5ELb0ES3_mN6hipcub16HIPCUB_304000_NS21CountingInputIteratorIllEEPS6_NSA_22TransformInputIteratorIbN2at6native12_GLOBAL__N_19NonZeroOpIfEEPKflEENS0_5tupleIJPlS6_EEENSN_IJSD_SD_EEES6_PiJS6_EEE10hipError_tPvRmT3_T4_T5_T6_T7_T9_mT8_P12ihipStream_tbDpT10_ENKUlT_T0_E_clISt17integral_constantIbLb0EES1A_IbLb1EEEEDaS16_S17_EUlS16_E_NS1_11comp_targetILNS1_3genE9ELNS1_11target_archE1100ELNS1_3gpuE3ELNS1_3repE0EEENS1_30default_config_static_selectorELNS0_4arch9wavefront6targetE0EEEvT1_.numbered_sgpr, 0
	.set _ZN7rocprim17ROCPRIM_400000_NS6detail17trampoline_kernelINS0_14default_configENS1_25partition_config_selectorILNS1_17partition_subalgoE5ElNS0_10empty_typeEbEEZZNS1_14partition_implILS5_5ELb0ES3_mN6hipcub16HIPCUB_304000_NS21CountingInputIteratorIllEEPS6_NSA_22TransformInputIteratorIbN2at6native12_GLOBAL__N_19NonZeroOpIfEEPKflEENS0_5tupleIJPlS6_EEENSN_IJSD_SD_EEES6_PiJS6_EEE10hipError_tPvRmT3_T4_T5_T6_T7_T9_mT8_P12ihipStream_tbDpT10_ENKUlT_T0_E_clISt17integral_constantIbLb0EES1A_IbLb1EEEEDaS16_S17_EUlS16_E_NS1_11comp_targetILNS1_3genE9ELNS1_11target_archE1100ELNS1_3gpuE3ELNS1_3repE0EEENS1_30default_config_static_selectorELNS0_4arch9wavefront6targetE0EEEvT1_.num_named_barrier, 0
	.set _ZN7rocprim17ROCPRIM_400000_NS6detail17trampoline_kernelINS0_14default_configENS1_25partition_config_selectorILNS1_17partition_subalgoE5ElNS0_10empty_typeEbEEZZNS1_14partition_implILS5_5ELb0ES3_mN6hipcub16HIPCUB_304000_NS21CountingInputIteratorIllEEPS6_NSA_22TransformInputIteratorIbN2at6native12_GLOBAL__N_19NonZeroOpIfEEPKflEENS0_5tupleIJPlS6_EEENSN_IJSD_SD_EEES6_PiJS6_EEE10hipError_tPvRmT3_T4_T5_T6_T7_T9_mT8_P12ihipStream_tbDpT10_ENKUlT_T0_E_clISt17integral_constantIbLb0EES1A_IbLb1EEEEDaS16_S17_EUlS16_E_NS1_11comp_targetILNS1_3genE9ELNS1_11target_archE1100ELNS1_3gpuE3ELNS1_3repE0EEENS1_30default_config_static_selectorELNS0_4arch9wavefront6targetE0EEEvT1_.private_seg_size, 0
	.set _ZN7rocprim17ROCPRIM_400000_NS6detail17trampoline_kernelINS0_14default_configENS1_25partition_config_selectorILNS1_17partition_subalgoE5ElNS0_10empty_typeEbEEZZNS1_14partition_implILS5_5ELb0ES3_mN6hipcub16HIPCUB_304000_NS21CountingInputIteratorIllEEPS6_NSA_22TransformInputIteratorIbN2at6native12_GLOBAL__N_19NonZeroOpIfEEPKflEENS0_5tupleIJPlS6_EEENSN_IJSD_SD_EEES6_PiJS6_EEE10hipError_tPvRmT3_T4_T5_T6_T7_T9_mT8_P12ihipStream_tbDpT10_ENKUlT_T0_E_clISt17integral_constantIbLb0EES1A_IbLb1EEEEDaS16_S17_EUlS16_E_NS1_11comp_targetILNS1_3genE9ELNS1_11target_archE1100ELNS1_3gpuE3ELNS1_3repE0EEENS1_30default_config_static_selectorELNS0_4arch9wavefront6targetE0EEEvT1_.uses_vcc, 0
	.set _ZN7rocprim17ROCPRIM_400000_NS6detail17trampoline_kernelINS0_14default_configENS1_25partition_config_selectorILNS1_17partition_subalgoE5ElNS0_10empty_typeEbEEZZNS1_14partition_implILS5_5ELb0ES3_mN6hipcub16HIPCUB_304000_NS21CountingInputIteratorIllEEPS6_NSA_22TransformInputIteratorIbN2at6native12_GLOBAL__N_19NonZeroOpIfEEPKflEENS0_5tupleIJPlS6_EEENSN_IJSD_SD_EEES6_PiJS6_EEE10hipError_tPvRmT3_T4_T5_T6_T7_T9_mT8_P12ihipStream_tbDpT10_ENKUlT_T0_E_clISt17integral_constantIbLb0EES1A_IbLb1EEEEDaS16_S17_EUlS16_E_NS1_11comp_targetILNS1_3genE9ELNS1_11target_archE1100ELNS1_3gpuE3ELNS1_3repE0EEENS1_30default_config_static_selectorELNS0_4arch9wavefront6targetE0EEEvT1_.uses_flat_scratch, 0
	.set _ZN7rocprim17ROCPRIM_400000_NS6detail17trampoline_kernelINS0_14default_configENS1_25partition_config_selectorILNS1_17partition_subalgoE5ElNS0_10empty_typeEbEEZZNS1_14partition_implILS5_5ELb0ES3_mN6hipcub16HIPCUB_304000_NS21CountingInputIteratorIllEEPS6_NSA_22TransformInputIteratorIbN2at6native12_GLOBAL__N_19NonZeroOpIfEEPKflEENS0_5tupleIJPlS6_EEENSN_IJSD_SD_EEES6_PiJS6_EEE10hipError_tPvRmT3_T4_T5_T6_T7_T9_mT8_P12ihipStream_tbDpT10_ENKUlT_T0_E_clISt17integral_constantIbLb0EES1A_IbLb1EEEEDaS16_S17_EUlS16_E_NS1_11comp_targetILNS1_3genE9ELNS1_11target_archE1100ELNS1_3gpuE3ELNS1_3repE0EEENS1_30default_config_static_selectorELNS0_4arch9wavefront6targetE0EEEvT1_.has_dyn_sized_stack, 0
	.set _ZN7rocprim17ROCPRIM_400000_NS6detail17trampoline_kernelINS0_14default_configENS1_25partition_config_selectorILNS1_17partition_subalgoE5ElNS0_10empty_typeEbEEZZNS1_14partition_implILS5_5ELb0ES3_mN6hipcub16HIPCUB_304000_NS21CountingInputIteratorIllEEPS6_NSA_22TransformInputIteratorIbN2at6native12_GLOBAL__N_19NonZeroOpIfEEPKflEENS0_5tupleIJPlS6_EEENSN_IJSD_SD_EEES6_PiJS6_EEE10hipError_tPvRmT3_T4_T5_T6_T7_T9_mT8_P12ihipStream_tbDpT10_ENKUlT_T0_E_clISt17integral_constantIbLb0EES1A_IbLb1EEEEDaS16_S17_EUlS16_E_NS1_11comp_targetILNS1_3genE9ELNS1_11target_archE1100ELNS1_3gpuE3ELNS1_3repE0EEENS1_30default_config_static_selectorELNS0_4arch9wavefront6targetE0EEEvT1_.has_recursion, 0
	.set _ZN7rocprim17ROCPRIM_400000_NS6detail17trampoline_kernelINS0_14default_configENS1_25partition_config_selectorILNS1_17partition_subalgoE5ElNS0_10empty_typeEbEEZZNS1_14partition_implILS5_5ELb0ES3_mN6hipcub16HIPCUB_304000_NS21CountingInputIteratorIllEEPS6_NSA_22TransformInputIteratorIbN2at6native12_GLOBAL__N_19NonZeroOpIfEEPKflEENS0_5tupleIJPlS6_EEENSN_IJSD_SD_EEES6_PiJS6_EEE10hipError_tPvRmT3_T4_T5_T6_T7_T9_mT8_P12ihipStream_tbDpT10_ENKUlT_T0_E_clISt17integral_constantIbLb0EES1A_IbLb1EEEEDaS16_S17_EUlS16_E_NS1_11comp_targetILNS1_3genE9ELNS1_11target_archE1100ELNS1_3gpuE3ELNS1_3repE0EEENS1_30default_config_static_selectorELNS0_4arch9wavefront6targetE0EEEvT1_.has_indirect_call, 0
	.section	.AMDGPU.csdata,"",@progbits
; Kernel info:
; codeLenInByte = 0
; TotalNumSgprs: 0
; NumVgprs: 0
; ScratchSize: 0
; MemoryBound: 0
; FloatMode: 240
; IeeeMode: 1
; LDSByteSize: 0 bytes/workgroup (compile time only)
; SGPRBlocks: 0
; VGPRBlocks: 0
; NumSGPRsForWavesPerEU: 1
; NumVGPRsForWavesPerEU: 1
; Occupancy: 16
; WaveLimiterHint : 0
; COMPUTE_PGM_RSRC2:SCRATCH_EN: 0
; COMPUTE_PGM_RSRC2:USER_SGPR: 2
; COMPUTE_PGM_RSRC2:TRAP_HANDLER: 0
; COMPUTE_PGM_RSRC2:TGID_X_EN: 1
; COMPUTE_PGM_RSRC2:TGID_Y_EN: 0
; COMPUTE_PGM_RSRC2:TGID_Z_EN: 0
; COMPUTE_PGM_RSRC2:TIDIG_COMP_CNT: 0
	.section	.text._ZN7rocprim17ROCPRIM_400000_NS6detail17trampoline_kernelINS0_14default_configENS1_25partition_config_selectorILNS1_17partition_subalgoE5ElNS0_10empty_typeEbEEZZNS1_14partition_implILS5_5ELb0ES3_mN6hipcub16HIPCUB_304000_NS21CountingInputIteratorIllEEPS6_NSA_22TransformInputIteratorIbN2at6native12_GLOBAL__N_19NonZeroOpIfEEPKflEENS0_5tupleIJPlS6_EEENSN_IJSD_SD_EEES6_PiJS6_EEE10hipError_tPvRmT3_T4_T5_T6_T7_T9_mT8_P12ihipStream_tbDpT10_ENKUlT_T0_E_clISt17integral_constantIbLb0EES1A_IbLb1EEEEDaS16_S17_EUlS16_E_NS1_11comp_targetILNS1_3genE8ELNS1_11target_archE1030ELNS1_3gpuE2ELNS1_3repE0EEENS1_30default_config_static_selectorELNS0_4arch9wavefront6targetE0EEEvT1_,"axG",@progbits,_ZN7rocprim17ROCPRIM_400000_NS6detail17trampoline_kernelINS0_14default_configENS1_25partition_config_selectorILNS1_17partition_subalgoE5ElNS0_10empty_typeEbEEZZNS1_14partition_implILS5_5ELb0ES3_mN6hipcub16HIPCUB_304000_NS21CountingInputIteratorIllEEPS6_NSA_22TransformInputIteratorIbN2at6native12_GLOBAL__N_19NonZeroOpIfEEPKflEENS0_5tupleIJPlS6_EEENSN_IJSD_SD_EEES6_PiJS6_EEE10hipError_tPvRmT3_T4_T5_T6_T7_T9_mT8_P12ihipStream_tbDpT10_ENKUlT_T0_E_clISt17integral_constantIbLb0EES1A_IbLb1EEEEDaS16_S17_EUlS16_E_NS1_11comp_targetILNS1_3genE8ELNS1_11target_archE1030ELNS1_3gpuE2ELNS1_3repE0EEENS1_30default_config_static_selectorELNS0_4arch9wavefront6targetE0EEEvT1_,comdat
	.globl	_ZN7rocprim17ROCPRIM_400000_NS6detail17trampoline_kernelINS0_14default_configENS1_25partition_config_selectorILNS1_17partition_subalgoE5ElNS0_10empty_typeEbEEZZNS1_14partition_implILS5_5ELb0ES3_mN6hipcub16HIPCUB_304000_NS21CountingInputIteratorIllEEPS6_NSA_22TransformInputIteratorIbN2at6native12_GLOBAL__N_19NonZeroOpIfEEPKflEENS0_5tupleIJPlS6_EEENSN_IJSD_SD_EEES6_PiJS6_EEE10hipError_tPvRmT3_T4_T5_T6_T7_T9_mT8_P12ihipStream_tbDpT10_ENKUlT_T0_E_clISt17integral_constantIbLb0EES1A_IbLb1EEEEDaS16_S17_EUlS16_E_NS1_11comp_targetILNS1_3genE8ELNS1_11target_archE1030ELNS1_3gpuE2ELNS1_3repE0EEENS1_30default_config_static_selectorELNS0_4arch9wavefront6targetE0EEEvT1_ ; -- Begin function _ZN7rocprim17ROCPRIM_400000_NS6detail17trampoline_kernelINS0_14default_configENS1_25partition_config_selectorILNS1_17partition_subalgoE5ElNS0_10empty_typeEbEEZZNS1_14partition_implILS5_5ELb0ES3_mN6hipcub16HIPCUB_304000_NS21CountingInputIteratorIllEEPS6_NSA_22TransformInputIteratorIbN2at6native12_GLOBAL__N_19NonZeroOpIfEEPKflEENS0_5tupleIJPlS6_EEENSN_IJSD_SD_EEES6_PiJS6_EEE10hipError_tPvRmT3_T4_T5_T6_T7_T9_mT8_P12ihipStream_tbDpT10_ENKUlT_T0_E_clISt17integral_constantIbLb0EES1A_IbLb1EEEEDaS16_S17_EUlS16_E_NS1_11comp_targetILNS1_3genE8ELNS1_11target_archE1030ELNS1_3gpuE2ELNS1_3repE0EEENS1_30default_config_static_selectorELNS0_4arch9wavefront6targetE0EEEvT1_
	.p2align	8
	.type	_ZN7rocprim17ROCPRIM_400000_NS6detail17trampoline_kernelINS0_14default_configENS1_25partition_config_selectorILNS1_17partition_subalgoE5ElNS0_10empty_typeEbEEZZNS1_14partition_implILS5_5ELb0ES3_mN6hipcub16HIPCUB_304000_NS21CountingInputIteratorIllEEPS6_NSA_22TransformInputIteratorIbN2at6native12_GLOBAL__N_19NonZeroOpIfEEPKflEENS0_5tupleIJPlS6_EEENSN_IJSD_SD_EEES6_PiJS6_EEE10hipError_tPvRmT3_T4_T5_T6_T7_T9_mT8_P12ihipStream_tbDpT10_ENKUlT_T0_E_clISt17integral_constantIbLb0EES1A_IbLb1EEEEDaS16_S17_EUlS16_E_NS1_11comp_targetILNS1_3genE8ELNS1_11target_archE1030ELNS1_3gpuE2ELNS1_3repE0EEENS1_30default_config_static_selectorELNS0_4arch9wavefront6targetE0EEEvT1_,@function
_ZN7rocprim17ROCPRIM_400000_NS6detail17trampoline_kernelINS0_14default_configENS1_25partition_config_selectorILNS1_17partition_subalgoE5ElNS0_10empty_typeEbEEZZNS1_14partition_implILS5_5ELb0ES3_mN6hipcub16HIPCUB_304000_NS21CountingInputIteratorIllEEPS6_NSA_22TransformInputIteratorIbN2at6native12_GLOBAL__N_19NonZeroOpIfEEPKflEENS0_5tupleIJPlS6_EEENSN_IJSD_SD_EEES6_PiJS6_EEE10hipError_tPvRmT3_T4_T5_T6_T7_T9_mT8_P12ihipStream_tbDpT10_ENKUlT_T0_E_clISt17integral_constantIbLb0EES1A_IbLb1EEEEDaS16_S17_EUlS16_E_NS1_11comp_targetILNS1_3genE8ELNS1_11target_archE1030ELNS1_3gpuE2ELNS1_3repE0EEENS1_30default_config_static_selectorELNS0_4arch9wavefront6targetE0EEEvT1_: ; @_ZN7rocprim17ROCPRIM_400000_NS6detail17trampoline_kernelINS0_14default_configENS1_25partition_config_selectorILNS1_17partition_subalgoE5ElNS0_10empty_typeEbEEZZNS1_14partition_implILS5_5ELb0ES3_mN6hipcub16HIPCUB_304000_NS21CountingInputIteratorIllEEPS6_NSA_22TransformInputIteratorIbN2at6native12_GLOBAL__N_19NonZeroOpIfEEPKflEENS0_5tupleIJPlS6_EEENSN_IJSD_SD_EEES6_PiJS6_EEE10hipError_tPvRmT3_T4_T5_T6_T7_T9_mT8_P12ihipStream_tbDpT10_ENKUlT_T0_E_clISt17integral_constantIbLb0EES1A_IbLb1EEEEDaS16_S17_EUlS16_E_NS1_11comp_targetILNS1_3genE8ELNS1_11target_archE1030ELNS1_3gpuE2ELNS1_3repE0EEENS1_30default_config_static_selectorELNS0_4arch9wavefront6targetE0EEEvT1_
; %bb.0:
	.section	.rodata,"a",@progbits
	.p2align	6, 0x0
	.amdhsa_kernel _ZN7rocprim17ROCPRIM_400000_NS6detail17trampoline_kernelINS0_14default_configENS1_25partition_config_selectorILNS1_17partition_subalgoE5ElNS0_10empty_typeEbEEZZNS1_14partition_implILS5_5ELb0ES3_mN6hipcub16HIPCUB_304000_NS21CountingInputIteratorIllEEPS6_NSA_22TransformInputIteratorIbN2at6native12_GLOBAL__N_19NonZeroOpIfEEPKflEENS0_5tupleIJPlS6_EEENSN_IJSD_SD_EEES6_PiJS6_EEE10hipError_tPvRmT3_T4_T5_T6_T7_T9_mT8_P12ihipStream_tbDpT10_ENKUlT_T0_E_clISt17integral_constantIbLb0EES1A_IbLb1EEEEDaS16_S17_EUlS16_E_NS1_11comp_targetILNS1_3genE8ELNS1_11target_archE1030ELNS1_3gpuE2ELNS1_3repE0EEENS1_30default_config_static_selectorELNS0_4arch9wavefront6targetE0EEEvT1_
		.amdhsa_group_segment_fixed_size 0
		.amdhsa_private_segment_fixed_size 0
		.amdhsa_kernarg_size 136
		.amdhsa_user_sgpr_count 2
		.amdhsa_user_sgpr_dispatch_ptr 0
		.amdhsa_user_sgpr_queue_ptr 0
		.amdhsa_user_sgpr_kernarg_segment_ptr 1
		.amdhsa_user_sgpr_dispatch_id 0
		.amdhsa_user_sgpr_private_segment_size 0
		.amdhsa_wavefront_size32 1
		.amdhsa_uses_dynamic_stack 0
		.amdhsa_enable_private_segment 0
		.amdhsa_system_sgpr_workgroup_id_x 1
		.amdhsa_system_sgpr_workgroup_id_y 0
		.amdhsa_system_sgpr_workgroup_id_z 0
		.amdhsa_system_sgpr_workgroup_info 0
		.amdhsa_system_vgpr_workitem_id 0
		.amdhsa_next_free_vgpr 1
		.amdhsa_next_free_sgpr 1
		.amdhsa_reserve_vcc 0
		.amdhsa_float_round_mode_32 0
		.amdhsa_float_round_mode_16_64 0
		.amdhsa_float_denorm_mode_32 3
		.amdhsa_float_denorm_mode_16_64 3
		.amdhsa_fp16_overflow 0
		.amdhsa_workgroup_processor_mode 1
		.amdhsa_memory_ordered 1
		.amdhsa_forward_progress 1
		.amdhsa_inst_pref_size 0
		.amdhsa_round_robin_scheduling 0
		.amdhsa_exception_fp_ieee_invalid_op 0
		.amdhsa_exception_fp_denorm_src 0
		.amdhsa_exception_fp_ieee_div_zero 0
		.amdhsa_exception_fp_ieee_overflow 0
		.amdhsa_exception_fp_ieee_underflow 0
		.amdhsa_exception_fp_ieee_inexact 0
		.amdhsa_exception_int_div_zero 0
	.end_amdhsa_kernel
	.section	.text._ZN7rocprim17ROCPRIM_400000_NS6detail17trampoline_kernelINS0_14default_configENS1_25partition_config_selectorILNS1_17partition_subalgoE5ElNS0_10empty_typeEbEEZZNS1_14partition_implILS5_5ELb0ES3_mN6hipcub16HIPCUB_304000_NS21CountingInputIteratorIllEEPS6_NSA_22TransformInputIteratorIbN2at6native12_GLOBAL__N_19NonZeroOpIfEEPKflEENS0_5tupleIJPlS6_EEENSN_IJSD_SD_EEES6_PiJS6_EEE10hipError_tPvRmT3_T4_T5_T6_T7_T9_mT8_P12ihipStream_tbDpT10_ENKUlT_T0_E_clISt17integral_constantIbLb0EES1A_IbLb1EEEEDaS16_S17_EUlS16_E_NS1_11comp_targetILNS1_3genE8ELNS1_11target_archE1030ELNS1_3gpuE2ELNS1_3repE0EEENS1_30default_config_static_selectorELNS0_4arch9wavefront6targetE0EEEvT1_,"axG",@progbits,_ZN7rocprim17ROCPRIM_400000_NS6detail17trampoline_kernelINS0_14default_configENS1_25partition_config_selectorILNS1_17partition_subalgoE5ElNS0_10empty_typeEbEEZZNS1_14partition_implILS5_5ELb0ES3_mN6hipcub16HIPCUB_304000_NS21CountingInputIteratorIllEEPS6_NSA_22TransformInputIteratorIbN2at6native12_GLOBAL__N_19NonZeroOpIfEEPKflEENS0_5tupleIJPlS6_EEENSN_IJSD_SD_EEES6_PiJS6_EEE10hipError_tPvRmT3_T4_T5_T6_T7_T9_mT8_P12ihipStream_tbDpT10_ENKUlT_T0_E_clISt17integral_constantIbLb0EES1A_IbLb1EEEEDaS16_S17_EUlS16_E_NS1_11comp_targetILNS1_3genE8ELNS1_11target_archE1030ELNS1_3gpuE2ELNS1_3repE0EEENS1_30default_config_static_selectorELNS0_4arch9wavefront6targetE0EEEvT1_,comdat
.Lfunc_end489:
	.size	_ZN7rocprim17ROCPRIM_400000_NS6detail17trampoline_kernelINS0_14default_configENS1_25partition_config_selectorILNS1_17partition_subalgoE5ElNS0_10empty_typeEbEEZZNS1_14partition_implILS5_5ELb0ES3_mN6hipcub16HIPCUB_304000_NS21CountingInputIteratorIllEEPS6_NSA_22TransformInputIteratorIbN2at6native12_GLOBAL__N_19NonZeroOpIfEEPKflEENS0_5tupleIJPlS6_EEENSN_IJSD_SD_EEES6_PiJS6_EEE10hipError_tPvRmT3_T4_T5_T6_T7_T9_mT8_P12ihipStream_tbDpT10_ENKUlT_T0_E_clISt17integral_constantIbLb0EES1A_IbLb1EEEEDaS16_S17_EUlS16_E_NS1_11comp_targetILNS1_3genE8ELNS1_11target_archE1030ELNS1_3gpuE2ELNS1_3repE0EEENS1_30default_config_static_selectorELNS0_4arch9wavefront6targetE0EEEvT1_, .Lfunc_end489-_ZN7rocprim17ROCPRIM_400000_NS6detail17trampoline_kernelINS0_14default_configENS1_25partition_config_selectorILNS1_17partition_subalgoE5ElNS0_10empty_typeEbEEZZNS1_14partition_implILS5_5ELb0ES3_mN6hipcub16HIPCUB_304000_NS21CountingInputIteratorIllEEPS6_NSA_22TransformInputIteratorIbN2at6native12_GLOBAL__N_19NonZeroOpIfEEPKflEENS0_5tupleIJPlS6_EEENSN_IJSD_SD_EEES6_PiJS6_EEE10hipError_tPvRmT3_T4_T5_T6_T7_T9_mT8_P12ihipStream_tbDpT10_ENKUlT_T0_E_clISt17integral_constantIbLb0EES1A_IbLb1EEEEDaS16_S17_EUlS16_E_NS1_11comp_targetILNS1_3genE8ELNS1_11target_archE1030ELNS1_3gpuE2ELNS1_3repE0EEENS1_30default_config_static_selectorELNS0_4arch9wavefront6targetE0EEEvT1_
                                        ; -- End function
	.set _ZN7rocprim17ROCPRIM_400000_NS6detail17trampoline_kernelINS0_14default_configENS1_25partition_config_selectorILNS1_17partition_subalgoE5ElNS0_10empty_typeEbEEZZNS1_14partition_implILS5_5ELb0ES3_mN6hipcub16HIPCUB_304000_NS21CountingInputIteratorIllEEPS6_NSA_22TransformInputIteratorIbN2at6native12_GLOBAL__N_19NonZeroOpIfEEPKflEENS0_5tupleIJPlS6_EEENSN_IJSD_SD_EEES6_PiJS6_EEE10hipError_tPvRmT3_T4_T5_T6_T7_T9_mT8_P12ihipStream_tbDpT10_ENKUlT_T0_E_clISt17integral_constantIbLb0EES1A_IbLb1EEEEDaS16_S17_EUlS16_E_NS1_11comp_targetILNS1_3genE8ELNS1_11target_archE1030ELNS1_3gpuE2ELNS1_3repE0EEENS1_30default_config_static_selectorELNS0_4arch9wavefront6targetE0EEEvT1_.num_vgpr, 0
	.set _ZN7rocprim17ROCPRIM_400000_NS6detail17trampoline_kernelINS0_14default_configENS1_25partition_config_selectorILNS1_17partition_subalgoE5ElNS0_10empty_typeEbEEZZNS1_14partition_implILS5_5ELb0ES3_mN6hipcub16HIPCUB_304000_NS21CountingInputIteratorIllEEPS6_NSA_22TransformInputIteratorIbN2at6native12_GLOBAL__N_19NonZeroOpIfEEPKflEENS0_5tupleIJPlS6_EEENSN_IJSD_SD_EEES6_PiJS6_EEE10hipError_tPvRmT3_T4_T5_T6_T7_T9_mT8_P12ihipStream_tbDpT10_ENKUlT_T0_E_clISt17integral_constantIbLb0EES1A_IbLb1EEEEDaS16_S17_EUlS16_E_NS1_11comp_targetILNS1_3genE8ELNS1_11target_archE1030ELNS1_3gpuE2ELNS1_3repE0EEENS1_30default_config_static_selectorELNS0_4arch9wavefront6targetE0EEEvT1_.num_agpr, 0
	.set _ZN7rocprim17ROCPRIM_400000_NS6detail17trampoline_kernelINS0_14default_configENS1_25partition_config_selectorILNS1_17partition_subalgoE5ElNS0_10empty_typeEbEEZZNS1_14partition_implILS5_5ELb0ES3_mN6hipcub16HIPCUB_304000_NS21CountingInputIteratorIllEEPS6_NSA_22TransformInputIteratorIbN2at6native12_GLOBAL__N_19NonZeroOpIfEEPKflEENS0_5tupleIJPlS6_EEENSN_IJSD_SD_EEES6_PiJS6_EEE10hipError_tPvRmT3_T4_T5_T6_T7_T9_mT8_P12ihipStream_tbDpT10_ENKUlT_T0_E_clISt17integral_constantIbLb0EES1A_IbLb1EEEEDaS16_S17_EUlS16_E_NS1_11comp_targetILNS1_3genE8ELNS1_11target_archE1030ELNS1_3gpuE2ELNS1_3repE0EEENS1_30default_config_static_selectorELNS0_4arch9wavefront6targetE0EEEvT1_.numbered_sgpr, 0
	.set _ZN7rocprim17ROCPRIM_400000_NS6detail17trampoline_kernelINS0_14default_configENS1_25partition_config_selectorILNS1_17partition_subalgoE5ElNS0_10empty_typeEbEEZZNS1_14partition_implILS5_5ELb0ES3_mN6hipcub16HIPCUB_304000_NS21CountingInputIteratorIllEEPS6_NSA_22TransformInputIteratorIbN2at6native12_GLOBAL__N_19NonZeroOpIfEEPKflEENS0_5tupleIJPlS6_EEENSN_IJSD_SD_EEES6_PiJS6_EEE10hipError_tPvRmT3_T4_T5_T6_T7_T9_mT8_P12ihipStream_tbDpT10_ENKUlT_T0_E_clISt17integral_constantIbLb0EES1A_IbLb1EEEEDaS16_S17_EUlS16_E_NS1_11comp_targetILNS1_3genE8ELNS1_11target_archE1030ELNS1_3gpuE2ELNS1_3repE0EEENS1_30default_config_static_selectorELNS0_4arch9wavefront6targetE0EEEvT1_.num_named_barrier, 0
	.set _ZN7rocprim17ROCPRIM_400000_NS6detail17trampoline_kernelINS0_14default_configENS1_25partition_config_selectorILNS1_17partition_subalgoE5ElNS0_10empty_typeEbEEZZNS1_14partition_implILS5_5ELb0ES3_mN6hipcub16HIPCUB_304000_NS21CountingInputIteratorIllEEPS6_NSA_22TransformInputIteratorIbN2at6native12_GLOBAL__N_19NonZeroOpIfEEPKflEENS0_5tupleIJPlS6_EEENSN_IJSD_SD_EEES6_PiJS6_EEE10hipError_tPvRmT3_T4_T5_T6_T7_T9_mT8_P12ihipStream_tbDpT10_ENKUlT_T0_E_clISt17integral_constantIbLb0EES1A_IbLb1EEEEDaS16_S17_EUlS16_E_NS1_11comp_targetILNS1_3genE8ELNS1_11target_archE1030ELNS1_3gpuE2ELNS1_3repE0EEENS1_30default_config_static_selectorELNS0_4arch9wavefront6targetE0EEEvT1_.private_seg_size, 0
	.set _ZN7rocprim17ROCPRIM_400000_NS6detail17trampoline_kernelINS0_14default_configENS1_25partition_config_selectorILNS1_17partition_subalgoE5ElNS0_10empty_typeEbEEZZNS1_14partition_implILS5_5ELb0ES3_mN6hipcub16HIPCUB_304000_NS21CountingInputIteratorIllEEPS6_NSA_22TransformInputIteratorIbN2at6native12_GLOBAL__N_19NonZeroOpIfEEPKflEENS0_5tupleIJPlS6_EEENSN_IJSD_SD_EEES6_PiJS6_EEE10hipError_tPvRmT3_T4_T5_T6_T7_T9_mT8_P12ihipStream_tbDpT10_ENKUlT_T0_E_clISt17integral_constantIbLb0EES1A_IbLb1EEEEDaS16_S17_EUlS16_E_NS1_11comp_targetILNS1_3genE8ELNS1_11target_archE1030ELNS1_3gpuE2ELNS1_3repE0EEENS1_30default_config_static_selectorELNS0_4arch9wavefront6targetE0EEEvT1_.uses_vcc, 0
	.set _ZN7rocprim17ROCPRIM_400000_NS6detail17trampoline_kernelINS0_14default_configENS1_25partition_config_selectorILNS1_17partition_subalgoE5ElNS0_10empty_typeEbEEZZNS1_14partition_implILS5_5ELb0ES3_mN6hipcub16HIPCUB_304000_NS21CountingInputIteratorIllEEPS6_NSA_22TransformInputIteratorIbN2at6native12_GLOBAL__N_19NonZeroOpIfEEPKflEENS0_5tupleIJPlS6_EEENSN_IJSD_SD_EEES6_PiJS6_EEE10hipError_tPvRmT3_T4_T5_T6_T7_T9_mT8_P12ihipStream_tbDpT10_ENKUlT_T0_E_clISt17integral_constantIbLb0EES1A_IbLb1EEEEDaS16_S17_EUlS16_E_NS1_11comp_targetILNS1_3genE8ELNS1_11target_archE1030ELNS1_3gpuE2ELNS1_3repE0EEENS1_30default_config_static_selectorELNS0_4arch9wavefront6targetE0EEEvT1_.uses_flat_scratch, 0
	.set _ZN7rocprim17ROCPRIM_400000_NS6detail17trampoline_kernelINS0_14default_configENS1_25partition_config_selectorILNS1_17partition_subalgoE5ElNS0_10empty_typeEbEEZZNS1_14partition_implILS5_5ELb0ES3_mN6hipcub16HIPCUB_304000_NS21CountingInputIteratorIllEEPS6_NSA_22TransformInputIteratorIbN2at6native12_GLOBAL__N_19NonZeroOpIfEEPKflEENS0_5tupleIJPlS6_EEENSN_IJSD_SD_EEES6_PiJS6_EEE10hipError_tPvRmT3_T4_T5_T6_T7_T9_mT8_P12ihipStream_tbDpT10_ENKUlT_T0_E_clISt17integral_constantIbLb0EES1A_IbLb1EEEEDaS16_S17_EUlS16_E_NS1_11comp_targetILNS1_3genE8ELNS1_11target_archE1030ELNS1_3gpuE2ELNS1_3repE0EEENS1_30default_config_static_selectorELNS0_4arch9wavefront6targetE0EEEvT1_.has_dyn_sized_stack, 0
	.set _ZN7rocprim17ROCPRIM_400000_NS6detail17trampoline_kernelINS0_14default_configENS1_25partition_config_selectorILNS1_17partition_subalgoE5ElNS0_10empty_typeEbEEZZNS1_14partition_implILS5_5ELb0ES3_mN6hipcub16HIPCUB_304000_NS21CountingInputIteratorIllEEPS6_NSA_22TransformInputIteratorIbN2at6native12_GLOBAL__N_19NonZeroOpIfEEPKflEENS0_5tupleIJPlS6_EEENSN_IJSD_SD_EEES6_PiJS6_EEE10hipError_tPvRmT3_T4_T5_T6_T7_T9_mT8_P12ihipStream_tbDpT10_ENKUlT_T0_E_clISt17integral_constantIbLb0EES1A_IbLb1EEEEDaS16_S17_EUlS16_E_NS1_11comp_targetILNS1_3genE8ELNS1_11target_archE1030ELNS1_3gpuE2ELNS1_3repE0EEENS1_30default_config_static_selectorELNS0_4arch9wavefront6targetE0EEEvT1_.has_recursion, 0
	.set _ZN7rocprim17ROCPRIM_400000_NS6detail17trampoline_kernelINS0_14default_configENS1_25partition_config_selectorILNS1_17partition_subalgoE5ElNS0_10empty_typeEbEEZZNS1_14partition_implILS5_5ELb0ES3_mN6hipcub16HIPCUB_304000_NS21CountingInputIteratorIllEEPS6_NSA_22TransformInputIteratorIbN2at6native12_GLOBAL__N_19NonZeroOpIfEEPKflEENS0_5tupleIJPlS6_EEENSN_IJSD_SD_EEES6_PiJS6_EEE10hipError_tPvRmT3_T4_T5_T6_T7_T9_mT8_P12ihipStream_tbDpT10_ENKUlT_T0_E_clISt17integral_constantIbLb0EES1A_IbLb1EEEEDaS16_S17_EUlS16_E_NS1_11comp_targetILNS1_3genE8ELNS1_11target_archE1030ELNS1_3gpuE2ELNS1_3repE0EEENS1_30default_config_static_selectorELNS0_4arch9wavefront6targetE0EEEvT1_.has_indirect_call, 0
	.section	.AMDGPU.csdata,"",@progbits
; Kernel info:
; codeLenInByte = 0
; TotalNumSgprs: 0
; NumVgprs: 0
; ScratchSize: 0
; MemoryBound: 0
; FloatMode: 240
; IeeeMode: 1
; LDSByteSize: 0 bytes/workgroup (compile time only)
; SGPRBlocks: 0
; VGPRBlocks: 0
; NumSGPRsForWavesPerEU: 1
; NumVGPRsForWavesPerEU: 1
; Occupancy: 16
; WaveLimiterHint : 0
; COMPUTE_PGM_RSRC2:SCRATCH_EN: 0
; COMPUTE_PGM_RSRC2:USER_SGPR: 2
; COMPUTE_PGM_RSRC2:TRAP_HANDLER: 0
; COMPUTE_PGM_RSRC2:TGID_X_EN: 1
; COMPUTE_PGM_RSRC2:TGID_Y_EN: 0
; COMPUTE_PGM_RSRC2:TGID_Z_EN: 0
; COMPUTE_PGM_RSRC2:TIDIG_COMP_CNT: 0
	.section	.text._ZN7rocprim17ROCPRIM_400000_NS6detail17trampoline_kernelINS0_14default_configENS1_22reduce_config_selectorIiEEZNS1_11reduce_implILb1ES3_PiS7_iN6hipcub16HIPCUB_304000_NS6detail34convert_binary_result_type_wrapperINS9_3SumENS9_22TransformInputIteratorIbN2at6native12_GLOBAL__N_19NonZeroOpIN3c107complexIdEEEEPKSK_lEEiEEEE10hipError_tPvRmT1_T2_T3_mT4_P12ihipStream_tbEUlT_E0_NS1_11comp_targetILNS1_3genE0ELNS1_11target_archE4294967295ELNS1_3gpuE0ELNS1_3repE0EEENS1_30default_config_static_selectorELNS0_4arch9wavefront6targetE0EEEvST_,"axG",@progbits,_ZN7rocprim17ROCPRIM_400000_NS6detail17trampoline_kernelINS0_14default_configENS1_22reduce_config_selectorIiEEZNS1_11reduce_implILb1ES3_PiS7_iN6hipcub16HIPCUB_304000_NS6detail34convert_binary_result_type_wrapperINS9_3SumENS9_22TransformInputIteratorIbN2at6native12_GLOBAL__N_19NonZeroOpIN3c107complexIdEEEEPKSK_lEEiEEEE10hipError_tPvRmT1_T2_T3_mT4_P12ihipStream_tbEUlT_E0_NS1_11comp_targetILNS1_3genE0ELNS1_11target_archE4294967295ELNS1_3gpuE0ELNS1_3repE0EEENS1_30default_config_static_selectorELNS0_4arch9wavefront6targetE0EEEvST_,comdat
	.globl	_ZN7rocprim17ROCPRIM_400000_NS6detail17trampoline_kernelINS0_14default_configENS1_22reduce_config_selectorIiEEZNS1_11reduce_implILb1ES3_PiS7_iN6hipcub16HIPCUB_304000_NS6detail34convert_binary_result_type_wrapperINS9_3SumENS9_22TransformInputIteratorIbN2at6native12_GLOBAL__N_19NonZeroOpIN3c107complexIdEEEEPKSK_lEEiEEEE10hipError_tPvRmT1_T2_T3_mT4_P12ihipStream_tbEUlT_E0_NS1_11comp_targetILNS1_3genE0ELNS1_11target_archE4294967295ELNS1_3gpuE0ELNS1_3repE0EEENS1_30default_config_static_selectorELNS0_4arch9wavefront6targetE0EEEvST_ ; -- Begin function _ZN7rocprim17ROCPRIM_400000_NS6detail17trampoline_kernelINS0_14default_configENS1_22reduce_config_selectorIiEEZNS1_11reduce_implILb1ES3_PiS7_iN6hipcub16HIPCUB_304000_NS6detail34convert_binary_result_type_wrapperINS9_3SumENS9_22TransformInputIteratorIbN2at6native12_GLOBAL__N_19NonZeroOpIN3c107complexIdEEEEPKSK_lEEiEEEE10hipError_tPvRmT1_T2_T3_mT4_P12ihipStream_tbEUlT_E0_NS1_11comp_targetILNS1_3genE0ELNS1_11target_archE4294967295ELNS1_3gpuE0ELNS1_3repE0EEENS1_30default_config_static_selectorELNS0_4arch9wavefront6targetE0EEEvST_
	.p2align	8
	.type	_ZN7rocprim17ROCPRIM_400000_NS6detail17trampoline_kernelINS0_14default_configENS1_22reduce_config_selectorIiEEZNS1_11reduce_implILb1ES3_PiS7_iN6hipcub16HIPCUB_304000_NS6detail34convert_binary_result_type_wrapperINS9_3SumENS9_22TransformInputIteratorIbN2at6native12_GLOBAL__N_19NonZeroOpIN3c107complexIdEEEEPKSK_lEEiEEEE10hipError_tPvRmT1_T2_T3_mT4_P12ihipStream_tbEUlT_E0_NS1_11comp_targetILNS1_3genE0ELNS1_11target_archE4294967295ELNS1_3gpuE0ELNS1_3repE0EEENS1_30default_config_static_selectorELNS0_4arch9wavefront6targetE0EEEvST_,@function
_ZN7rocprim17ROCPRIM_400000_NS6detail17trampoline_kernelINS0_14default_configENS1_22reduce_config_selectorIiEEZNS1_11reduce_implILb1ES3_PiS7_iN6hipcub16HIPCUB_304000_NS6detail34convert_binary_result_type_wrapperINS9_3SumENS9_22TransformInputIteratorIbN2at6native12_GLOBAL__N_19NonZeroOpIN3c107complexIdEEEEPKSK_lEEiEEEE10hipError_tPvRmT1_T2_T3_mT4_P12ihipStream_tbEUlT_E0_NS1_11comp_targetILNS1_3genE0ELNS1_11target_archE4294967295ELNS1_3gpuE0ELNS1_3repE0EEENS1_30default_config_static_selectorELNS0_4arch9wavefront6targetE0EEEvST_: ; @_ZN7rocprim17ROCPRIM_400000_NS6detail17trampoline_kernelINS0_14default_configENS1_22reduce_config_selectorIiEEZNS1_11reduce_implILb1ES3_PiS7_iN6hipcub16HIPCUB_304000_NS6detail34convert_binary_result_type_wrapperINS9_3SumENS9_22TransformInputIteratorIbN2at6native12_GLOBAL__N_19NonZeroOpIN3c107complexIdEEEEPKSK_lEEiEEEE10hipError_tPvRmT1_T2_T3_mT4_P12ihipStream_tbEUlT_E0_NS1_11comp_targetILNS1_3genE0ELNS1_11target_archE4294967295ELNS1_3gpuE0ELNS1_3repE0EEENS1_30default_config_static_selectorELNS0_4arch9wavefront6targetE0EEEvST_
; %bb.0:
	.section	.rodata,"a",@progbits
	.p2align	6, 0x0
	.amdhsa_kernel _ZN7rocprim17ROCPRIM_400000_NS6detail17trampoline_kernelINS0_14default_configENS1_22reduce_config_selectorIiEEZNS1_11reduce_implILb1ES3_PiS7_iN6hipcub16HIPCUB_304000_NS6detail34convert_binary_result_type_wrapperINS9_3SumENS9_22TransformInputIteratorIbN2at6native12_GLOBAL__N_19NonZeroOpIN3c107complexIdEEEEPKSK_lEEiEEEE10hipError_tPvRmT1_T2_T3_mT4_P12ihipStream_tbEUlT_E0_NS1_11comp_targetILNS1_3genE0ELNS1_11target_archE4294967295ELNS1_3gpuE0ELNS1_3repE0EEENS1_30default_config_static_selectorELNS0_4arch9wavefront6targetE0EEEvST_
		.amdhsa_group_segment_fixed_size 0
		.amdhsa_private_segment_fixed_size 0
		.amdhsa_kernarg_size 56
		.amdhsa_user_sgpr_count 2
		.amdhsa_user_sgpr_dispatch_ptr 0
		.amdhsa_user_sgpr_queue_ptr 0
		.amdhsa_user_sgpr_kernarg_segment_ptr 1
		.amdhsa_user_sgpr_dispatch_id 0
		.amdhsa_user_sgpr_private_segment_size 0
		.amdhsa_wavefront_size32 1
		.amdhsa_uses_dynamic_stack 0
		.amdhsa_enable_private_segment 0
		.amdhsa_system_sgpr_workgroup_id_x 1
		.amdhsa_system_sgpr_workgroup_id_y 0
		.amdhsa_system_sgpr_workgroup_id_z 0
		.amdhsa_system_sgpr_workgroup_info 0
		.amdhsa_system_vgpr_workitem_id 0
		.amdhsa_next_free_vgpr 1
		.amdhsa_next_free_sgpr 1
		.amdhsa_reserve_vcc 0
		.amdhsa_float_round_mode_32 0
		.amdhsa_float_round_mode_16_64 0
		.amdhsa_float_denorm_mode_32 3
		.amdhsa_float_denorm_mode_16_64 3
		.amdhsa_fp16_overflow 0
		.amdhsa_workgroup_processor_mode 1
		.amdhsa_memory_ordered 1
		.amdhsa_forward_progress 1
		.amdhsa_inst_pref_size 0
		.amdhsa_round_robin_scheduling 0
		.amdhsa_exception_fp_ieee_invalid_op 0
		.amdhsa_exception_fp_denorm_src 0
		.amdhsa_exception_fp_ieee_div_zero 0
		.amdhsa_exception_fp_ieee_overflow 0
		.amdhsa_exception_fp_ieee_underflow 0
		.amdhsa_exception_fp_ieee_inexact 0
		.amdhsa_exception_int_div_zero 0
	.end_amdhsa_kernel
	.section	.text._ZN7rocprim17ROCPRIM_400000_NS6detail17trampoline_kernelINS0_14default_configENS1_22reduce_config_selectorIiEEZNS1_11reduce_implILb1ES3_PiS7_iN6hipcub16HIPCUB_304000_NS6detail34convert_binary_result_type_wrapperINS9_3SumENS9_22TransformInputIteratorIbN2at6native12_GLOBAL__N_19NonZeroOpIN3c107complexIdEEEEPKSK_lEEiEEEE10hipError_tPvRmT1_T2_T3_mT4_P12ihipStream_tbEUlT_E0_NS1_11comp_targetILNS1_3genE0ELNS1_11target_archE4294967295ELNS1_3gpuE0ELNS1_3repE0EEENS1_30default_config_static_selectorELNS0_4arch9wavefront6targetE0EEEvST_,"axG",@progbits,_ZN7rocprim17ROCPRIM_400000_NS6detail17trampoline_kernelINS0_14default_configENS1_22reduce_config_selectorIiEEZNS1_11reduce_implILb1ES3_PiS7_iN6hipcub16HIPCUB_304000_NS6detail34convert_binary_result_type_wrapperINS9_3SumENS9_22TransformInputIteratorIbN2at6native12_GLOBAL__N_19NonZeroOpIN3c107complexIdEEEEPKSK_lEEiEEEE10hipError_tPvRmT1_T2_T3_mT4_P12ihipStream_tbEUlT_E0_NS1_11comp_targetILNS1_3genE0ELNS1_11target_archE4294967295ELNS1_3gpuE0ELNS1_3repE0EEENS1_30default_config_static_selectorELNS0_4arch9wavefront6targetE0EEEvST_,comdat
.Lfunc_end490:
	.size	_ZN7rocprim17ROCPRIM_400000_NS6detail17trampoline_kernelINS0_14default_configENS1_22reduce_config_selectorIiEEZNS1_11reduce_implILb1ES3_PiS7_iN6hipcub16HIPCUB_304000_NS6detail34convert_binary_result_type_wrapperINS9_3SumENS9_22TransformInputIteratorIbN2at6native12_GLOBAL__N_19NonZeroOpIN3c107complexIdEEEEPKSK_lEEiEEEE10hipError_tPvRmT1_T2_T3_mT4_P12ihipStream_tbEUlT_E0_NS1_11comp_targetILNS1_3genE0ELNS1_11target_archE4294967295ELNS1_3gpuE0ELNS1_3repE0EEENS1_30default_config_static_selectorELNS0_4arch9wavefront6targetE0EEEvST_, .Lfunc_end490-_ZN7rocprim17ROCPRIM_400000_NS6detail17trampoline_kernelINS0_14default_configENS1_22reduce_config_selectorIiEEZNS1_11reduce_implILb1ES3_PiS7_iN6hipcub16HIPCUB_304000_NS6detail34convert_binary_result_type_wrapperINS9_3SumENS9_22TransformInputIteratorIbN2at6native12_GLOBAL__N_19NonZeroOpIN3c107complexIdEEEEPKSK_lEEiEEEE10hipError_tPvRmT1_T2_T3_mT4_P12ihipStream_tbEUlT_E0_NS1_11comp_targetILNS1_3genE0ELNS1_11target_archE4294967295ELNS1_3gpuE0ELNS1_3repE0EEENS1_30default_config_static_selectorELNS0_4arch9wavefront6targetE0EEEvST_
                                        ; -- End function
	.set _ZN7rocprim17ROCPRIM_400000_NS6detail17trampoline_kernelINS0_14default_configENS1_22reduce_config_selectorIiEEZNS1_11reduce_implILb1ES3_PiS7_iN6hipcub16HIPCUB_304000_NS6detail34convert_binary_result_type_wrapperINS9_3SumENS9_22TransformInputIteratorIbN2at6native12_GLOBAL__N_19NonZeroOpIN3c107complexIdEEEEPKSK_lEEiEEEE10hipError_tPvRmT1_T2_T3_mT4_P12ihipStream_tbEUlT_E0_NS1_11comp_targetILNS1_3genE0ELNS1_11target_archE4294967295ELNS1_3gpuE0ELNS1_3repE0EEENS1_30default_config_static_selectorELNS0_4arch9wavefront6targetE0EEEvST_.num_vgpr, 0
	.set _ZN7rocprim17ROCPRIM_400000_NS6detail17trampoline_kernelINS0_14default_configENS1_22reduce_config_selectorIiEEZNS1_11reduce_implILb1ES3_PiS7_iN6hipcub16HIPCUB_304000_NS6detail34convert_binary_result_type_wrapperINS9_3SumENS9_22TransformInputIteratorIbN2at6native12_GLOBAL__N_19NonZeroOpIN3c107complexIdEEEEPKSK_lEEiEEEE10hipError_tPvRmT1_T2_T3_mT4_P12ihipStream_tbEUlT_E0_NS1_11comp_targetILNS1_3genE0ELNS1_11target_archE4294967295ELNS1_3gpuE0ELNS1_3repE0EEENS1_30default_config_static_selectorELNS0_4arch9wavefront6targetE0EEEvST_.num_agpr, 0
	.set _ZN7rocprim17ROCPRIM_400000_NS6detail17trampoline_kernelINS0_14default_configENS1_22reduce_config_selectorIiEEZNS1_11reduce_implILb1ES3_PiS7_iN6hipcub16HIPCUB_304000_NS6detail34convert_binary_result_type_wrapperINS9_3SumENS9_22TransformInputIteratorIbN2at6native12_GLOBAL__N_19NonZeroOpIN3c107complexIdEEEEPKSK_lEEiEEEE10hipError_tPvRmT1_T2_T3_mT4_P12ihipStream_tbEUlT_E0_NS1_11comp_targetILNS1_3genE0ELNS1_11target_archE4294967295ELNS1_3gpuE0ELNS1_3repE0EEENS1_30default_config_static_selectorELNS0_4arch9wavefront6targetE0EEEvST_.numbered_sgpr, 0
	.set _ZN7rocprim17ROCPRIM_400000_NS6detail17trampoline_kernelINS0_14default_configENS1_22reduce_config_selectorIiEEZNS1_11reduce_implILb1ES3_PiS7_iN6hipcub16HIPCUB_304000_NS6detail34convert_binary_result_type_wrapperINS9_3SumENS9_22TransformInputIteratorIbN2at6native12_GLOBAL__N_19NonZeroOpIN3c107complexIdEEEEPKSK_lEEiEEEE10hipError_tPvRmT1_T2_T3_mT4_P12ihipStream_tbEUlT_E0_NS1_11comp_targetILNS1_3genE0ELNS1_11target_archE4294967295ELNS1_3gpuE0ELNS1_3repE0EEENS1_30default_config_static_selectorELNS0_4arch9wavefront6targetE0EEEvST_.num_named_barrier, 0
	.set _ZN7rocprim17ROCPRIM_400000_NS6detail17trampoline_kernelINS0_14default_configENS1_22reduce_config_selectorIiEEZNS1_11reduce_implILb1ES3_PiS7_iN6hipcub16HIPCUB_304000_NS6detail34convert_binary_result_type_wrapperINS9_3SumENS9_22TransformInputIteratorIbN2at6native12_GLOBAL__N_19NonZeroOpIN3c107complexIdEEEEPKSK_lEEiEEEE10hipError_tPvRmT1_T2_T3_mT4_P12ihipStream_tbEUlT_E0_NS1_11comp_targetILNS1_3genE0ELNS1_11target_archE4294967295ELNS1_3gpuE0ELNS1_3repE0EEENS1_30default_config_static_selectorELNS0_4arch9wavefront6targetE0EEEvST_.private_seg_size, 0
	.set _ZN7rocprim17ROCPRIM_400000_NS6detail17trampoline_kernelINS0_14default_configENS1_22reduce_config_selectorIiEEZNS1_11reduce_implILb1ES3_PiS7_iN6hipcub16HIPCUB_304000_NS6detail34convert_binary_result_type_wrapperINS9_3SumENS9_22TransformInputIteratorIbN2at6native12_GLOBAL__N_19NonZeroOpIN3c107complexIdEEEEPKSK_lEEiEEEE10hipError_tPvRmT1_T2_T3_mT4_P12ihipStream_tbEUlT_E0_NS1_11comp_targetILNS1_3genE0ELNS1_11target_archE4294967295ELNS1_3gpuE0ELNS1_3repE0EEENS1_30default_config_static_selectorELNS0_4arch9wavefront6targetE0EEEvST_.uses_vcc, 0
	.set _ZN7rocprim17ROCPRIM_400000_NS6detail17trampoline_kernelINS0_14default_configENS1_22reduce_config_selectorIiEEZNS1_11reduce_implILb1ES3_PiS7_iN6hipcub16HIPCUB_304000_NS6detail34convert_binary_result_type_wrapperINS9_3SumENS9_22TransformInputIteratorIbN2at6native12_GLOBAL__N_19NonZeroOpIN3c107complexIdEEEEPKSK_lEEiEEEE10hipError_tPvRmT1_T2_T3_mT4_P12ihipStream_tbEUlT_E0_NS1_11comp_targetILNS1_3genE0ELNS1_11target_archE4294967295ELNS1_3gpuE0ELNS1_3repE0EEENS1_30default_config_static_selectorELNS0_4arch9wavefront6targetE0EEEvST_.uses_flat_scratch, 0
	.set _ZN7rocprim17ROCPRIM_400000_NS6detail17trampoline_kernelINS0_14default_configENS1_22reduce_config_selectorIiEEZNS1_11reduce_implILb1ES3_PiS7_iN6hipcub16HIPCUB_304000_NS6detail34convert_binary_result_type_wrapperINS9_3SumENS9_22TransformInputIteratorIbN2at6native12_GLOBAL__N_19NonZeroOpIN3c107complexIdEEEEPKSK_lEEiEEEE10hipError_tPvRmT1_T2_T3_mT4_P12ihipStream_tbEUlT_E0_NS1_11comp_targetILNS1_3genE0ELNS1_11target_archE4294967295ELNS1_3gpuE0ELNS1_3repE0EEENS1_30default_config_static_selectorELNS0_4arch9wavefront6targetE0EEEvST_.has_dyn_sized_stack, 0
	.set _ZN7rocprim17ROCPRIM_400000_NS6detail17trampoline_kernelINS0_14default_configENS1_22reduce_config_selectorIiEEZNS1_11reduce_implILb1ES3_PiS7_iN6hipcub16HIPCUB_304000_NS6detail34convert_binary_result_type_wrapperINS9_3SumENS9_22TransformInputIteratorIbN2at6native12_GLOBAL__N_19NonZeroOpIN3c107complexIdEEEEPKSK_lEEiEEEE10hipError_tPvRmT1_T2_T3_mT4_P12ihipStream_tbEUlT_E0_NS1_11comp_targetILNS1_3genE0ELNS1_11target_archE4294967295ELNS1_3gpuE0ELNS1_3repE0EEENS1_30default_config_static_selectorELNS0_4arch9wavefront6targetE0EEEvST_.has_recursion, 0
	.set _ZN7rocprim17ROCPRIM_400000_NS6detail17trampoline_kernelINS0_14default_configENS1_22reduce_config_selectorIiEEZNS1_11reduce_implILb1ES3_PiS7_iN6hipcub16HIPCUB_304000_NS6detail34convert_binary_result_type_wrapperINS9_3SumENS9_22TransformInputIteratorIbN2at6native12_GLOBAL__N_19NonZeroOpIN3c107complexIdEEEEPKSK_lEEiEEEE10hipError_tPvRmT1_T2_T3_mT4_P12ihipStream_tbEUlT_E0_NS1_11comp_targetILNS1_3genE0ELNS1_11target_archE4294967295ELNS1_3gpuE0ELNS1_3repE0EEENS1_30default_config_static_selectorELNS0_4arch9wavefront6targetE0EEEvST_.has_indirect_call, 0
	.section	.AMDGPU.csdata,"",@progbits
; Kernel info:
; codeLenInByte = 0
; TotalNumSgprs: 0
; NumVgprs: 0
; ScratchSize: 0
; MemoryBound: 0
; FloatMode: 240
; IeeeMode: 1
; LDSByteSize: 0 bytes/workgroup (compile time only)
; SGPRBlocks: 0
; VGPRBlocks: 0
; NumSGPRsForWavesPerEU: 1
; NumVGPRsForWavesPerEU: 1
; Occupancy: 16
; WaveLimiterHint : 0
; COMPUTE_PGM_RSRC2:SCRATCH_EN: 0
; COMPUTE_PGM_RSRC2:USER_SGPR: 2
; COMPUTE_PGM_RSRC2:TRAP_HANDLER: 0
; COMPUTE_PGM_RSRC2:TGID_X_EN: 1
; COMPUTE_PGM_RSRC2:TGID_Y_EN: 0
; COMPUTE_PGM_RSRC2:TGID_Z_EN: 0
; COMPUTE_PGM_RSRC2:TIDIG_COMP_CNT: 0
	.section	.text._ZN7rocprim17ROCPRIM_400000_NS6detail17trampoline_kernelINS0_14default_configENS1_22reduce_config_selectorIiEEZNS1_11reduce_implILb1ES3_PiS7_iN6hipcub16HIPCUB_304000_NS6detail34convert_binary_result_type_wrapperINS9_3SumENS9_22TransformInputIteratorIbN2at6native12_GLOBAL__N_19NonZeroOpIN3c107complexIdEEEEPKSK_lEEiEEEE10hipError_tPvRmT1_T2_T3_mT4_P12ihipStream_tbEUlT_E0_NS1_11comp_targetILNS1_3genE5ELNS1_11target_archE942ELNS1_3gpuE9ELNS1_3repE0EEENS1_30default_config_static_selectorELNS0_4arch9wavefront6targetE0EEEvST_,"axG",@progbits,_ZN7rocprim17ROCPRIM_400000_NS6detail17trampoline_kernelINS0_14default_configENS1_22reduce_config_selectorIiEEZNS1_11reduce_implILb1ES3_PiS7_iN6hipcub16HIPCUB_304000_NS6detail34convert_binary_result_type_wrapperINS9_3SumENS9_22TransformInputIteratorIbN2at6native12_GLOBAL__N_19NonZeroOpIN3c107complexIdEEEEPKSK_lEEiEEEE10hipError_tPvRmT1_T2_T3_mT4_P12ihipStream_tbEUlT_E0_NS1_11comp_targetILNS1_3genE5ELNS1_11target_archE942ELNS1_3gpuE9ELNS1_3repE0EEENS1_30default_config_static_selectorELNS0_4arch9wavefront6targetE0EEEvST_,comdat
	.globl	_ZN7rocprim17ROCPRIM_400000_NS6detail17trampoline_kernelINS0_14default_configENS1_22reduce_config_selectorIiEEZNS1_11reduce_implILb1ES3_PiS7_iN6hipcub16HIPCUB_304000_NS6detail34convert_binary_result_type_wrapperINS9_3SumENS9_22TransformInputIteratorIbN2at6native12_GLOBAL__N_19NonZeroOpIN3c107complexIdEEEEPKSK_lEEiEEEE10hipError_tPvRmT1_T2_T3_mT4_P12ihipStream_tbEUlT_E0_NS1_11comp_targetILNS1_3genE5ELNS1_11target_archE942ELNS1_3gpuE9ELNS1_3repE0EEENS1_30default_config_static_selectorELNS0_4arch9wavefront6targetE0EEEvST_ ; -- Begin function _ZN7rocprim17ROCPRIM_400000_NS6detail17trampoline_kernelINS0_14default_configENS1_22reduce_config_selectorIiEEZNS1_11reduce_implILb1ES3_PiS7_iN6hipcub16HIPCUB_304000_NS6detail34convert_binary_result_type_wrapperINS9_3SumENS9_22TransformInputIteratorIbN2at6native12_GLOBAL__N_19NonZeroOpIN3c107complexIdEEEEPKSK_lEEiEEEE10hipError_tPvRmT1_T2_T3_mT4_P12ihipStream_tbEUlT_E0_NS1_11comp_targetILNS1_3genE5ELNS1_11target_archE942ELNS1_3gpuE9ELNS1_3repE0EEENS1_30default_config_static_selectorELNS0_4arch9wavefront6targetE0EEEvST_
	.p2align	8
	.type	_ZN7rocprim17ROCPRIM_400000_NS6detail17trampoline_kernelINS0_14default_configENS1_22reduce_config_selectorIiEEZNS1_11reduce_implILb1ES3_PiS7_iN6hipcub16HIPCUB_304000_NS6detail34convert_binary_result_type_wrapperINS9_3SumENS9_22TransformInputIteratorIbN2at6native12_GLOBAL__N_19NonZeroOpIN3c107complexIdEEEEPKSK_lEEiEEEE10hipError_tPvRmT1_T2_T3_mT4_P12ihipStream_tbEUlT_E0_NS1_11comp_targetILNS1_3genE5ELNS1_11target_archE942ELNS1_3gpuE9ELNS1_3repE0EEENS1_30default_config_static_selectorELNS0_4arch9wavefront6targetE0EEEvST_,@function
_ZN7rocprim17ROCPRIM_400000_NS6detail17trampoline_kernelINS0_14default_configENS1_22reduce_config_selectorIiEEZNS1_11reduce_implILb1ES3_PiS7_iN6hipcub16HIPCUB_304000_NS6detail34convert_binary_result_type_wrapperINS9_3SumENS9_22TransformInputIteratorIbN2at6native12_GLOBAL__N_19NonZeroOpIN3c107complexIdEEEEPKSK_lEEiEEEE10hipError_tPvRmT1_T2_T3_mT4_P12ihipStream_tbEUlT_E0_NS1_11comp_targetILNS1_3genE5ELNS1_11target_archE942ELNS1_3gpuE9ELNS1_3repE0EEENS1_30default_config_static_selectorELNS0_4arch9wavefront6targetE0EEEvST_: ; @_ZN7rocprim17ROCPRIM_400000_NS6detail17trampoline_kernelINS0_14default_configENS1_22reduce_config_selectorIiEEZNS1_11reduce_implILb1ES3_PiS7_iN6hipcub16HIPCUB_304000_NS6detail34convert_binary_result_type_wrapperINS9_3SumENS9_22TransformInputIteratorIbN2at6native12_GLOBAL__N_19NonZeroOpIN3c107complexIdEEEEPKSK_lEEiEEEE10hipError_tPvRmT1_T2_T3_mT4_P12ihipStream_tbEUlT_E0_NS1_11comp_targetILNS1_3genE5ELNS1_11target_archE942ELNS1_3gpuE9ELNS1_3repE0EEENS1_30default_config_static_selectorELNS0_4arch9wavefront6targetE0EEEvST_
; %bb.0:
	.section	.rodata,"a",@progbits
	.p2align	6, 0x0
	.amdhsa_kernel _ZN7rocprim17ROCPRIM_400000_NS6detail17trampoline_kernelINS0_14default_configENS1_22reduce_config_selectorIiEEZNS1_11reduce_implILb1ES3_PiS7_iN6hipcub16HIPCUB_304000_NS6detail34convert_binary_result_type_wrapperINS9_3SumENS9_22TransformInputIteratorIbN2at6native12_GLOBAL__N_19NonZeroOpIN3c107complexIdEEEEPKSK_lEEiEEEE10hipError_tPvRmT1_T2_T3_mT4_P12ihipStream_tbEUlT_E0_NS1_11comp_targetILNS1_3genE5ELNS1_11target_archE942ELNS1_3gpuE9ELNS1_3repE0EEENS1_30default_config_static_selectorELNS0_4arch9wavefront6targetE0EEEvST_
		.amdhsa_group_segment_fixed_size 0
		.amdhsa_private_segment_fixed_size 0
		.amdhsa_kernarg_size 56
		.amdhsa_user_sgpr_count 2
		.amdhsa_user_sgpr_dispatch_ptr 0
		.amdhsa_user_sgpr_queue_ptr 0
		.amdhsa_user_sgpr_kernarg_segment_ptr 1
		.amdhsa_user_sgpr_dispatch_id 0
		.amdhsa_user_sgpr_private_segment_size 0
		.amdhsa_wavefront_size32 1
		.amdhsa_uses_dynamic_stack 0
		.amdhsa_enable_private_segment 0
		.amdhsa_system_sgpr_workgroup_id_x 1
		.amdhsa_system_sgpr_workgroup_id_y 0
		.amdhsa_system_sgpr_workgroup_id_z 0
		.amdhsa_system_sgpr_workgroup_info 0
		.amdhsa_system_vgpr_workitem_id 0
		.amdhsa_next_free_vgpr 1
		.amdhsa_next_free_sgpr 1
		.amdhsa_reserve_vcc 0
		.amdhsa_float_round_mode_32 0
		.amdhsa_float_round_mode_16_64 0
		.amdhsa_float_denorm_mode_32 3
		.amdhsa_float_denorm_mode_16_64 3
		.amdhsa_fp16_overflow 0
		.amdhsa_workgroup_processor_mode 1
		.amdhsa_memory_ordered 1
		.amdhsa_forward_progress 1
		.amdhsa_inst_pref_size 0
		.amdhsa_round_robin_scheduling 0
		.amdhsa_exception_fp_ieee_invalid_op 0
		.amdhsa_exception_fp_denorm_src 0
		.amdhsa_exception_fp_ieee_div_zero 0
		.amdhsa_exception_fp_ieee_overflow 0
		.amdhsa_exception_fp_ieee_underflow 0
		.amdhsa_exception_fp_ieee_inexact 0
		.amdhsa_exception_int_div_zero 0
	.end_amdhsa_kernel
	.section	.text._ZN7rocprim17ROCPRIM_400000_NS6detail17trampoline_kernelINS0_14default_configENS1_22reduce_config_selectorIiEEZNS1_11reduce_implILb1ES3_PiS7_iN6hipcub16HIPCUB_304000_NS6detail34convert_binary_result_type_wrapperINS9_3SumENS9_22TransformInputIteratorIbN2at6native12_GLOBAL__N_19NonZeroOpIN3c107complexIdEEEEPKSK_lEEiEEEE10hipError_tPvRmT1_T2_T3_mT4_P12ihipStream_tbEUlT_E0_NS1_11comp_targetILNS1_3genE5ELNS1_11target_archE942ELNS1_3gpuE9ELNS1_3repE0EEENS1_30default_config_static_selectorELNS0_4arch9wavefront6targetE0EEEvST_,"axG",@progbits,_ZN7rocprim17ROCPRIM_400000_NS6detail17trampoline_kernelINS0_14default_configENS1_22reduce_config_selectorIiEEZNS1_11reduce_implILb1ES3_PiS7_iN6hipcub16HIPCUB_304000_NS6detail34convert_binary_result_type_wrapperINS9_3SumENS9_22TransformInputIteratorIbN2at6native12_GLOBAL__N_19NonZeroOpIN3c107complexIdEEEEPKSK_lEEiEEEE10hipError_tPvRmT1_T2_T3_mT4_P12ihipStream_tbEUlT_E0_NS1_11comp_targetILNS1_3genE5ELNS1_11target_archE942ELNS1_3gpuE9ELNS1_3repE0EEENS1_30default_config_static_selectorELNS0_4arch9wavefront6targetE0EEEvST_,comdat
.Lfunc_end491:
	.size	_ZN7rocprim17ROCPRIM_400000_NS6detail17trampoline_kernelINS0_14default_configENS1_22reduce_config_selectorIiEEZNS1_11reduce_implILb1ES3_PiS7_iN6hipcub16HIPCUB_304000_NS6detail34convert_binary_result_type_wrapperINS9_3SumENS9_22TransformInputIteratorIbN2at6native12_GLOBAL__N_19NonZeroOpIN3c107complexIdEEEEPKSK_lEEiEEEE10hipError_tPvRmT1_T2_T3_mT4_P12ihipStream_tbEUlT_E0_NS1_11comp_targetILNS1_3genE5ELNS1_11target_archE942ELNS1_3gpuE9ELNS1_3repE0EEENS1_30default_config_static_selectorELNS0_4arch9wavefront6targetE0EEEvST_, .Lfunc_end491-_ZN7rocprim17ROCPRIM_400000_NS6detail17trampoline_kernelINS0_14default_configENS1_22reduce_config_selectorIiEEZNS1_11reduce_implILb1ES3_PiS7_iN6hipcub16HIPCUB_304000_NS6detail34convert_binary_result_type_wrapperINS9_3SumENS9_22TransformInputIteratorIbN2at6native12_GLOBAL__N_19NonZeroOpIN3c107complexIdEEEEPKSK_lEEiEEEE10hipError_tPvRmT1_T2_T3_mT4_P12ihipStream_tbEUlT_E0_NS1_11comp_targetILNS1_3genE5ELNS1_11target_archE942ELNS1_3gpuE9ELNS1_3repE0EEENS1_30default_config_static_selectorELNS0_4arch9wavefront6targetE0EEEvST_
                                        ; -- End function
	.set _ZN7rocprim17ROCPRIM_400000_NS6detail17trampoline_kernelINS0_14default_configENS1_22reduce_config_selectorIiEEZNS1_11reduce_implILb1ES3_PiS7_iN6hipcub16HIPCUB_304000_NS6detail34convert_binary_result_type_wrapperINS9_3SumENS9_22TransformInputIteratorIbN2at6native12_GLOBAL__N_19NonZeroOpIN3c107complexIdEEEEPKSK_lEEiEEEE10hipError_tPvRmT1_T2_T3_mT4_P12ihipStream_tbEUlT_E0_NS1_11comp_targetILNS1_3genE5ELNS1_11target_archE942ELNS1_3gpuE9ELNS1_3repE0EEENS1_30default_config_static_selectorELNS0_4arch9wavefront6targetE0EEEvST_.num_vgpr, 0
	.set _ZN7rocprim17ROCPRIM_400000_NS6detail17trampoline_kernelINS0_14default_configENS1_22reduce_config_selectorIiEEZNS1_11reduce_implILb1ES3_PiS7_iN6hipcub16HIPCUB_304000_NS6detail34convert_binary_result_type_wrapperINS9_3SumENS9_22TransformInputIteratorIbN2at6native12_GLOBAL__N_19NonZeroOpIN3c107complexIdEEEEPKSK_lEEiEEEE10hipError_tPvRmT1_T2_T3_mT4_P12ihipStream_tbEUlT_E0_NS1_11comp_targetILNS1_3genE5ELNS1_11target_archE942ELNS1_3gpuE9ELNS1_3repE0EEENS1_30default_config_static_selectorELNS0_4arch9wavefront6targetE0EEEvST_.num_agpr, 0
	.set _ZN7rocprim17ROCPRIM_400000_NS6detail17trampoline_kernelINS0_14default_configENS1_22reduce_config_selectorIiEEZNS1_11reduce_implILb1ES3_PiS7_iN6hipcub16HIPCUB_304000_NS6detail34convert_binary_result_type_wrapperINS9_3SumENS9_22TransformInputIteratorIbN2at6native12_GLOBAL__N_19NonZeroOpIN3c107complexIdEEEEPKSK_lEEiEEEE10hipError_tPvRmT1_T2_T3_mT4_P12ihipStream_tbEUlT_E0_NS1_11comp_targetILNS1_3genE5ELNS1_11target_archE942ELNS1_3gpuE9ELNS1_3repE0EEENS1_30default_config_static_selectorELNS0_4arch9wavefront6targetE0EEEvST_.numbered_sgpr, 0
	.set _ZN7rocprim17ROCPRIM_400000_NS6detail17trampoline_kernelINS0_14default_configENS1_22reduce_config_selectorIiEEZNS1_11reduce_implILb1ES3_PiS7_iN6hipcub16HIPCUB_304000_NS6detail34convert_binary_result_type_wrapperINS9_3SumENS9_22TransformInputIteratorIbN2at6native12_GLOBAL__N_19NonZeroOpIN3c107complexIdEEEEPKSK_lEEiEEEE10hipError_tPvRmT1_T2_T3_mT4_P12ihipStream_tbEUlT_E0_NS1_11comp_targetILNS1_3genE5ELNS1_11target_archE942ELNS1_3gpuE9ELNS1_3repE0EEENS1_30default_config_static_selectorELNS0_4arch9wavefront6targetE0EEEvST_.num_named_barrier, 0
	.set _ZN7rocprim17ROCPRIM_400000_NS6detail17trampoline_kernelINS0_14default_configENS1_22reduce_config_selectorIiEEZNS1_11reduce_implILb1ES3_PiS7_iN6hipcub16HIPCUB_304000_NS6detail34convert_binary_result_type_wrapperINS9_3SumENS9_22TransformInputIteratorIbN2at6native12_GLOBAL__N_19NonZeroOpIN3c107complexIdEEEEPKSK_lEEiEEEE10hipError_tPvRmT1_T2_T3_mT4_P12ihipStream_tbEUlT_E0_NS1_11comp_targetILNS1_3genE5ELNS1_11target_archE942ELNS1_3gpuE9ELNS1_3repE0EEENS1_30default_config_static_selectorELNS0_4arch9wavefront6targetE0EEEvST_.private_seg_size, 0
	.set _ZN7rocprim17ROCPRIM_400000_NS6detail17trampoline_kernelINS0_14default_configENS1_22reduce_config_selectorIiEEZNS1_11reduce_implILb1ES3_PiS7_iN6hipcub16HIPCUB_304000_NS6detail34convert_binary_result_type_wrapperINS9_3SumENS9_22TransformInputIteratorIbN2at6native12_GLOBAL__N_19NonZeroOpIN3c107complexIdEEEEPKSK_lEEiEEEE10hipError_tPvRmT1_T2_T3_mT4_P12ihipStream_tbEUlT_E0_NS1_11comp_targetILNS1_3genE5ELNS1_11target_archE942ELNS1_3gpuE9ELNS1_3repE0EEENS1_30default_config_static_selectorELNS0_4arch9wavefront6targetE0EEEvST_.uses_vcc, 0
	.set _ZN7rocprim17ROCPRIM_400000_NS6detail17trampoline_kernelINS0_14default_configENS1_22reduce_config_selectorIiEEZNS1_11reduce_implILb1ES3_PiS7_iN6hipcub16HIPCUB_304000_NS6detail34convert_binary_result_type_wrapperINS9_3SumENS9_22TransformInputIteratorIbN2at6native12_GLOBAL__N_19NonZeroOpIN3c107complexIdEEEEPKSK_lEEiEEEE10hipError_tPvRmT1_T2_T3_mT4_P12ihipStream_tbEUlT_E0_NS1_11comp_targetILNS1_3genE5ELNS1_11target_archE942ELNS1_3gpuE9ELNS1_3repE0EEENS1_30default_config_static_selectorELNS0_4arch9wavefront6targetE0EEEvST_.uses_flat_scratch, 0
	.set _ZN7rocprim17ROCPRIM_400000_NS6detail17trampoline_kernelINS0_14default_configENS1_22reduce_config_selectorIiEEZNS1_11reduce_implILb1ES3_PiS7_iN6hipcub16HIPCUB_304000_NS6detail34convert_binary_result_type_wrapperINS9_3SumENS9_22TransformInputIteratorIbN2at6native12_GLOBAL__N_19NonZeroOpIN3c107complexIdEEEEPKSK_lEEiEEEE10hipError_tPvRmT1_T2_T3_mT4_P12ihipStream_tbEUlT_E0_NS1_11comp_targetILNS1_3genE5ELNS1_11target_archE942ELNS1_3gpuE9ELNS1_3repE0EEENS1_30default_config_static_selectorELNS0_4arch9wavefront6targetE0EEEvST_.has_dyn_sized_stack, 0
	.set _ZN7rocprim17ROCPRIM_400000_NS6detail17trampoline_kernelINS0_14default_configENS1_22reduce_config_selectorIiEEZNS1_11reduce_implILb1ES3_PiS7_iN6hipcub16HIPCUB_304000_NS6detail34convert_binary_result_type_wrapperINS9_3SumENS9_22TransformInputIteratorIbN2at6native12_GLOBAL__N_19NonZeroOpIN3c107complexIdEEEEPKSK_lEEiEEEE10hipError_tPvRmT1_T2_T3_mT4_P12ihipStream_tbEUlT_E0_NS1_11comp_targetILNS1_3genE5ELNS1_11target_archE942ELNS1_3gpuE9ELNS1_3repE0EEENS1_30default_config_static_selectorELNS0_4arch9wavefront6targetE0EEEvST_.has_recursion, 0
	.set _ZN7rocprim17ROCPRIM_400000_NS6detail17trampoline_kernelINS0_14default_configENS1_22reduce_config_selectorIiEEZNS1_11reduce_implILb1ES3_PiS7_iN6hipcub16HIPCUB_304000_NS6detail34convert_binary_result_type_wrapperINS9_3SumENS9_22TransformInputIteratorIbN2at6native12_GLOBAL__N_19NonZeroOpIN3c107complexIdEEEEPKSK_lEEiEEEE10hipError_tPvRmT1_T2_T3_mT4_P12ihipStream_tbEUlT_E0_NS1_11comp_targetILNS1_3genE5ELNS1_11target_archE942ELNS1_3gpuE9ELNS1_3repE0EEENS1_30default_config_static_selectorELNS0_4arch9wavefront6targetE0EEEvST_.has_indirect_call, 0
	.section	.AMDGPU.csdata,"",@progbits
; Kernel info:
; codeLenInByte = 0
; TotalNumSgprs: 0
; NumVgprs: 0
; ScratchSize: 0
; MemoryBound: 0
; FloatMode: 240
; IeeeMode: 1
; LDSByteSize: 0 bytes/workgroup (compile time only)
; SGPRBlocks: 0
; VGPRBlocks: 0
; NumSGPRsForWavesPerEU: 1
; NumVGPRsForWavesPerEU: 1
; Occupancy: 16
; WaveLimiterHint : 0
; COMPUTE_PGM_RSRC2:SCRATCH_EN: 0
; COMPUTE_PGM_RSRC2:USER_SGPR: 2
; COMPUTE_PGM_RSRC2:TRAP_HANDLER: 0
; COMPUTE_PGM_RSRC2:TGID_X_EN: 1
; COMPUTE_PGM_RSRC2:TGID_Y_EN: 0
; COMPUTE_PGM_RSRC2:TGID_Z_EN: 0
; COMPUTE_PGM_RSRC2:TIDIG_COMP_CNT: 0
	.section	.text._ZN7rocprim17ROCPRIM_400000_NS6detail17trampoline_kernelINS0_14default_configENS1_22reduce_config_selectorIiEEZNS1_11reduce_implILb1ES3_PiS7_iN6hipcub16HIPCUB_304000_NS6detail34convert_binary_result_type_wrapperINS9_3SumENS9_22TransformInputIteratorIbN2at6native12_GLOBAL__N_19NonZeroOpIN3c107complexIdEEEEPKSK_lEEiEEEE10hipError_tPvRmT1_T2_T3_mT4_P12ihipStream_tbEUlT_E0_NS1_11comp_targetILNS1_3genE4ELNS1_11target_archE910ELNS1_3gpuE8ELNS1_3repE0EEENS1_30default_config_static_selectorELNS0_4arch9wavefront6targetE0EEEvST_,"axG",@progbits,_ZN7rocprim17ROCPRIM_400000_NS6detail17trampoline_kernelINS0_14default_configENS1_22reduce_config_selectorIiEEZNS1_11reduce_implILb1ES3_PiS7_iN6hipcub16HIPCUB_304000_NS6detail34convert_binary_result_type_wrapperINS9_3SumENS9_22TransformInputIteratorIbN2at6native12_GLOBAL__N_19NonZeroOpIN3c107complexIdEEEEPKSK_lEEiEEEE10hipError_tPvRmT1_T2_T3_mT4_P12ihipStream_tbEUlT_E0_NS1_11comp_targetILNS1_3genE4ELNS1_11target_archE910ELNS1_3gpuE8ELNS1_3repE0EEENS1_30default_config_static_selectorELNS0_4arch9wavefront6targetE0EEEvST_,comdat
	.globl	_ZN7rocprim17ROCPRIM_400000_NS6detail17trampoline_kernelINS0_14default_configENS1_22reduce_config_selectorIiEEZNS1_11reduce_implILb1ES3_PiS7_iN6hipcub16HIPCUB_304000_NS6detail34convert_binary_result_type_wrapperINS9_3SumENS9_22TransformInputIteratorIbN2at6native12_GLOBAL__N_19NonZeroOpIN3c107complexIdEEEEPKSK_lEEiEEEE10hipError_tPvRmT1_T2_T3_mT4_P12ihipStream_tbEUlT_E0_NS1_11comp_targetILNS1_3genE4ELNS1_11target_archE910ELNS1_3gpuE8ELNS1_3repE0EEENS1_30default_config_static_selectorELNS0_4arch9wavefront6targetE0EEEvST_ ; -- Begin function _ZN7rocprim17ROCPRIM_400000_NS6detail17trampoline_kernelINS0_14default_configENS1_22reduce_config_selectorIiEEZNS1_11reduce_implILb1ES3_PiS7_iN6hipcub16HIPCUB_304000_NS6detail34convert_binary_result_type_wrapperINS9_3SumENS9_22TransformInputIteratorIbN2at6native12_GLOBAL__N_19NonZeroOpIN3c107complexIdEEEEPKSK_lEEiEEEE10hipError_tPvRmT1_T2_T3_mT4_P12ihipStream_tbEUlT_E0_NS1_11comp_targetILNS1_3genE4ELNS1_11target_archE910ELNS1_3gpuE8ELNS1_3repE0EEENS1_30default_config_static_selectorELNS0_4arch9wavefront6targetE0EEEvST_
	.p2align	8
	.type	_ZN7rocprim17ROCPRIM_400000_NS6detail17trampoline_kernelINS0_14default_configENS1_22reduce_config_selectorIiEEZNS1_11reduce_implILb1ES3_PiS7_iN6hipcub16HIPCUB_304000_NS6detail34convert_binary_result_type_wrapperINS9_3SumENS9_22TransformInputIteratorIbN2at6native12_GLOBAL__N_19NonZeroOpIN3c107complexIdEEEEPKSK_lEEiEEEE10hipError_tPvRmT1_T2_T3_mT4_P12ihipStream_tbEUlT_E0_NS1_11comp_targetILNS1_3genE4ELNS1_11target_archE910ELNS1_3gpuE8ELNS1_3repE0EEENS1_30default_config_static_selectorELNS0_4arch9wavefront6targetE0EEEvST_,@function
_ZN7rocprim17ROCPRIM_400000_NS6detail17trampoline_kernelINS0_14default_configENS1_22reduce_config_selectorIiEEZNS1_11reduce_implILb1ES3_PiS7_iN6hipcub16HIPCUB_304000_NS6detail34convert_binary_result_type_wrapperINS9_3SumENS9_22TransformInputIteratorIbN2at6native12_GLOBAL__N_19NonZeroOpIN3c107complexIdEEEEPKSK_lEEiEEEE10hipError_tPvRmT1_T2_T3_mT4_P12ihipStream_tbEUlT_E0_NS1_11comp_targetILNS1_3genE4ELNS1_11target_archE910ELNS1_3gpuE8ELNS1_3repE0EEENS1_30default_config_static_selectorELNS0_4arch9wavefront6targetE0EEEvST_: ; @_ZN7rocprim17ROCPRIM_400000_NS6detail17trampoline_kernelINS0_14default_configENS1_22reduce_config_selectorIiEEZNS1_11reduce_implILb1ES3_PiS7_iN6hipcub16HIPCUB_304000_NS6detail34convert_binary_result_type_wrapperINS9_3SumENS9_22TransformInputIteratorIbN2at6native12_GLOBAL__N_19NonZeroOpIN3c107complexIdEEEEPKSK_lEEiEEEE10hipError_tPvRmT1_T2_T3_mT4_P12ihipStream_tbEUlT_E0_NS1_11comp_targetILNS1_3genE4ELNS1_11target_archE910ELNS1_3gpuE8ELNS1_3repE0EEENS1_30default_config_static_selectorELNS0_4arch9wavefront6targetE0EEEvST_
; %bb.0:
	.section	.rodata,"a",@progbits
	.p2align	6, 0x0
	.amdhsa_kernel _ZN7rocprim17ROCPRIM_400000_NS6detail17trampoline_kernelINS0_14default_configENS1_22reduce_config_selectorIiEEZNS1_11reduce_implILb1ES3_PiS7_iN6hipcub16HIPCUB_304000_NS6detail34convert_binary_result_type_wrapperINS9_3SumENS9_22TransformInputIteratorIbN2at6native12_GLOBAL__N_19NonZeroOpIN3c107complexIdEEEEPKSK_lEEiEEEE10hipError_tPvRmT1_T2_T3_mT4_P12ihipStream_tbEUlT_E0_NS1_11comp_targetILNS1_3genE4ELNS1_11target_archE910ELNS1_3gpuE8ELNS1_3repE0EEENS1_30default_config_static_selectorELNS0_4arch9wavefront6targetE0EEEvST_
		.amdhsa_group_segment_fixed_size 0
		.amdhsa_private_segment_fixed_size 0
		.amdhsa_kernarg_size 56
		.amdhsa_user_sgpr_count 2
		.amdhsa_user_sgpr_dispatch_ptr 0
		.amdhsa_user_sgpr_queue_ptr 0
		.amdhsa_user_sgpr_kernarg_segment_ptr 1
		.amdhsa_user_sgpr_dispatch_id 0
		.amdhsa_user_sgpr_private_segment_size 0
		.amdhsa_wavefront_size32 1
		.amdhsa_uses_dynamic_stack 0
		.amdhsa_enable_private_segment 0
		.amdhsa_system_sgpr_workgroup_id_x 1
		.amdhsa_system_sgpr_workgroup_id_y 0
		.amdhsa_system_sgpr_workgroup_id_z 0
		.amdhsa_system_sgpr_workgroup_info 0
		.amdhsa_system_vgpr_workitem_id 0
		.amdhsa_next_free_vgpr 1
		.amdhsa_next_free_sgpr 1
		.amdhsa_reserve_vcc 0
		.amdhsa_float_round_mode_32 0
		.amdhsa_float_round_mode_16_64 0
		.amdhsa_float_denorm_mode_32 3
		.amdhsa_float_denorm_mode_16_64 3
		.amdhsa_fp16_overflow 0
		.amdhsa_workgroup_processor_mode 1
		.amdhsa_memory_ordered 1
		.amdhsa_forward_progress 1
		.amdhsa_inst_pref_size 0
		.amdhsa_round_robin_scheduling 0
		.amdhsa_exception_fp_ieee_invalid_op 0
		.amdhsa_exception_fp_denorm_src 0
		.amdhsa_exception_fp_ieee_div_zero 0
		.amdhsa_exception_fp_ieee_overflow 0
		.amdhsa_exception_fp_ieee_underflow 0
		.amdhsa_exception_fp_ieee_inexact 0
		.amdhsa_exception_int_div_zero 0
	.end_amdhsa_kernel
	.section	.text._ZN7rocprim17ROCPRIM_400000_NS6detail17trampoline_kernelINS0_14default_configENS1_22reduce_config_selectorIiEEZNS1_11reduce_implILb1ES3_PiS7_iN6hipcub16HIPCUB_304000_NS6detail34convert_binary_result_type_wrapperINS9_3SumENS9_22TransformInputIteratorIbN2at6native12_GLOBAL__N_19NonZeroOpIN3c107complexIdEEEEPKSK_lEEiEEEE10hipError_tPvRmT1_T2_T3_mT4_P12ihipStream_tbEUlT_E0_NS1_11comp_targetILNS1_3genE4ELNS1_11target_archE910ELNS1_3gpuE8ELNS1_3repE0EEENS1_30default_config_static_selectorELNS0_4arch9wavefront6targetE0EEEvST_,"axG",@progbits,_ZN7rocprim17ROCPRIM_400000_NS6detail17trampoline_kernelINS0_14default_configENS1_22reduce_config_selectorIiEEZNS1_11reduce_implILb1ES3_PiS7_iN6hipcub16HIPCUB_304000_NS6detail34convert_binary_result_type_wrapperINS9_3SumENS9_22TransformInputIteratorIbN2at6native12_GLOBAL__N_19NonZeroOpIN3c107complexIdEEEEPKSK_lEEiEEEE10hipError_tPvRmT1_T2_T3_mT4_P12ihipStream_tbEUlT_E0_NS1_11comp_targetILNS1_3genE4ELNS1_11target_archE910ELNS1_3gpuE8ELNS1_3repE0EEENS1_30default_config_static_selectorELNS0_4arch9wavefront6targetE0EEEvST_,comdat
.Lfunc_end492:
	.size	_ZN7rocprim17ROCPRIM_400000_NS6detail17trampoline_kernelINS0_14default_configENS1_22reduce_config_selectorIiEEZNS1_11reduce_implILb1ES3_PiS7_iN6hipcub16HIPCUB_304000_NS6detail34convert_binary_result_type_wrapperINS9_3SumENS9_22TransformInputIteratorIbN2at6native12_GLOBAL__N_19NonZeroOpIN3c107complexIdEEEEPKSK_lEEiEEEE10hipError_tPvRmT1_T2_T3_mT4_P12ihipStream_tbEUlT_E0_NS1_11comp_targetILNS1_3genE4ELNS1_11target_archE910ELNS1_3gpuE8ELNS1_3repE0EEENS1_30default_config_static_selectorELNS0_4arch9wavefront6targetE0EEEvST_, .Lfunc_end492-_ZN7rocprim17ROCPRIM_400000_NS6detail17trampoline_kernelINS0_14default_configENS1_22reduce_config_selectorIiEEZNS1_11reduce_implILb1ES3_PiS7_iN6hipcub16HIPCUB_304000_NS6detail34convert_binary_result_type_wrapperINS9_3SumENS9_22TransformInputIteratorIbN2at6native12_GLOBAL__N_19NonZeroOpIN3c107complexIdEEEEPKSK_lEEiEEEE10hipError_tPvRmT1_T2_T3_mT4_P12ihipStream_tbEUlT_E0_NS1_11comp_targetILNS1_3genE4ELNS1_11target_archE910ELNS1_3gpuE8ELNS1_3repE0EEENS1_30default_config_static_selectorELNS0_4arch9wavefront6targetE0EEEvST_
                                        ; -- End function
	.set _ZN7rocprim17ROCPRIM_400000_NS6detail17trampoline_kernelINS0_14default_configENS1_22reduce_config_selectorIiEEZNS1_11reduce_implILb1ES3_PiS7_iN6hipcub16HIPCUB_304000_NS6detail34convert_binary_result_type_wrapperINS9_3SumENS9_22TransformInputIteratorIbN2at6native12_GLOBAL__N_19NonZeroOpIN3c107complexIdEEEEPKSK_lEEiEEEE10hipError_tPvRmT1_T2_T3_mT4_P12ihipStream_tbEUlT_E0_NS1_11comp_targetILNS1_3genE4ELNS1_11target_archE910ELNS1_3gpuE8ELNS1_3repE0EEENS1_30default_config_static_selectorELNS0_4arch9wavefront6targetE0EEEvST_.num_vgpr, 0
	.set _ZN7rocprim17ROCPRIM_400000_NS6detail17trampoline_kernelINS0_14default_configENS1_22reduce_config_selectorIiEEZNS1_11reduce_implILb1ES3_PiS7_iN6hipcub16HIPCUB_304000_NS6detail34convert_binary_result_type_wrapperINS9_3SumENS9_22TransformInputIteratorIbN2at6native12_GLOBAL__N_19NonZeroOpIN3c107complexIdEEEEPKSK_lEEiEEEE10hipError_tPvRmT1_T2_T3_mT4_P12ihipStream_tbEUlT_E0_NS1_11comp_targetILNS1_3genE4ELNS1_11target_archE910ELNS1_3gpuE8ELNS1_3repE0EEENS1_30default_config_static_selectorELNS0_4arch9wavefront6targetE0EEEvST_.num_agpr, 0
	.set _ZN7rocprim17ROCPRIM_400000_NS6detail17trampoline_kernelINS0_14default_configENS1_22reduce_config_selectorIiEEZNS1_11reduce_implILb1ES3_PiS7_iN6hipcub16HIPCUB_304000_NS6detail34convert_binary_result_type_wrapperINS9_3SumENS9_22TransformInputIteratorIbN2at6native12_GLOBAL__N_19NonZeroOpIN3c107complexIdEEEEPKSK_lEEiEEEE10hipError_tPvRmT1_T2_T3_mT4_P12ihipStream_tbEUlT_E0_NS1_11comp_targetILNS1_3genE4ELNS1_11target_archE910ELNS1_3gpuE8ELNS1_3repE0EEENS1_30default_config_static_selectorELNS0_4arch9wavefront6targetE0EEEvST_.numbered_sgpr, 0
	.set _ZN7rocprim17ROCPRIM_400000_NS6detail17trampoline_kernelINS0_14default_configENS1_22reduce_config_selectorIiEEZNS1_11reduce_implILb1ES3_PiS7_iN6hipcub16HIPCUB_304000_NS6detail34convert_binary_result_type_wrapperINS9_3SumENS9_22TransformInputIteratorIbN2at6native12_GLOBAL__N_19NonZeroOpIN3c107complexIdEEEEPKSK_lEEiEEEE10hipError_tPvRmT1_T2_T3_mT4_P12ihipStream_tbEUlT_E0_NS1_11comp_targetILNS1_3genE4ELNS1_11target_archE910ELNS1_3gpuE8ELNS1_3repE0EEENS1_30default_config_static_selectorELNS0_4arch9wavefront6targetE0EEEvST_.num_named_barrier, 0
	.set _ZN7rocprim17ROCPRIM_400000_NS6detail17trampoline_kernelINS0_14default_configENS1_22reduce_config_selectorIiEEZNS1_11reduce_implILb1ES3_PiS7_iN6hipcub16HIPCUB_304000_NS6detail34convert_binary_result_type_wrapperINS9_3SumENS9_22TransformInputIteratorIbN2at6native12_GLOBAL__N_19NonZeroOpIN3c107complexIdEEEEPKSK_lEEiEEEE10hipError_tPvRmT1_T2_T3_mT4_P12ihipStream_tbEUlT_E0_NS1_11comp_targetILNS1_3genE4ELNS1_11target_archE910ELNS1_3gpuE8ELNS1_3repE0EEENS1_30default_config_static_selectorELNS0_4arch9wavefront6targetE0EEEvST_.private_seg_size, 0
	.set _ZN7rocprim17ROCPRIM_400000_NS6detail17trampoline_kernelINS0_14default_configENS1_22reduce_config_selectorIiEEZNS1_11reduce_implILb1ES3_PiS7_iN6hipcub16HIPCUB_304000_NS6detail34convert_binary_result_type_wrapperINS9_3SumENS9_22TransformInputIteratorIbN2at6native12_GLOBAL__N_19NonZeroOpIN3c107complexIdEEEEPKSK_lEEiEEEE10hipError_tPvRmT1_T2_T3_mT4_P12ihipStream_tbEUlT_E0_NS1_11comp_targetILNS1_3genE4ELNS1_11target_archE910ELNS1_3gpuE8ELNS1_3repE0EEENS1_30default_config_static_selectorELNS0_4arch9wavefront6targetE0EEEvST_.uses_vcc, 0
	.set _ZN7rocprim17ROCPRIM_400000_NS6detail17trampoline_kernelINS0_14default_configENS1_22reduce_config_selectorIiEEZNS1_11reduce_implILb1ES3_PiS7_iN6hipcub16HIPCUB_304000_NS6detail34convert_binary_result_type_wrapperINS9_3SumENS9_22TransformInputIteratorIbN2at6native12_GLOBAL__N_19NonZeroOpIN3c107complexIdEEEEPKSK_lEEiEEEE10hipError_tPvRmT1_T2_T3_mT4_P12ihipStream_tbEUlT_E0_NS1_11comp_targetILNS1_3genE4ELNS1_11target_archE910ELNS1_3gpuE8ELNS1_3repE0EEENS1_30default_config_static_selectorELNS0_4arch9wavefront6targetE0EEEvST_.uses_flat_scratch, 0
	.set _ZN7rocprim17ROCPRIM_400000_NS6detail17trampoline_kernelINS0_14default_configENS1_22reduce_config_selectorIiEEZNS1_11reduce_implILb1ES3_PiS7_iN6hipcub16HIPCUB_304000_NS6detail34convert_binary_result_type_wrapperINS9_3SumENS9_22TransformInputIteratorIbN2at6native12_GLOBAL__N_19NonZeroOpIN3c107complexIdEEEEPKSK_lEEiEEEE10hipError_tPvRmT1_T2_T3_mT4_P12ihipStream_tbEUlT_E0_NS1_11comp_targetILNS1_3genE4ELNS1_11target_archE910ELNS1_3gpuE8ELNS1_3repE0EEENS1_30default_config_static_selectorELNS0_4arch9wavefront6targetE0EEEvST_.has_dyn_sized_stack, 0
	.set _ZN7rocprim17ROCPRIM_400000_NS6detail17trampoline_kernelINS0_14default_configENS1_22reduce_config_selectorIiEEZNS1_11reduce_implILb1ES3_PiS7_iN6hipcub16HIPCUB_304000_NS6detail34convert_binary_result_type_wrapperINS9_3SumENS9_22TransformInputIteratorIbN2at6native12_GLOBAL__N_19NonZeroOpIN3c107complexIdEEEEPKSK_lEEiEEEE10hipError_tPvRmT1_T2_T3_mT4_P12ihipStream_tbEUlT_E0_NS1_11comp_targetILNS1_3genE4ELNS1_11target_archE910ELNS1_3gpuE8ELNS1_3repE0EEENS1_30default_config_static_selectorELNS0_4arch9wavefront6targetE0EEEvST_.has_recursion, 0
	.set _ZN7rocprim17ROCPRIM_400000_NS6detail17trampoline_kernelINS0_14default_configENS1_22reduce_config_selectorIiEEZNS1_11reduce_implILb1ES3_PiS7_iN6hipcub16HIPCUB_304000_NS6detail34convert_binary_result_type_wrapperINS9_3SumENS9_22TransformInputIteratorIbN2at6native12_GLOBAL__N_19NonZeroOpIN3c107complexIdEEEEPKSK_lEEiEEEE10hipError_tPvRmT1_T2_T3_mT4_P12ihipStream_tbEUlT_E0_NS1_11comp_targetILNS1_3genE4ELNS1_11target_archE910ELNS1_3gpuE8ELNS1_3repE0EEENS1_30default_config_static_selectorELNS0_4arch9wavefront6targetE0EEEvST_.has_indirect_call, 0
	.section	.AMDGPU.csdata,"",@progbits
; Kernel info:
; codeLenInByte = 0
; TotalNumSgprs: 0
; NumVgprs: 0
; ScratchSize: 0
; MemoryBound: 0
; FloatMode: 240
; IeeeMode: 1
; LDSByteSize: 0 bytes/workgroup (compile time only)
; SGPRBlocks: 0
; VGPRBlocks: 0
; NumSGPRsForWavesPerEU: 1
; NumVGPRsForWavesPerEU: 1
; Occupancy: 16
; WaveLimiterHint : 0
; COMPUTE_PGM_RSRC2:SCRATCH_EN: 0
; COMPUTE_PGM_RSRC2:USER_SGPR: 2
; COMPUTE_PGM_RSRC2:TRAP_HANDLER: 0
; COMPUTE_PGM_RSRC2:TGID_X_EN: 1
; COMPUTE_PGM_RSRC2:TGID_Y_EN: 0
; COMPUTE_PGM_RSRC2:TGID_Z_EN: 0
; COMPUTE_PGM_RSRC2:TIDIG_COMP_CNT: 0
	.section	.text._ZN7rocprim17ROCPRIM_400000_NS6detail17trampoline_kernelINS0_14default_configENS1_22reduce_config_selectorIiEEZNS1_11reduce_implILb1ES3_PiS7_iN6hipcub16HIPCUB_304000_NS6detail34convert_binary_result_type_wrapperINS9_3SumENS9_22TransformInputIteratorIbN2at6native12_GLOBAL__N_19NonZeroOpIN3c107complexIdEEEEPKSK_lEEiEEEE10hipError_tPvRmT1_T2_T3_mT4_P12ihipStream_tbEUlT_E0_NS1_11comp_targetILNS1_3genE3ELNS1_11target_archE908ELNS1_3gpuE7ELNS1_3repE0EEENS1_30default_config_static_selectorELNS0_4arch9wavefront6targetE0EEEvST_,"axG",@progbits,_ZN7rocprim17ROCPRIM_400000_NS6detail17trampoline_kernelINS0_14default_configENS1_22reduce_config_selectorIiEEZNS1_11reduce_implILb1ES3_PiS7_iN6hipcub16HIPCUB_304000_NS6detail34convert_binary_result_type_wrapperINS9_3SumENS9_22TransformInputIteratorIbN2at6native12_GLOBAL__N_19NonZeroOpIN3c107complexIdEEEEPKSK_lEEiEEEE10hipError_tPvRmT1_T2_T3_mT4_P12ihipStream_tbEUlT_E0_NS1_11comp_targetILNS1_3genE3ELNS1_11target_archE908ELNS1_3gpuE7ELNS1_3repE0EEENS1_30default_config_static_selectorELNS0_4arch9wavefront6targetE0EEEvST_,comdat
	.globl	_ZN7rocprim17ROCPRIM_400000_NS6detail17trampoline_kernelINS0_14default_configENS1_22reduce_config_selectorIiEEZNS1_11reduce_implILb1ES3_PiS7_iN6hipcub16HIPCUB_304000_NS6detail34convert_binary_result_type_wrapperINS9_3SumENS9_22TransformInputIteratorIbN2at6native12_GLOBAL__N_19NonZeroOpIN3c107complexIdEEEEPKSK_lEEiEEEE10hipError_tPvRmT1_T2_T3_mT4_P12ihipStream_tbEUlT_E0_NS1_11comp_targetILNS1_3genE3ELNS1_11target_archE908ELNS1_3gpuE7ELNS1_3repE0EEENS1_30default_config_static_selectorELNS0_4arch9wavefront6targetE0EEEvST_ ; -- Begin function _ZN7rocprim17ROCPRIM_400000_NS6detail17trampoline_kernelINS0_14default_configENS1_22reduce_config_selectorIiEEZNS1_11reduce_implILb1ES3_PiS7_iN6hipcub16HIPCUB_304000_NS6detail34convert_binary_result_type_wrapperINS9_3SumENS9_22TransformInputIteratorIbN2at6native12_GLOBAL__N_19NonZeroOpIN3c107complexIdEEEEPKSK_lEEiEEEE10hipError_tPvRmT1_T2_T3_mT4_P12ihipStream_tbEUlT_E0_NS1_11comp_targetILNS1_3genE3ELNS1_11target_archE908ELNS1_3gpuE7ELNS1_3repE0EEENS1_30default_config_static_selectorELNS0_4arch9wavefront6targetE0EEEvST_
	.p2align	8
	.type	_ZN7rocprim17ROCPRIM_400000_NS6detail17trampoline_kernelINS0_14default_configENS1_22reduce_config_selectorIiEEZNS1_11reduce_implILb1ES3_PiS7_iN6hipcub16HIPCUB_304000_NS6detail34convert_binary_result_type_wrapperINS9_3SumENS9_22TransformInputIteratorIbN2at6native12_GLOBAL__N_19NonZeroOpIN3c107complexIdEEEEPKSK_lEEiEEEE10hipError_tPvRmT1_T2_T3_mT4_P12ihipStream_tbEUlT_E0_NS1_11comp_targetILNS1_3genE3ELNS1_11target_archE908ELNS1_3gpuE7ELNS1_3repE0EEENS1_30default_config_static_selectorELNS0_4arch9wavefront6targetE0EEEvST_,@function
_ZN7rocprim17ROCPRIM_400000_NS6detail17trampoline_kernelINS0_14default_configENS1_22reduce_config_selectorIiEEZNS1_11reduce_implILb1ES3_PiS7_iN6hipcub16HIPCUB_304000_NS6detail34convert_binary_result_type_wrapperINS9_3SumENS9_22TransformInputIteratorIbN2at6native12_GLOBAL__N_19NonZeroOpIN3c107complexIdEEEEPKSK_lEEiEEEE10hipError_tPvRmT1_T2_T3_mT4_P12ihipStream_tbEUlT_E0_NS1_11comp_targetILNS1_3genE3ELNS1_11target_archE908ELNS1_3gpuE7ELNS1_3repE0EEENS1_30default_config_static_selectorELNS0_4arch9wavefront6targetE0EEEvST_: ; @_ZN7rocprim17ROCPRIM_400000_NS6detail17trampoline_kernelINS0_14default_configENS1_22reduce_config_selectorIiEEZNS1_11reduce_implILb1ES3_PiS7_iN6hipcub16HIPCUB_304000_NS6detail34convert_binary_result_type_wrapperINS9_3SumENS9_22TransformInputIteratorIbN2at6native12_GLOBAL__N_19NonZeroOpIN3c107complexIdEEEEPKSK_lEEiEEEE10hipError_tPvRmT1_T2_T3_mT4_P12ihipStream_tbEUlT_E0_NS1_11comp_targetILNS1_3genE3ELNS1_11target_archE908ELNS1_3gpuE7ELNS1_3repE0EEENS1_30default_config_static_selectorELNS0_4arch9wavefront6targetE0EEEvST_
; %bb.0:
	.section	.rodata,"a",@progbits
	.p2align	6, 0x0
	.amdhsa_kernel _ZN7rocprim17ROCPRIM_400000_NS6detail17trampoline_kernelINS0_14default_configENS1_22reduce_config_selectorIiEEZNS1_11reduce_implILb1ES3_PiS7_iN6hipcub16HIPCUB_304000_NS6detail34convert_binary_result_type_wrapperINS9_3SumENS9_22TransformInputIteratorIbN2at6native12_GLOBAL__N_19NonZeroOpIN3c107complexIdEEEEPKSK_lEEiEEEE10hipError_tPvRmT1_T2_T3_mT4_P12ihipStream_tbEUlT_E0_NS1_11comp_targetILNS1_3genE3ELNS1_11target_archE908ELNS1_3gpuE7ELNS1_3repE0EEENS1_30default_config_static_selectorELNS0_4arch9wavefront6targetE0EEEvST_
		.amdhsa_group_segment_fixed_size 0
		.amdhsa_private_segment_fixed_size 0
		.amdhsa_kernarg_size 56
		.amdhsa_user_sgpr_count 2
		.amdhsa_user_sgpr_dispatch_ptr 0
		.amdhsa_user_sgpr_queue_ptr 0
		.amdhsa_user_sgpr_kernarg_segment_ptr 1
		.amdhsa_user_sgpr_dispatch_id 0
		.amdhsa_user_sgpr_private_segment_size 0
		.amdhsa_wavefront_size32 1
		.amdhsa_uses_dynamic_stack 0
		.amdhsa_enable_private_segment 0
		.amdhsa_system_sgpr_workgroup_id_x 1
		.amdhsa_system_sgpr_workgroup_id_y 0
		.amdhsa_system_sgpr_workgroup_id_z 0
		.amdhsa_system_sgpr_workgroup_info 0
		.amdhsa_system_vgpr_workitem_id 0
		.amdhsa_next_free_vgpr 1
		.amdhsa_next_free_sgpr 1
		.amdhsa_reserve_vcc 0
		.amdhsa_float_round_mode_32 0
		.amdhsa_float_round_mode_16_64 0
		.amdhsa_float_denorm_mode_32 3
		.amdhsa_float_denorm_mode_16_64 3
		.amdhsa_fp16_overflow 0
		.amdhsa_workgroup_processor_mode 1
		.amdhsa_memory_ordered 1
		.amdhsa_forward_progress 1
		.amdhsa_inst_pref_size 0
		.amdhsa_round_robin_scheduling 0
		.amdhsa_exception_fp_ieee_invalid_op 0
		.amdhsa_exception_fp_denorm_src 0
		.amdhsa_exception_fp_ieee_div_zero 0
		.amdhsa_exception_fp_ieee_overflow 0
		.amdhsa_exception_fp_ieee_underflow 0
		.amdhsa_exception_fp_ieee_inexact 0
		.amdhsa_exception_int_div_zero 0
	.end_amdhsa_kernel
	.section	.text._ZN7rocprim17ROCPRIM_400000_NS6detail17trampoline_kernelINS0_14default_configENS1_22reduce_config_selectorIiEEZNS1_11reduce_implILb1ES3_PiS7_iN6hipcub16HIPCUB_304000_NS6detail34convert_binary_result_type_wrapperINS9_3SumENS9_22TransformInputIteratorIbN2at6native12_GLOBAL__N_19NonZeroOpIN3c107complexIdEEEEPKSK_lEEiEEEE10hipError_tPvRmT1_T2_T3_mT4_P12ihipStream_tbEUlT_E0_NS1_11comp_targetILNS1_3genE3ELNS1_11target_archE908ELNS1_3gpuE7ELNS1_3repE0EEENS1_30default_config_static_selectorELNS0_4arch9wavefront6targetE0EEEvST_,"axG",@progbits,_ZN7rocprim17ROCPRIM_400000_NS6detail17trampoline_kernelINS0_14default_configENS1_22reduce_config_selectorIiEEZNS1_11reduce_implILb1ES3_PiS7_iN6hipcub16HIPCUB_304000_NS6detail34convert_binary_result_type_wrapperINS9_3SumENS9_22TransformInputIteratorIbN2at6native12_GLOBAL__N_19NonZeroOpIN3c107complexIdEEEEPKSK_lEEiEEEE10hipError_tPvRmT1_T2_T3_mT4_P12ihipStream_tbEUlT_E0_NS1_11comp_targetILNS1_3genE3ELNS1_11target_archE908ELNS1_3gpuE7ELNS1_3repE0EEENS1_30default_config_static_selectorELNS0_4arch9wavefront6targetE0EEEvST_,comdat
.Lfunc_end493:
	.size	_ZN7rocprim17ROCPRIM_400000_NS6detail17trampoline_kernelINS0_14default_configENS1_22reduce_config_selectorIiEEZNS1_11reduce_implILb1ES3_PiS7_iN6hipcub16HIPCUB_304000_NS6detail34convert_binary_result_type_wrapperINS9_3SumENS9_22TransformInputIteratorIbN2at6native12_GLOBAL__N_19NonZeroOpIN3c107complexIdEEEEPKSK_lEEiEEEE10hipError_tPvRmT1_T2_T3_mT4_P12ihipStream_tbEUlT_E0_NS1_11comp_targetILNS1_3genE3ELNS1_11target_archE908ELNS1_3gpuE7ELNS1_3repE0EEENS1_30default_config_static_selectorELNS0_4arch9wavefront6targetE0EEEvST_, .Lfunc_end493-_ZN7rocprim17ROCPRIM_400000_NS6detail17trampoline_kernelINS0_14default_configENS1_22reduce_config_selectorIiEEZNS1_11reduce_implILb1ES3_PiS7_iN6hipcub16HIPCUB_304000_NS6detail34convert_binary_result_type_wrapperINS9_3SumENS9_22TransformInputIteratorIbN2at6native12_GLOBAL__N_19NonZeroOpIN3c107complexIdEEEEPKSK_lEEiEEEE10hipError_tPvRmT1_T2_T3_mT4_P12ihipStream_tbEUlT_E0_NS1_11comp_targetILNS1_3genE3ELNS1_11target_archE908ELNS1_3gpuE7ELNS1_3repE0EEENS1_30default_config_static_selectorELNS0_4arch9wavefront6targetE0EEEvST_
                                        ; -- End function
	.set _ZN7rocprim17ROCPRIM_400000_NS6detail17trampoline_kernelINS0_14default_configENS1_22reduce_config_selectorIiEEZNS1_11reduce_implILb1ES3_PiS7_iN6hipcub16HIPCUB_304000_NS6detail34convert_binary_result_type_wrapperINS9_3SumENS9_22TransformInputIteratorIbN2at6native12_GLOBAL__N_19NonZeroOpIN3c107complexIdEEEEPKSK_lEEiEEEE10hipError_tPvRmT1_T2_T3_mT4_P12ihipStream_tbEUlT_E0_NS1_11comp_targetILNS1_3genE3ELNS1_11target_archE908ELNS1_3gpuE7ELNS1_3repE0EEENS1_30default_config_static_selectorELNS0_4arch9wavefront6targetE0EEEvST_.num_vgpr, 0
	.set _ZN7rocprim17ROCPRIM_400000_NS6detail17trampoline_kernelINS0_14default_configENS1_22reduce_config_selectorIiEEZNS1_11reduce_implILb1ES3_PiS7_iN6hipcub16HIPCUB_304000_NS6detail34convert_binary_result_type_wrapperINS9_3SumENS9_22TransformInputIteratorIbN2at6native12_GLOBAL__N_19NonZeroOpIN3c107complexIdEEEEPKSK_lEEiEEEE10hipError_tPvRmT1_T2_T3_mT4_P12ihipStream_tbEUlT_E0_NS1_11comp_targetILNS1_3genE3ELNS1_11target_archE908ELNS1_3gpuE7ELNS1_3repE0EEENS1_30default_config_static_selectorELNS0_4arch9wavefront6targetE0EEEvST_.num_agpr, 0
	.set _ZN7rocprim17ROCPRIM_400000_NS6detail17trampoline_kernelINS0_14default_configENS1_22reduce_config_selectorIiEEZNS1_11reduce_implILb1ES3_PiS7_iN6hipcub16HIPCUB_304000_NS6detail34convert_binary_result_type_wrapperINS9_3SumENS9_22TransformInputIteratorIbN2at6native12_GLOBAL__N_19NonZeroOpIN3c107complexIdEEEEPKSK_lEEiEEEE10hipError_tPvRmT1_T2_T3_mT4_P12ihipStream_tbEUlT_E0_NS1_11comp_targetILNS1_3genE3ELNS1_11target_archE908ELNS1_3gpuE7ELNS1_3repE0EEENS1_30default_config_static_selectorELNS0_4arch9wavefront6targetE0EEEvST_.numbered_sgpr, 0
	.set _ZN7rocprim17ROCPRIM_400000_NS6detail17trampoline_kernelINS0_14default_configENS1_22reduce_config_selectorIiEEZNS1_11reduce_implILb1ES3_PiS7_iN6hipcub16HIPCUB_304000_NS6detail34convert_binary_result_type_wrapperINS9_3SumENS9_22TransformInputIteratorIbN2at6native12_GLOBAL__N_19NonZeroOpIN3c107complexIdEEEEPKSK_lEEiEEEE10hipError_tPvRmT1_T2_T3_mT4_P12ihipStream_tbEUlT_E0_NS1_11comp_targetILNS1_3genE3ELNS1_11target_archE908ELNS1_3gpuE7ELNS1_3repE0EEENS1_30default_config_static_selectorELNS0_4arch9wavefront6targetE0EEEvST_.num_named_barrier, 0
	.set _ZN7rocprim17ROCPRIM_400000_NS6detail17trampoline_kernelINS0_14default_configENS1_22reduce_config_selectorIiEEZNS1_11reduce_implILb1ES3_PiS7_iN6hipcub16HIPCUB_304000_NS6detail34convert_binary_result_type_wrapperINS9_3SumENS9_22TransformInputIteratorIbN2at6native12_GLOBAL__N_19NonZeroOpIN3c107complexIdEEEEPKSK_lEEiEEEE10hipError_tPvRmT1_T2_T3_mT4_P12ihipStream_tbEUlT_E0_NS1_11comp_targetILNS1_3genE3ELNS1_11target_archE908ELNS1_3gpuE7ELNS1_3repE0EEENS1_30default_config_static_selectorELNS0_4arch9wavefront6targetE0EEEvST_.private_seg_size, 0
	.set _ZN7rocprim17ROCPRIM_400000_NS6detail17trampoline_kernelINS0_14default_configENS1_22reduce_config_selectorIiEEZNS1_11reduce_implILb1ES3_PiS7_iN6hipcub16HIPCUB_304000_NS6detail34convert_binary_result_type_wrapperINS9_3SumENS9_22TransformInputIteratorIbN2at6native12_GLOBAL__N_19NonZeroOpIN3c107complexIdEEEEPKSK_lEEiEEEE10hipError_tPvRmT1_T2_T3_mT4_P12ihipStream_tbEUlT_E0_NS1_11comp_targetILNS1_3genE3ELNS1_11target_archE908ELNS1_3gpuE7ELNS1_3repE0EEENS1_30default_config_static_selectorELNS0_4arch9wavefront6targetE0EEEvST_.uses_vcc, 0
	.set _ZN7rocprim17ROCPRIM_400000_NS6detail17trampoline_kernelINS0_14default_configENS1_22reduce_config_selectorIiEEZNS1_11reduce_implILb1ES3_PiS7_iN6hipcub16HIPCUB_304000_NS6detail34convert_binary_result_type_wrapperINS9_3SumENS9_22TransformInputIteratorIbN2at6native12_GLOBAL__N_19NonZeroOpIN3c107complexIdEEEEPKSK_lEEiEEEE10hipError_tPvRmT1_T2_T3_mT4_P12ihipStream_tbEUlT_E0_NS1_11comp_targetILNS1_3genE3ELNS1_11target_archE908ELNS1_3gpuE7ELNS1_3repE0EEENS1_30default_config_static_selectorELNS0_4arch9wavefront6targetE0EEEvST_.uses_flat_scratch, 0
	.set _ZN7rocprim17ROCPRIM_400000_NS6detail17trampoline_kernelINS0_14default_configENS1_22reduce_config_selectorIiEEZNS1_11reduce_implILb1ES3_PiS7_iN6hipcub16HIPCUB_304000_NS6detail34convert_binary_result_type_wrapperINS9_3SumENS9_22TransformInputIteratorIbN2at6native12_GLOBAL__N_19NonZeroOpIN3c107complexIdEEEEPKSK_lEEiEEEE10hipError_tPvRmT1_T2_T3_mT4_P12ihipStream_tbEUlT_E0_NS1_11comp_targetILNS1_3genE3ELNS1_11target_archE908ELNS1_3gpuE7ELNS1_3repE0EEENS1_30default_config_static_selectorELNS0_4arch9wavefront6targetE0EEEvST_.has_dyn_sized_stack, 0
	.set _ZN7rocprim17ROCPRIM_400000_NS6detail17trampoline_kernelINS0_14default_configENS1_22reduce_config_selectorIiEEZNS1_11reduce_implILb1ES3_PiS7_iN6hipcub16HIPCUB_304000_NS6detail34convert_binary_result_type_wrapperINS9_3SumENS9_22TransformInputIteratorIbN2at6native12_GLOBAL__N_19NonZeroOpIN3c107complexIdEEEEPKSK_lEEiEEEE10hipError_tPvRmT1_T2_T3_mT4_P12ihipStream_tbEUlT_E0_NS1_11comp_targetILNS1_3genE3ELNS1_11target_archE908ELNS1_3gpuE7ELNS1_3repE0EEENS1_30default_config_static_selectorELNS0_4arch9wavefront6targetE0EEEvST_.has_recursion, 0
	.set _ZN7rocprim17ROCPRIM_400000_NS6detail17trampoline_kernelINS0_14default_configENS1_22reduce_config_selectorIiEEZNS1_11reduce_implILb1ES3_PiS7_iN6hipcub16HIPCUB_304000_NS6detail34convert_binary_result_type_wrapperINS9_3SumENS9_22TransformInputIteratorIbN2at6native12_GLOBAL__N_19NonZeroOpIN3c107complexIdEEEEPKSK_lEEiEEEE10hipError_tPvRmT1_T2_T3_mT4_P12ihipStream_tbEUlT_E0_NS1_11comp_targetILNS1_3genE3ELNS1_11target_archE908ELNS1_3gpuE7ELNS1_3repE0EEENS1_30default_config_static_selectorELNS0_4arch9wavefront6targetE0EEEvST_.has_indirect_call, 0
	.section	.AMDGPU.csdata,"",@progbits
; Kernel info:
; codeLenInByte = 0
; TotalNumSgprs: 0
; NumVgprs: 0
; ScratchSize: 0
; MemoryBound: 0
; FloatMode: 240
; IeeeMode: 1
; LDSByteSize: 0 bytes/workgroup (compile time only)
; SGPRBlocks: 0
; VGPRBlocks: 0
; NumSGPRsForWavesPerEU: 1
; NumVGPRsForWavesPerEU: 1
; Occupancy: 16
; WaveLimiterHint : 0
; COMPUTE_PGM_RSRC2:SCRATCH_EN: 0
; COMPUTE_PGM_RSRC2:USER_SGPR: 2
; COMPUTE_PGM_RSRC2:TRAP_HANDLER: 0
; COMPUTE_PGM_RSRC2:TGID_X_EN: 1
; COMPUTE_PGM_RSRC2:TGID_Y_EN: 0
; COMPUTE_PGM_RSRC2:TGID_Z_EN: 0
; COMPUTE_PGM_RSRC2:TIDIG_COMP_CNT: 0
	.section	.text._ZN7rocprim17ROCPRIM_400000_NS6detail17trampoline_kernelINS0_14default_configENS1_22reduce_config_selectorIiEEZNS1_11reduce_implILb1ES3_PiS7_iN6hipcub16HIPCUB_304000_NS6detail34convert_binary_result_type_wrapperINS9_3SumENS9_22TransformInputIteratorIbN2at6native12_GLOBAL__N_19NonZeroOpIN3c107complexIdEEEEPKSK_lEEiEEEE10hipError_tPvRmT1_T2_T3_mT4_P12ihipStream_tbEUlT_E0_NS1_11comp_targetILNS1_3genE2ELNS1_11target_archE906ELNS1_3gpuE6ELNS1_3repE0EEENS1_30default_config_static_selectorELNS0_4arch9wavefront6targetE0EEEvST_,"axG",@progbits,_ZN7rocprim17ROCPRIM_400000_NS6detail17trampoline_kernelINS0_14default_configENS1_22reduce_config_selectorIiEEZNS1_11reduce_implILb1ES3_PiS7_iN6hipcub16HIPCUB_304000_NS6detail34convert_binary_result_type_wrapperINS9_3SumENS9_22TransformInputIteratorIbN2at6native12_GLOBAL__N_19NonZeroOpIN3c107complexIdEEEEPKSK_lEEiEEEE10hipError_tPvRmT1_T2_T3_mT4_P12ihipStream_tbEUlT_E0_NS1_11comp_targetILNS1_3genE2ELNS1_11target_archE906ELNS1_3gpuE6ELNS1_3repE0EEENS1_30default_config_static_selectorELNS0_4arch9wavefront6targetE0EEEvST_,comdat
	.globl	_ZN7rocprim17ROCPRIM_400000_NS6detail17trampoline_kernelINS0_14default_configENS1_22reduce_config_selectorIiEEZNS1_11reduce_implILb1ES3_PiS7_iN6hipcub16HIPCUB_304000_NS6detail34convert_binary_result_type_wrapperINS9_3SumENS9_22TransformInputIteratorIbN2at6native12_GLOBAL__N_19NonZeroOpIN3c107complexIdEEEEPKSK_lEEiEEEE10hipError_tPvRmT1_T2_T3_mT4_P12ihipStream_tbEUlT_E0_NS1_11comp_targetILNS1_3genE2ELNS1_11target_archE906ELNS1_3gpuE6ELNS1_3repE0EEENS1_30default_config_static_selectorELNS0_4arch9wavefront6targetE0EEEvST_ ; -- Begin function _ZN7rocprim17ROCPRIM_400000_NS6detail17trampoline_kernelINS0_14default_configENS1_22reduce_config_selectorIiEEZNS1_11reduce_implILb1ES3_PiS7_iN6hipcub16HIPCUB_304000_NS6detail34convert_binary_result_type_wrapperINS9_3SumENS9_22TransformInputIteratorIbN2at6native12_GLOBAL__N_19NonZeroOpIN3c107complexIdEEEEPKSK_lEEiEEEE10hipError_tPvRmT1_T2_T3_mT4_P12ihipStream_tbEUlT_E0_NS1_11comp_targetILNS1_3genE2ELNS1_11target_archE906ELNS1_3gpuE6ELNS1_3repE0EEENS1_30default_config_static_selectorELNS0_4arch9wavefront6targetE0EEEvST_
	.p2align	8
	.type	_ZN7rocprim17ROCPRIM_400000_NS6detail17trampoline_kernelINS0_14default_configENS1_22reduce_config_selectorIiEEZNS1_11reduce_implILb1ES3_PiS7_iN6hipcub16HIPCUB_304000_NS6detail34convert_binary_result_type_wrapperINS9_3SumENS9_22TransformInputIteratorIbN2at6native12_GLOBAL__N_19NonZeroOpIN3c107complexIdEEEEPKSK_lEEiEEEE10hipError_tPvRmT1_T2_T3_mT4_P12ihipStream_tbEUlT_E0_NS1_11comp_targetILNS1_3genE2ELNS1_11target_archE906ELNS1_3gpuE6ELNS1_3repE0EEENS1_30default_config_static_selectorELNS0_4arch9wavefront6targetE0EEEvST_,@function
_ZN7rocprim17ROCPRIM_400000_NS6detail17trampoline_kernelINS0_14default_configENS1_22reduce_config_selectorIiEEZNS1_11reduce_implILb1ES3_PiS7_iN6hipcub16HIPCUB_304000_NS6detail34convert_binary_result_type_wrapperINS9_3SumENS9_22TransformInputIteratorIbN2at6native12_GLOBAL__N_19NonZeroOpIN3c107complexIdEEEEPKSK_lEEiEEEE10hipError_tPvRmT1_T2_T3_mT4_P12ihipStream_tbEUlT_E0_NS1_11comp_targetILNS1_3genE2ELNS1_11target_archE906ELNS1_3gpuE6ELNS1_3repE0EEENS1_30default_config_static_selectorELNS0_4arch9wavefront6targetE0EEEvST_: ; @_ZN7rocprim17ROCPRIM_400000_NS6detail17trampoline_kernelINS0_14default_configENS1_22reduce_config_selectorIiEEZNS1_11reduce_implILb1ES3_PiS7_iN6hipcub16HIPCUB_304000_NS6detail34convert_binary_result_type_wrapperINS9_3SumENS9_22TransformInputIteratorIbN2at6native12_GLOBAL__N_19NonZeroOpIN3c107complexIdEEEEPKSK_lEEiEEEE10hipError_tPvRmT1_T2_T3_mT4_P12ihipStream_tbEUlT_E0_NS1_11comp_targetILNS1_3genE2ELNS1_11target_archE906ELNS1_3gpuE6ELNS1_3repE0EEENS1_30default_config_static_selectorELNS0_4arch9wavefront6targetE0EEEvST_
; %bb.0:
	.section	.rodata,"a",@progbits
	.p2align	6, 0x0
	.amdhsa_kernel _ZN7rocprim17ROCPRIM_400000_NS6detail17trampoline_kernelINS0_14default_configENS1_22reduce_config_selectorIiEEZNS1_11reduce_implILb1ES3_PiS7_iN6hipcub16HIPCUB_304000_NS6detail34convert_binary_result_type_wrapperINS9_3SumENS9_22TransformInputIteratorIbN2at6native12_GLOBAL__N_19NonZeroOpIN3c107complexIdEEEEPKSK_lEEiEEEE10hipError_tPvRmT1_T2_T3_mT4_P12ihipStream_tbEUlT_E0_NS1_11comp_targetILNS1_3genE2ELNS1_11target_archE906ELNS1_3gpuE6ELNS1_3repE0EEENS1_30default_config_static_selectorELNS0_4arch9wavefront6targetE0EEEvST_
		.amdhsa_group_segment_fixed_size 0
		.amdhsa_private_segment_fixed_size 0
		.amdhsa_kernarg_size 56
		.amdhsa_user_sgpr_count 2
		.amdhsa_user_sgpr_dispatch_ptr 0
		.amdhsa_user_sgpr_queue_ptr 0
		.amdhsa_user_sgpr_kernarg_segment_ptr 1
		.amdhsa_user_sgpr_dispatch_id 0
		.amdhsa_user_sgpr_private_segment_size 0
		.amdhsa_wavefront_size32 1
		.amdhsa_uses_dynamic_stack 0
		.amdhsa_enable_private_segment 0
		.amdhsa_system_sgpr_workgroup_id_x 1
		.amdhsa_system_sgpr_workgroup_id_y 0
		.amdhsa_system_sgpr_workgroup_id_z 0
		.amdhsa_system_sgpr_workgroup_info 0
		.amdhsa_system_vgpr_workitem_id 0
		.amdhsa_next_free_vgpr 1
		.amdhsa_next_free_sgpr 1
		.amdhsa_reserve_vcc 0
		.amdhsa_float_round_mode_32 0
		.amdhsa_float_round_mode_16_64 0
		.amdhsa_float_denorm_mode_32 3
		.amdhsa_float_denorm_mode_16_64 3
		.amdhsa_fp16_overflow 0
		.amdhsa_workgroup_processor_mode 1
		.amdhsa_memory_ordered 1
		.amdhsa_forward_progress 1
		.amdhsa_inst_pref_size 0
		.amdhsa_round_robin_scheduling 0
		.amdhsa_exception_fp_ieee_invalid_op 0
		.amdhsa_exception_fp_denorm_src 0
		.amdhsa_exception_fp_ieee_div_zero 0
		.amdhsa_exception_fp_ieee_overflow 0
		.amdhsa_exception_fp_ieee_underflow 0
		.amdhsa_exception_fp_ieee_inexact 0
		.amdhsa_exception_int_div_zero 0
	.end_amdhsa_kernel
	.section	.text._ZN7rocprim17ROCPRIM_400000_NS6detail17trampoline_kernelINS0_14default_configENS1_22reduce_config_selectorIiEEZNS1_11reduce_implILb1ES3_PiS7_iN6hipcub16HIPCUB_304000_NS6detail34convert_binary_result_type_wrapperINS9_3SumENS9_22TransformInputIteratorIbN2at6native12_GLOBAL__N_19NonZeroOpIN3c107complexIdEEEEPKSK_lEEiEEEE10hipError_tPvRmT1_T2_T3_mT4_P12ihipStream_tbEUlT_E0_NS1_11comp_targetILNS1_3genE2ELNS1_11target_archE906ELNS1_3gpuE6ELNS1_3repE0EEENS1_30default_config_static_selectorELNS0_4arch9wavefront6targetE0EEEvST_,"axG",@progbits,_ZN7rocprim17ROCPRIM_400000_NS6detail17trampoline_kernelINS0_14default_configENS1_22reduce_config_selectorIiEEZNS1_11reduce_implILb1ES3_PiS7_iN6hipcub16HIPCUB_304000_NS6detail34convert_binary_result_type_wrapperINS9_3SumENS9_22TransformInputIteratorIbN2at6native12_GLOBAL__N_19NonZeroOpIN3c107complexIdEEEEPKSK_lEEiEEEE10hipError_tPvRmT1_T2_T3_mT4_P12ihipStream_tbEUlT_E0_NS1_11comp_targetILNS1_3genE2ELNS1_11target_archE906ELNS1_3gpuE6ELNS1_3repE0EEENS1_30default_config_static_selectorELNS0_4arch9wavefront6targetE0EEEvST_,comdat
.Lfunc_end494:
	.size	_ZN7rocprim17ROCPRIM_400000_NS6detail17trampoline_kernelINS0_14default_configENS1_22reduce_config_selectorIiEEZNS1_11reduce_implILb1ES3_PiS7_iN6hipcub16HIPCUB_304000_NS6detail34convert_binary_result_type_wrapperINS9_3SumENS9_22TransformInputIteratorIbN2at6native12_GLOBAL__N_19NonZeroOpIN3c107complexIdEEEEPKSK_lEEiEEEE10hipError_tPvRmT1_T2_T3_mT4_P12ihipStream_tbEUlT_E0_NS1_11comp_targetILNS1_3genE2ELNS1_11target_archE906ELNS1_3gpuE6ELNS1_3repE0EEENS1_30default_config_static_selectorELNS0_4arch9wavefront6targetE0EEEvST_, .Lfunc_end494-_ZN7rocprim17ROCPRIM_400000_NS6detail17trampoline_kernelINS0_14default_configENS1_22reduce_config_selectorIiEEZNS1_11reduce_implILb1ES3_PiS7_iN6hipcub16HIPCUB_304000_NS6detail34convert_binary_result_type_wrapperINS9_3SumENS9_22TransformInputIteratorIbN2at6native12_GLOBAL__N_19NonZeroOpIN3c107complexIdEEEEPKSK_lEEiEEEE10hipError_tPvRmT1_T2_T3_mT4_P12ihipStream_tbEUlT_E0_NS1_11comp_targetILNS1_3genE2ELNS1_11target_archE906ELNS1_3gpuE6ELNS1_3repE0EEENS1_30default_config_static_selectorELNS0_4arch9wavefront6targetE0EEEvST_
                                        ; -- End function
	.set _ZN7rocprim17ROCPRIM_400000_NS6detail17trampoline_kernelINS0_14default_configENS1_22reduce_config_selectorIiEEZNS1_11reduce_implILb1ES3_PiS7_iN6hipcub16HIPCUB_304000_NS6detail34convert_binary_result_type_wrapperINS9_3SumENS9_22TransformInputIteratorIbN2at6native12_GLOBAL__N_19NonZeroOpIN3c107complexIdEEEEPKSK_lEEiEEEE10hipError_tPvRmT1_T2_T3_mT4_P12ihipStream_tbEUlT_E0_NS1_11comp_targetILNS1_3genE2ELNS1_11target_archE906ELNS1_3gpuE6ELNS1_3repE0EEENS1_30default_config_static_selectorELNS0_4arch9wavefront6targetE0EEEvST_.num_vgpr, 0
	.set _ZN7rocprim17ROCPRIM_400000_NS6detail17trampoline_kernelINS0_14default_configENS1_22reduce_config_selectorIiEEZNS1_11reduce_implILb1ES3_PiS7_iN6hipcub16HIPCUB_304000_NS6detail34convert_binary_result_type_wrapperINS9_3SumENS9_22TransformInputIteratorIbN2at6native12_GLOBAL__N_19NonZeroOpIN3c107complexIdEEEEPKSK_lEEiEEEE10hipError_tPvRmT1_T2_T3_mT4_P12ihipStream_tbEUlT_E0_NS1_11comp_targetILNS1_3genE2ELNS1_11target_archE906ELNS1_3gpuE6ELNS1_3repE0EEENS1_30default_config_static_selectorELNS0_4arch9wavefront6targetE0EEEvST_.num_agpr, 0
	.set _ZN7rocprim17ROCPRIM_400000_NS6detail17trampoline_kernelINS0_14default_configENS1_22reduce_config_selectorIiEEZNS1_11reduce_implILb1ES3_PiS7_iN6hipcub16HIPCUB_304000_NS6detail34convert_binary_result_type_wrapperINS9_3SumENS9_22TransformInputIteratorIbN2at6native12_GLOBAL__N_19NonZeroOpIN3c107complexIdEEEEPKSK_lEEiEEEE10hipError_tPvRmT1_T2_T3_mT4_P12ihipStream_tbEUlT_E0_NS1_11comp_targetILNS1_3genE2ELNS1_11target_archE906ELNS1_3gpuE6ELNS1_3repE0EEENS1_30default_config_static_selectorELNS0_4arch9wavefront6targetE0EEEvST_.numbered_sgpr, 0
	.set _ZN7rocprim17ROCPRIM_400000_NS6detail17trampoline_kernelINS0_14default_configENS1_22reduce_config_selectorIiEEZNS1_11reduce_implILb1ES3_PiS7_iN6hipcub16HIPCUB_304000_NS6detail34convert_binary_result_type_wrapperINS9_3SumENS9_22TransformInputIteratorIbN2at6native12_GLOBAL__N_19NonZeroOpIN3c107complexIdEEEEPKSK_lEEiEEEE10hipError_tPvRmT1_T2_T3_mT4_P12ihipStream_tbEUlT_E0_NS1_11comp_targetILNS1_3genE2ELNS1_11target_archE906ELNS1_3gpuE6ELNS1_3repE0EEENS1_30default_config_static_selectorELNS0_4arch9wavefront6targetE0EEEvST_.num_named_barrier, 0
	.set _ZN7rocprim17ROCPRIM_400000_NS6detail17trampoline_kernelINS0_14default_configENS1_22reduce_config_selectorIiEEZNS1_11reduce_implILb1ES3_PiS7_iN6hipcub16HIPCUB_304000_NS6detail34convert_binary_result_type_wrapperINS9_3SumENS9_22TransformInputIteratorIbN2at6native12_GLOBAL__N_19NonZeroOpIN3c107complexIdEEEEPKSK_lEEiEEEE10hipError_tPvRmT1_T2_T3_mT4_P12ihipStream_tbEUlT_E0_NS1_11comp_targetILNS1_3genE2ELNS1_11target_archE906ELNS1_3gpuE6ELNS1_3repE0EEENS1_30default_config_static_selectorELNS0_4arch9wavefront6targetE0EEEvST_.private_seg_size, 0
	.set _ZN7rocprim17ROCPRIM_400000_NS6detail17trampoline_kernelINS0_14default_configENS1_22reduce_config_selectorIiEEZNS1_11reduce_implILb1ES3_PiS7_iN6hipcub16HIPCUB_304000_NS6detail34convert_binary_result_type_wrapperINS9_3SumENS9_22TransformInputIteratorIbN2at6native12_GLOBAL__N_19NonZeroOpIN3c107complexIdEEEEPKSK_lEEiEEEE10hipError_tPvRmT1_T2_T3_mT4_P12ihipStream_tbEUlT_E0_NS1_11comp_targetILNS1_3genE2ELNS1_11target_archE906ELNS1_3gpuE6ELNS1_3repE0EEENS1_30default_config_static_selectorELNS0_4arch9wavefront6targetE0EEEvST_.uses_vcc, 0
	.set _ZN7rocprim17ROCPRIM_400000_NS6detail17trampoline_kernelINS0_14default_configENS1_22reduce_config_selectorIiEEZNS1_11reduce_implILb1ES3_PiS7_iN6hipcub16HIPCUB_304000_NS6detail34convert_binary_result_type_wrapperINS9_3SumENS9_22TransformInputIteratorIbN2at6native12_GLOBAL__N_19NonZeroOpIN3c107complexIdEEEEPKSK_lEEiEEEE10hipError_tPvRmT1_T2_T3_mT4_P12ihipStream_tbEUlT_E0_NS1_11comp_targetILNS1_3genE2ELNS1_11target_archE906ELNS1_3gpuE6ELNS1_3repE0EEENS1_30default_config_static_selectorELNS0_4arch9wavefront6targetE0EEEvST_.uses_flat_scratch, 0
	.set _ZN7rocprim17ROCPRIM_400000_NS6detail17trampoline_kernelINS0_14default_configENS1_22reduce_config_selectorIiEEZNS1_11reduce_implILb1ES3_PiS7_iN6hipcub16HIPCUB_304000_NS6detail34convert_binary_result_type_wrapperINS9_3SumENS9_22TransformInputIteratorIbN2at6native12_GLOBAL__N_19NonZeroOpIN3c107complexIdEEEEPKSK_lEEiEEEE10hipError_tPvRmT1_T2_T3_mT4_P12ihipStream_tbEUlT_E0_NS1_11comp_targetILNS1_3genE2ELNS1_11target_archE906ELNS1_3gpuE6ELNS1_3repE0EEENS1_30default_config_static_selectorELNS0_4arch9wavefront6targetE0EEEvST_.has_dyn_sized_stack, 0
	.set _ZN7rocprim17ROCPRIM_400000_NS6detail17trampoline_kernelINS0_14default_configENS1_22reduce_config_selectorIiEEZNS1_11reduce_implILb1ES3_PiS7_iN6hipcub16HIPCUB_304000_NS6detail34convert_binary_result_type_wrapperINS9_3SumENS9_22TransformInputIteratorIbN2at6native12_GLOBAL__N_19NonZeroOpIN3c107complexIdEEEEPKSK_lEEiEEEE10hipError_tPvRmT1_T2_T3_mT4_P12ihipStream_tbEUlT_E0_NS1_11comp_targetILNS1_3genE2ELNS1_11target_archE906ELNS1_3gpuE6ELNS1_3repE0EEENS1_30default_config_static_selectorELNS0_4arch9wavefront6targetE0EEEvST_.has_recursion, 0
	.set _ZN7rocprim17ROCPRIM_400000_NS6detail17trampoline_kernelINS0_14default_configENS1_22reduce_config_selectorIiEEZNS1_11reduce_implILb1ES3_PiS7_iN6hipcub16HIPCUB_304000_NS6detail34convert_binary_result_type_wrapperINS9_3SumENS9_22TransformInputIteratorIbN2at6native12_GLOBAL__N_19NonZeroOpIN3c107complexIdEEEEPKSK_lEEiEEEE10hipError_tPvRmT1_T2_T3_mT4_P12ihipStream_tbEUlT_E0_NS1_11comp_targetILNS1_3genE2ELNS1_11target_archE906ELNS1_3gpuE6ELNS1_3repE0EEENS1_30default_config_static_selectorELNS0_4arch9wavefront6targetE0EEEvST_.has_indirect_call, 0
	.section	.AMDGPU.csdata,"",@progbits
; Kernel info:
; codeLenInByte = 0
; TotalNumSgprs: 0
; NumVgprs: 0
; ScratchSize: 0
; MemoryBound: 0
; FloatMode: 240
; IeeeMode: 1
; LDSByteSize: 0 bytes/workgroup (compile time only)
; SGPRBlocks: 0
; VGPRBlocks: 0
; NumSGPRsForWavesPerEU: 1
; NumVGPRsForWavesPerEU: 1
; Occupancy: 16
; WaveLimiterHint : 0
; COMPUTE_PGM_RSRC2:SCRATCH_EN: 0
; COMPUTE_PGM_RSRC2:USER_SGPR: 2
; COMPUTE_PGM_RSRC2:TRAP_HANDLER: 0
; COMPUTE_PGM_RSRC2:TGID_X_EN: 1
; COMPUTE_PGM_RSRC2:TGID_Y_EN: 0
; COMPUTE_PGM_RSRC2:TGID_Z_EN: 0
; COMPUTE_PGM_RSRC2:TIDIG_COMP_CNT: 0
	.section	.text._ZN7rocprim17ROCPRIM_400000_NS6detail17trampoline_kernelINS0_14default_configENS1_22reduce_config_selectorIiEEZNS1_11reduce_implILb1ES3_PiS7_iN6hipcub16HIPCUB_304000_NS6detail34convert_binary_result_type_wrapperINS9_3SumENS9_22TransformInputIteratorIbN2at6native12_GLOBAL__N_19NonZeroOpIN3c107complexIdEEEEPKSK_lEEiEEEE10hipError_tPvRmT1_T2_T3_mT4_P12ihipStream_tbEUlT_E0_NS1_11comp_targetILNS1_3genE10ELNS1_11target_archE1201ELNS1_3gpuE5ELNS1_3repE0EEENS1_30default_config_static_selectorELNS0_4arch9wavefront6targetE0EEEvST_,"axG",@progbits,_ZN7rocprim17ROCPRIM_400000_NS6detail17trampoline_kernelINS0_14default_configENS1_22reduce_config_selectorIiEEZNS1_11reduce_implILb1ES3_PiS7_iN6hipcub16HIPCUB_304000_NS6detail34convert_binary_result_type_wrapperINS9_3SumENS9_22TransformInputIteratorIbN2at6native12_GLOBAL__N_19NonZeroOpIN3c107complexIdEEEEPKSK_lEEiEEEE10hipError_tPvRmT1_T2_T3_mT4_P12ihipStream_tbEUlT_E0_NS1_11comp_targetILNS1_3genE10ELNS1_11target_archE1201ELNS1_3gpuE5ELNS1_3repE0EEENS1_30default_config_static_selectorELNS0_4arch9wavefront6targetE0EEEvST_,comdat
	.globl	_ZN7rocprim17ROCPRIM_400000_NS6detail17trampoline_kernelINS0_14default_configENS1_22reduce_config_selectorIiEEZNS1_11reduce_implILb1ES3_PiS7_iN6hipcub16HIPCUB_304000_NS6detail34convert_binary_result_type_wrapperINS9_3SumENS9_22TransformInputIteratorIbN2at6native12_GLOBAL__N_19NonZeroOpIN3c107complexIdEEEEPKSK_lEEiEEEE10hipError_tPvRmT1_T2_T3_mT4_P12ihipStream_tbEUlT_E0_NS1_11comp_targetILNS1_3genE10ELNS1_11target_archE1201ELNS1_3gpuE5ELNS1_3repE0EEENS1_30default_config_static_selectorELNS0_4arch9wavefront6targetE0EEEvST_ ; -- Begin function _ZN7rocprim17ROCPRIM_400000_NS6detail17trampoline_kernelINS0_14default_configENS1_22reduce_config_selectorIiEEZNS1_11reduce_implILb1ES3_PiS7_iN6hipcub16HIPCUB_304000_NS6detail34convert_binary_result_type_wrapperINS9_3SumENS9_22TransformInputIteratorIbN2at6native12_GLOBAL__N_19NonZeroOpIN3c107complexIdEEEEPKSK_lEEiEEEE10hipError_tPvRmT1_T2_T3_mT4_P12ihipStream_tbEUlT_E0_NS1_11comp_targetILNS1_3genE10ELNS1_11target_archE1201ELNS1_3gpuE5ELNS1_3repE0EEENS1_30default_config_static_selectorELNS0_4arch9wavefront6targetE0EEEvST_
	.p2align	8
	.type	_ZN7rocprim17ROCPRIM_400000_NS6detail17trampoline_kernelINS0_14default_configENS1_22reduce_config_selectorIiEEZNS1_11reduce_implILb1ES3_PiS7_iN6hipcub16HIPCUB_304000_NS6detail34convert_binary_result_type_wrapperINS9_3SumENS9_22TransformInputIteratorIbN2at6native12_GLOBAL__N_19NonZeroOpIN3c107complexIdEEEEPKSK_lEEiEEEE10hipError_tPvRmT1_T2_T3_mT4_P12ihipStream_tbEUlT_E0_NS1_11comp_targetILNS1_3genE10ELNS1_11target_archE1201ELNS1_3gpuE5ELNS1_3repE0EEENS1_30default_config_static_selectorELNS0_4arch9wavefront6targetE0EEEvST_,@function
_ZN7rocprim17ROCPRIM_400000_NS6detail17trampoline_kernelINS0_14default_configENS1_22reduce_config_selectorIiEEZNS1_11reduce_implILb1ES3_PiS7_iN6hipcub16HIPCUB_304000_NS6detail34convert_binary_result_type_wrapperINS9_3SumENS9_22TransformInputIteratorIbN2at6native12_GLOBAL__N_19NonZeroOpIN3c107complexIdEEEEPKSK_lEEiEEEE10hipError_tPvRmT1_T2_T3_mT4_P12ihipStream_tbEUlT_E0_NS1_11comp_targetILNS1_3genE10ELNS1_11target_archE1201ELNS1_3gpuE5ELNS1_3repE0EEENS1_30default_config_static_selectorELNS0_4arch9wavefront6targetE0EEEvST_: ; @_ZN7rocprim17ROCPRIM_400000_NS6detail17trampoline_kernelINS0_14default_configENS1_22reduce_config_selectorIiEEZNS1_11reduce_implILb1ES3_PiS7_iN6hipcub16HIPCUB_304000_NS6detail34convert_binary_result_type_wrapperINS9_3SumENS9_22TransformInputIteratorIbN2at6native12_GLOBAL__N_19NonZeroOpIN3c107complexIdEEEEPKSK_lEEiEEEE10hipError_tPvRmT1_T2_T3_mT4_P12ihipStream_tbEUlT_E0_NS1_11comp_targetILNS1_3genE10ELNS1_11target_archE1201ELNS1_3gpuE5ELNS1_3repE0EEENS1_30default_config_static_selectorELNS0_4arch9wavefront6targetE0EEEvST_
; %bb.0:
	s_clause 0x1
	s_load_b256 s[12:19], s[0:1], 0x0
	s_load_b128 s[20:23], s[0:1], 0x20
	s_lshl_b32 s2, ttmp9, 12
	s_mov_b32 s3, 0
	v_mbcnt_lo_u32_b32 v18, -1, 0
	v_lshlrev_b32_e32 v19, 2, v0
	s_mov_b32 s24, ttmp9
	s_mov_b32 s25, s3
	s_lshl_b64 s[8:9], s[2:3], 2
	s_wait_kmcnt 0x0
	s_lshl_b64 s[4:5], s[14:15], 2
	s_lshr_b64 s[6:7], s[16:17], 12
	s_add_nc_u64 s[4:5], s[12:13], s[4:5]
	s_cmp_lg_u64 s[6:7], s[24:25]
	s_add_nc_u64 s[26:27], s[4:5], s[8:9]
	s_cbranch_scc0 .LBB495_6
; %bb.1:
	s_clause 0xf
	global_load_b32 v1, v19, s[26:27]
	global_load_b32 v2, v19, s[26:27] offset:1024
	global_load_b32 v3, v19, s[26:27] offset:2048
	;; [unrolled: 1-line block ×15, first 2 shown]
	s_mov_b32 s3, exec_lo
	s_wait_loadcnt 0xe
	v_add_nc_u32_e32 v1, v2, v1
	s_wait_loadcnt 0xc
	s_delay_alu instid0(VALU_DEP_1) | instskip(SKIP_1) | instid1(VALU_DEP_1)
	v_add3_u32 v1, v1, v3, v4
	s_wait_loadcnt 0xa
	v_add3_u32 v1, v1, v5, v6
	s_wait_loadcnt 0x8
	s_delay_alu instid0(VALU_DEP_1) | instskip(SKIP_1) | instid1(VALU_DEP_1)
	v_add3_u32 v1, v1, v7, v8
	s_wait_loadcnt 0x6
	v_add3_u32 v1, v1, v9, v10
	;; [unrolled: 5-line block ×3, first 2 shown]
	s_wait_loadcnt 0x0
	s_delay_alu instid0(VALU_DEP_1) | instskip(NEXT) | instid1(VALU_DEP_1)
	v_add3_u32 v1, v1, v15, v16
	v_mov_b32_dpp v2, v1 quad_perm:[1,0,3,2] row_mask:0xf bank_mask:0xf
	s_delay_alu instid0(VALU_DEP_1) | instskip(NEXT) | instid1(VALU_DEP_1)
	v_add_nc_u32_e32 v1, v2, v1
	v_mov_b32_dpp v2, v1 quad_perm:[2,3,0,1] row_mask:0xf bank_mask:0xf
	s_delay_alu instid0(VALU_DEP_1) | instskip(NEXT) | instid1(VALU_DEP_1)
	v_add_nc_u32_e32 v1, v1, v2
	v_mov_b32_dpp v2, v1 row_ror:4 row_mask:0xf bank_mask:0xf
	s_delay_alu instid0(VALU_DEP_1) | instskip(NEXT) | instid1(VALU_DEP_1)
	v_add_nc_u32_e32 v1, v1, v2
	v_mov_b32_dpp v2, v1 row_ror:8 row_mask:0xf bank_mask:0xf
	s_delay_alu instid0(VALU_DEP_1)
	v_add_nc_u32_e32 v1, v1, v2
	ds_swizzle_b32 v2, v1 offset:swizzle(BROADCAST,32,15)
	s_wait_dscnt 0x0
	v_dual_mov_b32 v2, 0 :: v_dual_add_nc_u32 v1, v1, v2
	ds_bpermute_b32 v1, v2, v1 offset:124
	v_cmpx_eq_u32_e32 0, v18
	s_cbranch_execz .LBB495_3
; %bb.2:
	v_lshrrev_b32_e32 v2, 3, v0
	s_delay_alu instid0(VALU_DEP_1)
	v_and_b32_e32 v2, 28, v2
	s_wait_dscnt 0x0
	ds_store_b32 v2, v1
.LBB495_3:
	s_or_b32 exec_lo, exec_lo, s3
	s_delay_alu instid0(SALU_CYCLE_1)
	s_mov_b32 s3, exec_lo
	s_wait_dscnt 0x0
	s_barrier_signal -1
	s_barrier_wait -1
	global_inv scope:SCOPE_SE
	v_cmpx_gt_u32_e32 32, v0
	s_cbranch_execz .LBB495_5
; %bb.4:
	v_and_b32_e32 v1, 7, v18
	s_delay_alu instid0(VALU_DEP_1) | instskip(SKIP_4) | instid1(VALU_DEP_2)
	v_lshlrev_b32_e32 v2, 2, v1
	v_cmp_ne_u32_e32 vcc_lo, 7, v1
	ds_load_b32 v2, v2
	v_add_co_ci_u32_e64 v3, null, 0, v18, vcc_lo
	v_cmp_gt_u32_e32 vcc_lo, 6, v1
	v_lshlrev_b32_e32 v3, 2, v3
	s_wait_alu 0xfffd
	v_cndmask_b32_e64 v1, 0, 2, vcc_lo
	s_delay_alu instid0(VALU_DEP_1)
	v_add_lshl_u32 v1, v1, v18, 2
	s_wait_dscnt 0x0
	ds_bpermute_b32 v3, v3, v2
	s_wait_dscnt 0x0
	v_add_nc_u32_e32 v2, v3, v2
	v_lshlrev_b32_e32 v3, 2, v18
	ds_bpermute_b32 v1, v1, v2
	s_wait_dscnt 0x0
	v_add_nc_u32_e32 v1, v1, v2
	v_or_b32_e32 v2, 16, v3
	ds_bpermute_b32 v2, v2, v1
	s_wait_dscnt 0x0
	v_add_nc_u32_e32 v1, v2, v1
.LBB495_5:
	s_or_b32 exec_lo, exec_lo, s3
	s_branch .LBB495_44
.LBB495_6:
                                        ; implicit-def: $vgpr1
	s_cbranch_execz .LBB495_44
; %bb.7:
	v_mov_b32_e32 v1, 0
	s_sub_co_i32 s28, s16, s2
	s_mov_b32 s2, exec_lo
	s_delay_alu instid0(VALU_DEP_1)
	v_dual_mov_b32 v2, v1 :: v_dual_mov_b32 v3, v1
	v_dual_mov_b32 v4, v1 :: v_dual_mov_b32 v5, v1
	;; [unrolled: 1-line block ×7, first 2 shown]
	v_mov_b32_e32 v16, v1
	v_cmpx_gt_u32_e64 s28, v0
	s_cbranch_execz .LBB495_9
; %bb.8:
	global_load_b32 v2, v19, s[26:27]
	v_mov_b32_e32 v17, v1
	v_dual_mov_b32 v3, v1 :: v_dual_mov_b32 v4, v1
	v_dual_mov_b32 v5, v1 :: v_dual_mov_b32 v6, v1
	;; [unrolled: 1-line block ×7, first 2 shown]
	s_wait_loadcnt 0x0
	v_mov_b32_e32 v1, v2
	v_mov_b32_e32 v2, v3
	;; [unrolled: 1-line block ×16, first 2 shown]
.LBB495_9:
	s_or_b32 exec_lo, exec_lo, s2
	v_or_b32_e32 v17, 0x100, v0
	s_delay_alu instid0(VALU_DEP_1)
	v_cmp_gt_u32_e32 vcc_lo, s28, v17
	s_and_saveexec_b32 s2, vcc_lo
	s_cbranch_execz .LBB495_11
; %bb.10:
	global_load_b32 v2, v19, s[26:27] offset:1024
.LBB495_11:
	s_or_b32 exec_lo, exec_lo, s2
	v_or_b32_e32 v17, 0x200, v0
	s_delay_alu instid0(VALU_DEP_1)
	v_cmp_gt_u32_e64 s2, s28, v17
	s_and_saveexec_b32 s3, s2
	s_cbranch_execz .LBB495_13
; %bb.12:
	global_load_b32 v3, v19, s[26:27] offset:2048
.LBB495_13:
	s_or_b32 exec_lo, exec_lo, s3
	v_or_b32_e32 v17, 0x300, v0
	s_delay_alu instid0(VALU_DEP_1)
	v_cmp_gt_u32_e64 s3, s28, v17
	s_and_saveexec_b32 s4, s3
	;; [unrolled: 9-line block ×14, first 2 shown]
	s_cbranch_execz .LBB495_39
; %bb.38:
	global_load_b32 v16, v19, s[26:27] offset:15360
.LBB495_39:
	s_wait_alu 0xfffe
	s_or_b32 exec_lo, exec_lo, s29
	s_wait_loadcnt 0x0
	v_cndmask_b32_e32 v2, 0, v2, vcc_lo
	v_cndmask_b32_e64 v3, 0, v3, s2
	v_cndmask_b32_e64 v4, 0, v4, s3
	v_cmp_ne_u32_e32 vcc_lo, 31, v18
	s_min_u32 s2, s28, 0x100
	v_add_nc_u32_e32 v1, v2, v1
	v_cndmask_b32_e64 v2, 0, v5, s4
	v_cndmask_b32_e64 v5, 0, v6, s5
	;; [unrolled: 1-line block ×3, first 2 shown]
	s_mov_b32 s3, exec_lo
	v_add3_u32 v1, v1, v3, v4
	v_cndmask_b32_e64 v3, 0, v7, s6
	v_cndmask_b32_e64 v4, 0, v8, s7
	s_delay_alu instid0(VALU_DEP_3) | instskip(SKIP_2) | instid1(VALU_DEP_3)
	v_add3_u32 v1, v1, v2, v5
	v_cndmask_b32_e64 v2, 0, v9, s8
	v_cndmask_b32_e64 v5, 0, v10, s9
	v_add3_u32 v1, v1, v3, v4
	v_cndmask_b32_e64 v3, 0, v11, s10
	v_cndmask_b32_e64 v4, 0, v12, s11
	s_delay_alu instid0(VALU_DEP_3) | instskip(SKIP_2) | instid1(VALU_DEP_3)
	v_add3_u32 v1, v1, v2, v5
	v_cndmask_b32_e64 v2, 0, v13, s12
	v_cndmask_b32_e64 v5, 0, v14, s13
	v_add3_u32 v1, v1, v3, v4
	v_cndmask_b32_e64 v3, 0, v16, s15
	s_wait_alu 0xfffd
	v_add_co_ci_u32_e64 v4, null, 0, v18, vcc_lo
	v_cmp_gt_u32_e32 vcc_lo, 30, v18
	v_add3_u32 v1, v1, v2, v5
	s_delay_alu instid0(VALU_DEP_3)
	v_lshlrev_b32_e32 v2, 2, v4
	v_add_nc_u32_e32 v4, 1, v18
	s_wait_alu 0xfffd
	v_cndmask_b32_e64 v5, 0, 2, vcc_lo
	v_add3_u32 v1, v1, v6, v3
	v_and_b32_e32 v3, 0xe0, v0
	ds_bpermute_b32 v2, v2, v1
	s_wait_alu 0xfffe
	v_sub_nc_u32_e64 v3, s2, v3 clamp
	s_delay_alu instid0(VALU_DEP_1)
	v_cmp_lt_u32_e32 vcc_lo, v4, v3
	v_add_lshl_u32 v4, v5, v18, 2
	s_wait_dscnt 0x0
	s_wait_alu 0xfffd
	v_cndmask_b32_e32 v2, 0, v2, vcc_lo
	v_cmp_gt_u32_e32 vcc_lo, 28, v18
	s_delay_alu instid0(VALU_DEP_2) | instskip(SKIP_4) | instid1(VALU_DEP_1)
	v_add_nc_u32_e32 v1, v1, v2
	s_wait_alu 0xfffd
	v_cndmask_b32_e64 v5, 0, 4, vcc_lo
	ds_bpermute_b32 v2, v4, v1
	v_add_nc_u32_e32 v4, 2, v18
	v_cmp_lt_u32_e32 vcc_lo, v4, v3
	v_add_lshl_u32 v4, v5, v18, 2
	s_wait_dscnt 0x0
	s_wait_alu 0xfffd
	v_cndmask_b32_e32 v2, 0, v2, vcc_lo
	v_cmp_gt_u32_e32 vcc_lo, 24, v18
	s_delay_alu instid0(VALU_DEP_2) | instskip(SKIP_4) | instid1(VALU_DEP_1)
	v_add_nc_u32_e32 v1, v1, v2
	s_wait_alu 0xfffd
	v_cndmask_b32_e64 v5, 0, 8, vcc_lo
	ds_bpermute_b32 v2, v4, v1
	v_add_nc_u32_e32 v4, 4, v18
	v_cmp_lt_u32_e32 vcc_lo, v4, v3
	v_add_lshl_u32 v4, v5, v18, 2
	v_add_nc_u32_e32 v5, 8, v18
	s_wait_dscnt 0x0
	s_wait_alu 0xfffd
	v_cndmask_b32_e32 v2, 0, v2, vcc_lo
	s_delay_alu instid0(VALU_DEP_2) | instskip(NEXT) | instid1(VALU_DEP_2)
	v_cmp_lt_u32_e32 vcc_lo, v5, v3
	v_add_nc_u32_e32 v1, v1, v2
	v_lshlrev_b32_e32 v2, 2, v18
	ds_bpermute_b32 v4, v4, v1
	v_or_b32_e32 v5, 64, v2
	s_wait_dscnt 0x0
	s_wait_alu 0xfffd
	v_cndmask_b32_e32 v4, 0, v4, vcc_lo
	s_delay_alu instid0(VALU_DEP_1) | instskip(SKIP_2) | instid1(VALU_DEP_1)
	v_add_nc_u32_e32 v1, v1, v4
	ds_bpermute_b32 v4, v5, v1
	v_add_nc_u32_e32 v5, 16, v18
	v_cmp_lt_u32_e32 vcc_lo, v5, v3
	s_wait_dscnt 0x0
	s_wait_alu 0xfffd
	v_cndmask_b32_e32 v3, 0, v4, vcc_lo
	s_delay_alu instid0(VALU_DEP_1)
	v_add_nc_u32_e32 v1, v1, v3
	v_cmpx_eq_u32_e32 0, v18
; %bb.40:
	v_lshrrev_b32_e32 v3, 3, v0
	s_delay_alu instid0(VALU_DEP_1)
	v_and_b32_e32 v3, 28, v3
	ds_store_b32 v3, v1 offset:32
; %bb.41:
	s_or_b32 exec_lo, exec_lo, s3
	s_delay_alu instid0(SALU_CYCLE_1)
	s_mov_b32 s3, exec_lo
	s_wait_dscnt 0x0
	s_barrier_signal -1
	s_barrier_wait -1
	global_inv scope:SCOPE_SE
	v_cmpx_gt_u32_e32 8, v0
	s_cbranch_execz .LBB495_43
; %bb.42:
	ds_load_b32 v1, v2 offset:32
	v_and_b32_e32 v3, 7, v18
	s_add_co_i32 s2, s2, 31
	v_or_b32_e32 v2, 16, v2
	s_wait_alu 0xfffe
	s_lshr_b32 s2, s2, 5
	v_cmp_ne_u32_e32 vcc_lo, 7, v3
	v_add_nc_u32_e32 v5, 1, v3
	s_wait_alu 0xfffd
	v_add_co_ci_u32_e64 v4, null, 0, v18, vcc_lo
	v_cmp_gt_u32_e32 vcc_lo, 6, v3
	s_delay_alu instid0(VALU_DEP_2)
	v_lshlrev_b32_e32 v4, 2, v4
	s_wait_alu 0xfffd
	v_cndmask_b32_e64 v6, 0, 2, vcc_lo
	s_wait_alu 0xfffe
	v_cmp_gt_u32_e32 vcc_lo, s2, v5
	s_wait_dscnt 0x0
	ds_bpermute_b32 v4, v4, v1
	v_add_lshl_u32 v5, v6, v18, 2
	s_wait_dscnt 0x0
	s_wait_alu 0xfffd
	v_cndmask_b32_e32 v4, 0, v4, vcc_lo
	s_delay_alu instid0(VALU_DEP_1) | instskip(SKIP_3) | instid1(VALU_DEP_2)
	v_add_nc_u32_e32 v1, v4, v1
	ds_bpermute_b32 v4, v5, v1
	v_add_nc_u32_e32 v5, 2, v3
	v_add_nc_u32_e32 v3, 4, v3
	v_cmp_gt_u32_e32 vcc_lo, s2, v5
	s_wait_dscnt 0x0
	s_wait_alu 0xfffd
	v_cndmask_b32_e32 v4, 0, v4, vcc_lo
	v_cmp_gt_u32_e32 vcc_lo, s2, v3
	s_delay_alu instid0(VALU_DEP_2) | instskip(SKIP_4) | instid1(VALU_DEP_1)
	v_add_nc_u32_e32 v1, v1, v4
	ds_bpermute_b32 v2, v2, v1
	s_wait_dscnt 0x0
	s_wait_alu 0xfffd
	v_cndmask_b32_e32 v2, 0, v2, vcc_lo
	v_add_nc_u32_e32 v1, v1, v2
.LBB495_43:
	s_wait_alu 0xfffe
	s_or_b32 exec_lo, exec_lo, s3
.LBB495_44:
	s_load_b32 s0, s[0:1], 0x30
	s_mov_b32 s1, exec_lo
	v_cmpx_eq_u32_e32 0, v0
	s_cbranch_execz .LBB495_46
; %bb.45:
	s_mul_u64 s[2:3], s[22:23], s[20:21]
	s_wait_alu 0xfffe
	s_lshl_b64 s[2:3], s[2:3], 2
	s_cmp_eq_u64 s[16:17], 0
	s_wait_alu 0xfffe
	s_add_nc_u64 s[2:3], s[18:19], s[2:3]
	s_cselect_b32 s1, -1, 0
	s_wait_kmcnt 0x0
	v_cndmask_b32_e64 v0, v1, s0, s1
	v_mov_b32_e32 v1, 0
	s_lshl_b64 s[0:1], s[24:25], 2
	s_wait_alu 0xfffe
	s_add_nc_u64 s[0:1], s[2:3], s[0:1]
	global_store_b32 v1, v0, s[0:1]
.LBB495_46:
	s_endpgm
	.section	.rodata,"a",@progbits
	.p2align	6, 0x0
	.amdhsa_kernel _ZN7rocprim17ROCPRIM_400000_NS6detail17trampoline_kernelINS0_14default_configENS1_22reduce_config_selectorIiEEZNS1_11reduce_implILb1ES3_PiS7_iN6hipcub16HIPCUB_304000_NS6detail34convert_binary_result_type_wrapperINS9_3SumENS9_22TransformInputIteratorIbN2at6native12_GLOBAL__N_19NonZeroOpIN3c107complexIdEEEEPKSK_lEEiEEEE10hipError_tPvRmT1_T2_T3_mT4_P12ihipStream_tbEUlT_E0_NS1_11comp_targetILNS1_3genE10ELNS1_11target_archE1201ELNS1_3gpuE5ELNS1_3repE0EEENS1_30default_config_static_selectorELNS0_4arch9wavefront6targetE0EEEvST_
		.amdhsa_group_segment_fixed_size 64
		.amdhsa_private_segment_fixed_size 0
		.amdhsa_kernarg_size 56
		.amdhsa_user_sgpr_count 2
		.amdhsa_user_sgpr_dispatch_ptr 0
		.amdhsa_user_sgpr_queue_ptr 0
		.amdhsa_user_sgpr_kernarg_segment_ptr 1
		.amdhsa_user_sgpr_dispatch_id 0
		.amdhsa_user_sgpr_private_segment_size 0
		.amdhsa_wavefront_size32 1
		.amdhsa_uses_dynamic_stack 0
		.amdhsa_enable_private_segment 0
		.amdhsa_system_sgpr_workgroup_id_x 1
		.amdhsa_system_sgpr_workgroup_id_y 0
		.amdhsa_system_sgpr_workgroup_id_z 0
		.amdhsa_system_sgpr_workgroup_info 0
		.amdhsa_system_vgpr_workitem_id 0
		.amdhsa_next_free_vgpr 20
		.amdhsa_next_free_sgpr 30
		.amdhsa_reserve_vcc 1
		.amdhsa_float_round_mode_32 0
		.amdhsa_float_round_mode_16_64 0
		.amdhsa_float_denorm_mode_32 3
		.amdhsa_float_denorm_mode_16_64 3
		.amdhsa_fp16_overflow 0
		.amdhsa_workgroup_processor_mode 1
		.amdhsa_memory_ordered 1
		.amdhsa_forward_progress 1
		.amdhsa_inst_pref_size 20
		.amdhsa_round_robin_scheduling 0
		.amdhsa_exception_fp_ieee_invalid_op 0
		.amdhsa_exception_fp_denorm_src 0
		.amdhsa_exception_fp_ieee_div_zero 0
		.amdhsa_exception_fp_ieee_overflow 0
		.amdhsa_exception_fp_ieee_underflow 0
		.amdhsa_exception_fp_ieee_inexact 0
		.amdhsa_exception_int_div_zero 0
	.end_amdhsa_kernel
	.section	.text._ZN7rocprim17ROCPRIM_400000_NS6detail17trampoline_kernelINS0_14default_configENS1_22reduce_config_selectorIiEEZNS1_11reduce_implILb1ES3_PiS7_iN6hipcub16HIPCUB_304000_NS6detail34convert_binary_result_type_wrapperINS9_3SumENS9_22TransformInputIteratorIbN2at6native12_GLOBAL__N_19NonZeroOpIN3c107complexIdEEEEPKSK_lEEiEEEE10hipError_tPvRmT1_T2_T3_mT4_P12ihipStream_tbEUlT_E0_NS1_11comp_targetILNS1_3genE10ELNS1_11target_archE1201ELNS1_3gpuE5ELNS1_3repE0EEENS1_30default_config_static_selectorELNS0_4arch9wavefront6targetE0EEEvST_,"axG",@progbits,_ZN7rocprim17ROCPRIM_400000_NS6detail17trampoline_kernelINS0_14default_configENS1_22reduce_config_selectorIiEEZNS1_11reduce_implILb1ES3_PiS7_iN6hipcub16HIPCUB_304000_NS6detail34convert_binary_result_type_wrapperINS9_3SumENS9_22TransformInputIteratorIbN2at6native12_GLOBAL__N_19NonZeroOpIN3c107complexIdEEEEPKSK_lEEiEEEE10hipError_tPvRmT1_T2_T3_mT4_P12ihipStream_tbEUlT_E0_NS1_11comp_targetILNS1_3genE10ELNS1_11target_archE1201ELNS1_3gpuE5ELNS1_3repE0EEENS1_30default_config_static_selectorELNS0_4arch9wavefront6targetE0EEEvST_,comdat
.Lfunc_end495:
	.size	_ZN7rocprim17ROCPRIM_400000_NS6detail17trampoline_kernelINS0_14default_configENS1_22reduce_config_selectorIiEEZNS1_11reduce_implILb1ES3_PiS7_iN6hipcub16HIPCUB_304000_NS6detail34convert_binary_result_type_wrapperINS9_3SumENS9_22TransformInputIteratorIbN2at6native12_GLOBAL__N_19NonZeroOpIN3c107complexIdEEEEPKSK_lEEiEEEE10hipError_tPvRmT1_T2_T3_mT4_P12ihipStream_tbEUlT_E0_NS1_11comp_targetILNS1_3genE10ELNS1_11target_archE1201ELNS1_3gpuE5ELNS1_3repE0EEENS1_30default_config_static_selectorELNS0_4arch9wavefront6targetE0EEEvST_, .Lfunc_end495-_ZN7rocprim17ROCPRIM_400000_NS6detail17trampoline_kernelINS0_14default_configENS1_22reduce_config_selectorIiEEZNS1_11reduce_implILb1ES3_PiS7_iN6hipcub16HIPCUB_304000_NS6detail34convert_binary_result_type_wrapperINS9_3SumENS9_22TransformInputIteratorIbN2at6native12_GLOBAL__N_19NonZeroOpIN3c107complexIdEEEEPKSK_lEEiEEEE10hipError_tPvRmT1_T2_T3_mT4_P12ihipStream_tbEUlT_E0_NS1_11comp_targetILNS1_3genE10ELNS1_11target_archE1201ELNS1_3gpuE5ELNS1_3repE0EEENS1_30default_config_static_selectorELNS0_4arch9wavefront6targetE0EEEvST_
                                        ; -- End function
	.set _ZN7rocprim17ROCPRIM_400000_NS6detail17trampoline_kernelINS0_14default_configENS1_22reduce_config_selectorIiEEZNS1_11reduce_implILb1ES3_PiS7_iN6hipcub16HIPCUB_304000_NS6detail34convert_binary_result_type_wrapperINS9_3SumENS9_22TransformInputIteratorIbN2at6native12_GLOBAL__N_19NonZeroOpIN3c107complexIdEEEEPKSK_lEEiEEEE10hipError_tPvRmT1_T2_T3_mT4_P12ihipStream_tbEUlT_E0_NS1_11comp_targetILNS1_3genE10ELNS1_11target_archE1201ELNS1_3gpuE5ELNS1_3repE0EEENS1_30default_config_static_selectorELNS0_4arch9wavefront6targetE0EEEvST_.num_vgpr, 20
	.set _ZN7rocprim17ROCPRIM_400000_NS6detail17trampoline_kernelINS0_14default_configENS1_22reduce_config_selectorIiEEZNS1_11reduce_implILb1ES3_PiS7_iN6hipcub16HIPCUB_304000_NS6detail34convert_binary_result_type_wrapperINS9_3SumENS9_22TransformInputIteratorIbN2at6native12_GLOBAL__N_19NonZeroOpIN3c107complexIdEEEEPKSK_lEEiEEEE10hipError_tPvRmT1_T2_T3_mT4_P12ihipStream_tbEUlT_E0_NS1_11comp_targetILNS1_3genE10ELNS1_11target_archE1201ELNS1_3gpuE5ELNS1_3repE0EEENS1_30default_config_static_selectorELNS0_4arch9wavefront6targetE0EEEvST_.num_agpr, 0
	.set _ZN7rocprim17ROCPRIM_400000_NS6detail17trampoline_kernelINS0_14default_configENS1_22reduce_config_selectorIiEEZNS1_11reduce_implILb1ES3_PiS7_iN6hipcub16HIPCUB_304000_NS6detail34convert_binary_result_type_wrapperINS9_3SumENS9_22TransformInputIteratorIbN2at6native12_GLOBAL__N_19NonZeroOpIN3c107complexIdEEEEPKSK_lEEiEEEE10hipError_tPvRmT1_T2_T3_mT4_P12ihipStream_tbEUlT_E0_NS1_11comp_targetILNS1_3genE10ELNS1_11target_archE1201ELNS1_3gpuE5ELNS1_3repE0EEENS1_30default_config_static_selectorELNS0_4arch9wavefront6targetE0EEEvST_.numbered_sgpr, 30
	.set _ZN7rocprim17ROCPRIM_400000_NS6detail17trampoline_kernelINS0_14default_configENS1_22reduce_config_selectorIiEEZNS1_11reduce_implILb1ES3_PiS7_iN6hipcub16HIPCUB_304000_NS6detail34convert_binary_result_type_wrapperINS9_3SumENS9_22TransformInputIteratorIbN2at6native12_GLOBAL__N_19NonZeroOpIN3c107complexIdEEEEPKSK_lEEiEEEE10hipError_tPvRmT1_T2_T3_mT4_P12ihipStream_tbEUlT_E0_NS1_11comp_targetILNS1_3genE10ELNS1_11target_archE1201ELNS1_3gpuE5ELNS1_3repE0EEENS1_30default_config_static_selectorELNS0_4arch9wavefront6targetE0EEEvST_.num_named_barrier, 0
	.set _ZN7rocprim17ROCPRIM_400000_NS6detail17trampoline_kernelINS0_14default_configENS1_22reduce_config_selectorIiEEZNS1_11reduce_implILb1ES3_PiS7_iN6hipcub16HIPCUB_304000_NS6detail34convert_binary_result_type_wrapperINS9_3SumENS9_22TransformInputIteratorIbN2at6native12_GLOBAL__N_19NonZeroOpIN3c107complexIdEEEEPKSK_lEEiEEEE10hipError_tPvRmT1_T2_T3_mT4_P12ihipStream_tbEUlT_E0_NS1_11comp_targetILNS1_3genE10ELNS1_11target_archE1201ELNS1_3gpuE5ELNS1_3repE0EEENS1_30default_config_static_selectorELNS0_4arch9wavefront6targetE0EEEvST_.private_seg_size, 0
	.set _ZN7rocprim17ROCPRIM_400000_NS6detail17trampoline_kernelINS0_14default_configENS1_22reduce_config_selectorIiEEZNS1_11reduce_implILb1ES3_PiS7_iN6hipcub16HIPCUB_304000_NS6detail34convert_binary_result_type_wrapperINS9_3SumENS9_22TransformInputIteratorIbN2at6native12_GLOBAL__N_19NonZeroOpIN3c107complexIdEEEEPKSK_lEEiEEEE10hipError_tPvRmT1_T2_T3_mT4_P12ihipStream_tbEUlT_E0_NS1_11comp_targetILNS1_3genE10ELNS1_11target_archE1201ELNS1_3gpuE5ELNS1_3repE0EEENS1_30default_config_static_selectorELNS0_4arch9wavefront6targetE0EEEvST_.uses_vcc, 1
	.set _ZN7rocprim17ROCPRIM_400000_NS6detail17trampoline_kernelINS0_14default_configENS1_22reduce_config_selectorIiEEZNS1_11reduce_implILb1ES3_PiS7_iN6hipcub16HIPCUB_304000_NS6detail34convert_binary_result_type_wrapperINS9_3SumENS9_22TransformInputIteratorIbN2at6native12_GLOBAL__N_19NonZeroOpIN3c107complexIdEEEEPKSK_lEEiEEEE10hipError_tPvRmT1_T2_T3_mT4_P12ihipStream_tbEUlT_E0_NS1_11comp_targetILNS1_3genE10ELNS1_11target_archE1201ELNS1_3gpuE5ELNS1_3repE0EEENS1_30default_config_static_selectorELNS0_4arch9wavefront6targetE0EEEvST_.uses_flat_scratch, 0
	.set _ZN7rocprim17ROCPRIM_400000_NS6detail17trampoline_kernelINS0_14default_configENS1_22reduce_config_selectorIiEEZNS1_11reduce_implILb1ES3_PiS7_iN6hipcub16HIPCUB_304000_NS6detail34convert_binary_result_type_wrapperINS9_3SumENS9_22TransformInputIteratorIbN2at6native12_GLOBAL__N_19NonZeroOpIN3c107complexIdEEEEPKSK_lEEiEEEE10hipError_tPvRmT1_T2_T3_mT4_P12ihipStream_tbEUlT_E0_NS1_11comp_targetILNS1_3genE10ELNS1_11target_archE1201ELNS1_3gpuE5ELNS1_3repE0EEENS1_30default_config_static_selectorELNS0_4arch9wavefront6targetE0EEEvST_.has_dyn_sized_stack, 0
	.set _ZN7rocprim17ROCPRIM_400000_NS6detail17trampoline_kernelINS0_14default_configENS1_22reduce_config_selectorIiEEZNS1_11reduce_implILb1ES3_PiS7_iN6hipcub16HIPCUB_304000_NS6detail34convert_binary_result_type_wrapperINS9_3SumENS9_22TransformInputIteratorIbN2at6native12_GLOBAL__N_19NonZeroOpIN3c107complexIdEEEEPKSK_lEEiEEEE10hipError_tPvRmT1_T2_T3_mT4_P12ihipStream_tbEUlT_E0_NS1_11comp_targetILNS1_3genE10ELNS1_11target_archE1201ELNS1_3gpuE5ELNS1_3repE0EEENS1_30default_config_static_selectorELNS0_4arch9wavefront6targetE0EEEvST_.has_recursion, 0
	.set _ZN7rocprim17ROCPRIM_400000_NS6detail17trampoline_kernelINS0_14default_configENS1_22reduce_config_selectorIiEEZNS1_11reduce_implILb1ES3_PiS7_iN6hipcub16HIPCUB_304000_NS6detail34convert_binary_result_type_wrapperINS9_3SumENS9_22TransformInputIteratorIbN2at6native12_GLOBAL__N_19NonZeroOpIN3c107complexIdEEEEPKSK_lEEiEEEE10hipError_tPvRmT1_T2_T3_mT4_P12ihipStream_tbEUlT_E0_NS1_11comp_targetILNS1_3genE10ELNS1_11target_archE1201ELNS1_3gpuE5ELNS1_3repE0EEENS1_30default_config_static_selectorELNS0_4arch9wavefront6targetE0EEEvST_.has_indirect_call, 0
	.section	.AMDGPU.csdata,"",@progbits
; Kernel info:
; codeLenInByte = 2448
; TotalNumSgprs: 32
; NumVgprs: 20
; ScratchSize: 0
; MemoryBound: 0
; FloatMode: 240
; IeeeMode: 1
; LDSByteSize: 64 bytes/workgroup (compile time only)
; SGPRBlocks: 0
; VGPRBlocks: 2
; NumSGPRsForWavesPerEU: 32
; NumVGPRsForWavesPerEU: 20
; Occupancy: 16
; WaveLimiterHint : 1
; COMPUTE_PGM_RSRC2:SCRATCH_EN: 0
; COMPUTE_PGM_RSRC2:USER_SGPR: 2
; COMPUTE_PGM_RSRC2:TRAP_HANDLER: 0
; COMPUTE_PGM_RSRC2:TGID_X_EN: 1
; COMPUTE_PGM_RSRC2:TGID_Y_EN: 0
; COMPUTE_PGM_RSRC2:TGID_Z_EN: 0
; COMPUTE_PGM_RSRC2:TIDIG_COMP_CNT: 0
	.section	.text._ZN7rocprim17ROCPRIM_400000_NS6detail17trampoline_kernelINS0_14default_configENS1_22reduce_config_selectorIiEEZNS1_11reduce_implILb1ES3_PiS7_iN6hipcub16HIPCUB_304000_NS6detail34convert_binary_result_type_wrapperINS9_3SumENS9_22TransformInputIteratorIbN2at6native12_GLOBAL__N_19NonZeroOpIN3c107complexIdEEEEPKSK_lEEiEEEE10hipError_tPvRmT1_T2_T3_mT4_P12ihipStream_tbEUlT_E0_NS1_11comp_targetILNS1_3genE10ELNS1_11target_archE1200ELNS1_3gpuE4ELNS1_3repE0EEENS1_30default_config_static_selectorELNS0_4arch9wavefront6targetE0EEEvST_,"axG",@progbits,_ZN7rocprim17ROCPRIM_400000_NS6detail17trampoline_kernelINS0_14default_configENS1_22reduce_config_selectorIiEEZNS1_11reduce_implILb1ES3_PiS7_iN6hipcub16HIPCUB_304000_NS6detail34convert_binary_result_type_wrapperINS9_3SumENS9_22TransformInputIteratorIbN2at6native12_GLOBAL__N_19NonZeroOpIN3c107complexIdEEEEPKSK_lEEiEEEE10hipError_tPvRmT1_T2_T3_mT4_P12ihipStream_tbEUlT_E0_NS1_11comp_targetILNS1_3genE10ELNS1_11target_archE1200ELNS1_3gpuE4ELNS1_3repE0EEENS1_30default_config_static_selectorELNS0_4arch9wavefront6targetE0EEEvST_,comdat
	.globl	_ZN7rocprim17ROCPRIM_400000_NS6detail17trampoline_kernelINS0_14default_configENS1_22reduce_config_selectorIiEEZNS1_11reduce_implILb1ES3_PiS7_iN6hipcub16HIPCUB_304000_NS6detail34convert_binary_result_type_wrapperINS9_3SumENS9_22TransformInputIteratorIbN2at6native12_GLOBAL__N_19NonZeroOpIN3c107complexIdEEEEPKSK_lEEiEEEE10hipError_tPvRmT1_T2_T3_mT4_P12ihipStream_tbEUlT_E0_NS1_11comp_targetILNS1_3genE10ELNS1_11target_archE1200ELNS1_3gpuE4ELNS1_3repE0EEENS1_30default_config_static_selectorELNS0_4arch9wavefront6targetE0EEEvST_ ; -- Begin function _ZN7rocprim17ROCPRIM_400000_NS6detail17trampoline_kernelINS0_14default_configENS1_22reduce_config_selectorIiEEZNS1_11reduce_implILb1ES3_PiS7_iN6hipcub16HIPCUB_304000_NS6detail34convert_binary_result_type_wrapperINS9_3SumENS9_22TransformInputIteratorIbN2at6native12_GLOBAL__N_19NonZeroOpIN3c107complexIdEEEEPKSK_lEEiEEEE10hipError_tPvRmT1_T2_T3_mT4_P12ihipStream_tbEUlT_E0_NS1_11comp_targetILNS1_3genE10ELNS1_11target_archE1200ELNS1_3gpuE4ELNS1_3repE0EEENS1_30default_config_static_selectorELNS0_4arch9wavefront6targetE0EEEvST_
	.p2align	8
	.type	_ZN7rocprim17ROCPRIM_400000_NS6detail17trampoline_kernelINS0_14default_configENS1_22reduce_config_selectorIiEEZNS1_11reduce_implILb1ES3_PiS7_iN6hipcub16HIPCUB_304000_NS6detail34convert_binary_result_type_wrapperINS9_3SumENS9_22TransformInputIteratorIbN2at6native12_GLOBAL__N_19NonZeroOpIN3c107complexIdEEEEPKSK_lEEiEEEE10hipError_tPvRmT1_T2_T3_mT4_P12ihipStream_tbEUlT_E0_NS1_11comp_targetILNS1_3genE10ELNS1_11target_archE1200ELNS1_3gpuE4ELNS1_3repE0EEENS1_30default_config_static_selectorELNS0_4arch9wavefront6targetE0EEEvST_,@function
_ZN7rocprim17ROCPRIM_400000_NS6detail17trampoline_kernelINS0_14default_configENS1_22reduce_config_selectorIiEEZNS1_11reduce_implILb1ES3_PiS7_iN6hipcub16HIPCUB_304000_NS6detail34convert_binary_result_type_wrapperINS9_3SumENS9_22TransformInputIteratorIbN2at6native12_GLOBAL__N_19NonZeroOpIN3c107complexIdEEEEPKSK_lEEiEEEE10hipError_tPvRmT1_T2_T3_mT4_P12ihipStream_tbEUlT_E0_NS1_11comp_targetILNS1_3genE10ELNS1_11target_archE1200ELNS1_3gpuE4ELNS1_3repE0EEENS1_30default_config_static_selectorELNS0_4arch9wavefront6targetE0EEEvST_: ; @_ZN7rocprim17ROCPRIM_400000_NS6detail17trampoline_kernelINS0_14default_configENS1_22reduce_config_selectorIiEEZNS1_11reduce_implILb1ES3_PiS7_iN6hipcub16HIPCUB_304000_NS6detail34convert_binary_result_type_wrapperINS9_3SumENS9_22TransformInputIteratorIbN2at6native12_GLOBAL__N_19NonZeroOpIN3c107complexIdEEEEPKSK_lEEiEEEE10hipError_tPvRmT1_T2_T3_mT4_P12ihipStream_tbEUlT_E0_NS1_11comp_targetILNS1_3genE10ELNS1_11target_archE1200ELNS1_3gpuE4ELNS1_3repE0EEENS1_30default_config_static_selectorELNS0_4arch9wavefront6targetE0EEEvST_
; %bb.0:
	.section	.rodata,"a",@progbits
	.p2align	6, 0x0
	.amdhsa_kernel _ZN7rocprim17ROCPRIM_400000_NS6detail17trampoline_kernelINS0_14default_configENS1_22reduce_config_selectorIiEEZNS1_11reduce_implILb1ES3_PiS7_iN6hipcub16HIPCUB_304000_NS6detail34convert_binary_result_type_wrapperINS9_3SumENS9_22TransformInputIteratorIbN2at6native12_GLOBAL__N_19NonZeroOpIN3c107complexIdEEEEPKSK_lEEiEEEE10hipError_tPvRmT1_T2_T3_mT4_P12ihipStream_tbEUlT_E0_NS1_11comp_targetILNS1_3genE10ELNS1_11target_archE1200ELNS1_3gpuE4ELNS1_3repE0EEENS1_30default_config_static_selectorELNS0_4arch9wavefront6targetE0EEEvST_
		.amdhsa_group_segment_fixed_size 0
		.amdhsa_private_segment_fixed_size 0
		.amdhsa_kernarg_size 56
		.amdhsa_user_sgpr_count 2
		.amdhsa_user_sgpr_dispatch_ptr 0
		.amdhsa_user_sgpr_queue_ptr 0
		.amdhsa_user_sgpr_kernarg_segment_ptr 1
		.amdhsa_user_sgpr_dispatch_id 0
		.amdhsa_user_sgpr_private_segment_size 0
		.amdhsa_wavefront_size32 1
		.amdhsa_uses_dynamic_stack 0
		.amdhsa_enable_private_segment 0
		.amdhsa_system_sgpr_workgroup_id_x 1
		.amdhsa_system_sgpr_workgroup_id_y 0
		.amdhsa_system_sgpr_workgroup_id_z 0
		.amdhsa_system_sgpr_workgroup_info 0
		.amdhsa_system_vgpr_workitem_id 0
		.amdhsa_next_free_vgpr 1
		.amdhsa_next_free_sgpr 1
		.amdhsa_reserve_vcc 0
		.amdhsa_float_round_mode_32 0
		.amdhsa_float_round_mode_16_64 0
		.amdhsa_float_denorm_mode_32 3
		.amdhsa_float_denorm_mode_16_64 3
		.amdhsa_fp16_overflow 0
		.amdhsa_workgroup_processor_mode 1
		.amdhsa_memory_ordered 1
		.amdhsa_forward_progress 1
		.amdhsa_inst_pref_size 0
		.amdhsa_round_robin_scheduling 0
		.amdhsa_exception_fp_ieee_invalid_op 0
		.amdhsa_exception_fp_denorm_src 0
		.amdhsa_exception_fp_ieee_div_zero 0
		.amdhsa_exception_fp_ieee_overflow 0
		.amdhsa_exception_fp_ieee_underflow 0
		.amdhsa_exception_fp_ieee_inexact 0
		.amdhsa_exception_int_div_zero 0
	.end_amdhsa_kernel
	.section	.text._ZN7rocprim17ROCPRIM_400000_NS6detail17trampoline_kernelINS0_14default_configENS1_22reduce_config_selectorIiEEZNS1_11reduce_implILb1ES3_PiS7_iN6hipcub16HIPCUB_304000_NS6detail34convert_binary_result_type_wrapperINS9_3SumENS9_22TransformInputIteratorIbN2at6native12_GLOBAL__N_19NonZeroOpIN3c107complexIdEEEEPKSK_lEEiEEEE10hipError_tPvRmT1_T2_T3_mT4_P12ihipStream_tbEUlT_E0_NS1_11comp_targetILNS1_3genE10ELNS1_11target_archE1200ELNS1_3gpuE4ELNS1_3repE0EEENS1_30default_config_static_selectorELNS0_4arch9wavefront6targetE0EEEvST_,"axG",@progbits,_ZN7rocprim17ROCPRIM_400000_NS6detail17trampoline_kernelINS0_14default_configENS1_22reduce_config_selectorIiEEZNS1_11reduce_implILb1ES3_PiS7_iN6hipcub16HIPCUB_304000_NS6detail34convert_binary_result_type_wrapperINS9_3SumENS9_22TransformInputIteratorIbN2at6native12_GLOBAL__N_19NonZeroOpIN3c107complexIdEEEEPKSK_lEEiEEEE10hipError_tPvRmT1_T2_T3_mT4_P12ihipStream_tbEUlT_E0_NS1_11comp_targetILNS1_3genE10ELNS1_11target_archE1200ELNS1_3gpuE4ELNS1_3repE0EEENS1_30default_config_static_selectorELNS0_4arch9wavefront6targetE0EEEvST_,comdat
.Lfunc_end496:
	.size	_ZN7rocprim17ROCPRIM_400000_NS6detail17trampoline_kernelINS0_14default_configENS1_22reduce_config_selectorIiEEZNS1_11reduce_implILb1ES3_PiS7_iN6hipcub16HIPCUB_304000_NS6detail34convert_binary_result_type_wrapperINS9_3SumENS9_22TransformInputIteratorIbN2at6native12_GLOBAL__N_19NonZeroOpIN3c107complexIdEEEEPKSK_lEEiEEEE10hipError_tPvRmT1_T2_T3_mT4_P12ihipStream_tbEUlT_E0_NS1_11comp_targetILNS1_3genE10ELNS1_11target_archE1200ELNS1_3gpuE4ELNS1_3repE0EEENS1_30default_config_static_selectorELNS0_4arch9wavefront6targetE0EEEvST_, .Lfunc_end496-_ZN7rocprim17ROCPRIM_400000_NS6detail17trampoline_kernelINS0_14default_configENS1_22reduce_config_selectorIiEEZNS1_11reduce_implILb1ES3_PiS7_iN6hipcub16HIPCUB_304000_NS6detail34convert_binary_result_type_wrapperINS9_3SumENS9_22TransformInputIteratorIbN2at6native12_GLOBAL__N_19NonZeroOpIN3c107complexIdEEEEPKSK_lEEiEEEE10hipError_tPvRmT1_T2_T3_mT4_P12ihipStream_tbEUlT_E0_NS1_11comp_targetILNS1_3genE10ELNS1_11target_archE1200ELNS1_3gpuE4ELNS1_3repE0EEENS1_30default_config_static_selectorELNS0_4arch9wavefront6targetE0EEEvST_
                                        ; -- End function
	.set _ZN7rocprim17ROCPRIM_400000_NS6detail17trampoline_kernelINS0_14default_configENS1_22reduce_config_selectorIiEEZNS1_11reduce_implILb1ES3_PiS7_iN6hipcub16HIPCUB_304000_NS6detail34convert_binary_result_type_wrapperINS9_3SumENS9_22TransformInputIteratorIbN2at6native12_GLOBAL__N_19NonZeroOpIN3c107complexIdEEEEPKSK_lEEiEEEE10hipError_tPvRmT1_T2_T3_mT4_P12ihipStream_tbEUlT_E0_NS1_11comp_targetILNS1_3genE10ELNS1_11target_archE1200ELNS1_3gpuE4ELNS1_3repE0EEENS1_30default_config_static_selectorELNS0_4arch9wavefront6targetE0EEEvST_.num_vgpr, 0
	.set _ZN7rocprim17ROCPRIM_400000_NS6detail17trampoline_kernelINS0_14default_configENS1_22reduce_config_selectorIiEEZNS1_11reduce_implILb1ES3_PiS7_iN6hipcub16HIPCUB_304000_NS6detail34convert_binary_result_type_wrapperINS9_3SumENS9_22TransformInputIteratorIbN2at6native12_GLOBAL__N_19NonZeroOpIN3c107complexIdEEEEPKSK_lEEiEEEE10hipError_tPvRmT1_T2_T3_mT4_P12ihipStream_tbEUlT_E0_NS1_11comp_targetILNS1_3genE10ELNS1_11target_archE1200ELNS1_3gpuE4ELNS1_3repE0EEENS1_30default_config_static_selectorELNS0_4arch9wavefront6targetE0EEEvST_.num_agpr, 0
	.set _ZN7rocprim17ROCPRIM_400000_NS6detail17trampoline_kernelINS0_14default_configENS1_22reduce_config_selectorIiEEZNS1_11reduce_implILb1ES3_PiS7_iN6hipcub16HIPCUB_304000_NS6detail34convert_binary_result_type_wrapperINS9_3SumENS9_22TransformInputIteratorIbN2at6native12_GLOBAL__N_19NonZeroOpIN3c107complexIdEEEEPKSK_lEEiEEEE10hipError_tPvRmT1_T2_T3_mT4_P12ihipStream_tbEUlT_E0_NS1_11comp_targetILNS1_3genE10ELNS1_11target_archE1200ELNS1_3gpuE4ELNS1_3repE0EEENS1_30default_config_static_selectorELNS0_4arch9wavefront6targetE0EEEvST_.numbered_sgpr, 0
	.set _ZN7rocprim17ROCPRIM_400000_NS6detail17trampoline_kernelINS0_14default_configENS1_22reduce_config_selectorIiEEZNS1_11reduce_implILb1ES3_PiS7_iN6hipcub16HIPCUB_304000_NS6detail34convert_binary_result_type_wrapperINS9_3SumENS9_22TransformInputIteratorIbN2at6native12_GLOBAL__N_19NonZeroOpIN3c107complexIdEEEEPKSK_lEEiEEEE10hipError_tPvRmT1_T2_T3_mT4_P12ihipStream_tbEUlT_E0_NS1_11comp_targetILNS1_3genE10ELNS1_11target_archE1200ELNS1_3gpuE4ELNS1_3repE0EEENS1_30default_config_static_selectorELNS0_4arch9wavefront6targetE0EEEvST_.num_named_barrier, 0
	.set _ZN7rocprim17ROCPRIM_400000_NS6detail17trampoline_kernelINS0_14default_configENS1_22reduce_config_selectorIiEEZNS1_11reduce_implILb1ES3_PiS7_iN6hipcub16HIPCUB_304000_NS6detail34convert_binary_result_type_wrapperINS9_3SumENS9_22TransformInputIteratorIbN2at6native12_GLOBAL__N_19NonZeroOpIN3c107complexIdEEEEPKSK_lEEiEEEE10hipError_tPvRmT1_T2_T3_mT4_P12ihipStream_tbEUlT_E0_NS1_11comp_targetILNS1_3genE10ELNS1_11target_archE1200ELNS1_3gpuE4ELNS1_3repE0EEENS1_30default_config_static_selectorELNS0_4arch9wavefront6targetE0EEEvST_.private_seg_size, 0
	.set _ZN7rocprim17ROCPRIM_400000_NS6detail17trampoline_kernelINS0_14default_configENS1_22reduce_config_selectorIiEEZNS1_11reduce_implILb1ES3_PiS7_iN6hipcub16HIPCUB_304000_NS6detail34convert_binary_result_type_wrapperINS9_3SumENS9_22TransformInputIteratorIbN2at6native12_GLOBAL__N_19NonZeroOpIN3c107complexIdEEEEPKSK_lEEiEEEE10hipError_tPvRmT1_T2_T3_mT4_P12ihipStream_tbEUlT_E0_NS1_11comp_targetILNS1_3genE10ELNS1_11target_archE1200ELNS1_3gpuE4ELNS1_3repE0EEENS1_30default_config_static_selectorELNS0_4arch9wavefront6targetE0EEEvST_.uses_vcc, 0
	.set _ZN7rocprim17ROCPRIM_400000_NS6detail17trampoline_kernelINS0_14default_configENS1_22reduce_config_selectorIiEEZNS1_11reduce_implILb1ES3_PiS7_iN6hipcub16HIPCUB_304000_NS6detail34convert_binary_result_type_wrapperINS9_3SumENS9_22TransformInputIteratorIbN2at6native12_GLOBAL__N_19NonZeroOpIN3c107complexIdEEEEPKSK_lEEiEEEE10hipError_tPvRmT1_T2_T3_mT4_P12ihipStream_tbEUlT_E0_NS1_11comp_targetILNS1_3genE10ELNS1_11target_archE1200ELNS1_3gpuE4ELNS1_3repE0EEENS1_30default_config_static_selectorELNS0_4arch9wavefront6targetE0EEEvST_.uses_flat_scratch, 0
	.set _ZN7rocprim17ROCPRIM_400000_NS6detail17trampoline_kernelINS0_14default_configENS1_22reduce_config_selectorIiEEZNS1_11reduce_implILb1ES3_PiS7_iN6hipcub16HIPCUB_304000_NS6detail34convert_binary_result_type_wrapperINS9_3SumENS9_22TransformInputIteratorIbN2at6native12_GLOBAL__N_19NonZeroOpIN3c107complexIdEEEEPKSK_lEEiEEEE10hipError_tPvRmT1_T2_T3_mT4_P12ihipStream_tbEUlT_E0_NS1_11comp_targetILNS1_3genE10ELNS1_11target_archE1200ELNS1_3gpuE4ELNS1_3repE0EEENS1_30default_config_static_selectorELNS0_4arch9wavefront6targetE0EEEvST_.has_dyn_sized_stack, 0
	.set _ZN7rocprim17ROCPRIM_400000_NS6detail17trampoline_kernelINS0_14default_configENS1_22reduce_config_selectorIiEEZNS1_11reduce_implILb1ES3_PiS7_iN6hipcub16HIPCUB_304000_NS6detail34convert_binary_result_type_wrapperINS9_3SumENS9_22TransformInputIteratorIbN2at6native12_GLOBAL__N_19NonZeroOpIN3c107complexIdEEEEPKSK_lEEiEEEE10hipError_tPvRmT1_T2_T3_mT4_P12ihipStream_tbEUlT_E0_NS1_11comp_targetILNS1_3genE10ELNS1_11target_archE1200ELNS1_3gpuE4ELNS1_3repE0EEENS1_30default_config_static_selectorELNS0_4arch9wavefront6targetE0EEEvST_.has_recursion, 0
	.set _ZN7rocprim17ROCPRIM_400000_NS6detail17trampoline_kernelINS0_14default_configENS1_22reduce_config_selectorIiEEZNS1_11reduce_implILb1ES3_PiS7_iN6hipcub16HIPCUB_304000_NS6detail34convert_binary_result_type_wrapperINS9_3SumENS9_22TransformInputIteratorIbN2at6native12_GLOBAL__N_19NonZeroOpIN3c107complexIdEEEEPKSK_lEEiEEEE10hipError_tPvRmT1_T2_T3_mT4_P12ihipStream_tbEUlT_E0_NS1_11comp_targetILNS1_3genE10ELNS1_11target_archE1200ELNS1_3gpuE4ELNS1_3repE0EEENS1_30default_config_static_selectorELNS0_4arch9wavefront6targetE0EEEvST_.has_indirect_call, 0
	.section	.AMDGPU.csdata,"",@progbits
; Kernel info:
; codeLenInByte = 0
; TotalNumSgprs: 0
; NumVgprs: 0
; ScratchSize: 0
; MemoryBound: 0
; FloatMode: 240
; IeeeMode: 1
; LDSByteSize: 0 bytes/workgroup (compile time only)
; SGPRBlocks: 0
; VGPRBlocks: 0
; NumSGPRsForWavesPerEU: 1
; NumVGPRsForWavesPerEU: 1
; Occupancy: 16
; WaveLimiterHint : 0
; COMPUTE_PGM_RSRC2:SCRATCH_EN: 0
; COMPUTE_PGM_RSRC2:USER_SGPR: 2
; COMPUTE_PGM_RSRC2:TRAP_HANDLER: 0
; COMPUTE_PGM_RSRC2:TGID_X_EN: 1
; COMPUTE_PGM_RSRC2:TGID_Y_EN: 0
; COMPUTE_PGM_RSRC2:TGID_Z_EN: 0
; COMPUTE_PGM_RSRC2:TIDIG_COMP_CNT: 0
	.section	.text._ZN7rocprim17ROCPRIM_400000_NS6detail17trampoline_kernelINS0_14default_configENS1_22reduce_config_selectorIiEEZNS1_11reduce_implILb1ES3_PiS7_iN6hipcub16HIPCUB_304000_NS6detail34convert_binary_result_type_wrapperINS9_3SumENS9_22TransformInputIteratorIbN2at6native12_GLOBAL__N_19NonZeroOpIN3c107complexIdEEEEPKSK_lEEiEEEE10hipError_tPvRmT1_T2_T3_mT4_P12ihipStream_tbEUlT_E0_NS1_11comp_targetILNS1_3genE9ELNS1_11target_archE1100ELNS1_3gpuE3ELNS1_3repE0EEENS1_30default_config_static_selectorELNS0_4arch9wavefront6targetE0EEEvST_,"axG",@progbits,_ZN7rocprim17ROCPRIM_400000_NS6detail17trampoline_kernelINS0_14default_configENS1_22reduce_config_selectorIiEEZNS1_11reduce_implILb1ES3_PiS7_iN6hipcub16HIPCUB_304000_NS6detail34convert_binary_result_type_wrapperINS9_3SumENS9_22TransformInputIteratorIbN2at6native12_GLOBAL__N_19NonZeroOpIN3c107complexIdEEEEPKSK_lEEiEEEE10hipError_tPvRmT1_T2_T3_mT4_P12ihipStream_tbEUlT_E0_NS1_11comp_targetILNS1_3genE9ELNS1_11target_archE1100ELNS1_3gpuE3ELNS1_3repE0EEENS1_30default_config_static_selectorELNS0_4arch9wavefront6targetE0EEEvST_,comdat
	.globl	_ZN7rocprim17ROCPRIM_400000_NS6detail17trampoline_kernelINS0_14default_configENS1_22reduce_config_selectorIiEEZNS1_11reduce_implILb1ES3_PiS7_iN6hipcub16HIPCUB_304000_NS6detail34convert_binary_result_type_wrapperINS9_3SumENS9_22TransformInputIteratorIbN2at6native12_GLOBAL__N_19NonZeroOpIN3c107complexIdEEEEPKSK_lEEiEEEE10hipError_tPvRmT1_T2_T3_mT4_P12ihipStream_tbEUlT_E0_NS1_11comp_targetILNS1_3genE9ELNS1_11target_archE1100ELNS1_3gpuE3ELNS1_3repE0EEENS1_30default_config_static_selectorELNS0_4arch9wavefront6targetE0EEEvST_ ; -- Begin function _ZN7rocprim17ROCPRIM_400000_NS6detail17trampoline_kernelINS0_14default_configENS1_22reduce_config_selectorIiEEZNS1_11reduce_implILb1ES3_PiS7_iN6hipcub16HIPCUB_304000_NS6detail34convert_binary_result_type_wrapperINS9_3SumENS9_22TransformInputIteratorIbN2at6native12_GLOBAL__N_19NonZeroOpIN3c107complexIdEEEEPKSK_lEEiEEEE10hipError_tPvRmT1_T2_T3_mT4_P12ihipStream_tbEUlT_E0_NS1_11comp_targetILNS1_3genE9ELNS1_11target_archE1100ELNS1_3gpuE3ELNS1_3repE0EEENS1_30default_config_static_selectorELNS0_4arch9wavefront6targetE0EEEvST_
	.p2align	8
	.type	_ZN7rocprim17ROCPRIM_400000_NS6detail17trampoline_kernelINS0_14default_configENS1_22reduce_config_selectorIiEEZNS1_11reduce_implILb1ES3_PiS7_iN6hipcub16HIPCUB_304000_NS6detail34convert_binary_result_type_wrapperINS9_3SumENS9_22TransformInputIteratorIbN2at6native12_GLOBAL__N_19NonZeroOpIN3c107complexIdEEEEPKSK_lEEiEEEE10hipError_tPvRmT1_T2_T3_mT4_P12ihipStream_tbEUlT_E0_NS1_11comp_targetILNS1_3genE9ELNS1_11target_archE1100ELNS1_3gpuE3ELNS1_3repE0EEENS1_30default_config_static_selectorELNS0_4arch9wavefront6targetE0EEEvST_,@function
_ZN7rocprim17ROCPRIM_400000_NS6detail17trampoline_kernelINS0_14default_configENS1_22reduce_config_selectorIiEEZNS1_11reduce_implILb1ES3_PiS7_iN6hipcub16HIPCUB_304000_NS6detail34convert_binary_result_type_wrapperINS9_3SumENS9_22TransformInputIteratorIbN2at6native12_GLOBAL__N_19NonZeroOpIN3c107complexIdEEEEPKSK_lEEiEEEE10hipError_tPvRmT1_T2_T3_mT4_P12ihipStream_tbEUlT_E0_NS1_11comp_targetILNS1_3genE9ELNS1_11target_archE1100ELNS1_3gpuE3ELNS1_3repE0EEENS1_30default_config_static_selectorELNS0_4arch9wavefront6targetE0EEEvST_: ; @_ZN7rocprim17ROCPRIM_400000_NS6detail17trampoline_kernelINS0_14default_configENS1_22reduce_config_selectorIiEEZNS1_11reduce_implILb1ES3_PiS7_iN6hipcub16HIPCUB_304000_NS6detail34convert_binary_result_type_wrapperINS9_3SumENS9_22TransformInputIteratorIbN2at6native12_GLOBAL__N_19NonZeroOpIN3c107complexIdEEEEPKSK_lEEiEEEE10hipError_tPvRmT1_T2_T3_mT4_P12ihipStream_tbEUlT_E0_NS1_11comp_targetILNS1_3genE9ELNS1_11target_archE1100ELNS1_3gpuE3ELNS1_3repE0EEENS1_30default_config_static_selectorELNS0_4arch9wavefront6targetE0EEEvST_
; %bb.0:
	.section	.rodata,"a",@progbits
	.p2align	6, 0x0
	.amdhsa_kernel _ZN7rocprim17ROCPRIM_400000_NS6detail17trampoline_kernelINS0_14default_configENS1_22reduce_config_selectorIiEEZNS1_11reduce_implILb1ES3_PiS7_iN6hipcub16HIPCUB_304000_NS6detail34convert_binary_result_type_wrapperINS9_3SumENS9_22TransformInputIteratorIbN2at6native12_GLOBAL__N_19NonZeroOpIN3c107complexIdEEEEPKSK_lEEiEEEE10hipError_tPvRmT1_T2_T3_mT4_P12ihipStream_tbEUlT_E0_NS1_11comp_targetILNS1_3genE9ELNS1_11target_archE1100ELNS1_3gpuE3ELNS1_3repE0EEENS1_30default_config_static_selectorELNS0_4arch9wavefront6targetE0EEEvST_
		.amdhsa_group_segment_fixed_size 0
		.amdhsa_private_segment_fixed_size 0
		.amdhsa_kernarg_size 56
		.amdhsa_user_sgpr_count 2
		.amdhsa_user_sgpr_dispatch_ptr 0
		.amdhsa_user_sgpr_queue_ptr 0
		.amdhsa_user_sgpr_kernarg_segment_ptr 1
		.amdhsa_user_sgpr_dispatch_id 0
		.amdhsa_user_sgpr_private_segment_size 0
		.amdhsa_wavefront_size32 1
		.amdhsa_uses_dynamic_stack 0
		.amdhsa_enable_private_segment 0
		.amdhsa_system_sgpr_workgroup_id_x 1
		.amdhsa_system_sgpr_workgroup_id_y 0
		.amdhsa_system_sgpr_workgroup_id_z 0
		.amdhsa_system_sgpr_workgroup_info 0
		.amdhsa_system_vgpr_workitem_id 0
		.amdhsa_next_free_vgpr 1
		.amdhsa_next_free_sgpr 1
		.amdhsa_reserve_vcc 0
		.amdhsa_float_round_mode_32 0
		.amdhsa_float_round_mode_16_64 0
		.amdhsa_float_denorm_mode_32 3
		.amdhsa_float_denorm_mode_16_64 3
		.amdhsa_fp16_overflow 0
		.amdhsa_workgroup_processor_mode 1
		.amdhsa_memory_ordered 1
		.amdhsa_forward_progress 1
		.amdhsa_inst_pref_size 0
		.amdhsa_round_robin_scheduling 0
		.amdhsa_exception_fp_ieee_invalid_op 0
		.amdhsa_exception_fp_denorm_src 0
		.amdhsa_exception_fp_ieee_div_zero 0
		.amdhsa_exception_fp_ieee_overflow 0
		.amdhsa_exception_fp_ieee_underflow 0
		.amdhsa_exception_fp_ieee_inexact 0
		.amdhsa_exception_int_div_zero 0
	.end_amdhsa_kernel
	.section	.text._ZN7rocprim17ROCPRIM_400000_NS6detail17trampoline_kernelINS0_14default_configENS1_22reduce_config_selectorIiEEZNS1_11reduce_implILb1ES3_PiS7_iN6hipcub16HIPCUB_304000_NS6detail34convert_binary_result_type_wrapperINS9_3SumENS9_22TransformInputIteratorIbN2at6native12_GLOBAL__N_19NonZeroOpIN3c107complexIdEEEEPKSK_lEEiEEEE10hipError_tPvRmT1_T2_T3_mT4_P12ihipStream_tbEUlT_E0_NS1_11comp_targetILNS1_3genE9ELNS1_11target_archE1100ELNS1_3gpuE3ELNS1_3repE0EEENS1_30default_config_static_selectorELNS0_4arch9wavefront6targetE0EEEvST_,"axG",@progbits,_ZN7rocprim17ROCPRIM_400000_NS6detail17trampoline_kernelINS0_14default_configENS1_22reduce_config_selectorIiEEZNS1_11reduce_implILb1ES3_PiS7_iN6hipcub16HIPCUB_304000_NS6detail34convert_binary_result_type_wrapperINS9_3SumENS9_22TransformInputIteratorIbN2at6native12_GLOBAL__N_19NonZeroOpIN3c107complexIdEEEEPKSK_lEEiEEEE10hipError_tPvRmT1_T2_T3_mT4_P12ihipStream_tbEUlT_E0_NS1_11comp_targetILNS1_3genE9ELNS1_11target_archE1100ELNS1_3gpuE3ELNS1_3repE0EEENS1_30default_config_static_selectorELNS0_4arch9wavefront6targetE0EEEvST_,comdat
.Lfunc_end497:
	.size	_ZN7rocprim17ROCPRIM_400000_NS6detail17trampoline_kernelINS0_14default_configENS1_22reduce_config_selectorIiEEZNS1_11reduce_implILb1ES3_PiS7_iN6hipcub16HIPCUB_304000_NS6detail34convert_binary_result_type_wrapperINS9_3SumENS9_22TransformInputIteratorIbN2at6native12_GLOBAL__N_19NonZeroOpIN3c107complexIdEEEEPKSK_lEEiEEEE10hipError_tPvRmT1_T2_T3_mT4_P12ihipStream_tbEUlT_E0_NS1_11comp_targetILNS1_3genE9ELNS1_11target_archE1100ELNS1_3gpuE3ELNS1_3repE0EEENS1_30default_config_static_selectorELNS0_4arch9wavefront6targetE0EEEvST_, .Lfunc_end497-_ZN7rocprim17ROCPRIM_400000_NS6detail17trampoline_kernelINS0_14default_configENS1_22reduce_config_selectorIiEEZNS1_11reduce_implILb1ES3_PiS7_iN6hipcub16HIPCUB_304000_NS6detail34convert_binary_result_type_wrapperINS9_3SumENS9_22TransformInputIteratorIbN2at6native12_GLOBAL__N_19NonZeroOpIN3c107complexIdEEEEPKSK_lEEiEEEE10hipError_tPvRmT1_T2_T3_mT4_P12ihipStream_tbEUlT_E0_NS1_11comp_targetILNS1_3genE9ELNS1_11target_archE1100ELNS1_3gpuE3ELNS1_3repE0EEENS1_30default_config_static_selectorELNS0_4arch9wavefront6targetE0EEEvST_
                                        ; -- End function
	.set _ZN7rocprim17ROCPRIM_400000_NS6detail17trampoline_kernelINS0_14default_configENS1_22reduce_config_selectorIiEEZNS1_11reduce_implILb1ES3_PiS7_iN6hipcub16HIPCUB_304000_NS6detail34convert_binary_result_type_wrapperINS9_3SumENS9_22TransformInputIteratorIbN2at6native12_GLOBAL__N_19NonZeroOpIN3c107complexIdEEEEPKSK_lEEiEEEE10hipError_tPvRmT1_T2_T3_mT4_P12ihipStream_tbEUlT_E0_NS1_11comp_targetILNS1_3genE9ELNS1_11target_archE1100ELNS1_3gpuE3ELNS1_3repE0EEENS1_30default_config_static_selectorELNS0_4arch9wavefront6targetE0EEEvST_.num_vgpr, 0
	.set _ZN7rocprim17ROCPRIM_400000_NS6detail17trampoline_kernelINS0_14default_configENS1_22reduce_config_selectorIiEEZNS1_11reduce_implILb1ES3_PiS7_iN6hipcub16HIPCUB_304000_NS6detail34convert_binary_result_type_wrapperINS9_3SumENS9_22TransformInputIteratorIbN2at6native12_GLOBAL__N_19NonZeroOpIN3c107complexIdEEEEPKSK_lEEiEEEE10hipError_tPvRmT1_T2_T3_mT4_P12ihipStream_tbEUlT_E0_NS1_11comp_targetILNS1_3genE9ELNS1_11target_archE1100ELNS1_3gpuE3ELNS1_3repE0EEENS1_30default_config_static_selectorELNS0_4arch9wavefront6targetE0EEEvST_.num_agpr, 0
	.set _ZN7rocprim17ROCPRIM_400000_NS6detail17trampoline_kernelINS0_14default_configENS1_22reduce_config_selectorIiEEZNS1_11reduce_implILb1ES3_PiS7_iN6hipcub16HIPCUB_304000_NS6detail34convert_binary_result_type_wrapperINS9_3SumENS9_22TransformInputIteratorIbN2at6native12_GLOBAL__N_19NonZeroOpIN3c107complexIdEEEEPKSK_lEEiEEEE10hipError_tPvRmT1_T2_T3_mT4_P12ihipStream_tbEUlT_E0_NS1_11comp_targetILNS1_3genE9ELNS1_11target_archE1100ELNS1_3gpuE3ELNS1_3repE0EEENS1_30default_config_static_selectorELNS0_4arch9wavefront6targetE0EEEvST_.numbered_sgpr, 0
	.set _ZN7rocprim17ROCPRIM_400000_NS6detail17trampoline_kernelINS0_14default_configENS1_22reduce_config_selectorIiEEZNS1_11reduce_implILb1ES3_PiS7_iN6hipcub16HIPCUB_304000_NS6detail34convert_binary_result_type_wrapperINS9_3SumENS9_22TransformInputIteratorIbN2at6native12_GLOBAL__N_19NonZeroOpIN3c107complexIdEEEEPKSK_lEEiEEEE10hipError_tPvRmT1_T2_T3_mT4_P12ihipStream_tbEUlT_E0_NS1_11comp_targetILNS1_3genE9ELNS1_11target_archE1100ELNS1_3gpuE3ELNS1_3repE0EEENS1_30default_config_static_selectorELNS0_4arch9wavefront6targetE0EEEvST_.num_named_barrier, 0
	.set _ZN7rocprim17ROCPRIM_400000_NS6detail17trampoline_kernelINS0_14default_configENS1_22reduce_config_selectorIiEEZNS1_11reduce_implILb1ES3_PiS7_iN6hipcub16HIPCUB_304000_NS6detail34convert_binary_result_type_wrapperINS9_3SumENS9_22TransformInputIteratorIbN2at6native12_GLOBAL__N_19NonZeroOpIN3c107complexIdEEEEPKSK_lEEiEEEE10hipError_tPvRmT1_T2_T3_mT4_P12ihipStream_tbEUlT_E0_NS1_11comp_targetILNS1_3genE9ELNS1_11target_archE1100ELNS1_3gpuE3ELNS1_3repE0EEENS1_30default_config_static_selectorELNS0_4arch9wavefront6targetE0EEEvST_.private_seg_size, 0
	.set _ZN7rocprim17ROCPRIM_400000_NS6detail17trampoline_kernelINS0_14default_configENS1_22reduce_config_selectorIiEEZNS1_11reduce_implILb1ES3_PiS7_iN6hipcub16HIPCUB_304000_NS6detail34convert_binary_result_type_wrapperINS9_3SumENS9_22TransformInputIteratorIbN2at6native12_GLOBAL__N_19NonZeroOpIN3c107complexIdEEEEPKSK_lEEiEEEE10hipError_tPvRmT1_T2_T3_mT4_P12ihipStream_tbEUlT_E0_NS1_11comp_targetILNS1_3genE9ELNS1_11target_archE1100ELNS1_3gpuE3ELNS1_3repE0EEENS1_30default_config_static_selectorELNS0_4arch9wavefront6targetE0EEEvST_.uses_vcc, 0
	.set _ZN7rocprim17ROCPRIM_400000_NS6detail17trampoline_kernelINS0_14default_configENS1_22reduce_config_selectorIiEEZNS1_11reduce_implILb1ES3_PiS7_iN6hipcub16HIPCUB_304000_NS6detail34convert_binary_result_type_wrapperINS9_3SumENS9_22TransformInputIteratorIbN2at6native12_GLOBAL__N_19NonZeroOpIN3c107complexIdEEEEPKSK_lEEiEEEE10hipError_tPvRmT1_T2_T3_mT4_P12ihipStream_tbEUlT_E0_NS1_11comp_targetILNS1_3genE9ELNS1_11target_archE1100ELNS1_3gpuE3ELNS1_3repE0EEENS1_30default_config_static_selectorELNS0_4arch9wavefront6targetE0EEEvST_.uses_flat_scratch, 0
	.set _ZN7rocprim17ROCPRIM_400000_NS6detail17trampoline_kernelINS0_14default_configENS1_22reduce_config_selectorIiEEZNS1_11reduce_implILb1ES3_PiS7_iN6hipcub16HIPCUB_304000_NS6detail34convert_binary_result_type_wrapperINS9_3SumENS9_22TransformInputIteratorIbN2at6native12_GLOBAL__N_19NonZeroOpIN3c107complexIdEEEEPKSK_lEEiEEEE10hipError_tPvRmT1_T2_T3_mT4_P12ihipStream_tbEUlT_E0_NS1_11comp_targetILNS1_3genE9ELNS1_11target_archE1100ELNS1_3gpuE3ELNS1_3repE0EEENS1_30default_config_static_selectorELNS0_4arch9wavefront6targetE0EEEvST_.has_dyn_sized_stack, 0
	.set _ZN7rocprim17ROCPRIM_400000_NS6detail17trampoline_kernelINS0_14default_configENS1_22reduce_config_selectorIiEEZNS1_11reduce_implILb1ES3_PiS7_iN6hipcub16HIPCUB_304000_NS6detail34convert_binary_result_type_wrapperINS9_3SumENS9_22TransformInputIteratorIbN2at6native12_GLOBAL__N_19NonZeroOpIN3c107complexIdEEEEPKSK_lEEiEEEE10hipError_tPvRmT1_T2_T3_mT4_P12ihipStream_tbEUlT_E0_NS1_11comp_targetILNS1_3genE9ELNS1_11target_archE1100ELNS1_3gpuE3ELNS1_3repE0EEENS1_30default_config_static_selectorELNS0_4arch9wavefront6targetE0EEEvST_.has_recursion, 0
	.set _ZN7rocprim17ROCPRIM_400000_NS6detail17trampoline_kernelINS0_14default_configENS1_22reduce_config_selectorIiEEZNS1_11reduce_implILb1ES3_PiS7_iN6hipcub16HIPCUB_304000_NS6detail34convert_binary_result_type_wrapperINS9_3SumENS9_22TransformInputIteratorIbN2at6native12_GLOBAL__N_19NonZeroOpIN3c107complexIdEEEEPKSK_lEEiEEEE10hipError_tPvRmT1_T2_T3_mT4_P12ihipStream_tbEUlT_E0_NS1_11comp_targetILNS1_3genE9ELNS1_11target_archE1100ELNS1_3gpuE3ELNS1_3repE0EEENS1_30default_config_static_selectorELNS0_4arch9wavefront6targetE0EEEvST_.has_indirect_call, 0
	.section	.AMDGPU.csdata,"",@progbits
; Kernel info:
; codeLenInByte = 0
; TotalNumSgprs: 0
; NumVgprs: 0
; ScratchSize: 0
; MemoryBound: 0
; FloatMode: 240
; IeeeMode: 1
; LDSByteSize: 0 bytes/workgroup (compile time only)
; SGPRBlocks: 0
; VGPRBlocks: 0
; NumSGPRsForWavesPerEU: 1
; NumVGPRsForWavesPerEU: 1
; Occupancy: 16
; WaveLimiterHint : 0
; COMPUTE_PGM_RSRC2:SCRATCH_EN: 0
; COMPUTE_PGM_RSRC2:USER_SGPR: 2
; COMPUTE_PGM_RSRC2:TRAP_HANDLER: 0
; COMPUTE_PGM_RSRC2:TGID_X_EN: 1
; COMPUTE_PGM_RSRC2:TGID_Y_EN: 0
; COMPUTE_PGM_RSRC2:TGID_Z_EN: 0
; COMPUTE_PGM_RSRC2:TIDIG_COMP_CNT: 0
	.section	.text._ZN7rocprim17ROCPRIM_400000_NS6detail17trampoline_kernelINS0_14default_configENS1_22reduce_config_selectorIiEEZNS1_11reduce_implILb1ES3_PiS7_iN6hipcub16HIPCUB_304000_NS6detail34convert_binary_result_type_wrapperINS9_3SumENS9_22TransformInputIteratorIbN2at6native12_GLOBAL__N_19NonZeroOpIN3c107complexIdEEEEPKSK_lEEiEEEE10hipError_tPvRmT1_T2_T3_mT4_P12ihipStream_tbEUlT_E0_NS1_11comp_targetILNS1_3genE8ELNS1_11target_archE1030ELNS1_3gpuE2ELNS1_3repE0EEENS1_30default_config_static_selectorELNS0_4arch9wavefront6targetE0EEEvST_,"axG",@progbits,_ZN7rocprim17ROCPRIM_400000_NS6detail17trampoline_kernelINS0_14default_configENS1_22reduce_config_selectorIiEEZNS1_11reduce_implILb1ES3_PiS7_iN6hipcub16HIPCUB_304000_NS6detail34convert_binary_result_type_wrapperINS9_3SumENS9_22TransformInputIteratorIbN2at6native12_GLOBAL__N_19NonZeroOpIN3c107complexIdEEEEPKSK_lEEiEEEE10hipError_tPvRmT1_T2_T3_mT4_P12ihipStream_tbEUlT_E0_NS1_11comp_targetILNS1_3genE8ELNS1_11target_archE1030ELNS1_3gpuE2ELNS1_3repE0EEENS1_30default_config_static_selectorELNS0_4arch9wavefront6targetE0EEEvST_,comdat
	.globl	_ZN7rocprim17ROCPRIM_400000_NS6detail17trampoline_kernelINS0_14default_configENS1_22reduce_config_selectorIiEEZNS1_11reduce_implILb1ES3_PiS7_iN6hipcub16HIPCUB_304000_NS6detail34convert_binary_result_type_wrapperINS9_3SumENS9_22TransformInputIteratorIbN2at6native12_GLOBAL__N_19NonZeroOpIN3c107complexIdEEEEPKSK_lEEiEEEE10hipError_tPvRmT1_T2_T3_mT4_P12ihipStream_tbEUlT_E0_NS1_11comp_targetILNS1_3genE8ELNS1_11target_archE1030ELNS1_3gpuE2ELNS1_3repE0EEENS1_30default_config_static_selectorELNS0_4arch9wavefront6targetE0EEEvST_ ; -- Begin function _ZN7rocprim17ROCPRIM_400000_NS6detail17trampoline_kernelINS0_14default_configENS1_22reduce_config_selectorIiEEZNS1_11reduce_implILb1ES3_PiS7_iN6hipcub16HIPCUB_304000_NS6detail34convert_binary_result_type_wrapperINS9_3SumENS9_22TransformInputIteratorIbN2at6native12_GLOBAL__N_19NonZeroOpIN3c107complexIdEEEEPKSK_lEEiEEEE10hipError_tPvRmT1_T2_T3_mT4_P12ihipStream_tbEUlT_E0_NS1_11comp_targetILNS1_3genE8ELNS1_11target_archE1030ELNS1_3gpuE2ELNS1_3repE0EEENS1_30default_config_static_selectorELNS0_4arch9wavefront6targetE0EEEvST_
	.p2align	8
	.type	_ZN7rocprim17ROCPRIM_400000_NS6detail17trampoline_kernelINS0_14default_configENS1_22reduce_config_selectorIiEEZNS1_11reduce_implILb1ES3_PiS7_iN6hipcub16HIPCUB_304000_NS6detail34convert_binary_result_type_wrapperINS9_3SumENS9_22TransformInputIteratorIbN2at6native12_GLOBAL__N_19NonZeroOpIN3c107complexIdEEEEPKSK_lEEiEEEE10hipError_tPvRmT1_T2_T3_mT4_P12ihipStream_tbEUlT_E0_NS1_11comp_targetILNS1_3genE8ELNS1_11target_archE1030ELNS1_3gpuE2ELNS1_3repE0EEENS1_30default_config_static_selectorELNS0_4arch9wavefront6targetE0EEEvST_,@function
_ZN7rocprim17ROCPRIM_400000_NS6detail17trampoline_kernelINS0_14default_configENS1_22reduce_config_selectorIiEEZNS1_11reduce_implILb1ES3_PiS7_iN6hipcub16HIPCUB_304000_NS6detail34convert_binary_result_type_wrapperINS9_3SumENS9_22TransformInputIteratorIbN2at6native12_GLOBAL__N_19NonZeroOpIN3c107complexIdEEEEPKSK_lEEiEEEE10hipError_tPvRmT1_T2_T3_mT4_P12ihipStream_tbEUlT_E0_NS1_11comp_targetILNS1_3genE8ELNS1_11target_archE1030ELNS1_3gpuE2ELNS1_3repE0EEENS1_30default_config_static_selectorELNS0_4arch9wavefront6targetE0EEEvST_: ; @_ZN7rocprim17ROCPRIM_400000_NS6detail17trampoline_kernelINS0_14default_configENS1_22reduce_config_selectorIiEEZNS1_11reduce_implILb1ES3_PiS7_iN6hipcub16HIPCUB_304000_NS6detail34convert_binary_result_type_wrapperINS9_3SumENS9_22TransformInputIteratorIbN2at6native12_GLOBAL__N_19NonZeroOpIN3c107complexIdEEEEPKSK_lEEiEEEE10hipError_tPvRmT1_T2_T3_mT4_P12ihipStream_tbEUlT_E0_NS1_11comp_targetILNS1_3genE8ELNS1_11target_archE1030ELNS1_3gpuE2ELNS1_3repE0EEENS1_30default_config_static_selectorELNS0_4arch9wavefront6targetE0EEEvST_
; %bb.0:
	.section	.rodata,"a",@progbits
	.p2align	6, 0x0
	.amdhsa_kernel _ZN7rocprim17ROCPRIM_400000_NS6detail17trampoline_kernelINS0_14default_configENS1_22reduce_config_selectorIiEEZNS1_11reduce_implILb1ES3_PiS7_iN6hipcub16HIPCUB_304000_NS6detail34convert_binary_result_type_wrapperINS9_3SumENS9_22TransformInputIteratorIbN2at6native12_GLOBAL__N_19NonZeroOpIN3c107complexIdEEEEPKSK_lEEiEEEE10hipError_tPvRmT1_T2_T3_mT4_P12ihipStream_tbEUlT_E0_NS1_11comp_targetILNS1_3genE8ELNS1_11target_archE1030ELNS1_3gpuE2ELNS1_3repE0EEENS1_30default_config_static_selectorELNS0_4arch9wavefront6targetE0EEEvST_
		.amdhsa_group_segment_fixed_size 0
		.amdhsa_private_segment_fixed_size 0
		.amdhsa_kernarg_size 56
		.amdhsa_user_sgpr_count 2
		.amdhsa_user_sgpr_dispatch_ptr 0
		.amdhsa_user_sgpr_queue_ptr 0
		.amdhsa_user_sgpr_kernarg_segment_ptr 1
		.amdhsa_user_sgpr_dispatch_id 0
		.amdhsa_user_sgpr_private_segment_size 0
		.amdhsa_wavefront_size32 1
		.amdhsa_uses_dynamic_stack 0
		.amdhsa_enable_private_segment 0
		.amdhsa_system_sgpr_workgroup_id_x 1
		.amdhsa_system_sgpr_workgroup_id_y 0
		.amdhsa_system_sgpr_workgroup_id_z 0
		.amdhsa_system_sgpr_workgroup_info 0
		.amdhsa_system_vgpr_workitem_id 0
		.amdhsa_next_free_vgpr 1
		.amdhsa_next_free_sgpr 1
		.amdhsa_reserve_vcc 0
		.amdhsa_float_round_mode_32 0
		.amdhsa_float_round_mode_16_64 0
		.amdhsa_float_denorm_mode_32 3
		.amdhsa_float_denorm_mode_16_64 3
		.amdhsa_fp16_overflow 0
		.amdhsa_workgroup_processor_mode 1
		.amdhsa_memory_ordered 1
		.amdhsa_forward_progress 1
		.amdhsa_inst_pref_size 0
		.amdhsa_round_robin_scheduling 0
		.amdhsa_exception_fp_ieee_invalid_op 0
		.amdhsa_exception_fp_denorm_src 0
		.amdhsa_exception_fp_ieee_div_zero 0
		.amdhsa_exception_fp_ieee_overflow 0
		.amdhsa_exception_fp_ieee_underflow 0
		.amdhsa_exception_fp_ieee_inexact 0
		.amdhsa_exception_int_div_zero 0
	.end_amdhsa_kernel
	.section	.text._ZN7rocprim17ROCPRIM_400000_NS6detail17trampoline_kernelINS0_14default_configENS1_22reduce_config_selectorIiEEZNS1_11reduce_implILb1ES3_PiS7_iN6hipcub16HIPCUB_304000_NS6detail34convert_binary_result_type_wrapperINS9_3SumENS9_22TransformInputIteratorIbN2at6native12_GLOBAL__N_19NonZeroOpIN3c107complexIdEEEEPKSK_lEEiEEEE10hipError_tPvRmT1_T2_T3_mT4_P12ihipStream_tbEUlT_E0_NS1_11comp_targetILNS1_3genE8ELNS1_11target_archE1030ELNS1_3gpuE2ELNS1_3repE0EEENS1_30default_config_static_selectorELNS0_4arch9wavefront6targetE0EEEvST_,"axG",@progbits,_ZN7rocprim17ROCPRIM_400000_NS6detail17trampoline_kernelINS0_14default_configENS1_22reduce_config_selectorIiEEZNS1_11reduce_implILb1ES3_PiS7_iN6hipcub16HIPCUB_304000_NS6detail34convert_binary_result_type_wrapperINS9_3SumENS9_22TransformInputIteratorIbN2at6native12_GLOBAL__N_19NonZeroOpIN3c107complexIdEEEEPKSK_lEEiEEEE10hipError_tPvRmT1_T2_T3_mT4_P12ihipStream_tbEUlT_E0_NS1_11comp_targetILNS1_3genE8ELNS1_11target_archE1030ELNS1_3gpuE2ELNS1_3repE0EEENS1_30default_config_static_selectorELNS0_4arch9wavefront6targetE0EEEvST_,comdat
.Lfunc_end498:
	.size	_ZN7rocprim17ROCPRIM_400000_NS6detail17trampoline_kernelINS0_14default_configENS1_22reduce_config_selectorIiEEZNS1_11reduce_implILb1ES3_PiS7_iN6hipcub16HIPCUB_304000_NS6detail34convert_binary_result_type_wrapperINS9_3SumENS9_22TransformInputIteratorIbN2at6native12_GLOBAL__N_19NonZeroOpIN3c107complexIdEEEEPKSK_lEEiEEEE10hipError_tPvRmT1_T2_T3_mT4_P12ihipStream_tbEUlT_E0_NS1_11comp_targetILNS1_3genE8ELNS1_11target_archE1030ELNS1_3gpuE2ELNS1_3repE0EEENS1_30default_config_static_selectorELNS0_4arch9wavefront6targetE0EEEvST_, .Lfunc_end498-_ZN7rocprim17ROCPRIM_400000_NS6detail17trampoline_kernelINS0_14default_configENS1_22reduce_config_selectorIiEEZNS1_11reduce_implILb1ES3_PiS7_iN6hipcub16HIPCUB_304000_NS6detail34convert_binary_result_type_wrapperINS9_3SumENS9_22TransformInputIteratorIbN2at6native12_GLOBAL__N_19NonZeroOpIN3c107complexIdEEEEPKSK_lEEiEEEE10hipError_tPvRmT1_T2_T3_mT4_P12ihipStream_tbEUlT_E0_NS1_11comp_targetILNS1_3genE8ELNS1_11target_archE1030ELNS1_3gpuE2ELNS1_3repE0EEENS1_30default_config_static_selectorELNS0_4arch9wavefront6targetE0EEEvST_
                                        ; -- End function
	.set _ZN7rocprim17ROCPRIM_400000_NS6detail17trampoline_kernelINS0_14default_configENS1_22reduce_config_selectorIiEEZNS1_11reduce_implILb1ES3_PiS7_iN6hipcub16HIPCUB_304000_NS6detail34convert_binary_result_type_wrapperINS9_3SumENS9_22TransformInputIteratorIbN2at6native12_GLOBAL__N_19NonZeroOpIN3c107complexIdEEEEPKSK_lEEiEEEE10hipError_tPvRmT1_T2_T3_mT4_P12ihipStream_tbEUlT_E0_NS1_11comp_targetILNS1_3genE8ELNS1_11target_archE1030ELNS1_3gpuE2ELNS1_3repE0EEENS1_30default_config_static_selectorELNS0_4arch9wavefront6targetE0EEEvST_.num_vgpr, 0
	.set _ZN7rocprim17ROCPRIM_400000_NS6detail17trampoline_kernelINS0_14default_configENS1_22reduce_config_selectorIiEEZNS1_11reduce_implILb1ES3_PiS7_iN6hipcub16HIPCUB_304000_NS6detail34convert_binary_result_type_wrapperINS9_3SumENS9_22TransformInputIteratorIbN2at6native12_GLOBAL__N_19NonZeroOpIN3c107complexIdEEEEPKSK_lEEiEEEE10hipError_tPvRmT1_T2_T3_mT4_P12ihipStream_tbEUlT_E0_NS1_11comp_targetILNS1_3genE8ELNS1_11target_archE1030ELNS1_3gpuE2ELNS1_3repE0EEENS1_30default_config_static_selectorELNS0_4arch9wavefront6targetE0EEEvST_.num_agpr, 0
	.set _ZN7rocprim17ROCPRIM_400000_NS6detail17trampoline_kernelINS0_14default_configENS1_22reduce_config_selectorIiEEZNS1_11reduce_implILb1ES3_PiS7_iN6hipcub16HIPCUB_304000_NS6detail34convert_binary_result_type_wrapperINS9_3SumENS9_22TransformInputIteratorIbN2at6native12_GLOBAL__N_19NonZeroOpIN3c107complexIdEEEEPKSK_lEEiEEEE10hipError_tPvRmT1_T2_T3_mT4_P12ihipStream_tbEUlT_E0_NS1_11comp_targetILNS1_3genE8ELNS1_11target_archE1030ELNS1_3gpuE2ELNS1_3repE0EEENS1_30default_config_static_selectorELNS0_4arch9wavefront6targetE0EEEvST_.numbered_sgpr, 0
	.set _ZN7rocprim17ROCPRIM_400000_NS6detail17trampoline_kernelINS0_14default_configENS1_22reduce_config_selectorIiEEZNS1_11reduce_implILb1ES3_PiS7_iN6hipcub16HIPCUB_304000_NS6detail34convert_binary_result_type_wrapperINS9_3SumENS9_22TransformInputIteratorIbN2at6native12_GLOBAL__N_19NonZeroOpIN3c107complexIdEEEEPKSK_lEEiEEEE10hipError_tPvRmT1_T2_T3_mT4_P12ihipStream_tbEUlT_E0_NS1_11comp_targetILNS1_3genE8ELNS1_11target_archE1030ELNS1_3gpuE2ELNS1_3repE0EEENS1_30default_config_static_selectorELNS0_4arch9wavefront6targetE0EEEvST_.num_named_barrier, 0
	.set _ZN7rocprim17ROCPRIM_400000_NS6detail17trampoline_kernelINS0_14default_configENS1_22reduce_config_selectorIiEEZNS1_11reduce_implILb1ES3_PiS7_iN6hipcub16HIPCUB_304000_NS6detail34convert_binary_result_type_wrapperINS9_3SumENS9_22TransformInputIteratorIbN2at6native12_GLOBAL__N_19NonZeroOpIN3c107complexIdEEEEPKSK_lEEiEEEE10hipError_tPvRmT1_T2_T3_mT4_P12ihipStream_tbEUlT_E0_NS1_11comp_targetILNS1_3genE8ELNS1_11target_archE1030ELNS1_3gpuE2ELNS1_3repE0EEENS1_30default_config_static_selectorELNS0_4arch9wavefront6targetE0EEEvST_.private_seg_size, 0
	.set _ZN7rocprim17ROCPRIM_400000_NS6detail17trampoline_kernelINS0_14default_configENS1_22reduce_config_selectorIiEEZNS1_11reduce_implILb1ES3_PiS7_iN6hipcub16HIPCUB_304000_NS6detail34convert_binary_result_type_wrapperINS9_3SumENS9_22TransformInputIteratorIbN2at6native12_GLOBAL__N_19NonZeroOpIN3c107complexIdEEEEPKSK_lEEiEEEE10hipError_tPvRmT1_T2_T3_mT4_P12ihipStream_tbEUlT_E0_NS1_11comp_targetILNS1_3genE8ELNS1_11target_archE1030ELNS1_3gpuE2ELNS1_3repE0EEENS1_30default_config_static_selectorELNS0_4arch9wavefront6targetE0EEEvST_.uses_vcc, 0
	.set _ZN7rocprim17ROCPRIM_400000_NS6detail17trampoline_kernelINS0_14default_configENS1_22reduce_config_selectorIiEEZNS1_11reduce_implILb1ES3_PiS7_iN6hipcub16HIPCUB_304000_NS6detail34convert_binary_result_type_wrapperINS9_3SumENS9_22TransformInputIteratorIbN2at6native12_GLOBAL__N_19NonZeroOpIN3c107complexIdEEEEPKSK_lEEiEEEE10hipError_tPvRmT1_T2_T3_mT4_P12ihipStream_tbEUlT_E0_NS1_11comp_targetILNS1_3genE8ELNS1_11target_archE1030ELNS1_3gpuE2ELNS1_3repE0EEENS1_30default_config_static_selectorELNS0_4arch9wavefront6targetE0EEEvST_.uses_flat_scratch, 0
	.set _ZN7rocprim17ROCPRIM_400000_NS6detail17trampoline_kernelINS0_14default_configENS1_22reduce_config_selectorIiEEZNS1_11reduce_implILb1ES3_PiS7_iN6hipcub16HIPCUB_304000_NS6detail34convert_binary_result_type_wrapperINS9_3SumENS9_22TransformInputIteratorIbN2at6native12_GLOBAL__N_19NonZeroOpIN3c107complexIdEEEEPKSK_lEEiEEEE10hipError_tPvRmT1_T2_T3_mT4_P12ihipStream_tbEUlT_E0_NS1_11comp_targetILNS1_3genE8ELNS1_11target_archE1030ELNS1_3gpuE2ELNS1_3repE0EEENS1_30default_config_static_selectorELNS0_4arch9wavefront6targetE0EEEvST_.has_dyn_sized_stack, 0
	.set _ZN7rocprim17ROCPRIM_400000_NS6detail17trampoline_kernelINS0_14default_configENS1_22reduce_config_selectorIiEEZNS1_11reduce_implILb1ES3_PiS7_iN6hipcub16HIPCUB_304000_NS6detail34convert_binary_result_type_wrapperINS9_3SumENS9_22TransformInputIteratorIbN2at6native12_GLOBAL__N_19NonZeroOpIN3c107complexIdEEEEPKSK_lEEiEEEE10hipError_tPvRmT1_T2_T3_mT4_P12ihipStream_tbEUlT_E0_NS1_11comp_targetILNS1_3genE8ELNS1_11target_archE1030ELNS1_3gpuE2ELNS1_3repE0EEENS1_30default_config_static_selectorELNS0_4arch9wavefront6targetE0EEEvST_.has_recursion, 0
	.set _ZN7rocprim17ROCPRIM_400000_NS6detail17trampoline_kernelINS0_14default_configENS1_22reduce_config_selectorIiEEZNS1_11reduce_implILb1ES3_PiS7_iN6hipcub16HIPCUB_304000_NS6detail34convert_binary_result_type_wrapperINS9_3SumENS9_22TransformInputIteratorIbN2at6native12_GLOBAL__N_19NonZeroOpIN3c107complexIdEEEEPKSK_lEEiEEEE10hipError_tPvRmT1_T2_T3_mT4_P12ihipStream_tbEUlT_E0_NS1_11comp_targetILNS1_3genE8ELNS1_11target_archE1030ELNS1_3gpuE2ELNS1_3repE0EEENS1_30default_config_static_selectorELNS0_4arch9wavefront6targetE0EEEvST_.has_indirect_call, 0
	.section	.AMDGPU.csdata,"",@progbits
; Kernel info:
; codeLenInByte = 0
; TotalNumSgprs: 0
; NumVgprs: 0
; ScratchSize: 0
; MemoryBound: 0
; FloatMode: 240
; IeeeMode: 1
; LDSByteSize: 0 bytes/workgroup (compile time only)
; SGPRBlocks: 0
; VGPRBlocks: 0
; NumSGPRsForWavesPerEU: 1
; NumVGPRsForWavesPerEU: 1
; Occupancy: 16
; WaveLimiterHint : 0
; COMPUTE_PGM_RSRC2:SCRATCH_EN: 0
; COMPUTE_PGM_RSRC2:USER_SGPR: 2
; COMPUTE_PGM_RSRC2:TRAP_HANDLER: 0
; COMPUTE_PGM_RSRC2:TGID_X_EN: 1
; COMPUTE_PGM_RSRC2:TGID_Y_EN: 0
; COMPUTE_PGM_RSRC2:TGID_Z_EN: 0
; COMPUTE_PGM_RSRC2:TIDIG_COMP_CNT: 0
	.section	.text._ZN7rocprim17ROCPRIM_400000_NS6detail17trampoline_kernelINS0_14default_configENS1_22reduce_config_selectorIiEEZNS1_11reduce_implILb1ES3_PiS7_iN6hipcub16HIPCUB_304000_NS6detail34convert_binary_result_type_wrapperINS9_3SumENS9_22TransformInputIteratorIbN2at6native12_GLOBAL__N_19NonZeroOpIN3c107complexIdEEEEPKSK_lEEiEEEE10hipError_tPvRmT1_T2_T3_mT4_P12ihipStream_tbEUlT_E1_NS1_11comp_targetILNS1_3genE0ELNS1_11target_archE4294967295ELNS1_3gpuE0ELNS1_3repE0EEENS1_30default_config_static_selectorELNS0_4arch9wavefront6targetE0EEEvST_,"axG",@progbits,_ZN7rocprim17ROCPRIM_400000_NS6detail17trampoline_kernelINS0_14default_configENS1_22reduce_config_selectorIiEEZNS1_11reduce_implILb1ES3_PiS7_iN6hipcub16HIPCUB_304000_NS6detail34convert_binary_result_type_wrapperINS9_3SumENS9_22TransformInputIteratorIbN2at6native12_GLOBAL__N_19NonZeroOpIN3c107complexIdEEEEPKSK_lEEiEEEE10hipError_tPvRmT1_T2_T3_mT4_P12ihipStream_tbEUlT_E1_NS1_11comp_targetILNS1_3genE0ELNS1_11target_archE4294967295ELNS1_3gpuE0ELNS1_3repE0EEENS1_30default_config_static_selectorELNS0_4arch9wavefront6targetE0EEEvST_,comdat
	.globl	_ZN7rocprim17ROCPRIM_400000_NS6detail17trampoline_kernelINS0_14default_configENS1_22reduce_config_selectorIiEEZNS1_11reduce_implILb1ES3_PiS7_iN6hipcub16HIPCUB_304000_NS6detail34convert_binary_result_type_wrapperINS9_3SumENS9_22TransformInputIteratorIbN2at6native12_GLOBAL__N_19NonZeroOpIN3c107complexIdEEEEPKSK_lEEiEEEE10hipError_tPvRmT1_T2_T3_mT4_P12ihipStream_tbEUlT_E1_NS1_11comp_targetILNS1_3genE0ELNS1_11target_archE4294967295ELNS1_3gpuE0ELNS1_3repE0EEENS1_30default_config_static_selectorELNS0_4arch9wavefront6targetE0EEEvST_ ; -- Begin function _ZN7rocprim17ROCPRIM_400000_NS6detail17trampoline_kernelINS0_14default_configENS1_22reduce_config_selectorIiEEZNS1_11reduce_implILb1ES3_PiS7_iN6hipcub16HIPCUB_304000_NS6detail34convert_binary_result_type_wrapperINS9_3SumENS9_22TransformInputIteratorIbN2at6native12_GLOBAL__N_19NonZeroOpIN3c107complexIdEEEEPKSK_lEEiEEEE10hipError_tPvRmT1_T2_T3_mT4_P12ihipStream_tbEUlT_E1_NS1_11comp_targetILNS1_3genE0ELNS1_11target_archE4294967295ELNS1_3gpuE0ELNS1_3repE0EEENS1_30default_config_static_selectorELNS0_4arch9wavefront6targetE0EEEvST_
	.p2align	8
	.type	_ZN7rocprim17ROCPRIM_400000_NS6detail17trampoline_kernelINS0_14default_configENS1_22reduce_config_selectorIiEEZNS1_11reduce_implILb1ES3_PiS7_iN6hipcub16HIPCUB_304000_NS6detail34convert_binary_result_type_wrapperINS9_3SumENS9_22TransformInputIteratorIbN2at6native12_GLOBAL__N_19NonZeroOpIN3c107complexIdEEEEPKSK_lEEiEEEE10hipError_tPvRmT1_T2_T3_mT4_P12ihipStream_tbEUlT_E1_NS1_11comp_targetILNS1_3genE0ELNS1_11target_archE4294967295ELNS1_3gpuE0ELNS1_3repE0EEENS1_30default_config_static_selectorELNS0_4arch9wavefront6targetE0EEEvST_,@function
_ZN7rocprim17ROCPRIM_400000_NS6detail17trampoline_kernelINS0_14default_configENS1_22reduce_config_selectorIiEEZNS1_11reduce_implILb1ES3_PiS7_iN6hipcub16HIPCUB_304000_NS6detail34convert_binary_result_type_wrapperINS9_3SumENS9_22TransformInputIteratorIbN2at6native12_GLOBAL__N_19NonZeroOpIN3c107complexIdEEEEPKSK_lEEiEEEE10hipError_tPvRmT1_T2_T3_mT4_P12ihipStream_tbEUlT_E1_NS1_11comp_targetILNS1_3genE0ELNS1_11target_archE4294967295ELNS1_3gpuE0ELNS1_3repE0EEENS1_30default_config_static_selectorELNS0_4arch9wavefront6targetE0EEEvST_: ; @_ZN7rocprim17ROCPRIM_400000_NS6detail17trampoline_kernelINS0_14default_configENS1_22reduce_config_selectorIiEEZNS1_11reduce_implILb1ES3_PiS7_iN6hipcub16HIPCUB_304000_NS6detail34convert_binary_result_type_wrapperINS9_3SumENS9_22TransformInputIteratorIbN2at6native12_GLOBAL__N_19NonZeroOpIN3c107complexIdEEEEPKSK_lEEiEEEE10hipError_tPvRmT1_T2_T3_mT4_P12ihipStream_tbEUlT_E1_NS1_11comp_targetILNS1_3genE0ELNS1_11target_archE4294967295ELNS1_3gpuE0ELNS1_3repE0EEENS1_30default_config_static_selectorELNS0_4arch9wavefront6targetE0EEEvST_
; %bb.0:
	.section	.rodata,"a",@progbits
	.p2align	6, 0x0
	.amdhsa_kernel _ZN7rocprim17ROCPRIM_400000_NS6detail17trampoline_kernelINS0_14default_configENS1_22reduce_config_selectorIiEEZNS1_11reduce_implILb1ES3_PiS7_iN6hipcub16HIPCUB_304000_NS6detail34convert_binary_result_type_wrapperINS9_3SumENS9_22TransformInputIteratorIbN2at6native12_GLOBAL__N_19NonZeroOpIN3c107complexIdEEEEPKSK_lEEiEEEE10hipError_tPvRmT1_T2_T3_mT4_P12ihipStream_tbEUlT_E1_NS1_11comp_targetILNS1_3genE0ELNS1_11target_archE4294967295ELNS1_3gpuE0ELNS1_3repE0EEENS1_30default_config_static_selectorELNS0_4arch9wavefront6targetE0EEEvST_
		.amdhsa_group_segment_fixed_size 0
		.amdhsa_private_segment_fixed_size 0
		.amdhsa_kernarg_size 40
		.amdhsa_user_sgpr_count 2
		.amdhsa_user_sgpr_dispatch_ptr 0
		.amdhsa_user_sgpr_queue_ptr 0
		.amdhsa_user_sgpr_kernarg_segment_ptr 1
		.amdhsa_user_sgpr_dispatch_id 0
		.amdhsa_user_sgpr_private_segment_size 0
		.amdhsa_wavefront_size32 1
		.amdhsa_uses_dynamic_stack 0
		.amdhsa_enable_private_segment 0
		.amdhsa_system_sgpr_workgroup_id_x 1
		.amdhsa_system_sgpr_workgroup_id_y 0
		.amdhsa_system_sgpr_workgroup_id_z 0
		.amdhsa_system_sgpr_workgroup_info 0
		.amdhsa_system_vgpr_workitem_id 0
		.amdhsa_next_free_vgpr 1
		.amdhsa_next_free_sgpr 1
		.amdhsa_reserve_vcc 0
		.amdhsa_float_round_mode_32 0
		.amdhsa_float_round_mode_16_64 0
		.amdhsa_float_denorm_mode_32 3
		.amdhsa_float_denorm_mode_16_64 3
		.amdhsa_fp16_overflow 0
		.amdhsa_workgroup_processor_mode 1
		.amdhsa_memory_ordered 1
		.amdhsa_forward_progress 1
		.amdhsa_inst_pref_size 0
		.amdhsa_round_robin_scheduling 0
		.amdhsa_exception_fp_ieee_invalid_op 0
		.amdhsa_exception_fp_denorm_src 0
		.amdhsa_exception_fp_ieee_div_zero 0
		.amdhsa_exception_fp_ieee_overflow 0
		.amdhsa_exception_fp_ieee_underflow 0
		.amdhsa_exception_fp_ieee_inexact 0
		.amdhsa_exception_int_div_zero 0
	.end_amdhsa_kernel
	.section	.text._ZN7rocprim17ROCPRIM_400000_NS6detail17trampoline_kernelINS0_14default_configENS1_22reduce_config_selectorIiEEZNS1_11reduce_implILb1ES3_PiS7_iN6hipcub16HIPCUB_304000_NS6detail34convert_binary_result_type_wrapperINS9_3SumENS9_22TransformInputIteratorIbN2at6native12_GLOBAL__N_19NonZeroOpIN3c107complexIdEEEEPKSK_lEEiEEEE10hipError_tPvRmT1_T2_T3_mT4_P12ihipStream_tbEUlT_E1_NS1_11comp_targetILNS1_3genE0ELNS1_11target_archE4294967295ELNS1_3gpuE0ELNS1_3repE0EEENS1_30default_config_static_selectorELNS0_4arch9wavefront6targetE0EEEvST_,"axG",@progbits,_ZN7rocprim17ROCPRIM_400000_NS6detail17trampoline_kernelINS0_14default_configENS1_22reduce_config_selectorIiEEZNS1_11reduce_implILb1ES3_PiS7_iN6hipcub16HIPCUB_304000_NS6detail34convert_binary_result_type_wrapperINS9_3SumENS9_22TransformInputIteratorIbN2at6native12_GLOBAL__N_19NonZeroOpIN3c107complexIdEEEEPKSK_lEEiEEEE10hipError_tPvRmT1_T2_T3_mT4_P12ihipStream_tbEUlT_E1_NS1_11comp_targetILNS1_3genE0ELNS1_11target_archE4294967295ELNS1_3gpuE0ELNS1_3repE0EEENS1_30default_config_static_selectorELNS0_4arch9wavefront6targetE0EEEvST_,comdat
.Lfunc_end499:
	.size	_ZN7rocprim17ROCPRIM_400000_NS6detail17trampoline_kernelINS0_14default_configENS1_22reduce_config_selectorIiEEZNS1_11reduce_implILb1ES3_PiS7_iN6hipcub16HIPCUB_304000_NS6detail34convert_binary_result_type_wrapperINS9_3SumENS9_22TransformInputIteratorIbN2at6native12_GLOBAL__N_19NonZeroOpIN3c107complexIdEEEEPKSK_lEEiEEEE10hipError_tPvRmT1_T2_T3_mT4_P12ihipStream_tbEUlT_E1_NS1_11comp_targetILNS1_3genE0ELNS1_11target_archE4294967295ELNS1_3gpuE0ELNS1_3repE0EEENS1_30default_config_static_selectorELNS0_4arch9wavefront6targetE0EEEvST_, .Lfunc_end499-_ZN7rocprim17ROCPRIM_400000_NS6detail17trampoline_kernelINS0_14default_configENS1_22reduce_config_selectorIiEEZNS1_11reduce_implILb1ES3_PiS7_iN6hipcub16HIPCUB_304000_NS6detail34convert_binary_result_type_wrapperINS9_3SumENS9_22TransformInputIteratorIbN2at6native12_GLOBAL__N_19NonZeroOpIN3c107complexIdEEEEPKSK_lEEiEEEE10hipError_tPvRmT1_T2_T3_mT4_P12ihipStream_tbEUlT_E1_NS1_11comp_targetILNS1_3genE0ELNS1_11target_archE4294967295ELNS1_3gpuE0ELNS1_3repE0EEENS1_30default_config_static_selectorELNS0_4arch9wavefront6targetE0EEEvST_
                                        ; -- End function
	.set _ZN7rocprim17ROCPRIM_400000_NS6detail17trampoline_kernelINS0_14default_configENS1_22reduce_config_selectorIiEEZNS1_11reduce_implILb1ES3_PiS7_iN6hipcub16HIPCUB_304000_NS6detail34convert_binary_result_type_wrapperINS9_3SumENS9_22TransformInputIteratorIbN2at6native12_GLOBAL__N_19NonZeroOpIN3c107complexIdEEEEPKSK_lEEiEEEE10hipError_tPvRmT1_T2_T3_mT4_P12ihipStream_tbEUlT_E1_NS1_11comp_targetILNS1_3genE0ELNS1_11target_archE4294967295ELNS1_3gpuE0ELNS1_3repE0EEENS1_30default_config_static_selectorELNS0_4arch9wavefront6targetE0EEEvST_.num_vgpr, 0
	.set _ZN7rocprim17ROCPRIM_400000_NS6detail17trampoline_kernelINS0_14default_configENS1_22reduce_config_selectorIiEEZNS1_11reduce_implILb1ES3_PiS7_iN6hipcub16HIPCUB_304000_NS6detail34convert_binary_result_type_wrapperINS9_3SumENS9_22TransformInputIteratorIbN2at6native12_GLOBAL__N_19NonZeroOpIN3c107complexIdEEEEPKSK_lEEiEEEE10hipError_tPvRmT1_T2_T3_mT4_P12ihipStream_tbEUlT_E1_NS1_11comp_targetILNS1_3genE0ELNS1_11target_archE4294967295ELNS1_3gpuE0ELNS1_3repE0EEENS1_30default_config_static_selectorELNS0_4arch9wavefront6targetE0EEEvST_.num_agpr, 0
	.set _ZN7rocprim17ROCPRIM_400000_NS6detail17trampoline_kernelINS0_14default_configENS1_22reduce_config_selectorIiEEZNS1_11reduce_implILb1ES3_PiS7_iN6hipcub16HIPCUB_304000_NS6detail34convert_binary_result_type_wrapperINS9_3SumENS9_22TransformInputIteratorIbN2at6native12_GLOBAL__N_19NonZeroOpIN3c107complexIdEEEEPKSK_lEEiEEEE10hipError_tPvRmT1_T2_T3_mT4_P12ihipStream_tbEUlT_E1_NS1_11comp_targetILNS1_3genE0ELNS1_11target_archE4294967295ELNS1_3gpuE0ELNS1_3repE0EEENS1_30default_config_static_selectorELNS0_4arch9wavefront6targetE0EEEvST_.numbered_sgpr, 0
	.set _ZN7rocprim17ROCPRIM_400000_NS6detail17trampoline_kernelINS0_14default_configENS1_22reduce_config_selectorIiEEZNS1_11reduce_implILb1ES3_PiS7_iN6hipcub16HIPCUB_304000_NS6detail34convert_binary_result_type_wrapperINS9_3SumENS9_22TransformInputIteratorIbN2at6native12_GLOBAL__N_19NonZeroOpIN3c107complexIdEEEEPKSK_lEEiEEEE10hipError_tPvRmT1_T2_T3_mT4_P12ihipStream_tbEUlT_E1_NS1_11comp_targetILNS1_3genE0ELNS1_11target_archE4294967295ELNS1_3gpuE0ELNS1_3repE0EEENS1_30default_config_static_selectorELNS0_4arch9wavefront6targetE0EEEvST_.num_named_barrier, 0
	.set _ZN7rocprim17ROCPRIM_400000_NS6detail17trampoline_kernelINS0_14default_configENS1_22reduce_config_selectorIiEEZNS1_11reduce_implILb1ES3_PiS7_iN6hipcub16HIPCUB_304000_NS6detail34convert_binary_result_type_wrapperINS9_3SumENS9_22TransformInputIteratorIbN2at6native12_GLOBAL__N_19NonZeroOpIN3c107complexIdEEEEPKSK_lEEiEEEE10hipError_tPvRmT1_T2_T3_mT4_P12ihipStream_tbEUlT_E1_NS1_11comp_targetILNS1_3genE0ELNS1_11target_archE4294967295ELNS1_3gpuE0ELNS1_3repE0EEENS1_30default_config_static_selectorELNS0_4arch9wavefront6targetE0EEEvST_.private_seg_size, 0
	.set _ZN7rocprim17ROCPRIM_400000_NS6detail17trampoline_kernelINS0_14default_configENS1_22reduce_config_selectorIiEEZNS1_11reduce_implILb1ES3_PiS7_iN6hipcub16HIPCUB_304000_NS6detail34convert_binary_result_type_wrapperINS9_3SumENS9_22TransformInputIteratorIbN2at6native12_GLOBAL__N_19NonZeroOpIN3c107complexIdEEEEPKSK_lEEiEEEE10hipError_tPvRmT1_T2_T3_mT4_P12ihipStream_tbEUlT_E1_NS1_11comp_targetILNS1_3genE0ELNS1_11target_archE4294967295ELNS1_3gpuE0ELNS1_3repE0EEENS1_30default_config_static_selectorELNS0_4arch9wavefront6targetE0EEEvST_.uses_vcc, 0
	.set _ZN7rocprim17ROCPRIM_400000_NS6detail17trampoline_kernelINS0_14default_configENS1_22reduce_config_selectorIiEEZNS1_11reduce_implILb1ES3_PiS7_iN6hipcub16HIPCUB_304000_NS6detail34convert_binary_result_type_wrapperINS9_3SumENS9_22TransformInputIteratorIbN2at6native12_GLOBAL__N_19NonZeroOpIN3c107complexIdEEEEPKSK_lEEiEEEE10hipError_tPvRmT1_T2_T3_mT4_P12ihipStream_tbEUlT_E1_NS1_11comp_targetILNS1_3genE0ELNS1_11target_archE4294967295ELNS1_3gpuE0ELNS1_3repE0EEENS1_30default_config_static_selectorELNS0_4arch9wavefront6targetE0EEEvST_.uses_flat_scratch, 0
	.set _ZN7rocprim17ROCPRIM_400000_NS6detail17trampoline_kernelINS0_14default_configENS1_22reduce_config_selectorIiEEZNS1_11reduce_implILb1ES3_PiS7_iN6hipcub16HIPCUB_304000_NS6detail34convert_binary_result_type_wrapperINS9_3SumENS9_22TransformInputIteratorIbN2at6native12_GLOBAL__N_19NonZeroOpIN3c107complexIdEEEEPKSK_lEEiEEEE10hipError_tPvRmT1_T2_T3_mT4_P12ihipStream_tbEUlT_E1_NS1_11comp_targetILNS1_3genE0ELNS1_11target_archE4294967295ELNS1_3gpuE0ELNS1_3repE0EEENS1_30default_config_static_selectorELNS0_4arch9wavefront6targetE0EEEvST_.has_dyn_sized_stack, 0
	.set _ZN7rocprim17ROCPRIM_400000_NS6detail17trampoline_kernelINS0_14default_configENS1_22reduce_config_selectorIiEEZNS1_11reduce_implILb1ES3_PiS7_iN6hipcub16HIPCUB_304000_NS6detail34convert_binary_result_type_wrapperINS9_3SumENS9_22TransformInputIteratorIbN2at6native12_GLOBAL__N_19NonZeroOpIN3c107complexIdEEEEPKSK_lEEiEEEE10hipError_tPvRmT1_T2_T3_mT4_P12ihipStream_tbEUlT_E1_NS1_11comp_targetILNS1_3genE0ELNS1_11target_archE4294967295ELNS1_3gpuE0ELNS1_3repE0EEENS1_30default_config_static_selectorELNS0_4arch9wavefront6targetE0EEEvST_.has_recursion, 0
	.set _ZN7rocprim17ROCPRIM_400000_NS6detail17trampoline_kernelINS0_14default_configENS1_22reduce_config_selectorIiEEZNS1_11reduce_implILb1ES3_PiS7_iN6hipcub16HIPCUB_304000_NS6detail34convert_binary_result_type_wrapperINS9_3SumENS9_22TransformInputIteratorIbN2at6native12_GLOBAL__N_19NonZeroOpIN3c107complexIdEEEEPKSK_lEEiEEEE10hipError_tPvRmT1_T2_T3_mT4_P12ihipStream_tbEUlT_E1_NS1_11comp_targetILNS1_3genE0ELNS1_11target_archE4294967295ELNS1_3gpuE0ELNS1_3repE0EEENS1_30default_config_static_selectorELNS0_4arch9wavefront6targetE0EEEvST_.has_indirect_call, 0
	.section	.AMDGPU.csdata,"",@progbits
; Kernel info:
; codeLenInByte = 0
; TotalNumSgprs: 0
; NumVgprs: 0
; ScratchSize: 0
; MemoryBound: 0
; FloatMode: 240
; IeeeMode: 1
; LDSByteSize: 0 bytes/workgroup (compile time only)
; SGPRBlocks: 0
; VGPRBlocks: 0
; NumSGPRsForWavesPerEU: 1
; NumVGPRsForWavesPerEU: 1
; Occupancy: 16
; WaveLimiterHint : 0
; COMPUTE_PGM_RSRC2:SCRATCH_EN: 0
; COMPUTE_PGM_RSRC2:USER_SGPR: 2
; COMPUTE_PGM_RSRC2:TRAP_HANDLER: 0
; COMPUTE_PGM_RSRC2:TGID_X_EN: 1
; COMPUTE_PGM_RSRC2:TGID_Y_EN: 0
; COMPUTE_PGM_RSRC2:TGID_Z_EN: 0
; COMPUTE_PGM_RSRC2:TIDIG_COMP_CNT: 0
	.section	.text._ZN7rocprim17ROCPRIM_400000_NS6detail17trampoline_kernelINS0_14default_configENS1_22reduce_config_selectorIiEEZNS1_11reduce_implILb1ES3_PiS7_iN6hipcub16HIPCUB_304000_NS6detail34convert_binary_result_type_wrapperINS9_3SumENS9_22TransformInputIteratorIbN2at6native12_GLOBAL__N_19NonZeroOpIN3c107complexIdEEEEPKSK_lEEiEEEE10hipError_tPvRmT1_T2_T3_mT4_P12ihipStream_tbEUlT_E1_NS1_11comp_targetILNS1_3genE5ELNS1_11target_archE942ELNS1_3gpuE9ELNS1_3repE0EEENS1_30default_config_static_selectorELNS0_4arch9wavefront6targetE0EEEvST_,"axG",@progbits,_ZN7rocprim17ROCPRIM_400000_NS6detail17trampoline_kernelINS0_14default_configENS1_22reduce_config_selectorIiEEZNS1_11reduce_implILb1ES3_PiS7_iN6hipcub16HIPCUB_304000_NS6detail34convert_binary_result_type_wrapperINS9_3SumENS9_22TransformInputIteratorIbN2at6native12_GLOBAL__N_19NonZeroOpIN3c107complexIdEEEEPKSK_lEEiEEEE10hipError_tPvRmT1_T2_T3_mT4_P12ihipStream_tbEUlT_E1_NS1_11comp_targetILNS1_3genE5ELNS1_11target_archE942ELNS1_3gpuE9ELNS1_3repE0EEENS1_30default_config_static_selectorELNS0_4arch9wavefront6targetE0EEEvST_,comdat
	.globl	_ZN7rocprim17ROCPRIM_400000_NS6detail17trampoline_kernelINS0_14default_configENS1_22reduce_config_selectorIiEEZNS1_11reduce_implILb1ES3_PiS7_iN6hipcub16HIPCUB_304000_NS6detail34convert_binary_result_type_wrapperINS9_3SumENS9_22TransformInputIteratorIbN2at6native12_GLOBAL__N_19NonZeroOpIN3c107complexIdEEEEPKSK_lEEiEEEE10hipError_tPvRmT1_T2_T3_mT4_P12ihipStream_tbEUlT_E1_NS1_11comp_targetILNS1_3genE5ELNS1_11target_archE942ELNS1_3gpuE9ELNS1_3repE0EEENS1_30default_config_static_selectorELNS0_4arch9wavefront6targetE0EEEvST_ ; -- Begin function _ZN7rocprim17ROCPRIM_400000_NS6detail17trampoline_kernelINS0_14default_configENS1_22reduce_config_selectorIiEEZNS1_11reduce_implILb1ES3_PiS7_iN6hipcub16HIPCUB_304000_NS6detail34convert_binary_result_type_wrapperINS9_3SumENS9_22TransformInputIteratorIbN2at6native12_GLOBAL__N_19NonZeroOpIN3c107complexIdEEEEPKSK_lEEiEEEE10hipError_tPvRmT1_T2_T3_mT4_P12ihipStream_tbEUlT_E1_NS1_11comp_targetILNS1_3genE5ELNS1_11target_archE942ELNS1_3gpuE9ELNS1_3repE0EEENS1_30default_config_static_selectorELNS0_4arch9wavefront6targetE0EEEvST_
	.p2align	8
	.type	_ZN7rocprim17ROCPRIM_400000_NS6detail17trampoline_kernelINS0_14default_configENS1_22reduce_config_selectorIiEEZNS1_11reduce_implILb1ES3_PiS7_iN6hipcub16HIPCUB_304000_NS6detail34convert_binary_result_type_wrapperINS9_3SumENS9_22TransformInputIteratorIbN2at6native12_GLOBAL__N_19NonZeroOpIN3c107complexIdEEEEPKSK_lEEiEEEE10hipError_tPvRmT1_T2_T3_mT4_P12ihipStream_tbEUlT_E1_NS1_11comp_targetILNS1_3genE5ELNS1_11target_archE942ELNS1_3gpuE9ELNS1_3repE0EEENS1_30default_config_static_selectorELNS0_4arch9wavefront6targetE0EEEvST_,@function
_ZN7rocprim17ROCPRIM_400000_NS6detail17trampoline_kernelINS0_14default_configENS1_22reduce_config_selectorIiEEZNS1_11reduce_implILb1ES3_PiS7_iN6hipcub16HIPCUB_304000_NS6detail34convert_binary_result_type_wrapperINS9_3SumENS9_22TransformInputIteratorIbN2at6native12_GLOBAL__N_19NonZeroOpIN3c107complexIdEEEEPKSK_lEEiEEEE10hipError_tPvRmT1_T2_T3_mT4_P12ihipStream_tbEUlT_E1_NS1_11comp_targetILNS1_3genE5ELNS1_11target_archE942ELNS1_3gpuE9ELNS1_3repE0EEENS1_30default_config_static_selectorELNS0_4arch9wavefront6targetE0EEEvST_: ; @_ZN7rocprim17ROCPRIM_400000_NS6detail17trampoline_kernelINS0_14default_configENS1_22reduce_config_selectorIiEEZNS1_11reduce_implILb1ES3_PiS7_iN6hipcub16HIPCUB_304000_NS6detail34convert_binary_result_type_wrapperINS9_3SumENS9_22TransformInputIteratorIbN2at6native12_GLOBAL__N_19NonZeroOpIN3c107complexIdEEEEPKSK_lEEiEEEE10hipError_tPvRmT1_T2_T3_mT4_P12ihipStream_tbEUlT_E1_NS1_11comp_targetILNS1_3genE5ELNS1_11target_archE942ELNS1_3gpuE9ELNS1_3repE0EEENS1_30default_config_static_selectorELNS0_4arch9wavefront6targetE0EEEvST_
; %bb.0:
	.section	.rodata,"a",@progbits
	.p2align	6, 0x0
	.amdhsa_kernel _ZN7rocprim17ROCPRIM_400000_NS6detail17trampoline_kernelINS0_14default_configENS1_22reduce_config_selectorIiEEZNS1_11reduce_implILb1ES3_PiS7_iN6hipcub16HIPCUB_304000_NS6detail34convert_binary_result_type_wrapperINS9_3SumENS9_22TransformInputIteratorIbN2at6native12_GLOBAL__N_19NonZeroOpIN3c107complexIdEEEEPKSK_lEEiEEEE10hipError_tPvRmT1_T2_T3_mT4_P12ihipStream_tbEUlT_E1_NS1_11comp_targetILNS1_3genE5ELNS1_11target_archE942ELNS1_3gpuE9ELNS1_3repE0EEENS1_30default_config_static_selectorELNS0_4arch9wavefront6targetE0EEEvST_
		.amdhsa_group_segment_fixed_size 0
		.amdhsa_private_segment_fixed_size 0
		.amdhsa_kernarg_size 40
		.amdhsa_user_sgpr_count 2
		.amdhsa_user_sgpr_dispatch_ptr 0
		.amdhsa_user_sgpr_queue_ptr 0
		.amdhsa_user_sgpr_kernarg_segment_ptr 1
		.amdhsa_user_sgpr_dispatch_id 0
		.amdhsa_user_sgpr_private_segment_size 0
		.amdhsa_wavefront_size32 1
		.amdhsa_uses_dynamic_stack 0
		.amdhsa_enable_private_segment 0
		.amdhsa_system_sgpr_workgroup_id_x 1
		.amdhsa_system_sgpr_workgroup_id_y 0
		.amdhsa_system_sgpr_workgroup_id_z 0
		.amdhsa_system_sgpr_workgroup_info 0
		.amdhsa_system_vgpr_workitem_id 0
		.amdhsa_next_free_vgpr 1
		.amdhsa_next_free_sgpr 1
		.amdhsa_reserve_vcc 0
		.amdhsa_float_round_mode_32 0
		.amdhsa_float_round_mode_16_64 0
		.amdhsa_float_denorm_mode_32 3
		.amdhsa_float_denorm_mode_16_64 3
		.amdhsa_fp16_overflow 0
		.amdhsa_workgroup_processor_mode 1
		.amdhsa_memory_ordered 1
		.amdhsa_forward_progress 1
		.amdhsa_inst_pref_size 0
		.amdhsa_round_robin_scheduling 0
		.amdhsa_exception_fp_ieee_invalid_op 0
		.amdhsa_exception_fp_denorm_src 0
		.amdhsa_exception_fp_ieee_div_zero 0
		.amdhsa_exception_fp_ieee_overflow 0
		.amdhsa_exception_fp_ieee_underflow 0
		.amdhsa_exception_fp_ieee_inexact 0
		.amdhsa_exception_int_div_zero 0
	.end_amdhsa_kernel
	.section	.text._ZN7rocprim17ROCPRIM_400000_NS6detail17trampoline_kernelINS0_14default_configENS1_22reduce_config_selectorIiEEZNS1_11reduce_implILb1ES3_PiS7_iN6hipcub16HIPCUB_304000_NS6detail34convert_binary_result_type_wrapperINS9_3SumENS9_22TransformInputIteratorIbN2at6native12_GLOBAL__N_19NonZeroOpIN3c107complexIdEEEEPKSK_lEEiEEEE10hipError_tPvRmT1_T2_T3_mT4_P12ihipStream_tbEUlT_E1_NS1_11comp_targetILNS1_3genE5ELNS1_11target_archE942ELNS1_3gpuE9ELNS1_3repE0EEENS1_30default_config_static_selectorELNS0_4arch9wavefront6targetE0EEEvST_,"axG",@progbits,_ZN7rocprim17ROCPRIM_400000_NS6detail17trampoline_kernelINS0_14default_configENS1_22reduce_config_selectorIiEEZNS1_11reduce_implILb1ES3_PiS7_iN6hipcub16HIPCUB_304000_NS6detail34convert_binary_result_type_wrapperINS9_3SumENS9_22TransformInputIteratorIbN2at6native12_GLOBAL__N_19NonZeroOpIN3c107complexIdEEEEPKSK_lEEiEEEE10hipError_tPvRmT1_T2_T3_mT4_P12ihipStream_tbEUlT_E1_NS1_11comp_targetILNS1_3genE5ELNS1_11target_archE942ELNS1_3gpuE9ELNS1_3repE0EEENS1_30default_config_static_selectorELNS0_4arch9wavefront6targetE0EEEvST_,comdat
.Lfunc_end500:
	.size	_ZN7rocprim17ROCPRIM_400000_NS6detail17trampoline_kernelINS0_14default_configENS1_22reduce_config_selectorIiEEZNS1_11reduce_implILb1ES3_PiS7_iN6hipcub16HIPCUB_304000_NS6detail34convert_binary_result_type_wrapperINS9_3SumENS9_22TransformInputIteratorIbN2at6native12_GLOBAL__N_19NonZeroOpIN3c107complexIdEEEEPKSK_lEEiEEEE10hipError_tPvRmT1_T2_T3_mT4_P12ihipStream_tbEUlT_E1_NS1_11comp_targetILNS1_3genE5ELNS1_11target_archE942ELNS1_3gpuE9ELNS1_3repE0EEENS1_30default_config_static_selectorELNS0_4arch9wavefront6targetE0EEEvST_, .Lfunc_end500-_ZN7rocprim17ROCPRIM_400000_NS6detail17trampoline_kernelINS0_14default_configENS1_22reduce_config_selectorIiEEZNS1_11reduce_implILb1ES3_PiS7_iN6hipcub16HIPCUB_304000_NS6detail34convert_binary_result_type_wrapperINS9_3SumENS9_22TransformInputIteratorIbN2at6native12_GLOBAL__N_19NonZeroOpIN3c107complexIdEEEEPKSK_lEEiEEEE10hipError_tPvRmT1_T2_T3_mT4_P12ihipStream_tbEUlT_E1_NS1_11comp_targetILNS1_3genE5ELNS1_11target_archE942ELNS1_3gpuE9ELNS1_3repE0EEENS1_30default_config_static_selectorELNS0_4arch9wavefront6targetE0EEEvST_
                                        ; -- End function
	.set _ZN7rocprim17ROCPRIM_400000_NS6detail17trampoline_kernelINS0_14default_configENS1_22reduce_config_selectorIiEEZNS1_11reduce_implILb1ES3_PiS7_iN6hipcub16HIPCUB_304000_NS6detail34convert_binary_result_type_wrapperINS9_3SumENS9_22TransformInputIteratorIbN2at6native12_GLOBAL__N_19NonZeroOpIN3c107complexIdEEEEPKSK_lEEiEEEE10hipError_tPvRmT1_T2_T3_mT4_P12ihipStream_tbEUlT_E1_NS1_11comp_targetILNS1_3genE5ELNS1_11target_archE942ELNS1_3gpuE9ELNS1_3repE0EEENS1_30default_config_static_selectorELNS0_4arch9wavefront6targetE0EEEvST_.num_vgpr, 0
	.set _ZN7rocprim17ROCPRIM_400000_NS6detail17trampoline_kernelINS0_14default_configENS1_22reduce_config_selectorIiEEZNS1_11reduce_implILb1ES3_PiS7_iN6hipcub16HIPCUB_304000_NS6detail34convert_binary_result_type_wrapperINS9_3SumENS9_22TransformInputIteratorIbN2at6native12_GLOBAL__N_19NonZeroOpIN3c107complexIdEEEEPKSK_lEEiEEEE10hipError_tPvRmT1_T2_T3_mT4_P12ihipStream_tbEUlT_E1_NS1_11comp_targetILNS1_3genE5ELNS1_11target_archE942ELNS1_3gpuE9ELNS1_3repE0EEENS1_30default_config_static_selectorELNS0_4arch9wavefront6targetE0EEEvST_.num_agpr, 0
	.set _ZN7rocprim17ROCPRIM_400000_NS6detail17trampoline_kernelINS0_14default_configENS1_22reduce_config_selectorIiEEZNS1_11reduce_implILb1ES3_PiS7_iN6hipcub16HIPCUB_304000_NS6detail34convert_binary_result_type_wrapperINS9_3SumENS9_22TransformInputIteratorIbN2at6native12_GLOBAL__N_19NonZeroOpIN3c107complexIdEEEEPKSK_lEEiEEEE10hipError_tPvRmT1_T2_T3_mT4_P12ihipStream_tbEUlT_E1_NS1_11comp_targetILNS1_3genE5ELNS1_11target_archE942ELNS1_3gpuE9ELNS1_3repE0EEENS1_30default_config_static_selectorELNS0_4arch9wavefront6targetE0EEEvST_.numbered_sgpr, 0
	.set _ZN7rocprim17ROCPRIM_400000_NS6detail17trampoline_kernelINS0_14default_configENS1_22reduce_config_selectorIiEEZNS1_11reduce_implILb1ES3_PiS7_iN6hipcub16HIPCUB_304000_NS6detail34convert_binary_result_type_wrapperINS9_3SumENS9_22TransformInputIteratorIbN2at6native12_GLOBAL__N_19NonZeroOpIN3c107complexIdEEEEPKSK_lEEiEEEE10hipError_tPvRmT1_T2_T3_mT4_P12ihipStream_tbEUlT_E1_NS1_11comp_targetILNS1_3genE5ELNS1_11target_archE942ELNS1_3gpuE9ELNS1_3repE0EEENS1_30default_config_static_selectorELNS0_4arch9wavefront6targetE0EEEvST_.num_named_barrier, 0
	.set _ZN7rocprim17ROCPRIM_400000_NS6detail17trampoline_kernelINS0_14default_configENS1_22reduce_config_selectorIiEEZNS1_11reduce_implILb1ES3_PiS7_iN6hipcub16HIPCUB_304000_NS6detail34convert_binary_result_type_wrapperINS9_3SumENS9_22TransformInputIteratorIbN2at6native12_GLOBAL__N_19NonZeroOpIN3c107complexIdEEEEPKSK_lEEiEEEE10hipError_tPvRmT1_T2_T3_mT4_P12ihipStream_tbEUlT_E1_NS1_11comp_targetILNS1_3genE5ELNS1_11target_archE942ELNS1_3gpuE9ELNS1_3repE0EEENS1_30default_config_static_selectorELNS0_4arch9wavefront6targetE0EEEvST_.private_seg_size, 0
	.set _ZN7rocprim17ROCPRIM_400000_NS6detail17trampoline_kernelINS0_14default_configENS1_22reduce_config_selectorIiEEZNS1_11reduce_implILb1ES3_PiS7_iN6hipcub16HIPCUB_304000_NS6detail34convert_binary_result_type_wrapperINS9_3SumENS9_22TransformInputIteratorIbN2at6native12_GLOBAL__N_19NonZeroOpIN3c107complexIdEEEEPKSK_lEEiEEEE10hipError_tPvRmT1_T2_T3_mT4_P12ihipStream_tbEUlT_E1_NS1_11comp_targetILNS1_3genE5ELNS1_11target_archE942ELNS1_3gpuE9ELNS1_3repE0EEENS1_30default_config_static_selectorELNS0_4arch9wavefront6targetE0EEEvST_.uses_vcc, 0
	.set _ZN7rocprim17ROCPRIM_400000_NS6detail17trampoline_kernelINS0_14default_configENS1_22reduce_config_selectorIiEEZNS1_11reduce_implILb1ES3_PiS7_iN6hipcub16HIPCUB_304000_NS6detail34convert_binary_result_type_wrapperINS9_3SumENS9_22TransformInputIteratorIbN2at6native12_GLOBAL__N_19NonZeroOpIN3c107complexIdEEEEPKSK_lEEiEEEE10hipError_tPvRmT1_T2_T3_mT4_P12ihipStream_tbEUlT_E1_NS1_11comp_targetILNS1_3genE5ELNS1_11target_archE942ELNS1_3gpuE9ELNS1_3repE0EEENS1_30default_config_static_selectorELNS0_4arch9wavefront6targetE0EEEvST_.uses_flat_scratch, 0
	.set _ZN7rocprim17ROCPRIM_400000_NS6detail17trampoline_kernelINS0_14default_configENS1_22reduce_config_selectorIiEEZNS1_11reduce_implILb1ES3_PiS7_iN6hipcub16HIPCUB_304000_NS6detail34convert_binary_result_type_wrapperINS9_3SumENS9_22TransformInputIteratorIbN2at6native12_GLOBAL__N_19NonZeroOpIN3c107complexIdEEEEPKSK_lEEiEEEE10hipError_tPvRmT1_T2_T3_mT4_P12ihipStream_tbEUlT_E1_NS1_11comp_targetILNS1_3genE5ELNS1_11target_archE942ELNS1_3gpuE9ELNS1_3repE0EEENS1_30default_config_static_selectorELNS0_4arch9wavefront6targetE0EEEvST_.has_dyn_sized_stack, 0
	.set _ZN7rocprim17ROCPRIM_400000_NS6detail17trampoline_kernelINS0_14default_configENS1_22reduce_config_selectorIiEEZNS1_11reduce_implILb1ES3_PiS7_iN6hipcub16HIPCUB_304000_NS6detail34convert_binary_result_type_wrapperINS9_3SumENS9_22TransformInputIteratorIbN2at6native12_GLOBAL__N_19NonZeroOpIN3c107complexIdEEEEPKSK_lEEiEEEE10hipError_tPvRmT1_T2_T3_mT4_P12ihipStream_tbEUlT_E1_NS1_11comp_targetILNS1_3genE5ELNS1_11target_archE942ELNS1_3gpuE9ELNS1_3repE0EEENS1_30default_config_static_selectorELNS0_4arch9wavefront6targetE0EEEvST_.has_recursion, 0
	.set _ZN7rocprim17ROCPRIM_400000_NS6detail17trampoline_kernelINS0_14default_configENS1_22reduce_config_selectorIiEEZNS1_11reduce_implILb1ES3_PiS7_iN6hipcub16HIPCUB_304000_NS6detail34convert_binary_result_type_wrapperINS9_3SumENS9_22TransformInputIteratorIbN2at6native12_GLOBAL__N_19NonZeroOpIN3c107complexIdEEEEPKSK_lEEiEEEE10hipError_tPvRmT1_T2_T3_mT4_P12ihipStream_tbEUlT_E1_NS1_11comp_targetILNS1_3genE5ELNS1_11target_archE942ELNS1_3gpuE9ELNS1_3repE0EEENS1_30default_config_static_selectorELNS0_4arch9wavefront6targetE0EEEvST_.has_indirect_call, 0
	.section	.AMDGPU.csdata,"",@progbits
; Kernel info:
; codeLenInByte = 0
; TotalNumSgprs: 0
; NumVgprs: 0
; ScratchSize: 0
; MemoryBound: 0
; FloatMode: 240
; IeeeMode: 1
; LDSByteSize: 0 bytes/workgroup (compile time only)
; SGPRBlocks: 0
; VGPRBlocks: 0
; NumSGPRsForWavesPerEU: 1
; NumVGPRsForWavesPerEU: 1
; Occupancy: 16
; WaveLimiterHint : 0
; COMPUTE_PGM_RSRC2:SCRATCH_EN: 0
; COMPUTE_PGM_RSRC2:USER_SGPR: 2
; COMPUTE_PGM_RSRC2:TRAP_HANDLER: 0
; COMPUTE_PGM_RSRC2:TGID_X_EN: 1
; COMPUTE_PGM_RSRC2:TGID_Y_EN: 0
; COMPUTE_PGM_RSRC2:TGID_Z_EN: 0
; COMPUTE_PGM_RSRC2:TIDIG_COMP_CNT: 0
	.section	.text._ZN7rocprim17ROCPRIM_400000_NS6detail17trampoline_kernelINS0_14default_configENS1_22reduce_config_selectorIiEEZNS1_11reduce_implILb1ES3_PiS7_iN6hipcub16HIPCUB_304000_NS6detail34convert_binary_result_type_wrapperINS9_3SumENS9_22TransformInputIteratorIbN2at6native12_GLOBAL__N_19NonZeroOpIN3c107complexIdEEEEPKSK_lEEiEEEE10hipError_tPvRmT1_T2_T3_mT4_P12ihipStream_tbEUlT_E1_NS1_11comp_targetILNS1_3genE4ELNS1_11target_archE910ELNS1_3gpuE8ELNS1_3repE0EEENS1_30default_config_static_selectorELNS0_4arch9wavefront6targetE0EEEvST_,"axG",@progbits,_ZN7rocprim17ROCPRIM_400000_NS6detail17trampoline_kernelINS0_14default_configENS1_22reduce_config_selectorIiEEZNS1_11reduce_implILb1ES3_PiS7_iN6hipcub16HIPCUB_304000_NS6detail34convert_binary_result_type_wrapperINS9_3SumENS9_22TransformInputIteratorIbN2at6native12_GLOBAL__N_19NonZeroOpIN3c107complexIdEEEEPKSK_lEEiEEEE10hipError_tPvRmT1_T2_T3_mT4_P12ihipStream_tbEUlT_E1_NS1_11comp_targetILNS1_3genE4ELNS1_11target_archE910ELNS1_3gpuE8ELNS1_3repE0EEENS1_30default_config_static_selectorELNS0_4arch9wavefront6targetE0EEEvST_,comdat
	.globl	_ZN7rocprim17ROCPRIM_400000_NS6detail17trampoline_kernelINS0_14default_configENS1_22reduce_config_selectorIiEEZNS1_11reduce_implILb1ES3_PiS7_iN6hipcub16HIPCUB_304000_NS6detail34convert_binary_result_type_wrapperINS9_3SumENS9_22TransformInputIteratorIbN2at6native12_GLOBAL__N_19NonZeroOpIN3c107complexIdEEEEPKSK_lEEiEEEE10hipError_tPvRmT1_T2_T3_mT4_P12ihipStream_tbEUlT_E1_NS1_11comp_targetILNS1_3genE4ELNS1_11target_archE910ELNS1_3gpuE8ELNS1_3repE0EEENS1_30default_config_static_selectorELNS0_4arch9wavefront6targetE0EEEvST_ ; -- Begin function _ZN7rocprim17ROCPRIM_400000_NS6detail17trampoline_kernelINS0_14default_configENS1_22reduce_config_selectorIiEEZNS1_11reduce_implILb1ES3_PiS7_iN6hipcub16HIPCUB_304000_NS6detail34convert_binary_result_type_wrapperINS9_3SumENS9_22TransformInputIteratorIbN2at6native12_GLOBAL__N_19NonZeroOpIN3c107complexIdEEEEPKSK_lEEiEEEE10hipError_tPvRmT1_T2_T3_mT4_P12ihipStream_tbEUlT_E1_NS1_11comp_targetILNS1_3genE4ELNS1_11target_archE910ELNS1_3gpuE8ELNS1_3repE0EEENS1_30default_config_static_selectorELNS0_4arch9wavefront6targetE0EEEvST_
	.p2align	8
	.type	_ZN7rocprim17ROCPRIM_400000_NS6detail17trampoline_kernelINS0_14default_configENS1_22reduce_config_selectorIiEEZNS1_11reduce_implILb1ES3_PiS7_iN6hipcub16HIPCUB_304000_NS6detail34convert_binary_result_type_wrapperINS9_3SumENS9_22TransformInputIteratorIbN2at6native12_GLOBAL__N_19NonZeroOpIN3c107complexIdEEEEPKSK_lEEiEEEE10hipError_tPvRmT1_T2_T3_mT4_P12ihipStream_tbEUlT_E1_NS1_11comp_targetILNS1_3genE4ELNS1_11target_archE910ELNS1_3gpuE8ELNS1_3repE0EEENS1_30default_config_static_selectorELNS0_4arch9wavefront6targetE0EEEvST_,@function
_ZN7rocprim17ROCPRIM_400000_NS6detail17trampoline_kernelINS0_14default_configENS1_22reduce_config_selectorIiEEZNS1_11reduce_implILb1ES3_PiS7_iN6hipcub16HIPCUB_304000_NS6detail34convert_binary_result_type_wrapperINS9_3SumENS9_22TransformInputIteratorIbN2at6native12_GLOBAL__N_19NonZeroOpIN3c107complexIdEEEEPKSK_lEEiEEEE10hipError_tPvRmT1_T2_T3_mT4_P12ihipStream_tbEUlT_E1_NS1_11comp_targetILNS1_3genE4ELNS1_11target_archE910ELNS1_3gpuE8ELNS1_3repE0EEENS1_30default_config_static_selectorELNS0_4arch9wavefront6targetE0EEEvST_: ; @_ZN7rocprim17ROCPRIM_400000_NS6detail17trampoline_kernelINS0_14default_configENS1_22reduce_config_selectorIiEEZNS1_11reduce_implILb1ES3_PiS7_iN6hipcub16HIPCUB_304000_NS6detail34convert_binary_result_type_wrapperINS9_3SumENS9_22TransformInputIteratorIbN2at6native12_GLOBAL__N_19NonZeroOpIN3c107complexIdEEEEPKSK_lEEiEEEE10hipError_tPvRmT1_T2_T3_mT4_P12ihipStream_tbEUlT_E1_NS1_11comp_targetILNS1_3genE4ELNS1_11target_archE910ELNS1_3gpuE8ELNS1_3repE0EEENS1_30default_config_static_selectorELNS0_4arch9wavefront6targetE0EEEvST_
; %bb.0:
	.section	.rodata,"a",@progbits
	.p2align	6, 0x0
	.amdhsa_kernel _ZN7rocprim17ROCPRIM_400000_NS6detail17trampoline_kernelINS0_14default_configENS1_22reduce_config_selectorIiEEZNS1_11reduce_implILb1ES3_PiS7_iN6hipcub16HIPCUB_304000_NS6detail34convert_binary_result_type_wrapperINS9_3SumENS9_22TransformInputIteratorIbN2at6native12_GLOBAL__N_19NonZeroOpIN3c107complexIdEEEEPKSK_lEEiEEEE10hipError_tPvRmT1_T2_T3_mT4_P12ihipStream_tbEUlT_E1_NS1_11comp_targetILNS1_3genE4ELNS1_11target_archE910ELNS1_3gpuE8ELNS1_3repE0EEENS1_30default_config_static_selectorELNS0_4arch9wavefront6targetE0EEEvST_
		.amdhsa_group_segment_fixed_size 0
		.amdhsa_private_segment_fixed_size 0
		.amdhsa_kernarg_size 40
		.amdhsa_user_sgpr_count 2
		.amdhsa_user_sgpr_dispatch_ptr 0
		.amdhsa_user_sgpr_queue_ptr 0
		.amdhsa_user_sgpr_kernarg_segment_ptr 1
		.amdhsa_user_sgpr_dispatch_id 0
		.amdhsa_user_sgpr_private_segment_size 0
		.amdhsa_wavefront_size32 1
		.amdhsa_uses_dynamic_stack 0
		.amdhsa_enable_private_segment 0
		.amdhsa_system_sgpr_workgroup_id_x 1
		.amdhsa_system_sgpr_workgroup_id_y 0
		.amdhsa_system_sgpr_workgroup_id_z 0
		.amdhsa_system_sgpr_workgroup_info 0
		.amdhsa_system_vgpr_workitem_id 0
		.amdhsa_next_free_vgpr 1
		.amdhsa_next_free_sgpr 1
		.amdhsa_reserve_vcc 0
		.amdhsa_float_round_mode_32 0
		.amdhsa_float_round_mode_16_64 0
		.amdhsa_float_denorm_mode_32 3
		.amdhsa_float_denorm_mode_16_64 3
		.amdhsa_fp16_overflow 0
		.amdhsa_workgroup_processor_mode 1
		.amdhsa_memory_ordered 1
		.amdhsa_forward_progress 1
		.amdhsa_inst_pref_size 0
		.amdhsa_round_robin_scheduling 0
		.amdhsa_exception_fp_ieee_invalid_op 0
		.amdhsa_exception_fp_denorm_src 0
		.amdhsa_exception_fp_ieee_div_zero 0
		.amdhsa_exception_fp_ieee_overflow 0
		.amdhsa_exception_fp_ieee_underflow 0
		.amdhsa_exception_fp_ieee_inexact 0
		.amdhsa_exception_int_div_zero 0
	.end_amdhsa_kernel
	.section	.text._ZN7rocprim17ROCPRIM_400000_NS6detail17trampoline_kernelINS0_14default_configENS1_22reduce_config_selectorIiEEZNS1_11reduce_implILb1ES3_PiS7_iN6hipcub16HIPCUB_304000_NS6detail34convert_binary_result_type_wrapperINS9_3SumENS9_22TransformInputIteratorIbN2at6native12_GLOBAL__N_19NonZeroOpIN3c107complexIdEEEEPKSK_lEEiEEEE10hipError_tPvRmT1_T2_T3_mT4_P12ihipStream_tbEUlT_E1_NS1_11comp_targetILNS1_3genE4ELNS1_11target_archE910ELNS1_3gpuE8ELNS1_3repE0EEENS1_30default_config_static_selectorELNS0_4arch9wavefront6targetE0EEEvST_,"axG",@progbits,_ZN7rocprim17ROCPRIM_400000_NS6detail17trampoline_kernelINS0_14default_configENS1_22reduce_config_selectorIiEEZNS1_11reduce_implILb1ES3_PiS7_iN6hipcub16HIPCUB_304000_NS6detail34convert_binary_result_type_wrapperINS9_3SumENS9_22TransformInputIteratorIbN2at6native12_GLOBAL__N_19NonZeroOpIN3c107complexIdEEEEPKSK_lEEiEEEE10hipError_tPvRmT1_T2_T3_mT4_P12ihipStream_tbEUlT_E1_NS1_11comp_targetILNS1_3genE4ELNS1_11target_archE910ELNS1_3gpuE8ELNS1_3repE0EEENS1_30default_config_static_selectorELNS0_4arch9wavefront6targetE0EEEvST_,comdat
.Lfunc_end501:
	.size	_ZN7rocprim17ROCPRIM_400000_NS6detail17trampoline_kernelINS0_14default_configENS1_22reduce_config_selectorIiEEZNS1_11reduce_implILb1ES3_PiS7_iN6hipcub16HIPCUB_304000_NS6detail34convert_binary_result_type_wrapperINS9_3SumENS9_22TransformInputIteratorIbN2at6native12_GLOBAL__N_19NonZeroOpIN3c107complexIdEEEEPKSK_lEEiEEEE10hipError_tPvRmT1_T2_T3_mT4_P12ihipStream_tbEUlT_E1_NS1_11comp_targetILNS1_3genE4ELNS1_11target_archE910ELNS1_3gpuE8ELNS1_3repE0EEENS1_30default_config_static_selectorELNS0_4arch9wavefront6targetE0EEEvST_, .Lfunc_end501-_ZN7rocprim17ROCPRIM_400000_NS6detail17trampoline_kernelINS0_14default_configENS1_22reduce_config_selectorIiEEZNS1_11reduce_implILb1ES3_PiS7_iN6hipcub16HIPCUB_304000_NS6detail34convert_binary_result_type_wrapperINS9_3SumENS9_22TransformInputIteratorIbN2at6native12_GLOBAL__N_19NonZeroOpIN3c107complexIdEEEEPKSK_lEEiEEEE10hipError_tPvRmT1_T2_T3_mT4_P12ihipStream_tbEUlT_E1_NS1_11comp_targetILNS1_3genE4ELNS1_11target_archE910ELNS1_3gpuE8ELNS1_3repE0EEENS1_30default_config_static_selectorELNS0_4arch9wavefront6targetE0EEEvST_
                                        ; -- End function
	.set _ZN7rocprim17ROCPRIM_400000_NS6detail17trampoline_kernelINS0_14default_configENS1_22reduce_config_selectorIiEEZNS1_11reduce_implILb1ES3_PiS7_iN6hipcub16HIPCUB_304000_NS6detail34convert_binary_result_type_wrapperINS9_3SumENS9_22TransformInputIteratorIbN2at6native12_GLOBAL__N_19NonZeroOpIN3c107complexIdEEEEPKSK_lEEiEEEE10hipError_tPvRmT1_T2_T3_mT4_P12ihipStream_tbEUlT_E1_NS1_11comp_targetILNS1_3genE4ELNS1_11target_archE910ELNS1_3gpuE8ELNS1_3repE0EEENS1_30default_config_static_selectorELNS0_4arch9wavefront6targetE0EEEvST_.num_vgpr, 0
	.set _ZN7rocprim17ROCPRIM_400000_NS6detail17trampoline_kernelINS0_14default_configENS1_22reduce_config_selectorIiEEZNS1_11reduce_implILb1ES3_PiS7_iN6hipcub16HIPCUB_304000_NS6detail34convert_binary_result_type_wrapperINS9_3SumENS9_22TransformInputIteratorIbN2at6native12_GLOBAL__N_19NonZeroOpIN3c107complexIdEEEEPKSK_lEEiEEEE10hipError_tPvRmT1_T2_T3_mT4_P12ihipStream_tbEUlT_E1_NS1_11comp_targetILNS1_3genE4ELNS1_11target_archE910ELNS1_3gpuE8ELNS1_3repE0EEENS1_30default_config_static_selectorELNS0_4arch9wavefront6targetE0EEEvST_.num_agpr, 0
	.set _ZN7rocprim17ROCPRIM_400000_NS6detail17trampoline_kernelINS0_14default_configENS1_22reduce_config_selectorIiEEZNS1_11reduce_implILb1ES3_PiS7_iN6hipcub16HIPCUB_304000_NS6detail34convert_binary_result_type_wrapperINS9_3SumENS9_22TransformInputIteratorIbN2at6native12_GLOBAL__N_19NonZeroOpIN3c107complexIdEEEEPKSK_lEEiEEEE10hipError_tPvRmT1_T2_T3_mT4_P12ihipStream_tbEUlT_E1_NS1_11comp_targetILNS1_3genE4ELNS1_11target_archE910ELNS1_3gpuE8ELNS1_3repE0EEENS1_30default_config_static_selectorELNS0_4arch9wavefront6targetE0EEEvST_.numbered_sgpr, 0
	.set _ZN7rocprim17ROCPRIM_400000_NS6detail17trampoline_kernelINS0_14default_configENS1_22reduce_config_selectorIiEEZNS1_11reduce_implILb1ES3_PiS7_iN6hipcub16HIPCUB_304000_NS6detail34convert_binary_result_type_wrapperINS9_3SumENS9_22TransformInputIteratorIbN2at6native12_GLOBAL__N_19NonZeroOpIN3c107complexIdEEEEPKSK_lEEiEEEE10hipError_tPvRmT1_T2_T3_mT4_P12ihipStream_tbEUlT_E1_NS1_11comp_targetILNS1_3genE4ELNS1_11target_archE910ELNS1_3gpuE8ELNS1_3repE0EEENS1_30default_config_static_selectorELNS0_4arch9wavefront6targetE0EEEvST_.num_named_barrier, 0
	.set _ZN7rocprim17ROCPRIM_400000_NS6detail17trampoline_kernelINS0_14default_configENS1_22reduce_config_selectorIiEEZNS1_11reduce_implILb1ES3_PiS7_iN6hipcub16HIPCUB_304000_NS6detail34convert_binary_result_type_wrapperINS9_3SumENS9_22TransformInputIteratorIbN2at6native12_GLOBAL__N_19NonZeroOpIN3c107complexIdEEEEPKSK_lEEiEEEE10hipError_tPvRmT1_T2_T3_mT4_P12ihipStream_tbEUlT_E1_NS1_11comp_targetILNS1_3genE4ELNS1_11target_archE910ELNS1_3gpuE8ELNS1_3repE0EEENS1_30default_config_static_selectorELNS0_4arch9wavefront6targetE0EEEvST_.private_seg_size, 0
	.set _ZN7rocprim17ROCPRIM_400000_NS6detail17trampoline_kernelINS0_14default_configENS1_22reduce_config_selectorIiEEZNS1_11reduce_implILb1ES3_PiS7_iN6hipcub16HIPCUB_304000_NS6detail34convert_binary_result_type_wrapperINS9_3SumENS9_22TransformInputIteratorIbN2at6native12_GLOBAL__N_19NonZeroOpIN3c107complexIdEEEEPKSK_lEEiEEEE10hipError_tPvRmT1_T2_T3_mT4_P12ihipStream_tbEUlT_E1_NS1_11comp_targetILNS1_3genE4ELNS1_11target_archE910ELNS1_3gpuE8ELNS1_3repE0EEENS1_30default_config_static_selectorELNS0_4arch9wavefront6targetE0EEEvST_.uses_vcc, 0
	.set _ZN7rocprim17ROCPRIM_400000_NS6detail17trampoline_kernelINS0_14default_configENS1_22reduce_config_selectorIiEEZNS1_11reduce_implILb1ES3_PiS7_iN6hipcub16HIPCUB_304000_NS6detail34convert_binary_result_type_wrapperINS9_3SumENS9_22TransformInputIteratorIbN2at6native12_GLOBAL__N_19NonZeroOpIN3c107complexIdEEEEPKSK_lEEiEEEE10hipError_tPvRmT1_T2_T3_mT4_P12ihipStream_tbEUlT_E1_NS1_11comp_targetILNS1_3genE4ELNS1_11target_archE910ELNS1_3gpuE8ELNS1_3repE0EEENS1_30default_config_static_selectorELNS0_4arch9wavefront6targetE0EEEvST_.uses_flat_scratch, 0
	.set _ZN7rocprim17ROCPRIM_400000_NS6detail17trampoline_kernelINS0_14default_configENS1_22reduce_config_selectorIiEEZNS1_11reduce_implILb1ES3_PiS7_iN6hipcub16HIPCUB_304000_NS6detail34convert_binary_result_type_wrapperINS9_3SumENS9_22TransformInputIteratorIbN2at6native12_GLOBAL__N_19NonZeroOpIN3c107complexIdEEEEPKSK_lEEiEEEE10hipError_tPvRmT1_T2_T3_mT4_P12ihipStream_tbEUlT_E1_NS1_11comp_targetILNS1_3genE4ELNS1_11target_archE910ELNS1_3gpuE8ELNS1_3repE0EEENS1_30default_config_static_selectorELNS0_4arch9wavefront6targetE0EEEvST_.has_dyn_sized_stack, 0
	.set _ZN7rocprim17ROCPRIM_400000_NS6detail17trampoline_kernelINS0_14default_configENS1_22reduce_config_selectorIiEEZNS1_11reduce_implILb1ES3_PiS7_iN6hipcub16HIPCUB_304000_NS6detail34convert_binary_result_type_wrapperINS9_3SumENS9_22TransformInputIteratorIbN2at6native12_GLOBAL__N_19NonZeroOpIN3c107complexIdEEEEPKSK_lEEiEEEE10hipError_tPvRmT1_T2_T3_mT4_P12ihipStream_tbEUlT_E1_NS1_11comp_targetILNS1_3genE4ELNS1_11target_archE910ELNS1_3gpuE8ELNS1_3repE0EEENS1_30default_config_static_selectorELNS0_4arch9wavefront6targetE0EEEvST_.has_recursion, 0
	.set _ZN7rocprim17ROCPRIM_400000_NS6detail17trampoline_kernelINS0_14default_configENS1_22reduce_config_selectorIiEEZNS1_11reduce_implILb1ES3_PiS7_iN6hipcub16HIPCUB_304000_NS6detail34convert_binary_result_type_wrapperINS9_3SumENS9_22TransformInputIteratorIbN2at6native12_GLOBAL__N_19NonZeroOpIN3c107complexIdEEEEPKSK_lEEiEEEE10hipError_tPvRmT1_T2_T3_mT4_P12ihipStream_tbEUlT_E1_NS1_11comp_targetILNS1_3genE4ELNS1_11target_archE910ELNS1_3gpuE8ELNS1_3repE0EEENS1_30default_config_static_selectorELNS0_4arch9wavefront6targetE0EEEvST_.has_indirect_call, 0
	.section	.AMDGPU.csdata,"",@progbits
; Kernel info:
; codeLenInByte = 0
; TotalNumSgprs: 0
; NumVgprs: 0
; ScratchSize: 0
; MemoryBound: 0
; FloatMode: 240
; IeeeMode: 1
; LDSByteSize: 0 bytes/workgroup (compile time only)
; SGPRBlocks: 0
; VGPRBlocks: 0
; NumSGPRsForWavesPerEU: 1
; NumVGPRsForWavesPerEU: 1
; Occupancy: 16
; WaveLimiterHint : 0
; COMPUTE_PGM_RSRC2:SCRATCH_EN: 0
; COMPUTE_PGM_RSRC2:USER_SGPR: 2
; COMPUTE_PGM_RSRC2:TRAP_HANDLER: 0
; COMPUTE_PGM_RSRC2:TGID_X_EN: 1
; COMPUTE_PGM_RSRC2:TGID_Y_EN: 0
; COMPUTE_PGM_RSRC2:TGID_Z_EN: 0
; COMPUTE_PGM_RSRC2:TIDIG_COMP_CNT: 0
	.section	.text._ZN7rocprim17ROCPRIM_400000_NS6detail17trampoline_kernelINS0_14default_configENS1_22reduce_config_selectorIiEEZNS1_11reduce_implILb1ES3_PiS7_iN6hipcub16HIPCUB_304000_NS6detail34convert_binary_result_type_wrapperINS9_3SumENS9_22TransformInputIteratorIbN2at6native12_GLOBAL__N_19NonZeroOpIN3c107complexIdEEEEPKSK_lEEiEEEE10hipError_tPvRmT1_T2_T3_mT4_P12ihipStream_tbEUlT_E1_NS1_11comp_targetILNS1_3genE3ELNS1_11target_archE908ELNS1_3gpuE7ELNS1_3repE0EEENS1_30default_config_static_selectorELNS0_4arch9wavefront6targetE0EEEvST_,"axG",@progbits,_ZN7rocprim17ROCPRIM_400000_NS6detail17trampoline_kernelINS0_14default_configENS1_22reduce_config_selectorIiEEZNS1_11reduce_implILb1ES3_PiS7_iN6hipcub16HIPCUB_304000_NS6detail34convert_binary_result_type_wrapperINS9_3SumENS9_22TransformInputIteratorIbN2at6native12_GLOBAL__N_19NonZeroOpIN3c107complexIdEEEEPKSK_lEEiEEEE10hipError_tPvRmT1_T2_T3_mT4_P12ihipStream_tbEUlT_E1_NS1_11comp_targetILNS1_3genE3ELNS1_11target_archE908ELNS1_3gpuE7ELNS1_3repE0EEENS1_30default_config_static_selectorELNS0_4arch9wavefront6targetE0EEEvST_,comdat
	.globl	_ZN7rocprim17ROCPRIM_400000_NS6detail17trampoline_kernelINS0_14default_configENS1_22reduce_config_selectorIiEEZNS1_11reduce_implILb1ES3_PiS7_iN6hipcub16HIPCUB_304000_NS6detail34convert_binary_result_type_wrapperINS9_3SumENS9_22TransformInputIteratorIbN2at6native12_GLOBAL__N_19NonZeroOpIN3c107complexIdEEEEPKSK_lEEiEEEE10hipError_tPvRmT1_T2_T3_mT4_P12ihipStream_tbEUlT_E1_NS1_11comp_targetILNS1_3genE3ELNS1_11target_archE908ELNS1_3gpuE7ELNS1_3repE0EEENS1_30default_config_static_selectorELNS0_4arch9wavefront6targetE0EEEvST_ ; -- Begin function _ZN7rocprim17ROCPRIM_400000_NS6detail17trampoline_kernelINS0_14default_configENS1_22reduce_config_selectorIiEEZNS1_11reduce_implILb1ES3_PiS7_iN6hipcub16HIPCUB_304000_NS6detail34convert_binary_result_type_wrapperINS9_3SumENS9_22TransformInputIteratorIbN2at6native12_GLOBAL__N_19NonZeroOpIN3c107complexIdEEEEPKSK_lEEiEEEE10hipError_tPvRmT1_T2_T3_mT4_P12ihipStream_tbEUlT_E1_NS1_11comp_targetILNS1_3genE3ELNS1_11target_archE908ELNS1_3gpuE7ELNS1_3repE0EEENS1_30default_config_static_selectorELNS0_4arch9wavefront6targetE0EEEvST_
	.p2align	8
	.type	_ZN7rocprim17ROCPRIM_400000_NS6detail17trampoline_kernelINS0_14default_configENS1_22reduce_config_selectorIiEEZNS1_11reduce_implILb1ES3_PiS7_iN6hipcub16HIPCUB_304000_NS6detail34convert_binary_result_type_wrapperINS9_3SumENS9_22TransformInputIteratorIbN2at6native12_GLOBAL__N_19NonZeroOpIN3c107complexIdEEEEPKSK_lEEiEEEE10hipError_tPvRmT1_T2_T3_mT4_P12ihipStream_tbEUlT_E1_NS1_11comp_targetILNS1_3genE3ELNS1_11target_archE908ELNS1_3gpuE7ELNS1_3repE0EEENS1_30default_config_static_selectorELNS0_4arch9wavefront6targetE0EEEvST_,@function
_ZN7rocprim17ROCPRIM_400000_NS6detail17trampoline_kernelINS0_14default_configENS1_22reduce_config_selectorIiEEZNS1_11reduce_implILb1ES3_PiS7_iN6hipcub16HIPCUB_304000_NS6detail34convert_binary_result_type_wrapperINS9_3SumENS9_22TransformInputIteratorIbN2at6native12_GLOBAL__N_19NonZeroOpIN3c107complexIdEEEEPKSK_lEEiEEEE10hipError_tPvRmT1_T2_T3_mT4_P12ihipStream_tbEUlT_E1_NS1_11comp_targetILNS1_3genE3ELNS1_11target_archE908ELNS1_3gpuE7ELNS1_3repE0EEENS1_30default_config_static_selectorELNS0_4arch9wavefront6targetE0EEEvST_: ; @_ZN7rocprim17ROCPRIM_400000_NS6detail17trampoline_kernelINS0_14default_configENS1_22reduce_config_selectorIiEEZNS1_11reduce_implILb1ES3_PiS7_iN6hipcub16HIPCUB_304000_NS6detail34convert_binary_result_type_wrapperINS9_3SumENS9_22TransformInputIteratorIbN2at6native12_GLOBAL__N_19NonZeroOpIN3c107complexIdEEEEPKSK_lEEiEEEE10hipError_tPvRmT1_T2_T3_mT4_P12ihipStream_tbEUlT_E1_NS1_11comp_targetILNS1_3genE3ELNS1_11target_archE908ELNS1_3gpuE7ELNS1_3repE0EEENS1_30default_config_static_selectorELNS0_4arch9wavefront6targetE0EEEvST_
; %bb.0:
	.section	.rodata,"a",@progbits
	.p2align	6, 0x0
	.amdhsa_kernel _ZN7rocprim17ROCPRIM_400000_NS6detail17trampoline_kernelINS0_14default_configENS1_22reduce_config_selectorIiEEZNS1_11reduce_implILb1ES3_PiS7_iN6hipcub16HIPCUB_304000_NS6detail34convert_binary_result_type_wrapperINS9_3SumENS9_22TransformInputIteratorIbN2at6native12_GLOBAL__N_19NonZeroOpIN3c107complexIdEEEEPKSK_lEEiEEEE10hipError_tPvRmT1_T2_T3_mT4_P12ihipStream_tbEUlT_E1_NS1_11comp_targetILNS1_3genE3ELNS1_11target_archE908ELNS1_3gpuE7ELNS1_3repE0EEENS1_30default_config_static_selectorELNS0_4arch9wavefront6targetE0EEEvST_
		.amdhsa_group_segment_fixed_size 0
		.amdhsa_private_segment_fixed_size 0
		.amdhsa_kernarg_size 40
		.amdhsa_user_sgpr_count 2
		.amdhsa_user_sgpr_dispatch_ptr 0
		.amdhsa_user_sgpr_queue_ptr 0
		.amdhsa_user_sgpr_kernarg_segment_ptr 1
		.amdhsa_user_sgpr_dispatch_id 0
		.amdhsa_user_sgpr_private_segment_size 0
		.amdhsa_wavefront_size32 1
		.amdhsa_uses_dynamic_stack 0
		.amdhsa_enable_private_segment 0
		.amdhsa_system_sgpr_workgroup_id_x 1
		.amdhsa_system_sgpr_workgroup_id_y 0
		.amdhsa_system_sgpr_workgroup_id_z 0
		.amdhsa_system_sgpr_workgroup_info 0
		.amdhsa_system_vgpr_workitem_id 0
		.amdhsa_next_free_vgpr 1
		.amdhsa_next_free_sgpr 1
		.amdhsa_reserve_vcc 0
		.amdhsa_float_round_mode_32 0
		.amdhsa_float_round_mode_16_64 0
		.amdhsa_float_denorm_mode_32 3
		.amdhsa_float_denorm_mode_16_64 3
		.amdhsa_fp16_overflow 0
		.amdhsa_workgroup_processor_mode 1
		.amdhsa_memory_ordered 1
		.amdhsa_forward_progress 1
		.amdhsa_inst_pref_size 0
		.amdhsa_round_robin_scheduling 0
		.amdhsa_exception_fp_ieee_invalid_op 0
		.amdhsa_exception_fp_denorm_src 0
		.amdhsa_exception_fp_ieee_div_zero 0
		.amdhsa_exception_fp_ieee_overflow 0
		.amdhsa_exception_fp_ieee_underflow 0
		.amdhsa_exception_fp_ieee_inexact 0
		.amdhsa_exception_int_div_zero 0
	.end_amdhsa_kernel
	.section	.text._ZN7rocprim17ROCPRIM_400000_NS6detail17trampoline_kernelINS0_14default_configENS1_22reduce_config_selectorIiEEZNS1_11reduce_implILb1ES3_PiS7_iN6hipcub16HIPCUB_304000_NS6detail34convert_binary_result_type_wrapperINS9_3SumENS9_22TransformInputIteratorIbN2at6native12_GLOBAL__N_19NonZeroOpIN3c107complexIdEEEEPKSK_lEEiEEEE10hipError_tPvRmT1_T2_T3_mT4_P12ihipStream_tbEUlT_E1_NS1_11comp_targetILNS1_3genE3ELNS1_11target_archE908ELNS1_3gpuE7ELNS1_3repE0EEENS1_30default_config_static_selectorELNS0_4arch9wavefront6targetE0EEEvST_,"axG",@progbits,_ZN7rocprim17ROCPRIM_400000_NS6detail17trampoline_kernelINS0_14default_configENS1_22reduce_config_selectorIiEEZNS1_11reduce_implILb1ES3_PiS7_iN6hipcub16HIPCUB_304000_NS6detail34convert_binary_result_type_wrapperINS9_3SumENS9_22TransformInputIteratorIbN2at6native12_GLOBAL__N_19NonZeroOpIN3c107complexIdEEEEPKSK_lEEiEEEE10hipError_tPvRmT1_T2_T3_mT4_P12ihipStream_tbEUlT_E1_NS1_11comp_targetILNS1_3genE3ELNS1_11target_archE908ELNS1_3gpuE7ELNS1_3repE0EEENS1_30default_config_static_selectorELNS0_4arch9wavefront6targetE0EEEvST_,comdat
.Lfunc_end502:
	.size	_ZN7rocprim17ROCPRIM_400000_NS6detail17trampoline_kernelINS0_14default_configENS1_22reduce_config_selectorIiEEZNS1_11reduce_implILb1ES3_PiS7_iN6hipcub16HIPCUB_304000_NS6detail34convert_binary_result_type_wrapperINS9_3SumENS9_22TransformInputIteratorIbN2at6native12_GLOBAL__N_19NonZeroOpIN3c107complexIdEEEEPKSK_lEEiEEEE10hipError_tPvRmT1_T2_T3_mT4_P12ihipStream_tbEUlT_E1_NS1_11comp_targetILNS1_3genE3ELNS1_11target_archE908ELNS1_3gpuE7ELNS1_3repE0EEENS1_30default_config_static_selectorELNS0_4arch9wavefront6targetE0EEEvST_, .Lfunc_end502-_ZN7rocprim17ROCPRIM_400000_NS6detail17trampoline_kernelINS0_14default_configENS1_22reduce_config_selectorIiEEZNS1_11reduce_implILb1ES3_PiS7_iN6hipcub16HIPCUB_304000_NS6detail34convert_binary_result_type_wrapperINS9_3SumENS9_22TransformInputIteratorIbN2at6native12_GLOBAL__N_19NonZeroOpIN3c107complexIdEEEEPKSK_lEEiEEEE10hipError_tPvRmT1_T2_T3_mT4_P12ihipStream_tbEUlT_E1_NS1_11comp_targetILNS1_3genE3ELNS1_11target_archE908ELNS1_3gpuE7ELNS1_3repE0EEENS1_30default_config_static_selectorELNS0_4arch9wavefront6targetE0EEEvST_
                                        ; -- End function
	.set _ZN7rocprim17ROCPRIM_400000_NS6detail17trampoline_kernelINS0_14default_configENS1_22reduce_config_selectorIiEEZNS1_11reduce_implILb1ES3_PiS7_iN6hipcub16HIPCUB_304000_NS6detail34convert_binary_result_type_wrapperINS9_3SumENS9_22TransformInputIteratorIbN2at6native12_GLOBAL__N_19NonZeroOpIN3c107complexIdEEEEPKSK_lEEiEEEE10hipError_tPvRmT1_T2_T3_mT4_P12ihipStream_tbEUlT_E1_NS1_11comp_targetILNS1_3genE3ELNS1_11target_archE908ELNS1_3gpuE7ELNS1_3repE0EEENS1_30default_config_static_selectorELNS0_4arch9wavefront6targetE0EEEvST_.num_vgpr, 0
	.set _ZN7rocprim17ROCPRIM_400000_NS6detail17trampoline_kernelINS0_14default_configENS1_22reduce_config_selectorIiEEZNS1_11reduce_implILb1ES3_PiS7_iN6hipcub16HIPCUB_304000_NS6detail34convert_binary_result_type_wrapperINS9_3SumENS9_22TransformInputIteratorIbN2at6native12_GLOBAL__N_19NonZeroOpIN3c107complexIdEEEEPKSK_lEEiEEEE10hipError_tPvRmT1_T2_T3_mT4_P12ihipStream_tbEUlT_E1_NS1_11comp_targetILNS1_3genE3ELNS1_11target_archE908ELNS1_3gpuE7ELNS1_3repE0EEENS1_30default_config_static_selectorELNS0_4arch9wavefront6targetE0EEEvST_.num_agpr, 0
	.set _ZN7rocprim17ROCPRIM_400000_NS6detail17trampoline_kernelINS0_14default_configENS1_22reduce_config_selectorIiEEZNS1_11reduce_implILb1ES3_PiS7_iN6hipcub16HIPCUB_304000_NS6detail34convert_binary_result_type_wrapperINS9_3SumENS9_22TransformInputIteratorIbN2at6native12_GLOBAL__N_19NonZeroOpIN3c107complexIdEEEEPKSK_lEEiEEEE10hipError_tPvRmT1_T2_T3_mT4_P12ihipStream_tbEUlT_E1_NS1_11comp_targetILNS1_3genE3ELNS1_11target_archE908ELNS1_3gpuE7ELNS1_3repE0EEENS1_30default_config_static_selectorELNS0_4arch9wavefront6targetE0EEEvST_.numbered_sgpr, 0
	.set _ZN7rocprim17ROCPRIM_400000_NS6detail17trampoline_kernelINS0_14default_configENS1_22reduce_config_selectorIiEEZNS1_11reduce_implILb1ES3_PiS7_iN6hipcub16HIPCUB_304000_NS6detail34convert_binary_result_type_wrapperINS9_3SumENS9_22TransformInputIteratorIbN2at6native12_GLOBAL__N_19NonZeroOpIN3c107complexIdEEEEPKSK_lEEiEEEE10hipError_tPvRmT1_T2_T3_mT4_P12ihipStream_tbEUlT_E1_NS1_11comp_targetILNS1_3genE3ELNS1_11target_archE908ELNS1_3gpuE7ELNS1_3repE0EEENS1_30default_config_static_selectorELNS0_4arch9wavefront6targetE0EEEvST_.num_named_barrier, 0
	.set _ZN7rocprim17ROCPRIM_400000_NS6detail17trampoline_kernelINS0_14default_configENS1_22reduce_config_selectorIiEEZNS1_11reduce_implILb1ES3_PiS7_iN6hipcub16HIPCUB_304000_NS6detail34convert_binary_result_type_wrapperINS9_3SumENS9_22TransformInputIteratorIbN2at6native12_GLOBAL__N_19NonZeroOpIN3c107complexIdEEEEPKSK_lEEiEEEE10hipError_tPvRmT1_T2_T3_mT4_P12ihipStream_tbEUlT_E1_NS1_11comp_targetILNS1_3genE3ELNS1_11target_archE908ELNS1_3gpuE7ELNS1_3repE0EEENS1_30default_config_static_selectorELNS0_4arch9wavefront6targetE0EEEvST_.private_seg_size, 0
	.set _ZN7rocprim17ROCPRIM_400000_NS6detail17trampoline_kernelINS0_14default_configENS1_22reduce_config_selectorIiEEZNS1_11reduce_implILb1ES3_PiS7_iN6hipcub16HIPCUB_304000_NS6detail34convert_binary_result_type_wrapperINS9_3SumENS9_22TransformInputIteratorIbN2at6native12_GLOBAL__N_19NonZeroOpIN3c107complexIdEEEEPKSK_lEEiEEEE10hipError_tPvRmT1_T2_T3_mT4_P12ihipStream_tbEUlT_E1_NS1_11comp_targetILNS1_3genE3ELNS1_11target_archE908ELNS1_3gpuE7ELNS1_3repE0EEENS1_30default_config_static_selectorELNS0_4arch9wavefront6targetE0EEEvST_.uses_vcc, 0
	.set _ZN7rocprim17ROCPRIM_400000_NS6detail17trampoline_kernelINS0_14default_configENS1_22reduce_config_selectorIiEEZNS1_11reduce_implILb1ES3_PiS7_iN6hipcub16HIPCUB_304000_NS6detail34convert_binary_result_type_wrapperINS9_3SumENS9_22TransformInputIteratorIbN2at6native12_GLOBAL__N_19NonZeroOpIN3c107complexIdEEEEPKSK_lEEiEEEE10hipError_tPvRmT1_T2_T3_mT4_P12ihipStream_tbEUlT_E1_NS1_11comp_targetILNS1_3genE3ELNS1_11target_archE908ELNS1_3gpuE7ELNS1_3repE0EEENS1_30default_config_static_selectorELNS0_4arch9wavefront6targetE0EEEvST_.uses_flat_scratch, 0
	.set _ZN7rocprim17ROCPRIM_400000_NS6detail17trampoline_kernelINS0_14default_configENS1_22reduce_config_selectorIiEEZNS1_11reduce_implILb1ES3_PiS7_iN6hipcub16HIPCUB_304000_NS6detail34convert_binary_result_type_wrapperINS9_3SumENS9_22TransformInputIteratorIbN2at6native12_GLOBAL__N_19NonZeroOpIN3c107complexIdEEEEPKSK_lEEiEEEE10hipError_tPvRmT1_T2_T3_mT4_P12ihipStream_tbEUlT_E1_NS1_11comp_targetILNS1_3genE3ELNS1_11target_archE908ELNS1_3gpuE7ELNS1_3repE0EEENS1_30default_config_static_selectorELNS0_4arch9wavefront6targetE0EEEvST_.has_dyn_sized_stack, 0
	.set _ZN7rocprim17ROCPRIM_400000_NS6detail17trampoline_kernelINS0_14default_configENS1_22reduce_config_selectorIiEEZNS1_11reduce_implILb1ES3_PiS7_iN6hipcub16HIPCUB_304000_NS6detail34convert_binary_result_type_wrapperINS9_3SumENS9_22TransformInputIteratorIbN2at6native12_GLOBAL__N_19NonZeroOpIN3c107complexIdEEEEPKSK_lEEiEEEE10hipError_tPvRmT1_T2_T3_mT4_P12ihipStream_tbEUlT_E1_NS1_11comp_targetILNS1_3genE3ELNS1_11target_archE908ELNS1_3gpuE7ELNS1_3repE0EEENS1_30default_config_static_selectorELNS0_4arch9wavefront6targetE0EEEvST_.has_recursion, 0
	.set _ZN7rocprim17ROCPRIM_400000_NS6detail17trampoline_kernelINS0_14default_configENS1_22reduce_config_selectorIiEEZNS1_11reduce_implILb1ES3_PiS7_iN6hipcub16HIPCUB_304000_NS6detail34convert_binary_result_type_wrapperINS9_3SumENS9_22TransformInputIteratorIbN2at6native12_GLOBAL__N_19NonZeroOpIN3c107complexIdEEEEPKSK_lEEiEEEE10hipError_tPvRmT1_T2_T3_mT4_P12ihipStream_tbEUlT_E1_NS1_11comp_targetILNS1_3genE3ELNS1_11target_archE908ELNS1_3gpuE7ELNS1_3repE0EEENS1_30default_config_static_selectorELNS0_4arch9wavefront6targetE0EEEvST_.has_indirect_call, 0
	.section	.AMDGPU.csdata,"",@progbits
; Kernel info:
; codeLenInByte = 0
; TotalNumSgprs: 0
; NumVgprs: 0
; ScratchSize: 0
; MemoryBound: 0
; FloatMode: 240
; IeeeMode: 1
; LDSByteSize: 0 bytes/workgroup (compile time only)
; SGPRBlocks: 0
; VGPRBlocks: 0
; NumSGPRsForWavesPerEU: 1
; NumVGPRsForWavesPerEU: 1
; Occupancy: 16
; WaveLimiterHint : 0
; COMPUTE_PGM_RSRC2:SCRATCH_EN: 0
; COMPUTE_PGM_RSRC2:USER_SGPR: 2
; COMPUTE_PGM_RSRC2:TRAP_HANDLER: 0
; COMPUTE_PGM_RSRC2:TGID_X_EN: 1
; COMPUTE_PGM_RSRC2:TGID_Y_EN: 0
; COMPUTE_PGM_RSRC2:TGID_Z_EN: 0
; COMPUTE_PGM_RSRC2:TIDIG_COMP_CNT: 0
	.section	.text._ZN7rocprim17ROCPRIM_400000_NS6detail17trampoline_kernelINS0_14default_configENS1_22reduce_config_selectorIiEEZNS1_11reduce_implILb1ES3_PiS7_iN6hipcub16HIPCUB_304000_NS6detail34convert_binary_result_type_wrapperINS9_3SumENS9_22TransformInputIteratorIbN2at6native12_GLOBAL__N_19NonZeroOpIN3c107complexIdEEEEPKSK_lEEiEEEE10hipError_tPvRmT1_T2_T3_mT4_P12ihipStream_tbEUlT_E1_NS1_11comp_targetILNS1_3genE2ELNS1_11target_archE906ELNS1_3gpuE6ELNS1_3repE0EEENS1_30default_config_static_selectorELNS0_4arch9wavefront6targetE0EEEvST_,"axG",@progbits,_ZN7rocprim17ROCPRIM_400000_NS6detail17trampoline_kernelINS0_14default_configENS1_22reduce_config_selectorIiEEZNS1_11reduce_implILb1ES3_PiS7_iN6hipcub16HIPCUB_304000_NS6detail34convert_binary_result_type_wrapperINS9_3SumENS9_22TransformInputIteratorIbN2at6native12_GLOBAL__N_19NonZeroOpIN3c107complexIdEEEEPKSK_lEEiEEEE10hipError_tPvRmT1_T2_T3_mT4_P12ihipStream_tbEUlT_E1_NS1_11comp_targetILNS1_3genE2ELNS1_11target_archE906ELNS1_3gpuE6ELNS1_3repE0EEENS1_30default_config_static_selectorELNS0_4arch9wavefront6targetE0EEEvST_,comdat
	.globl	_ZN7rocprim17ROCPRIM_400000_NS6detail17trampoline_kernelINS0_14default_configENS1_22reduce_config_selectorIiEEZNS1_11reduce_implILb1ES3_PiS7_iN6hipcub16HIPCUB_304000_NS6detail34convert_binary_result_type_wrapperINS9_3SumENS9_22TransformInputIteratorIbN2at6native12_GLOBAL__N_19NonZeroOpIN3c107complexIdEEEEPKSK_lEEiEEEE10hipError_tPvRmT1_T2_T3_mT4_P12ihipStream_tbEUlT_E1_NS1_11comp_targetILNS1_3genE2ELNS1_11target_archE906ELNS1_3gpuE6ELNS1_3repE0EEENS1_30default_config_static_selectorELNS0_4arch9wavefront6targetE0EEEvST_ ; -- Begin function _ZN7rocprim17ROCPRIM_400000_NS6detail17trampoline_kernelINS0_14default_configENS1_22reduce_config_selectorIiEEZNS1_11reduce_implILb1ES3_PiS7_iN6hipcub16HIPCUB_304000_NS6detail34convert_binary_result_type_wrapperINS9_3SumENS9_22TransformInputIteratorIbN2at6native12_GLOBAL__N_19NonZeroOpIN3c107complexIdEEEEPKSK_lEEiEEEE10hipError_tPvRmT1_T2_T3_mT4_P12ihipStream_tbEUlT_E1_NS1_11comp_targetILNS1_3genE2ELNS1_11target_archE906ELNS1_3gpuE6ELNS1_3repE0EEENS1_30default_config_static_selectorELNS0_4arch9wavefront6targetE0EEEvST_
	.p2align	8
	.type	_ZN7rocprim17ROCPRIM_400000_NS6detail17trampoline_kernelINS0_14default_configENS1_22reduce_config_selectorIiEEZNS1_11reduce_implILb1ES3_PiS7_iN6hipcub16HIPCUB_304000_NS6detail34convert_binary_result_type_wrapperINS9_3SumENS9_22TransformInputIteratorIbN2at6native12_GLOBAL__N_19NonZeroOpIN3c107complexIdEEEEPKSK_lEEiEEEE10hipError_tPvRmT1_T2_T3_mT4_P12ihipStream_tbEUlT_E1_NS1_11comp_targetILNS1_3genE2ELNS1_11target_archE906ELNS1_3gpuE6ELNS1_3repE0EEENS1_30default_config_static_selectorELNS0_4arch9wavefront6targetE0EEEvST_,@function
_ZN7rocprim17ROCPRIM_400000_NS6detail17trampoline_kernelINS0_14default_configENS1_22reduce_config_selectorIiEEZNS1_11reduce_implILb1ES3_PiS7_iN6hipcub16HIPCUB_304000_NS6detail34convert_binary_result_type_wrapperINS9_3SumENS9_22TransformInputIteratorIbN2at6native12_GLOBAL__N_19NonZeroOpIN3c107complexIdEEEEPKSK_lEEiEEEE10hipError_tPvRmT1_T2_T3_mT4_P12ihipStream_tbEUlT_E1_NS1_11comp_targetILNS1_3genE2ELNS1_11target_archE906ELNS1_3gpuE6ELNS1_3repE0EEENS1_30default_config_static_selectorELNS0_4arch9wavefront6targetE0EEEvST_: ; @_ZN7rocprim17ROCPRIM_400000_NS6detail17trampoline_kernelINS0_14default_configENS1_22reduce_config_selectorIiEEZNS1_11reduce_implILb1ES3_PiS7_iN6hipcub16HIPCUB_304000_NS6detail34convert_binary_result_type_wrapperINS9_3SumENS9_22TransformInputIteratorIbN2at6native12_GLOBAL__N_19NonZeroOpIN3c107complexIdEEEEPKSK_lEEiEEEE10hipError_tPvRmT1_T2_T3_mT4_P12ihipStream_tbEUlT_E1_NS1_11comp_targetILNS1_3genE2ELNS1_11target_archE906ELNS1_3gpuE6ELNS1_3repE0EEENS1_30default_config_static_selectorELNS0_4arch9wavefront6targetE0EEEvST_
; %bb.0:
	.section	.rodata,"a",@progbits
	.p2align	6, 0x0
	.amdhsa_kernel _ZN7rocprim17ROCPRIM_400000_NS6detail17trampoline_kernelINS0_14default_configENS1_22reduce_config_selectorIiEEZNS1_11reduce_implILb1ES3_PiS7_iN6hipcub16HIPCUB_304000_NS6detail34convert_binary_result_type_wrapperINS9_3SumENS9_22TransformInputIteratorIbN2at6native12_GLOBAL__N_19NonZeroOpIN3c107complexIdEEEEPKSK_lEEiEEEE10hipError_tPvRmT1_T2_T3_mT4_P12ihipStream_tbEUlT_E1_NS1_11comp_targetILNS1_3genE2ELNS1_11target_archE906ELNS1_3gpuE6ELNS1_3repE0EEENS1_30default_config_static_selectorELNS0_4arch9wavefront6targetE0EEEvST_
		.amdhsa_group_segment_fixed_size 0
		.amdhsa_private_segment_fixed_size 0
		.amdhsa_kernarg_size 40
		.amdhsa_user_sgpr_count 2
		.amdhsa_user_sgpr_dispatch_ptr 0
		.amdhsa_user_sgpr_queue_ptr 0
		.amdhsa_user_sgpr_kernarg_segment_ptr 1
		.amdhsa_user_sgpr_dispatch_id 0
		.amdhsa_user_sgpr_private_segment_size 0
		.amdhsa_wavefront_size32 1
		.amdhsa_uses_dynamic_stack 0
		.amdhsa_enable_private_segment 0
		.amdhsa_system_sgpr_workgroup_id_x 1
		.amdhsa_system_sgpr_workgroup_id_y 0
		.amdhsa_system_sgpr_workgroup_id_z 0
		.amdhsa_system_sgpr_workgroup_info 0
		.amdhsa_system_vgpr_workitem_id 0
		.amdhsa_next_free_vgpr 1
		.amdhsa_next_free_sgpr 1
		.amdhsa_reserve_vcc 0
		.amdhsa_float_round_mode_32 0
		.amdhsa_float_round_mode_16_64 0
		.amdhsa_float_denorm_mode_32 3
		.amdhsa_float_denorm_mode_16_64 3
		.amdhsa_fp16_overflow 0
		.amdhsa_workgroup_processor_mode 1
		.amdhsa_memory_ordered 1
		.amdhsa_forward_progress 1
		.amdhsa_inst_pref_size 0
		.amdhsa_round_robin_scheduling 0
		.amdhsa_exception_fp_ieee_invalid_op 0
		.amdhsa_exception_fp_denorm_src 0
		.amdhsa_exception_fp_ieee_div_zero 0
		.amdhsa_exception_fp_ieee_overflow 0
		.amdhsa_exception_fp_ieee_underflow 0
		.amdhsa_exception_fp_ieee_inexact 0
		.amdhsa_exception_int_div_zero 0
	.end_amdhsa_kernel
	.section	.text._ZN7rocprim17ROCPRIM_400000_NS6detail17trampoline_kernelINS0_14default_configENS1_22reduce_config_selectorIiEEZNS1_11reduce_implILb1ES3_PiS7_iN6hipcub16HIPCUB_304000_NS6detail34convert_binary_result_type_wrapperINS9_3SumENS9_22TransformInputIteratorIbN2at6native12_GLOBAL__N_19NonZeroOpIN3c107complexIdEEEEPKSK_lEEiEEEE10hipError_tPvRmT1_T2_T3_mT4_P12ihipStream_tbEUlT_E1_NS1_11comp_targetILNS1_3genE2ELNS1_11target_archE906ELNS1_3gpuE6ELNS1_3repE0EEENS1_30default_config_static_selectorELNS0_4arch9wavefront6targetE0EEEvST_,"axG",@progbits,_ZN7rocprim17ROCPRIM_400000_NS6detail17trampoline_kernelINS0_14default_configENS1_22reduce_config_selectorIiEEZNS1_11reduce_implILb1ES3_PiS7_iN6hipcub16HIPCUB_304000_NS6detail34convert_binary_result_type_wrapperINS9_3SumENS9_22TransformInputIteratorIbN2at6native12_GLOBAL__N_19NonZeroOpIN3c107complexIdEEEEPKSK_lEEiEEEE10hipError_tPvRmT1_T2_T3_mT4_P12ihipStream_tbEUlT_E1_NS1_11comp_targetILNS1_3genE2ELNS1_11target_archE906ELNS1_3gpuE6ELNS1_3repE0EEENS1_30default_config_static_selectorELNS0_4arch9wavefront6targetE0EEEvST_,comdat
.Lfunc_end503:
	.size	_ZN7rocprim17ROCPRIM_400000_NS6detail17trampoline_kernelINS0_14default_configENS1_22reduce_config_selectorIiEEZNS1_11reduce_implILb1ES3_PiS7_iN6hipcub16HIPCUB_304000_NS6detail34convert_binary_result_type_wrapperINS9_3SumENS9_22TransformInputIteratorIbN2at6native12_GLOBAL__N_19NonZeroOpIN3c107complexIdEEEEPKSK_lEEiEEEE10hipError_tPvRmT1_T2_T3_mT4_P12ihipStream_tbEUlT_E1_NS1_11comp_targetILNS1_3genE2ELNS1_11target_archE906ELNS1_3gpuE6ELNS1_3repE0EEENS1_30default_config_static_selectorELNS0_4arch9wavefront6targetE0EEEvST_, .Lfunc_end503-_ZN7rocprim17ROCPRIM_400000_NS6detail17trampoline_kernelINS0_14default_configENS1_22reduce_config_selectorIiEEZNS1_11reduce_implILb1ES3_PiS7_iN6hipcub16HIPCUB_304000_NS6detail34convert_binary_result_type_wrapperINS9_3SumENS9_22TransformInputIteratorIbN2at6native12_GLOBAL__N_19NonZeroOpIN3c107complexIdEEEEPKSK_lEEiEEEE10hipError_tPvRmT1_T2_T3_mT4_P12ihipStream_tbEUlT_E1_NS1_11comp_targetILNS1_3genE2ELNS1_11target_archE906ELNS1_3gpuE6ELNS1_3repE0EEENS1_30default_config_static_selectorELNS0_4arch9wavefront6targetE0EEEvST_
                                        ; -- End function
	.set _ZN7rocprim17ROCPRIM_400000_NS6detail17trampoline_kernelINS0_14default_configENS1_22reduce_config_selectorIiEEZNS1_11reduce_implILb1ES3_PiS7_iN6hipcub16HIPCUB_304000_NS6detail34convert_binary_result_type_wrapperINS9_3SumENS9_22TransformInputIteratorIbN2at6native12_GLOBAL__N_19NonZeroOpIN3c107complexIdEEEEPKSK_lEEiEEEE10hipError_tPvRmT1_T2_T3_mT4_P12ihipStream_tbEUlT_E1_NS1_11comp_targetILNS1_3genE2ELNS1_11target_archE906ELNS1_3gpuE6ELNS1_3repE0EEENS1_30default_config_static_selectorELNS0_4arch9wavefront6targetE0EEEvST_.num_vgpr, 0
	.set _ZN7rocprim17ROCPRIM_400000_NS6detail17trampoline_kernelINS0_14default_configENS1_22reduce_config_selectorIiEEZNS1_11reduce_implILb1ES3_PiS7_iN6hipcub16HIPCUB_304000_NS6detail34convert_binary_result_type_wrapperINS9_3SumENS9_22TransformInputIteratorIbN2at6native12_GLOBAL__N_19NonZeroOpIN3c107complexIdEEEEPKSK_lEEiEEEE10hipError_tPvRmT1_T2_T3_mT4_P12ihipStream_tbEUlT_E1_NS1_11comp_targetILNS1_3genE2ELNS1_11target_archE906ELNS1_3gpuE6ELNS1_3repE0EEENS1_30default_config_static_selectorELNS0_4arch9wavefront6targetE0EEEvST_.num_agpr, 0
	.set _ZN7rocprim17ROCPRIM_400000_NS6detail17trampoline_kernelINS0_14default_configENS1_22reduce_config_selectorIiEEZNS1_11reduce_implILb1ES3_PiS7_iN6hipcub16HIPCUB_304000_NS6detail34convert_binary_result_type_wrapperINS9_3SumENS9_22TransformInputIteratorIbN2at6native12_GLOBAL__N_19NonZeroOpIN3c107complexIdEEEEPKSK_lEEiEEEE10hipError_tPvRmT1_T2_T3_mT4_P12ihipStream_tbEUlT_E1_NS1_11comp_targetILNS1_3genE2ELNS1_11target_archE906ELNS1_3gpuE6ELNS1_3repE0EEENS1_30default_config_static_selectorELNS0_4arch9wavefront6targetE0EEEvST_.numbered_sgpr, 0
	.set _ZN7rocprim17ROCPRIM_400000_NS6detail17trampoline_kernelINS0_14default_configENS1_22reduce_config_selectorIiEEZNS1_11reduce_implILb1ES3_PiS7_iN6hipcub16HIPCUB_304000_NS6detail34convert_binary_result_type_wrapperINS9_3SumENS9_22TransformInputIteratorIbN2at6native12_GLOBAL__N_19NonZeroOpIN3c107complexIdEEEEPKSK_lEEiEEEE10hipError_tPvRmT1_T2_T3_mT4_P12ihipStream_tbEUlT_E1_NS1_11comp_targetILNS1_3genE2ELNS1_11target_archE906ELNS1_3gpuE6ELNS1_3repE0EEENS1_30default_config_static_selectorELNS0_4arch9wavefront6targetE0EEEvST_.num_named_barrier, 0
	.set _ZN7rocprim17ROCPRIM_400000_NS6detail17trampoline_kernelINS0_14default_configENS1_22reduce_config_selectorIiEEZNS1_11reduce_implILb1ES3_PiS7_iN6hipcub16HIPCUB_304000_NS6detail34convert_binary_result_type_wrapperINS9_3SumENS9_22TransformInputIteratorIbN2at6native12_GLOBAL__N_19NonZeroOpIN3c107complexIdEEEEPKSK_lEEiEEEE10hipError_tPvRmT1_T2_T3_mT4_P12ihipStream_tbEUlT_E1_NS1_11comp_targetILNS1_3genE2ELNS1_11target_archE906ELNS1_3gpuE6ELNS1_3repE0EEENS1_30default_config_static_selectorELNS0_4arch9wavefront6targetE0EEEvST_.private_seg_size, 0
	.set _ZN7rocprim17ROCPRIM_400000_NS6detail17trampoline_kernelINS0_14default_configENS1_22reduce_config_selectorIiEEZNS1_11reduce_implILb1ES3_PiS7_iN6hipcub16HIPCUB_304000_NS6detail34convert_binary_result_type_wrapperINS9_3SumENS9_22TransformInputIteratorIbN2at6native12_GLOBAL__N_19NonZeroOpIN3c107complexIdEEEEPKSK_lEEiEEEE10hipError_tPvRmT1_T2_T3_mT4_P12ihipStream_tbEUlT_E1_NS1_11comp_targetILNS1_3genE2ELNS1_11target_archE906ELNS1_3gpuE6ELNS1_3repE0EEENS1_30default_config_static_selectorELNS0_4arch9wavefront6targetE0EEEvST_.uses_vcc, 0
	.set _ZN7rocprim17ROCPRIM_400000_NS6detail17trampoline_kernelINS0_14default_configENS1_22reduce_config_selectorIiEEZNS1_11reduce_implILb1ES3_PiS7_iN6hipcub16HIPCUB_304000_NS6detail34convert_binary_result_type_wrapperINS9_3SumENS9_22TransformInputIteratorIbN2at6native12_GLOBAL__N_19NonZeroOpIN3c107complexIdEEEEPKSK_lEEiEEEE10hipError_tPvRmT1_T2_T3_mT4_P12ihipStream_tbEUlT_E1_NS1_11comp_targetILNS1_3genE2ELNS1_11target_archE906ELNS1_3gpuE6ELNS1_3repE0EEENS1_30default_config_static_selectorELNS0_4arch9wavefront6targetE0EEEvST_.uses_flat_scratch, 0
	.set _ZN7rocprim17ROCPRIM_400000_NS6detail17trampoline_kernelINS0_14default_configENS1_22reduce_config_selectorIiEEZNS1_11reduce_implILb1ES3_PiS7_iN6hipcub16HIPCUB_304000_NS6detail34convert_binary_result_type_wrapperINS9_3SumENS9_22TransformInputIteratorIbN2at6native12_GLOBAL__N_19NonZeroOpIN3c107complexIdEEEEPKSK_lEEiEEEE10hipError_tPvRmT1_T2_T3_mT4_P12ihipStream_tbEUlT_E1_NS1_11comp_targetILNS1_3genE2ELNS1_11target_archE906ELNS1_3gpuE6ELNS1_3repE0EEENS1_30default_config_static_selectorELNS0_4arch9wavefront6targetE0EEEvST_.has_dyn_sized_stack, 0
	.set _ZN7rocprim17ROCPRIM_400000_NS6detail17trampoline_kernelINS0_14default_configENS1_22reduce_config_selectorIiEEZNS1_11reduce_implILb1ES3_PiS7_iN6hipcub16HIPCUB_304000_NS6detail34convert_binary_result_type_wrapperINS9_3SumENS9_22TransformInputIteratorIbN2at6native12_GLOBAL__N_19NonZeroOpIN3c107complexIdEEEEPKSK_lEEiEEEE10hipError_tPvRmT1_T2_T3_mT4_P12ihipStream_tbEUlT_E1_NS1_11comp_targetILNS1_3genE2ELNS1_11target_archE906ELNS1_3gpuE6ELNS1_3repE0EEENS1_30default_config_static_selectorELNS0_4arch9wavefront6targetE0EEEvST_.has_recursion, 0
	.set _ZN7rocprim17ROCPRIM_400000_NS6detail17trampoline_kernelINS0_14default_configENS1_22reduce_config_selectorIiEEZNS1_11reduce_implILb1ES3_PiS7_iN6hipcub16HIPCUB_304000_NS6detail34convert_binary_result_type_wrapperINS9_3SumENS9_22TransformInputIteratorIbN2at6native12_GLOBAL__N_19NonZeroOpIN3c107complexIdEEEEPKSK_lEEiEEEE10hipError_tPvRmT1_T2_T3_mT4_P12ihipStream_tbEUlT_E1_NS1_11comp_targetILNS1_3genE2ELNS1_11target_archE906ELNS1_3gpuE6ELNS1_3repE0EEENS1_30default_config_static_selectorELNS0_4arch9wavefront6targetE0EEEvST_.has_indirect_call, 0
	.section	.AMDGPU.csdata,"",@progbits
; Kernel info:
; codeLenInByte = 0
; TotalNumSgprs: 0
; NumVgprs: 0
; ScratchSize: 0
; MemoryBound: 0
; FloatMode: 240
; IeeeMode: 1
; LDSByteSize: 0 bytes/workgroup (compile time only)
; SGPRBlocks: 0
; VGPRBlocks: 0
; NumSGPRsForWavesPerEU: 1
; NumVGPRsForWavesPerEU: 1
; Occupancy: 16
; WaveLimiterHint : 0
; COMPUTE_PGM_RSRC2:SCRATCH_EN: 0
; COMPUTE_PGM_RSRC2:USER_SGPR: 2
; COMPUTE_PGM_RSRC2:TRAP_HANDLER: 0
; COMPUTE_PGM_RSRC2:TGID_X_EN: 1
; COMPUTE_PGM_RSRC2:TGID_Y_EN: 0
; COMPUTE_PGM_RSRC2:TGID_Z_EN: 0
; COMPUTE_PGM_RSRC2:TIDIG_COMP_CNT: 0
	.section	.text._ZN7rocprim17ROCPRIM_400000_NS6detail17trampoline_kernelINS0_14default_configENS1_22reduce_config_selectorIiEEZNS1_11reduce_implILb1ES3_PiS7_iN6hipcub16HIPCUB_304000_NS6detail34convert_binary_result_type_wrapperINS9_3SumENS9_22TransformInputIteratorIbN2at6native12_GLOBAL__N_19NonZeroOpIN3c107complexIdEEEEPKSK_lEEiEEEE10hipError_tPvRmT1_T2_T3_mT4_P12ihipStream_tbEUlT_E1_NS1_11comp_targetILNS1_3genE10ELNS1_11target_archE1201ELNS1_3gpuE5ELNS1_3repE0EEENS1_30default_config_static_selectorELNS0_4arch9wavefront6targetE0EEEvST_,"axG",@progbits,_ZN7rocprim17ROCPRIM_400000_NS6detail17trampoline_kernelINS0_14default_configENS1_22reduce_config_selectorIiEEZNS1_11reduce_implILb1ES3_PiS7_iN6hipcub16HIPCUB_304000_NS6detail34convert_binary_result_type_wrapperINS9_3SumENS9_22TransformInputIteratorIbN2at6native12_GLOBAL__N_19NonZeroOpIN3c107complexIdEEEEPKSK_lEEiEEEE10hipError_tPvRmT1_T2_T3_mT4_P12ihipStream_tbEUlT_E1_NS1_11comp_targetILNS1_3genE10ELNS1_11target_archE1201ELNS1_3gpuE5ELNS1_3repE0EEENS1_30default_config_static_selectorELNS0_4arch9wavefront6targetE0EEEvST_,comdat
	.globl	_ZN7rocprim17ROCPRIM_400000_NS6detail17trampoline_kernelINS0_14default_configENS1_22reduce_config_selectorIiEEZNS1_11reduce_implILb1ES3_PiS7_iN6hipcub16HIPCUB_304000_NS6detail34convert_binary_result_type_wrapperINS9_3SumENS9_22TransformInputIteratorIbN2at6native12_GLOBAL__N_19NonZeroOpIN3c107complexIdEEEEPKSK_lEEiEEEE10hipError_tPvRmT1_T2_T3_mT4_P12ihipStream_tbEUlT_E1_NS1_11comp_targetILNS1_3genE10ELNS1_11target_archE1201ELNS1_3gpuE5ELNS1_3repE0EEENS1_30default_config_static_selectorELNS0_4arch9wavefront6targetE0EEEvST_ ; -- Begin function _ZN7rocprim17ROCPRIM_400000_NS6detail17trampoline_kernelINS0_14default_configENS1_22reduce_config_selectorIiEEZNS1_11reduce_implILb1ES3_PiS7_iN6hipcub16HIPCUB_304000_NS6detail34convert_binary_result_type_wrapperINS9_3SumENS9_22TransformInputIteratorIbN2at6native12_GLOBAL__N_19NonZeroOpIN3c107complexIdEEEEPKSK_lEEiEEEE10hipError_tPvRmT1_T2_T3_mT4_P12ihipStream_tbEUlT_E1_NS1_11comp_targetILNS1_3genE10ELNS1_11target_archE1201ELNS1_3gpuE5ELNS1_3repE0EEENS1_30default_config_static_selectorELNS0_4arch9wavefront6targetE0EEEvST_
	.p2align	8
	.type	_ZN7rocprim17ROCPRIM_400000_NS6detail17trampoline_kernelINS0_14default_configENS1_22reduce_config_selectorIiEEZNS1_11reduce_implILb1ES3_PiS7_iN6hipcub16HIPCUB_304000_NS6detail34convert_binary_result_type_wrapperINS9_3SumENS9_22TransformInputIteratorIbN2at6native12_GLOBAL__N_19NonZeroOpIN3c107complexIdEEEEPKSK_lEEiEEEE10hipError_tPvRmT1_T2_T3_mT4_P12ihipStream_tbEUlT_E1_NS1_11comp_targetILNS1_3genE10ELNS1_11target_archE1201ELNS1_3gpuE5ELNS1_3repE0EEENS1_30default_config_static_selectorELNS0_4arch9wavefront6targetE0EEEvST_,@function
_ZN7rocprim17ROCPRIM_400000_NS6detail17trampoline_kernelINS0_14default_configENS1_22reduce_config_selectorIiEEZNS1_11reduce_implILb1ES3_PiS7_iN6hipcub16HIPCUB_304000_NS6detail34convert_binary_result_type_wrapperINS9_3SumENS9_22TransformInputIteratorIbN2at6native12_GLOBAL__N_19NonZeroOpIN3c107complexIdEEEEPKSK_lEEiEEEE10hipError_tPvRmT1_T2_T3_mT4_P12ihipStream_tbEUlT_E1_NS1_11comp_targetILNS1_3genE10ELNS1_11target_archE1201ELNS1_3gpuE5ELNS1_3repE0EEENS1_30default_config_static_selectorELNS0_4arch9wavefront6targetE0EEEvST_: ; @_ZN7rocprim17ROCPRIM_400000_NS6detail17trampoline_kernelINS0_14default_configENS1_22reduce_config_selectorIiEEZNS1_11reduce_implILb1ES3_PiS7_iN6hipcub16HIPCUB_304000_NS6detail34convert_binary_result_type_wrapperINS9_3SumENS9_22TransformInputIteratorIbN2at6native12_GLOBAL__N_19NonZeroOpIN3c107complexIdEEEEPKSK_lEEiEEEE10hipError_tPvRmT1_T2_T3_mT4_P12ihipStream_tbEUlT_E1_NS1_11comp_targetILNS1_3genE10ELNS1_11target_archE1201ELNS1_3gpuE5ELNS1_3repE0EEENS1_30default_config_static_selectorELNS0_4arch9wavefront6targetE0EEEvST_
; %bb.0:
	s_clause 0x1
	s_load_b32 s33, s[0:1], 0x4
	s_load_b128 s[36:39], s[0:1], 0x8
	s_mov_b32 s34, ttmp9
	s_wait_kmcnt 0x0
	s_cmp_lt_i32 s33, 8
	s_cbranch_scc1 .LBB504_11
; %bb.1:
	s_cmp_gt_i32 s33, 15
	s_cbranch_scc0 .LBB504_12
; %bb.2:
	s_cmp_gt_i32 s33, 31
	s_cbranch_scc0 .LBB504_13
; %bb.3:
	s_cmp_eq_u32 s33, 32
	s_mov_b32 s42, 0
	s_cbranch_scc0 .LBB504_14
; %bb.4:
	s_mov_b32 s35, 0
	s_lshl_b32 s2, s34, 13
	s_mov_b32 s3, s35
	s_lshr_b64 s[4:5], s[38:39], 13
	s_lshl_b64 s[6:7], s[2:3], 2
	s_cmp_lg_u64 s[4:5], s[34:35]
	s_add_nc_u64 s[40:41], s[36:37], s[6:7]
	s_cbranch_scc0 .LBB504_23
; %bb.5:
	v_lshlrev_b32_e32 v1, 2, v0
	s_mov_b32 s3, exec_lo
	s_clause 0x1f
	global_load_b32 v2, v1, s[40:41]
	global_load_b32 v3, v1, s[40:41] offset:1024
	global_load_b32 v4, v1, s[40:41] offset:2048
	;; [unrolled: 1-line block ×31, first 2 shown]
	s_wait_loadcnt 0x1e
	v_add_nc_u32_e32 v2, v3, v2
	s_wait_loadcnt 0x1c
	s_delay_alu instid0(VALU_DEP_1) | instskip(SKIP_1) | instid1(VALU_DEP_1)
	v_add3_u32 v2, v2, v4, v5
	s_wait_loadcnt 0x1a
	v_add3_u32 v2, v2, v6, v7
	s_wait_loadcnt 0x18
	s_delay_alu instid0(VALU_DEP_1) | instskip(SKIP_1) | instid1(VALU_DEP_1)
	v_add3_u32 v2, v2, v8, v9
	s_wait_loadcnt 0x16
	v_add3_u32 v2, v2, v10, v11
	s_wait_loadcnt 0x14
	s_delay_alu instid0(VALU_DEP_1) | instskip(SKIP_1) | instid1(VALU_DEP_1)
	v_add3_u32 v2, v2, v12, v13
	s_wait_loadcnt 0x12
	v_add3_u32 v2, v2, v14, v15
	s_wait_loadcnt 0x10
	s_delay_alu instid0(VALU_DEP_1) | instskip(SKIP_1) | instid1(VALU_DEP_1)
	v_add3_u32 v2, v2, v16, v17
	s_wait_loadcnt 0xe
	v_add3_u32 v2, v2, v18, v19
	s_wait_loadcnt 0xc
	s_delay_alu instid0(VALU_DEP_1) | instskip(SKIP_1) | instid1(VALU_DEP_1)
	v_add3_u32 v2, v2, v20, v21
	s_wait_loadcnt 0xa
	v_add3_u32 v2, v2, v22, v23
	s_wait_loadcnt 0x8
	s_delay_alu instid0(VALU_DEP_1) | instskip(SKIP_1) | instid1(VALU_DEP_1)
	v_add3_u32 v2, v2, v24, v25
	s_wait_loadcnt 0x6
	v_add3_u32 v2, v2, v26, v27
	s_wait_loadcnt 0x4
	s_delay_alu instid0(VALU_DEP_1) | instskip(SKIP_1) | instid1(VALU_DEP_1)
	v_add3_u32 v2, v2, v28, v29
	s_wait_loadcnt 0x2
	v_add3_u32 v2, v2, v30, v31
	s_wait_loadcnt 0x0
	s_delay_alu instid0(VALU_DEP_1) | instskip(NEXT) | instid1(VALU_DEP_1)
	v_add3_u32 v1, v2, v32, v1
	v_mov_b32_dpp v2, v1 quad_perm:[1,0,3,2] row_mask:0xf bank_mask:0xf
	s_delay_alu instid0(VALU_DEP_1) | instskip(NEXT) | instid1(VALU_DEP_1)
	v_add_nc_u32_e32 v1, v2, v1
	v_mov_b32_dpp v2, v1 quad_perm:[2,3,0,1] row_mask:0xf bank_mask:0xf
	s_delay_alu instid0(VALU_DEP_1) | instskip(NEXT) | instid1(VALU_DEP_1)
	v_add_nc_u32_e32 v1, v1, v2
	v_mov_b32_dpp v2, v1 row_ror:4 row_mask:0xf bank_mask:0xf
	s_delay_alu instid0(VALU_DEP_1) | instskip(NEXT) | instid1(VALU_DEP_1)
	v_add_nc_u32_e32 v1, v1, v2
	v_mov_b32_dpp v2, v1 row_ror:8 row_mask:0xf bank_mask:0xf
	s_delay_alu instid0(VALU_DEP_1)
	v_add_nc_u32_e32 v1, v1, v2
	ds_swizzle_b32 v2, v1 offset:swizzle(BROADCAST,32,15)
	s_wait_dscnt 0x0
	v_dual_mov_b32 v2, 0 :: v_dual_add_nc_u32 v1, v1, v2
	ds_bpermute_b32 v1, v2, v1 offset:124
	v_mbcnt_lo_u32_b32 v2, -1, 0
	s_delay_alu instid0(VALU_DEP_1)
	v_cmpx_eq_u32_e32 0, v2
	s_cbranch_execz .LBB504_7
; %bb.6:
	v_lshrrev_b32_e32 v3, 3, v0
	s_delay_alu instid0(VALU_DEP_1)
	v_and_b32_e32 v3, 28, v3
	s_wait_dscnt 0x0
	ds_store_b32 v3, v1 offset:96
.LBB504_7:
	s_or_b32 exec_lo, exec_lo, s3
	s_delay_alu instid0(SALU_CYCLE_1)
	s_mov_b32 s3, exec_lo
	s_wait_dscnt 0x0
	s_barrier_signal -1
	s_barrier_wait -1
	global_inv scope:SCOPE_SE
	v_cmpx_gt_u32_e32 32, v0
	s_cbranch_execz .LBB504_9
; %bb.8:
	v_lshl_or_b32 v1, v2, 2, 0x60
	v_and_b32_e32 v3, 7, v2
	ds_load_b32 v1, v1
	v_cmp_ne_u32_e32 vcc_lo, 7, v3
	v_add_co_ci_u32_e64 v4, null, 0, v2, vcc_lo
	v_cmp_gt_u32_e32 vcc_lo, 6, v3
	s_delay_alu instid0(VALU_DEP_2) | instskip(SKIP_2) | instid1(VALU_DEP_1)
	v_lshlrev_b32_e32 v4, 2, v4
	s_wait_alu 0xfffd
	v_cndmask_b32_e64 v3, 0, 2, vcc_lo
	v_add_lshl_u32 v3, v3, v2, 2
	v_lshlrev_b32_e32 v2, 2, v2
	s_wait_dscnt 0x0
	ds_bpermute_b32 v4, v4, v1
	v_or_b32_e32 v2, 16, v2
	s_wait_dscnt 0x0
	v_add_nc_u32_e32 v1, v4, v1
	ds_bpermute_b32 v3, v3, v1
	s_wait_dscnt 0x0
	v_add_nc_u32_e32 v1, v3, v1
	ds_bpermute_b32 v2, v2, v1
	s_wait_dscnt 0x0
	v_add_nc_u32_e32 v1, v2, v1
.LBB504_9:
	s_or_b32 exec_lo, exec_lo, s3
.LBB504_10:
	v_cmp_eq_u32_e64 s2, 0, v0
	s_and_b32 vcc_lo, exec_lo, s42
	s_wait_alu 0xfffe
	s_cbranch_vccnz .LBB504_15
	s_branch .LBB504_93
.LBB504_11:
	s_mov_b32 s2, 0
                                        ; implicit-def: $vgpr1
	s_cbranch_execnz .LBB504_166
	s_branch .LBB504_224
.LBB504_12:
	s_mov_b32 s2, 0
                                        ; implicit-def: $vgpr1
	s_cbranch_execnz .LBB504_134
	s_branch .LBB504_142
.LBB504_13:
	s_mov_b32 s42, -1
.LBB504_14:
	s_mov_b32 s2, 0
                                        ; implicit-def: $vgpr1
	s_and_b32 vcc_lo, exec_lo, s42
	s_cbranch_vccz .LBB504_93
.LBB504_15:
	s_cmp_eq_u32 s33, 16
	s_cbranch_scc0 .LBB504_22
; %bb.16:
	s_mov_b32 s35, 0
	s_lshl_b32 s2, s34, 12
	s_mov_b32 s3, s35
	s_lshr_b64 s[4:5], s[38:39], 12
	s_wait_alu 0xfffe
	s_lshl_b64 s[6:7], s[2:3], 2
	s_cmp_lg_u64 s[4:5], s[34:35]
	s_wait_alu 0xfffe
	s_add_nc_u64 s[16:17], s[36:37], s[6:7]
	s_cbranch_scc0 .LBB504_94
; %bb.17:
	v_lshlrev_b32_e32 v1, 2, v0
	s_mov_b32 s3, exec_lo
	s_clause 0xf
	global_load_b32 v2, v1, s[16:17]
	global_load_b32 v3, v1, s[16:17] offset:1024
	global_load_b32 v4, v1, s[16:17] offset:2048
	;; [unrolled: 1-line block ×15, first 2 shown]
	s_wait_loadcnt 0xe
	v_add_nc_u32_e32 v2, v3, v2
	s_wait_loadcnt 0xc
	s_delay_alu instid0(VALU_DEP_1) | instskip(SKIP_1) | instid1(VALU_DEP_1)
	v_add3_u32 v2, v2, v4, v5
	s_wait_loadcnt 0xa
	v_add3_u32 v2, v2, v6, v7
	s_wait_loadcnt 0x8
	s_delay_alu instid0(VALU_DEP_1) | instskip(SKIP_1) | instid1(VALU_DEP_1)
	v_add3_u32 v2, v2, v8, v9
	s_wait_loadcnt 0x6
	v_add3_u32 v2, v2, v10, v11
	;; [unrolled: 5-line block ×3, first 2 shown]
	s_wait_loadcnt 0x0
	s_delay_alu instid0(VALU_DEP_1) | instskip(NEXT) | instid1(VALU_DEP_1)
	v_add3_u32 v1, v2, v16, v1
	v_mov_b32_dpp v2, v1 quad_perm:[1,0,3,2] row_mask:0xf bank_mask:0xf
	s_delay_alu instid0(VALU_DEP_1) | instskip(NEXT) | instid1(VALU_DEP_1)
	v_add_nc_u32_e32 v1, v2, v1
	v_mov_b32_dpp v2, v1 quad_perm:[2,3,0,1] row_mask:0xf bank_mask:0xf
	s_delay_alu instid0(VALU_DEP_1) | instskip(NEXT) | instid1(VALU_DEP_1)
	v_add_nc_u32_e32 v1, v1, v2
	v_mov_b32_dpp v2, v1 row_ror:4 row_mask:0xf bank_mask:0xf
	s_delay_alu instid0(VALU_DEP_1) | instskip(NEXT) | instid1(VALU_DEP_1)
	v_add_nc_u32_e32 v1, v1, v2
	v_mov_b32_dpp v2, v1 row_ror:8 row_mask:0xf bank_mask:0xf
	s_delay_alu instid0(VALU_DEP_1)
	v_add_nc_u32_e32 v1, v1, v2
	ds_swizzle_b32 v2, v1 offset:swizzle(BROADCAST,32,15)
	s_wait_dscnt 0x0
	v_dual_mov_b32 v2, 0 :: v_dual_add_nc_u32 v1, v1, v2
	ds_bpermute_b32 v1, v2, v1 offset:124
	v_mbcnt_lo_u32_b32 v2, -1, 0
	s_delay_alu instid0(VALU_DEP_1)
	v_cmpx_eq_u32_e32 0, v2
	s_cbranch_execz .LBB504_19
; %bb.18:
	v_lshrrev_b32_e32 v3, 3, v0
	s_delay_alu instid0(VALU_DEP_1)
	v_and_b32_e32 v3, 28, v3
	s_wait_dscnt 0x0
	ds_store_b32 v3, v1
.LBB504_19:
	s_wait_alu 0xfffe
	s_or_b32 exec_lo, exec_lo, s3
	s_delay_alu instid0(SALU_CYCLE_1)
	s_mov_b32 s3, exec_lo
	s_wait_dscnt 0x0
	s_barrier_signal -1
	s_barrier_wait -1
	global_inv scope:SCOPE_SE
	v_cmpx_gt_u32_e32 32, v0
	s_cbranch_execz .LBB504_21
; %bb.20:
	v_and_b32_e32 v1, 7, v2
	s_delay_alu instid0(VALU_DEP_1)
	v_lshlrev_b32_e32 v3, 2, v1
	v_cmp_ne_u32_e32 vcc_lo, 7, v1
	ds_load_b32 v3, v3
	s_wait_alu 0xfffd
	v_add_co_ci_u32_e64 v4, null, 0, v2, vcc_lo
	v_cmp_gt_u32_e32 vcc_lo, 6, v1
	s_delay_alu instid0(VALU_DEP_2) | instskip(SKIP_2) | instid1(VALU_DEP_1)
	v_lshlrev_b32_e32 v4, 2, v4
	s_wait_alu 0xfffd
	v_cndmask_b32_e64 v1, 0, 2, vcc_lo
	v_add_lshl_u32 v1, v1, v2, 2
	v_lshlrev_b32_e32 v2, 2, v2
	s_delay_alu instid0(VALU_DEP_1)
	v_or_b32_e32 v2, 16, v2
	s_wait_dscnt 0x0
	ds_bpermute_b32 v4, v4, v3
	s_wait_dscnt 0x0
	v_add_nc_u32_e32 v3, v4, v3
	ds_bpermute_b32 v1, v1, v3
	s_wait_dscnt 0x0
	v_add_nc_u32_e32 v1, v1, v3
	;; [unrolled: 3-line block ×3, first 2 shown]
.LBB504_21:
	s_wait_alu 0xfffe
	s_or_b32 exec_lo, exec_lo, s3
	s_mov_b32 s3, 0
	s_branch .LBB504_95
.LBB504_22:
                                        ; implicit-def: $vgpr1
	s_branch .LBB504_142
.LBB504_23:
                                        ; implicit-def: $vgpr1
	s_cbranch_execz .LBB504_10
; %bb.24:
	v_mov_b32_e32 v1, 0
	s_sub_co_i32 s43, s38, s2
	s_delay_alu instid0(SALU_CYCLE_1) | instskip(NEXT) | instid1(VALU_DEP_2)
	v_cmp_gt_u32_e32 vcc_lo, s43, v0
	v_dual_mov_b32 v2, v1 :: v_dual_mov_b32 v3, v1
	v_dual_mov_b32 v4, v1 :: v_dual_mov_b32 v5, v1
	v_dual_mov_b32 v6, v1 :: v_dual_mov_b32 v7, v1
	v_dual_mov_b32 v8, v1 :: v_dual_mov_b32 v9, v1
	v_dual_mov_b32 v10, v1 :: v_dual_mov_b32 v11, v1
	v_dual_mov_b32 v12, v1 :: v_dual_mov_b32 v13, v1
	v_dual_mov_b32 v14, v1 :: v_dual_mov_b32 v15, v1
	v_dual_mov_b32 v16, v1 :: v_dual_mov_b32 v17, v1
	v_dual_mov_b32 v18, v1 :: v_dual_mov_b32 v19, v1
	v_dual_mov_b32 v20, v1 :: v_dual_mov_b32 v21, v1
	v_dual_mov_b32 v22, v1 :: v_dual_mov_b32 v23, v1
	v_dual_mov_b32 v24, v1 :: v_dual_mov_b32 v25, v1
	v_dual_mov_b32 v26, v1 :: v_dual_mov_b32 v27, v1
	v_dual_mov_b32 v28, v1 :: v_dual_mov_b32 v29, v1
	v_dual_mov_b32 v30, v1 :: v_dual_mov_b32 v31, v1
	v_mov_b32_e32 v32, v1
	s_and_saveexec_b32 s2, vcc_lo
	s_cbranch_execz .LBB504_26
; %bb.25:
	v_dual_mov_b32 v3, v1 :: v_dual_lshlrev_b32 v2, 2, v0
	v_dual_mov_b32 v32, v1 :: v_dual_mov_b32 v33, v1
	v_dual_mov_b32 v4, v1 :: v_dual_mov_b32 v5, v1
	global_load_b32 v2, v2, s[40:41]
	v_dual_mov_b32 v6, v1 :: v_dual_mov_b32 v7, v1
	v_dual_mov_b32 v8, v1 :: v_dual_mov_b32 v9, v1
	v_dual_mov_b32 v10, v1 :: v_dual_mov_b32 v11, v1
	v_dual_mov_b32 v12, v1 :: v_dual_mov_b32 v13, v1
	v_dual_mov_b32 v14, v1 :: v_dual_mov_b32 v15, v1
	v_dual_mov_b32 v16, v1 :: v_dual_mov_b32 v17, v1
	v_dual_mov_b32 v18, v1 :: v_dual_mov_b32 v19, v1
	v_dual_mov_b32 v20, v1 :: v_dual_mov_b32 v21, v1
	v_dual_mov_b32 v22, v1 :: v_dual_mov_b32 v23, v1
	v_dual_mov_b32 v24, v1 :: v_dual_mov_b32 v25, v1
	v_dual_mov_b32 v26, v1 :: v_dual_mov_b32 v27, v1
	v_dual_mov_b32 v28, v1 :: v_dual_mov_b32 v29, v1
	v_dual_mov_b32 v30, v1 :: v_dual_mov_b32 v31, v1
	s_wait_loadcnt 0x0
	v_mov_b32_e32 v1, v2
	v_mov_b32_e32 v2, v3
	;; [unrolled: 1-line block ×32, first 2 shown]
.LBB504_26:
	s_or_b32 exec_lo, exec_lo, s2
	v_or_b32_e32 v33, 0x100, v0
	s_delay_alu instid0(VALU_DEP_1)
	v_cmp_gt_u32_e32 vcc_lo, s43, v33
	s_and_saveexec_b32 s2, vcc_lo
	s_cbranch_execz .LBB504_28
; %bb.27:
	v_lshlrev_b32_e32 v2, 2, v0
	global_load_b32 v2, v2, s[40:41] offset:1024
.LBB504_28:
	s_or_b32 exec_lo, exec_lo, s2
	v_or_b32_e32 v33, 0x200, v0
	s_delay_alu instid0(VALU_DEP_1)
	v_cmp_gt_u32_e64 s2, s43, v33
	s_and_saveexec_b32 s3, s2
	s_cbranch_execz .LBB504_30
; %bb.29:
	v_lshlrev_b32_e32 v3, 2, v0
	global_load_b32 v3, v3, s[40:41] offset:2048
.LBB504_30:
	s_or_b32 exec_lo, exec_lo, s3
	v_or_b32_e32 v33, 0x300, v0
	s_delay_alu instid0(VALU_DEP_1)
	v_cmp_gt_u32_e64 s3, s43, v33
	s_and_saveexec_b32 s4, s3
	s_cbranch_execz .LBB504_32
; %bb.31:
	v_lshlrev_b32_e32 v4, 2, v0
	global_load_b32 v4, v4, s[40:41] offset:3072
.LBB504_32:
	s_or_b32 exec_lo, exec_lo, s4
	v_or_b32_e32 v33, 0x400, v0
	s_delay_alu instid0(VALU_DEP_1)
	v_cmp_gt_u32_e64 s4, s43, v33
	s_and_saveexec_b32 s5, s4
	s_cbranch_execz .LBB504_34
; %bb.33:
	v_lshlrev_b32_e32 v5, 2, v0
	global_load_b32 v5, v5, s[40:41] offset:4096
.LBB504_34:
	s_or_b32 exec_lo, exec_lo, s5
	v_or_b32_e32 v33, 0x500, v0
	s_delay_alu instid0(VALU_DEP_1)
	v_cmp_gt_u32_e64 s5, s43, v33
	s_and_saveexec_b32 s6, s5
	s_cbranch_execz .LBB504_36
; %bb.35:
	v_lshlrev_b32_e32 v6, 2, v0
	global_load_b32 v6, v6, s[40:41] offset:5120
.LBB504_36:
	s_or_b32 exec_lo, exec_lo, s6
	v_or_b32_e32 v33, 0x600, v0
	s_delay_alu instid0(VALU_DEP_1)
	v_cmp_gt_u32_e64 s6, s43, v33
	s_and_saveexec_b32 s7, s6
	s_cbranch_execz .LBB504_38
; %bb.37:
	v_lshlrev_b32_e32 v7, 2, v0
	global_load_b32 v7, v7, s[40:41] offset:6144
.LBB504_38:
	s_or_b32 exec_lo, exec_lo, s7
	v_or_b32_e32 v33, 0x700, v0
	s_delay_alu instid0(VALU_DEP_1)
	v_cmp_gt_u32_e64 s7, s43, v33
	s_and_saveexec_b32 s8, s7
	s_cbranch_execz .LBB504_40
; %bb.39:
	v_lshlrev_b32_e32 v8, 2, v0
	global_load_b32 v8, v8, s[40:41] offset:7168
.LBB504_40:
	s_or_b32 exec_lo, exec_lo, s8
	v_or_b32_e32 v33, 0x800, v0
	s_delay_alu instid0(VALU_DEP_1)
	v_cmp_gt_u32_e64 s8, s43, v33
	s_and_saveexec_b32 s9, s8
	s_cbranch_execz .LBB504_42
; %bb.41:
	v_lshlrev_b32_e32 v9, 2, v0
	global_load_b32 v9, v9, s[40:41] offset:8192
.LBB504_42:
	s_or_b32 exec_lo, exec_lo, s9
	v_or_b32_e32 v33, 0x900, v0
	s_delay_alu instid0(VALU_DEP_1)
	v_cmp_gt_u32_e64 s9, s43, v33
	s_and_saveexec_b32 s10, s9
	s_cbranch_execz .LBB504_44
; %bb.43:
	v_lshlrev_b32_e32 v10, 2, v0
	global_load_b32 v10, v10, s[40:41] offset:9216
.LBB504_44:
	s_or_b32 exec_lo, exec_lo, s10
	v_or_b32_e32 v33, 0xa00, v0
	s_delay_alu instid0(VALU_DEP_1)
	v_cmp_gt_u32_e64 s10, s43, v33
	s_and_saveexec_b32 s11, s10
	s_cbranch_execz .LBB504_46
; %bb.45:
	v_lshlrev_b32_e32 v11, 2, v0
	global_load_b32 v11, v11, s[40:41] offset:10240
.LBB504_46:
	s_or_b32 exec_lo, exec_lo, s11
	v_or_b32_e32 v33, 0xb00, v0
	s_delay_alu instid0(VALU_DEP_1)
	v_cmp_gt_u32_e64 s11, s43, v33
	s_and_saveexec_b32 s12, s11
	s_cbranch_execz .LBB504_48
; %bb.47:
	v_lshlrev_b32_e32 v12, 2, v0
	global_load_b32 v12, v12, s[40:41] offset:11264
.LBB504_48:
	s_or_b32 exec_lo, exec_lo, s12
	v_or_b32_e32 v33, 0xc00, v0
	s_delay_alu instid0(VALU_DEP_1)
	v_cmp_gt_u32_e64 s12, s43, v33
	s_and_saveexec_b32 s13, s12
	s_cbranch_execz .LBB504_50
; %bb.49:
	v_lshlrev_b32_e32 v13, 2, v0
	global_load_b32 v13, v13, s[40:41] offset:12288
.LBB504_50:
	s_or_b32 exec_lo, exec_lo, s13
	v_or_b32_e32 v33, 0xd00, v0
	s_delay_alu instid0(VALU_DEP_1)
	v_cmp_gt_u32_e64 s13, s43, v33
	s_and_saveexec_b32 s14, s13
	s_cbranch_execz .LBB504_52
; %bb.51:
	v_lshlrev_b32_e32 v14, 2, v0
	global_load_b32 v14, v14, s[40:41] offset:13312
.LBB504_52:
	s_or_b32 exec_lo, exec_lo, s14
	v_or_b32_e32 v33, 0xe00, v0
	s_delay_alu instid0(VALU_DEP_1)
	v_cmp_gt_u32_e64 s14, s43, v33
	s_and_saveexec_b32 s15, s14
	s_cbranch_execz .LBB504_54
; %bb.53:
	v_lshlrev_b32_e32 v15, 2, v0
	global_load_b32 v15, v15, s[40:41] offset:14336
.LBB504_54:
	s_or_b32 exec_lo, exec_lo, s15
	v_or_b32_e32 v33, 0xf00, v0
	s_delay_alu instid0(VALU_DEP_1)
	v_cmp_gt_u32_e64 s15, s43, v33
	s_and_saveexec_b32 s16, s15
	s_cbranch_execz .LBB504_56
; %bb.55:
	v_lshlrev_b32_e32 v16, 2, v0
	global_load_b32 v16, v16, s[40:41] offset:15360
.LBB504_56:
	s_or_b32 exec_lo, exec_lo, s16
	v_or_b32_e32 v33, 0x1000, v0
	s_delay_alu instid0(VALU_DEP_1)
	v_cmp_gt_u32_e64 s16, s43, v33
	s_and_saveexec_b32 s17, s16
	s_cbranch_execz .LBB504_58
; %bb.57:
	v_lshlrev_b32_e32 v17, 2, v0
	global_load_b32 v17, v17, s[40:41] offset:16384
.LBB504_58:
	s_or_b32 exec_lo, exec_lo, s17
	v_or_b32_e32 v33, 0x1100, v0
	s_delay_alu instid0(VALU_DEP_1)
	v_cmp_gt_u32_e64 s17, s43, v33
	s_and_saveexec_b32 s18, s17
	s_cbranch_execz .LBB504_60
; %bb.59:
	v_lshlrev_b32_e32 v18, 2, v0
	global_load_b32 v18, v18, s[40:41] offset:17408
.LBB504_60:
	s_or_b32 exec_lo, exec_lo, s18
	v_or_b32_e32 v33, 0x1200, v0
	s_delay_alu instid0(VALU_DEP_1)
	v_cmp_gt_u32_e64 s18, s43, v33
	s_and_saveexec_b32 s19, s18
	s_cbranch_execz .LBB504_62
; %bb.61:
	v_lshlrev_b32_e32 v19, 2, v0
	global_load_b32 v19, v19, s[40:41] offset:18432
.LBB504_62:
	s_or_b32 exec_lo, exec_lo, s19
	v_or_b32_e32 v33, 0x1300, v0
	s_delay_alu instid0(VALU_DEP_1)
	v_cmp_gt_u32_e64 s19, s43, v33
	s_and_saveexec_b32 s20, s19
	s_cbranch_execz .LBB504_64
; %bb.63:
	v_lshlrev_b32_e32 v20, 2, v0
	global_load_b32 v20, v20, s[40:41] offset:19456
.LBB504_64:
	s_or_b32 exec_lo, exec_lo, s20
	v_or_b32_e32 v33, 0x1400, v0
	s_delay_alu instid0(VALU_DEP_1)
	v_cmp_gt_u32_e64 s20, s43, v33
	s_and_saveexec_b32 s21, s20
	s_cbranch_execz .LBB504_66
; %bb.65:
	v_lshlrev_b32_e32 v21, 2, v0
	global_load_b32 v21, v21, s[40:41] offset:20480
.LBB504_66:
	s_or_b32 exec_lo, exec_lo, s21
	v_or_b32_e32 v33, 0x1500, v0
	s_delay_alu instid0(VALU_DEP_1)
	v_cmp_gt_u32_e64 s21, s43, v33
	s_and_saveexec_b32 s22, s21
	s_cbranch_execz .LBB504_68
; %bb.67:
	v_lshlrev_b32_e32 v22, 2, v0
	global_load_b32 v22, v22, s[40:41] offset:21504
.LBB504_68:
	s_or_b32 exec_lo, exec_lo, s22
	v_or_b32_e32 v33, 0x1600, v0
	s_delay_alu instid0(VALU_DEP_1)
	v_cmp_gt_u32_e64 s22, s43, v33
	s_and_saveexec_b32 s23, s22
	s_cbranch_execz .LBB504_70
; %bb.69:
	v_lshlrev_b32_e32 v23, 2, v0
	global_load_b32 v23, v23, s[40:41] offset:22528
.LBB504_70:
	s_or_b32 exec_lo, exec_lo, s23
	v_or_b32_e32 v33, 0x1700, v0
	s_delay_alu instid0(VALU_DEP_1)
	v_cmp_gt_u32_e64 s23, s43, v33
	s_and_saveexec_b32 s24, s23
	s_cbranch_execz .LBB504_72
; %bb.71:
	v_lshlrev_b32_e32 v24, 2, v0
	global_load_b32 v24, v24, s[40:41] offset:23552
.LBB504_72:
	s_or_b32 exec_lo, exec_lo, s24
	v_or_b32_e32 v33, 0x1800, v0
	s_delay_alu instid0(VALU_DEP_1)
	v_cmp_gt_u32_e64 s24, s43, v33
	s_and_saveexec_b32 s25, s24
	s_cbranch_execz .LBB504_74
; %bb.73:
	v_lshlrev_b32_e32 v25, 2, v0
	global_load_b32 v25, v25, s[40:41] offset:24576
.LBB504_74:
	s_or_b32 exec_lo, exec_lo, s25
	v_or_b32_e32 v33, 0x1900, v0
	s_delay_alu instid0(VALU_DEP_1)
	v_cmp_gt_u32_e64 s25, s43, v33
	s_and_saveexec_b32 s26, s25
	s_cbranch_execz .LBB504_76
; %bb.75:
	v_lshlrev_b32_e32 v26, 2, v0
	global_load_b32 v26, v26, s[40:41] offset:25600
.LBB504_76:
	s_or_b32 exec_lo, exec_lo, s26
	v_or_b32_e32 v33, 0x1a00, v0
	s_delay_alu instid0(VALU_DEP_1)
	v_cmp_gt_u32_e64 s26, s43, v33
	s_and_saveexec_b32 s27, s26
	s_cbranch_execz .LBB504_78
; %bb.77:
	v_lshlrev_b32_e32 v27, 2, v0
	global_load_b32 v27, v27, s[40:41] offset:26624
.LBB504_78:
	s_or_b32 exec_lo, exec_lo, s27
	v_or_b32_e32 v33, 0x1b00, v0
	s_delay_alu instid0(VALU_DEP_1)
	v_cmp_gt_u32_e64 s27, s43, v33
	s_and_saveexec_b32 s28, s27
	s_cbranch_execz .LBB504_80
; %bb.79:
	v_lshlrev_b32_e32 v28, 2, v0
	global_load_b32 v28, v28, s[40:41] offset:27648
.LBB504_80:
	s_or_b32 exec_lo, exec_lo, s28
	v_or_b32_e32 v33, 0x1c00, v0
	s_delay_alu instid0(VALU_DEP_1)
	v_cmp_gt_u32_e64 s28, s43, v33
	s_and_saveexec_b32 s29, s28
	s_cbranch_execz .LBB504_82
; %bb.81:
	v_lshlrev_b32_e32 v29, 2, v0
	global_load_b32 v29, v29, s[40:41] offset:28672
.LBB504_82:
	s_or_b32 exec_lo, exec_lo, s29
	v_or_b32_e32 v33, 0x1d00, v0
	s_delay_alu instid0(VALU_DEP_1)
	v_cmp_gt_u32_e64 s29, s43, v33
	s_and_saveexec_b32 s30, s29
	s_cbranch_execz .LBB504_84
; %bb.83:
	v_lshlrev_b32_e32 v30, 2, v0
	global_load_b32 v30, v30, s[40:41] offset:29696
.LBB504_84:
	s_or_b32 exec_lo, exec_lo, s30
	v_or_b32_e32 v33, 0x1e00, v0
	s_delay_alu instid0(VALU_DEP_1)
	v_cmp_gt_u32_e64 s30, s43, v33
	s_and_saveexec_b32 s31, s30
	s_cbranch_execz .LBB504_86
; %bb.85:
	v_lshlrev_b32_e32 v31, 2, v0
	global_load_b32 v31, v31, s[40:41] offset:30720
.LBB504_86:
	s_or_b32 exec_lo, exec_lo, s31
	v_or_b32_e32 v33, 0x1f00, v0
	s_delay_alu instid0(VALU_DEP_1)
	v_cmp_gt_u32_e64 s31, s43, v33
	s_and_saveexec_b32 s44, s31
	s_cbranch_execz .LBB504_88
; %bb.87:
	v_lshlrev_b32_e32 v32, 2, v0
	global_load_b32 v32, v32, s[40:41] offset:31744
.LBB504_88:
	s_or_b32 exec_lo, exec_lo, s44
	s_wait_loadcnt 0x0
	v_cndmask_b32_e32 v2, 0, v2, vcc_lo
	v_cndmask_b32_e64 v3, 0, v3, s2
	v_cndmask_b32_e64 v4, 0, v4, s3
	s_min_u32 s2, s43, 0x100
	s_mov_b32 s3, exec_lo
	v_add_nc_u32_e32 v1, v2, v1
	v_cndmask_b32_e64 v2, 0, v5, s4
	v_cndmask_b32_e64 v5, 0, v6, s5
	;; [unrolled: 1-line block ×3, first 2 shown]
	s_delay_alu instid0(VALU_DEP_4) | instskip(SKIP_3) | instid1(VALU_DEP_4)
	v_add3_u32 v1, v1, v3, v4
	v_cndmask_b32_e64 v3, 0, v7, s6
	v_cndmask_b32_e64 v4, 0, v8, s7
	;; [unrolled: 1-line block ×3, first 2 shown]
	v_add3_u32 v1, v1, v2, v5
	v_cndmask_b32_e64 v2, 0, v9, s8
	v_cndmask_b32_e64 v5, 0, v10, s9
	s_delay_alu instid0(VALU_DEP_3) | instskip(SKIP_2) | instid1(VALU_DEP_3)
	v_add3_u32 v1, v1, v3, v4
	v_cndmask_b32_e64 v3, 0, v11, s10
	v_cndmask_b32_e64 v4, 0, v12, s11
	v_add3_u32 v1, v1, v2, v5
	v_cndmask_b32_e64 v2, 0, v13, s12
	v_cndmask_b32_e64 v5, 0, v14, s13
	s_delay_alu instid0(VALU_DEP_3) | instskip(SKIP_2) | instid1(VALU_DEP_3)
	v_add3_u32 v1, v1, v3, v4
	v_cndmask_b32_e64 v3, 0, v15, s14
	v_cndmask_b32_e64 v4, 0, v16, s15
	;; [unrolled: 7-line block ×5, first 2 shown]
	v_add3_u32 v1, v1, v2, v5
	v_mbcnt_lo_u32_b32 v2, -1, 0
	v_cndmask_b32_e64 v5, 0, v29, s28
	s_delay_alu instid0(VALU_DEP_3) | instskip(NEXT) | instid1(VALU_DEP_3)
	v_add3_u32 v1, v1, v3, v4
	v_cmp_ne_u32_e32 vcc_lo, 31, v2
	v_cndmask_b32_e64 v3, 0, v32, s31
	s_delay_alu instid0(VALU_DEP_3)
	v_add3_u32 v1, v1, v5, v6
	s_wait_alu 0xfffd
	v_add_co_ci_u32_e64 v4, null, 0, v2, vcc_lo
	v_add_nc_u32_e32 v5, 1, v2
	v_cmp_gt_u32_e32 vcc_lo, 30, v2
	v_add3_u32 v1, v1, v7, v3
	s_delay_alu instid0(VALU_DEP_4)
	v_lshlrev_b32_e32 v4, 2, v4
	s_wait_alu 0xfffd
	v_cndmask_b32_e64 v6, 0, 2, vcc_lo
	ds_bpermute_b32 v3, v4, v1
	v_and_b32_e32 v4, 0xe0, v0
	s_wait_alu 0xfffe
	s_delay_alu instid0(VALU_DEP_1) | instskip(NEXT) | instid1(VALU_DEP_1)
	v_sub_nc_u32_e64 v4, s2, v4 clamp
	v_cmp_lt_u32_e32 vcc_lo, v5, v4
	v_add_lshl_u32 v5, v6, v2, 2
	s_wait_dscnt 0x0
	s_wait_alu 0xfffd
	v_cndmask_b32_e32 v3, 0, v3, vcc_lo
	v_cmp_gt_u32_e32 vcc_lo, 28, v2
	s_delay_alu instid0(VALU_DEP_2) | instskip(SKIP_4) | instid1(VALU_DEP_1)
	v_add_nc_u32_e32 v1, v1, v3
	s_wait_alu 0xfffd
	v_cndmask_b32_e64 v6, 0, 4, vcc_lo
	ds_bpermute_b32 v3, v5, v1
	v_add_nc_u32_e32 v5, 2, v2
	v_cmp_lt_u32_e32 vcc_lo, v5, v4
	v_add_lshl_u32 v5, v6, v2, 2
	s_wait_dscnt 0x0
	s_wait_alu 0xfffd
	v_cndmask_b32_e32 v3, 0, v3, vcc_lo
	v_cmp_gt_u32_e32 vcc_lo, 24, v2
	s_delay_alu instid0(VALU_DEP_2) | instskip(SKIP_4) | instid1(VALU_DEP_1)
	v_add_nc_u32_e32 v1, v1, v3
	s_wait_alu 0xfffd
	v_cndmask_b32_e64 v6, 0, 8, vcc_lo
	ds_bpermute_b32 v3, v5, v1
	v_add_nc_u32_e32 v5, 4, v2
	v_cmp_lt_u32_e32 vcc_lo, v5, v4
	v_add_lshl_u32 v5, v6, v2, 2
	s_wait_dscnt 0x0
	s_wait_alu 0xfffd
	v_cndmask_b32_e32 v3, 0, v3, vcc_lo
	s_delay_alu instid0(VALU_DEP_1) | instskip(SKIP_3) | instid1(VALU_DEP_1)
	v_add_nc_u32_e32 v1, v1, v3
	v_lshlrev_b32_e32 v3, 2, v2
	ds_bpermute_b32 v5, v5, v1
	v_add_nc_u32_e32 v6, 8, v2
	v_cmp_lt_u32_e32 vcc_lo, v6, v4
	v_or_b32_e32 v6, 64, v3
	s_wait_dscnt 0x0
	s_wait_alu 0xfffd
	v_cndmask_b32_e32 v5, 0, v5, vcc_lo
	s_delay_alu instid0(VALU_DEP_1) | instskip(SKIP_2) | instid1(VALU_DEP_1)
	v_add_nc_u32_e32 v1, v1, v5
	ds_bpermute_b32 v5, v6, v1
	v_add_nc_u32_e32 v6, 16, v2
	v_cmp_lt_u32_e32 vcc_lo, v6, v4
	s_wait_dscnt 0x0
	s_wait_alu 0xfffd
	v_cndmask_b32_e32 v4, 0, v5, vcc_lo
	s_delay_alu instid0(VALU_DEP_1)
	v_add_nc_u32_e32 v1, v1, v4
	v_cmpx_eq_u32_e32 0, v2
; %bb.89:
	v_lshrrev_b32_e32 v4, 3, v0
	s_delay_alu instid0(VALU_DEP_1)
	v_and_b32_e32 v4, 28, v4
	ds_store_b32 v4, v1 offset:192
; %bb.90:
	s_or_b32 exec_lo, exec_lo, s3
	s_delay_alu instid0(SALU_CYCLE_1)
	s_mov_b32 s3, exec_lo
	s_wait_dscnt 0x0
	s_barrier_signal -1
	s_barrier_wait -1
	global_inv scope:SCOPE_SE
	v_cmpx_gt_u32_e32 8, v0
	s_cbranch_execz .LBB504_92
; %bb.91:
	ds_load_b32 v1, v3 offset:192
	v_and_b32_e32 v4, 7, v2
	s_add_co_i32 s2, s2, 31
	s_wait_alu 0xfffe
	s_lshr_b32 s2, s2, 5
	s_delay_alu instid0(VALU_DEP_1) | instskip(SKIP_4) | instid1(VALU_DEP_2)
	v_cmp_ne_u32_e32 vcc_lo, 7, v4
	v_add_nc_u32_e32 v6, 1, v4
	s_wait_alu 0xfffd
	v_add_co_ci_u32_e64 v5, null, 0, v2, vcc_lo
	v_cmp_gt_u32_e32 vcc_lo, 6, v4
	v_lshlrev_b32_e32 v5, 2, v5
	s_wait_alu 0xfffd
	v_cndmask_b32_e64 v7, 0, 2, vcc_lo
	s_wait_alu 0xfffe
	v_cmp_gt_u32_e32 vcc_lo, s2, v6
	s_wait_dscnt 0x0
	ds_bpermute_b32 v5, v5, v1
	v_add_lshl_u32 v2, v7, v2, 2
	s_wait_dscnt 0x0
	s_wait_alu 0xfffd
	v_cndmask_b32_e32 v5, 0, v5, vcc_lo
	s_delay_alu instid0(VALU_DEP_1)
	v_add_nc_u32_e32 v1, v5, v1
	v_add_nc_u32_e32 v5, 2, v4
	ds_bpermute_b32 v2, v2, v1
	v_cmp_gt_u32_e32 vcc_lo, s2, v5
	s_wait_dscnt 0x0
	s_wait_alu 0xfffd
	v_cndmask_b32_e32 v2, 0, v2, vcc_lo
	s_delay_alu instid0(VALU_DEP_1)
	v_add_nc_u32_e32 v1, v1, v2
	v_or_b32_e32 v2, 16, v3
	v_add_nc_u32_e32 v3, 4, v4
	ds_bpermute_b32 v2, v2, v1
	v_cmp_gt_u32_e32 vcc_lo, s2, v3
	s_wait_dscnt 0x0
	s_wait_alu 0xfffd
	v_cndmask_b32_e32 v2, 0, v2, vcc_lo
	s_delay_alu instid0(VALU_DEP_1)
	v_add_nc_u32_e32 v1, v1, v2
.LBB504_92:
	s_wait_alu 0xfffe
	s_or_b32 exec_lo, exec_lo, s3
	v_cmp_eq_u32_e64 s2, 0, v0
	s_and_b32 vcc_lo, exec_lo, s42
	s_wait_alu 0xfffe
	s_cbranch_vccnz .LBB504_15
.LBB504_93:
	s_branch .LBB504_142
.LBB504_94:
	s_mov_b32 s3, -1
                                        ; implicit-def: $vgpr1
.LBB504_95:
	s_wait_alu 0xfffe
	s_and_b32 vcc_lo, exec_lo, s3
	s_wait_alu 0xfffe
	s_cbranch_vccz .LBB504_133
; %bb.96:
	v_mov_b32_e32 v1, 0
	s_sub_co_i32 s18, s38, s2
	s_mov_b32 s2, exec_lo
	s_delay_alu instid0(VALU_DEP_1)
	v_dual_mov_b32 v2, v1 :: v_dual_mov_b32 v3, v1
	v_dual_mov_b32 v4, v1 :: v_dual_mov_b32 v5, v1
	;; [unrolled: 1-line block ×7, first 2 shown]
	v_mov_b32_e32 v16, v1
	s_wait_alu 0xfffe
	v_cmpx_gt_u32_e64 s18, v0
	s_cbranch_execz .LBB504_98
; %bb.97:
	v_dual_mov_b32 v3, v1 :: v_dual_lshlrev_b32 v2, 2, v0
	v_dual_mov_b32 v16, v1 :: v_dual_mov_b32 v17, v1
	v_dual_mov_b32 v4, v1 :: v_dual_mov_b32 v5, v1
	global_load_b32 v2, v2, s[16:17]
	v_dual_mov_b32 v6, v1 :: v_dual_mov_b32 v7, v1
	v_dual_mov_b32 v8, v1 :: v_dual_mov_b32 v9, v1
	v_dual_mov_b32 v10, v1 :: v_dual_mov_b32 v11, v1
	v_dual_mov_b32 v12, v1 :: v_dual_mov_b32 v13, v1
	v_dual_mov_b32 v14, v1 :: v_dual_mov_b32 v15, v1
	s_wait_loadcnt 0x0
	v_mov_b32_e32 v1, v2
	v_mov_b32_e32 v2, v3
	;; [unrolled: 1-line block ×16, first 2 shown]
.LBB504_98:
	s_or_b32 exec_lo, exec_lo, s2
	v_or_b32_e32 v17, 0x100, v0
	s_delay_alu instid0(VALU_DEP_1)
	v_cmp_gt_u32_e32 vcc_lo, s18, v17
	s_and_saveexec_b32 s2, vcc_lo
	s_cbranch_execz .LBB504_100
; %bb.99:
	v_lshlrev_b32_e32 v2, 2, v0
	global_load_b32 v2, v2, s[16:17] offset:1024
.LBB504_100:
	s_wait_alu 0xfffe
	s_or_b32 exec_lo, exec_lo, s2
	v_or_b32_e32 v17, 0x200, v0
	s_delay_alu instid0(VALU_DEP_1)
	v_cmp_gt_u32_e64 s2, s18, v17
	s_and_saveexec_b32 s3, s2
	s_cbranch_execz .LBB504_102
; %bb.101:
	v_lshlrev_b32_e32 v3, 2, v0
	global_load_b32 v3, v3, s[16:17] offset:2048
.LBB504_102:
	s_wait_alu 0xfffe
	s_or_b32 exec_lo, exec_lo, s3
	v_or_b32_e32 v17, 0x300, v0
	s_delay_alu instid0(VALU_DEP_1)
	v_cmp_gt_u32_e64 s3, s18, v17
	s_and_saveexec_b32 s4, s3
	;; [unrolled: 11-line block ×14, first 2 shown]
	s_cbranch_execz .LBB504_128
; %bb.127:
	v_lshlrev_b32_e32 v16, 2, v0
	global_load_b32 v16, v16, s[16:17] offset:15360
.LBB504_128:
	s_wait_alu 0xfffe
	s_or_b32 exec_lo, exec_lo, s19
	s_wait_loadcnt 0x0
	v_cndmask_b32_e32 v2, 0, v2, vcc_lo
	v_cndmask_b32_e64 v3, 0, v3, s2
	v_cndmask_b32_e64 v4, 0, v4, s3
	s_min_u32 s2, s18, 0x100
	s_mov_b32 s3, exec_lo
	v_add_nc_u32_e32 v1, v2, v1
	v_cndmask_b32_e64 v2, 0, v5, s4
	v_cndmask_b32_e64 v5, 0, v6, s5
	;; [unrolled: 1-line block ×3, first 2 shown]
	s_delay_alu instid0(VALU_DEP_4) | instskip(SKIP_3) | instid1(VALU_DEP_4)
	v_add3_u32 v1, v1, v3, v4
	v_cndmask_b32_e64 v3, 0, v7, s6
	v_cndmask_b32_e64 v4, 0, v8, s7
	;; [unrolled: 1-line block ×3, first 2 shown]
	v_add3_u32 v1, v1, v2, v5
	v_cndmask_b32_e64 v2, 0, v9, s8
	v_cndmask_b32_e64 v5, 0, v10, s9
	s_delay_alu instid0(VALU_DEP_3) | instskip(SKIP_2) | instid1(VALU_DEP_3)
	v_add3_u32 v1, v1, v3, v4
	v_cndmask_b32_e64 v3, 0, v11, s10
	v_cndmask_b32_e64 v4, 0, v12, s11
	v_add3_u32 v1, v1, v2, v5
	v_mbcnt_lo_u32_b32 v2, -1, 0
	v_cndmask_b32_e64 v5, 0, v13, s12
	s_delay_alu instid0(VALU_DEP_3) | instskip(NEXT) | instid1(VALU_DEP_3)
	v_add3_u32 v1, v1, v3, v4
	v_cmp_ne_u32_e32 vcc_lo, 31, v2
	v_cndmask_b32_e64 v3, 0, v16, s15
	s_delay_alu instid0(VALU_DEP_3)
	v_add3_u32 v1, v1, v5, v6
	s_wait_alu 0xfffd
	v_add_co_ci_u32_e64 v4, null, 0, v2, vcc_lo
	v_add_nc_u32_e32 v5, 1, v2
	v_cmp_gt_u32_e32 vcc_lo, 30, v2
	v_add3_u32 v1, v1, v7, v3
	s_delay_alu instid0(VALU_DEP_4)
	v_lshlrev_b32_e32 v4, 2, v4
	s_wait_alu 0xfffd
	v_cndmask_b32_e64 v6, 0, 2, vcc_lo
	ds_bpermute_b32 v3, v4, v1
	v_and_b32_e32 v4, 0xe0, v0
	s_wait_alu 0xfffe
	s_delay_alu instid0(VALU_DEP_1) | instskip(NEXT) | instid1(VALU_DEP_1)
	v_sub_nc_u32_e64 v4, s2, v4 clamp
	v_cmp_lt_u32_e32 vcc_lo, v5, v4
	v_add_lshl_u32 v5, v6, v2, 2
	s_wait_dscnt 0x0
	s_wait_alu 0xfffd
	v_cndmask_b32_e32 v3, 0, v3, vcc_lo
	v_cmp_gt_u32_e32 vcc_lo, 28, v2
	s_delay_alu instid0(VALU_DEP_2) | instskip(SKIP_4) | instid1(VALU_DEP_1)
	v_add_nc_u32_e32 v1, v1, v3
	s_wait_alu 0xfffd
	v_cndmask_b32_e64 v6, 0, 4, vcc_lo
	ds_bpermute_b32 v3, v5, v1
	v_add_nc_u32_e32 v5, 2, v2
	v_cmp_lt_u32_e32 vcc_lo, v5, v4
	v_add_lshl_u32 v5, v6, v2, 2
	s_wait_dscnt 0x0
	s_wait_alu 0xfffd
	v_cndmask_b32_e32 v3, 0, v3, vcc_lo
	v_cmp_gt_u32_e32 vcc_lo, 24, v2
	s_delay_alu instid0(VALU_DEP_2) | instskip(SKIP_4) | instid1(VALU_DEP_1)
	v_add_nc_u32_e32 v1, v1, v3
	s_wait_alu 0xfffd
	v_cndmask_b32_e64 v6, 0, 8, vcc_lo
	ds_bpermute_b32 v3, v5, v1
	v_add_nc_u32_e32 v5, 4, v2
	v_cmp_lt_u32_e32 vcc_lo, v5, v4
	v_add_lshl_u32 v5, v6, v2, 2
	s_wait_dscnt 0x0
	s_wait_alu 0xfffd
	v_cndmask_b32_e32 v3, 0, v3, vcc_lo
	s_delay_alu instid0(VALU_DEP_1) | instskip(SKIP_3) | instid1(VALU_DEP_1)
	v_add_nc_u32_e32 v1, v1, v3
	v_lshlrev_b32_e32 v3, 2, v2
	ds_bpermute_b32 v5, v5, v1
	v_add_nc_u32_e32 v6, 8, v2
	v_cmp_lt_u32_e32 vcc_lo, v6, v4
	v_or_b32_e32 v6, 64, v3
	s_wait_dscnt 0x0
	s_wait_alu 0xfffd
	v_cndmask_b32_e32 v5, 0, v5, vcc_lo
	s_delay_alu instid0(VALU_DEP_1) | instskip(SKIP_2) | instid1(VALU_DEP_1)
	v_add_nc_u32_e32 v1, v1, v5
	ds_bpermute_b32 v5, v6, v1
	v_add_nc_u32_e32 v6, 16, v2
	v_cmp_lt_u32_e32 vcc_lo, v6, v4
	s_wait_dscnt 0x0
	s_wait_alu 0xfffd
	v_cndmask_b32_e32 v4, 0, v5, vcc_lo
	s_delay_alu instid0(VALU_DEP_1)
	v_add_nc_u32_e32 v1, v1, v4
	v_cmpx_eq_u32_e32 0, v2
; %bb.129:
	v_lshrrev_b32_e32 v4, 3, v0
	s_delay_alu instid0(VALU_DEP_1)
	v_and_b32_e32 v4, 28, v4
	ds_store_b32 v4, v1 offset:192
; %bb.130:
	s_or_b32 exec_lo, exec_lo, s3
	s_delay_alu instid0(SALU_CYCLE_1)
	s_mov_b32 s3, exec_lo
	s_wait_dscnt 0x0
	s_barrier_signal -1
	s_barrier_wait -1
	global_inv scope:SCOPE_SE
	v_cmpx_gt_u32_e32 8, v0
	s_cbranch_execz .LBB504_132
; %bb.131:
	ds_load_b32 v1, v3 offset:192
	v_and_b32_e32 v4, 7, v2
	s_add_co_i32 s2, s2, 31
	s_wait_alu 0xfffe
	s_lshr_b32 s2, s2, 5
	s_delay_alu instid0(VALU_DEP_1) | instskip(SKIP_4) | instid1(VALU_DEP_2)
	v_cmp_ne_u32_e32 vcc_lo, 7, v4
	v_add_nc_u32_e32 v6, 1, v4
	s_wait_alu 0xfffd
	v_add_co_ci_u32_e64 v5, null, 0, v2, vcc_lo
	v_cmp_gt_u32_e32 vcc_lo, 6, v4
	v_lshlrev_b32_e32 v5, 2, v5
	s_wait_alu 0xfffd
	v_cndmask_b32_e64 v7, 0, 2, vcc_lo
	s_wait_alu 0xfffe
	v_cmp_gt_u32_e32 vcc_lo, s2, v6
	s_wait_dscnt 0x0
	ds_bpermute_b32 v5, v5, v1
	v_add_lshl_u32 v2, v7, v2, 2
	s_wait_dscnt 0x0
	s_wait_alu 0xfffd
	v_cndmask_b32_e32 v5, 0, v5, vcc_lo
	s_delay_alu instid0(VALU_DEP_1)
	v_add_nc_u32_e32 v1, v5, v1
	v_add_nc_u32_e32 v5, 2, v4
	ds_bpermute_b32 v2, v2, v1
	v_cmp_gt_u32_e32 vcc_lo, s2, v5
	s_wait_dscnt 0x0
	s_wait_alu 0xfffd
	v_cndmask_b32_e32 v2, 0, v2, vcc_lo
	s_delay_alu instid0(VALU_DEP_1)
	v_add_nc_u32_e32 v1, v1, v2
	v_or_b32_e32 v2, 16, v3
	v_add_nc_u32_e32 v3, 4, v4
	ds_bpermute_b32 v2, v2, v1
	v_cmp_gt_u32_e32 vcc_lo, s2, v3
	s_wait_dscnt 0x0
	s_wait_alu 0xfffd
	v_cndmask_b32_e32 v2, 0, v2, vcc_lo
	s_delay_alu instid0(VALU_DEP_1)
	v_add_nc_u32_e32 v1, v1, v2
.LBB504_132:
	s_wait_alu 0xfffe
	s_or_b32 exec_lo, exec_lo, s3
.LBB504_133:
	v_cmp_eq_u32_e64 s2, 0, v0
	s_branch .LBB504_142
.LBB504_134:
	s_cmp_eq_u32 s33, 8
	s_cbranch_scc0 .LBB504_141
; %bb.135:
	s_mov_b32 s35, 0
	s_lshl_b32 s2, s34, 11
	s_mov_b32 s3, s35
	s_lshr_b64 s[4:5], s[38:39], 11
	s_lshl_b64 s[6:7], s[2:3], 2
	s_cmp_lg_u64 s[4:5], s[34:35]
	s_add_nc_u64 s[8:9], s[36:37], s[6:7]
	s_cbranch_scc0 .LBB504_143
; %bb.136:
	v_lshlrev_b32_e32 v1, 2, v0
	s_mov_b32 s3, exec_lo
	s_clause 0x7
	global_load_b32 v2, v1, s[8:9]
	global_load_b32 v3, v1, s[8:9] offset:1024
	global_load_b32 v4, v1, s[8:9] offset:2048
	;; [unrolled: 1-line block ×7, first 2 shown]
	s_wait_loadcnt 0x6
	v_add_nc_u32_e32 v2, v3, v2
	s_wait_loadcnt 0x4
	s_delay_alu instid0(VALU_DEP_1) | instskip(SKIP_1) | instid1(VALU_DEP_1)
	v_add3_u32 v2, v2, v4, v5
	s_wait_loadcnt 0x2
	v_add3_u32 v2, v2, v6, v7
	s_wait_loadcnt 0x0
	s_delay_alu instid0(VALU_DEP_1) | instskip(NEXT) | instid1(VALU_DEP_1)
	v_add3_u32 v1, v2, v8, v1
	v_mov_b32_dpp v2, v1 quad_perm:[1,0,3,2] row_mask:0xf bank_mask:0xf
	s_delay_alu instid0(VALU_DEP_1) | instskip(NEXT) | instid1(VALU_DEP_1)
	v_add_nc_u32_e32 v1, v2, v1
	v_mov_b32_dpp v2, v1 quad_perm:[2,3,0,1] row_mask:0xf bank_mask:0xf
	s_delay_alu instid0(VALU_DEP_1) | instskip(NEXT) | instid1(VALU_DEP_1)
	v_add_nc_u32_e32 v1, v1, v2
	v_mov_b32_dpp v2, v1 row_ror:4 row_mask:0xf bank_mask:0xf
	s_delay_alu instid0(VALU_DEP_1) | instskip(NEXT) | instid1(VALU_DEP_1)
	v_add_nc_u32_e32 v1, v1, v2
	v_mov_b32_dpp v2, v1 row_ror:8 row_mask:0xf bank_mask:0xf
	s_delay_alu instid0(VALU_DEP_1)
	v_add_nc_u32_e32 v1, v1, v2
	ds_swizzle_b32 v2, v1 offset:swizzle(BROADCAST,32,15)
	s_wait_dscnt 0x0
	v_dual_mov_b32 v2, 0 :: v_dual_add_nc_u32 v1, v1, v2
	ds_bpermute_b32 v1, v2, v1 offset:124
	v_mbcnt_lo_u32_b32 v2, -1, 0
	s_delay_alu instid0(VALU_DEP_1)
	v_cmpx_eq_u32_e32 0, v2
	s_cbranch_execz .LBB504_138
; %bb.137:
	v_lshrrev_b32_e32 v3, 3, v0
	s_delay_alu instid0(VALU_DEP_1)
	v_and_b32_e32 v3, 28, v3
	s_wait_dscnt 0x0
	ds_store_b32 v3, v1 offset:160
.LBB504_138:
	s_or_b32 exec_lo, exec_lo, s3
	s_delay_alu instid0(SALU_CYCLE_1)
	s_mov_b32 s3, exec_lo
	s_wait_dscnt 0x0
	s_barrier_signal -1
	s_barrier_wait -1
	global_inv scope:SCOPE_SE
	v_cmpx_gt_u32_e32 32, v0
	s_cbranch_execz .LBB504_140
; %bb.139:
	v_and_b32_e32 v1, 7, v2
	s_delay_alu instid0(VALU_DEP_1) | instskip(SKIP_4) | instid1(VALU_DEP_2)
	v_lshlrev_b32_e32 v3, 2, v1
	v_cmp_ne_u32_e32 vcc_lo, 7, v1
	ds_load_b32 v3, v3 offset:160
	v_add_co_ci_u32_e64 v4, null, 0, v2, vcc_lo
	v_cmp_gt_u32_e32 vcc_lo, 6, v1
	v_lshlrev_b32_e32 v4, 2, v4
	s_wait_alu 0xfffd
	v_cndmask_b32_e64 v1, 0, 2, vcc_lo
	s_delay_alu instid0(VALU_DEP_1) | instskip(SKIP_1) | instid1(VALU_DEP_1)
	v_add_lshl_u32 v1, v1, v2, 2
	v_lshlrev_b32_e32 v2, 2, v2
	v_or_b32_e32 v2, 16, v2
	s_wait_dscnt 0x0
	ds_bpermute_b32 v4, v4, v3
	s_wait_dscnt 0x0
	v_add_nc_u32_e32 v3, v4, v3
	ds_bpermute_b32 v1, v1, v3
	s_wait_dscnt 0x0
	v_add_nc_u32_e32 v1, v1, v3
	;; [unrolled: 3-line block ×3, first 2 shown]
.LBB504_140:
	s_or_b32 exec_lo, exec_lo, s3
	s_branch .LBB504_165
.LBB504_141:
                                        ; implicit-def: $vgpr1
.LBB504_142:
	s_branch .LBB504_224
.LBB504_143:
                                        ; implicit-def: $vgpr1
	s_cbranch_execz .LBB504_165
; %bb.144:
	v_mov_b32_e32 v1, 0
	s_sub_co_i32 s10, s38, s2
	s_mov_b32 s2, exec_lo
	s_delay_alu instid0(VALU_DEP_1)
	v_dual_mov_b32 v2, v1 :: v_dual_mov_b32 v3, v1
	v_dual_mov_b32 v4, v1 :: v_dual_mov_b32 v5, v1
	;; [unrolled: 1-line block ×3, first 2 shown]
	v_mov_b32_e32 v8, v1
	v_cmpx_gt_u32_e64 s10, v0
	s_cbranch_execz .LBB504_146
; %bb.145:
	v_dual_mov_b32 v3, v1 :: v_dual_lshlrev_b32 v2, 2, v0
	v_dual_mov_b32 v8, v1 :: v_dual_mov_b32 v9, v1
	v_dual_mov_b32 v4, v1 :: v_dual_mov_b32 v5, v1
	global_load_b32 v2, v2, s[8:9]
	v_dual_mov_b32 v6, v1 :: v_dual_mov_b32 v7, v1
	s_wait_loadcnt 0x0
	v_mov_b32_e32 v1, v2
	v_mov_b32_e32 v2, v3
	;; [unrolled: 1-line block ×8, first 2 shown]
.LBB504_146:
	s_or_b32 exec_lo, exec_lo, s2
	v_or_b32_e32 v9, 0x100, v0
	s_delay_alu instid0(VALU_DEP_1)
	v_cmp_gt_u32_e32 vcc_lo, s10, v9
	s_and_saveexec_b32 s2, vcc_lo
	s_cbranch_execz .LBB504_148
; %bb.147:
	v_lshlrev_b32_e32 v2, 2, v0
	global_load_b32 v2, v2, s[8:9] offset:1024
.LBB504_148:
	s_or_b32 exec_lo, exec_lo, s2
	v_or_b32_e32 v9, 0x200, v0
	s_delay_alu instid0(VALU_DEP_1)
	v_cmp_gt_u32_e64 s2, s10, v9
	s_and_saveexec_b32 s3, s2
	s_cbranch_execz .LBB504_150
; %bb.149:
	v_lshlrev_b32_e32 v3, 2, v0
	global_load_b32 v3, v3, s[8:9] offset:2048
.LBB504_150:
	s_or_b32 exec_lo, exec_lo, s3
	v_or_b32_e32 v9, 0x300, v0
	s_delay_alu instid0(VALU_DEP_1)
	v_cmp_gt_u32_e64 s3, s10, v9
	s_and_saveexec_b32 s4, s3
	s_cbranch_execz .LBB504_152
; %bb.151:
	v_lshlrev_b32_e32 v4, 2, v0
	global_load_b32 v4, v4, s[8:9] offset:3072
.LBB504_152:
	s_or_b32 exec_lo, exec_lo, s4
	v_or_b32_e32 v9, 0x400, v0
	s_delay_alu instid0(VALU_DEP_1)
	v_cmp_gt_u32_e64 s4, s10, v9
	s_and_saveexec_b32 s5, s4
	s_cbranch_execz .LBB504_154
; %bb.153:
	v_lshlrev_b32_e32 v5, 2, v0
	global_load_b32 v5, v5, s[8:9] offset:4096
.LBB504_154:
	s_or_b32 exec_lo, exec_lo, s5
	v_or_b32_e32 v9, 0x500, v0
	s_delay_alu instid0(VALU_DEP_1)
	v_cmp_gt_u32_e64 s5, s10, v9
	s_and_saveexec_b32 s6, s5
	s_cbranch_execz .LBB504_156
; %bb.155:
	v_lshlrev_b32_e32 v6, 2, v0
	global_load_b32 v6, v6, s[8:9] offset:5120
.LBB504_156:
	s_or_b32 exec_lo, exec_lo, s6
	v_or_b32_e32 v9, 0x600, v0
	s_delay_alu instid0(VALU_DEP_1)
	v_cmp_gt_u32_e64 s6, s10, v9
	s_and_saveexec_b32 s7, s6
	s_cbranch_execz .LBB504_158
; %bb.157:
	v_lshlrev_b32_e32 v7, 2, v0
	global_load_b32 v7, v7, s[8:9] offset:6144
.LBB504_158:
	s_or_b32 exec_lo, exec_lo, s7
	v_or_b32_e32 v9, 0x700, v0
	s_delay_alu instid0(VALU_DEP_1)
	v_cmp_gt_u32_e64 s7, s10, v9
	s_and_saveexec_b32 s11, s7
	s_cbranch_execz .LBB504_160
; %bb.159:
	v_lshlrev_b32_e32 v8, 2, v0
	global_load_b32 v8, v8, s[8:9] offset:7168
.LBB504_160:
	s_wait_alu 0xfffe
	s_or_b32 exec_lo, exec_lo, s11
	s_wait_loadcnt 0x0
	v_cndmask_b32_e32 v2, 0, v2, vcc_lo
	v_cndmask_b32_e64 v3, 0, v3, s2
	v_cndmask_b32_e64 v4, 0, v4, s3
	;; [unrolled: 1-line block ×4, first 2 shown]
	v_add_nc_u32_e32 v1, v2, v1
	v_mbcnt_lo_u32_b32 v2, -1, 0
	v_cndmask_b32_e64 v7, 0, v7, s6
	s_min_u32 s2, s10, 0x100
	s_mov_b32 s3, exec_lo
	v_add3_u32 v1, v1, v3, v4
	v_cmp_ne_u32_e32 vcc_lo, 31, v2
	v_cndmask_b32_e64 v3, 0, v8, s7
	s_delay_alu instid0(VALU_DEP_3)
	v_add3_u32 v1, v1, v5, v6
	s_wait_alu 0xfffd
	v_add_co_ci_u32_e64 v4, null, 0, v2, vcc_lo
	v_add_nc_u32_e32 v5, 1, v2
	v_cmp_gt_u32_e32 vcc_lo, 30, v2
	v_add3_u32 v1, v1, v7, v3
	s_delay_alu instid0(VALU_DEP_4)
	v_lshlrev_b32_e32 v4, 2, v4
	s_wait_alu 0xfffd
	v_cndmask_b32_e64 v6, 0, 2, vcc_lo
	ds_bpermute_b32 v3, v4, v1
	v_and_b32_e32 v4, 0xe0, v0
	s_wait_alu 0xfffe
	s_delay_alu instid0(VALU_DEP_1) | instskip(NEXT) | instid1(VALU_DEP_1)
	v_sub_nc_u32_e64 v4, s2, v4 clamp
	v_cmp_lt_u32_e32 vcc_lo, v5, v4
	v_add_lshl_u32 v5, v6, v2, 2
	s_wait_dscnt 0x0
	s_wait_alu 0xfffd
	v_cndmask_b32_e32 v3, 0, v3, vcc_lo
	v_cmp_gt_u32_e32 vcc_lo, 28, v2
	s_delay_alu instid0(VALU_DEP_2) | instskip(SKIP_4) | instid1(VALU_DEP_1)
	v_add_nc_u32_e32 v1, v1, v3
	s_wait_alu 0xfffd
	v_cndmask_b32_e64 v6, 0, 4, vcc_lo
	ds_bpermute_b32 v3, v5, v1
	v_add_nc_u32_e32 v5, 2, v2
	v_cmp_lt_u32_e32 vcc_lo, v5, v4
	v_add_lshl_u32 v5, v6, v2, 2
	s_wait_dscnt 0x0
	s_wait_alu 0xfffd
	v_cndmask_b32_e32 v3, 0, v3, vcc_lo
	v_cmp_gt_u32_e32 vcc_lo, 24, v2
	s_delay_alu instid0(VALU_DEP_2) | instskip(SKIP_4) | instid1(VALU_DEP_1)
	v_add_nc_u32_e32 v1, v1, v3
	s_wait_alu 0xfffd
	v_cndmask_b32_e64 v6, 0, 8, vcc_lo
	ds_bpermute_b32 v3, v5, v1
	v_add_nc_u32_e32 v5, 4, v2
	v_cmp_lt_u32_e32 vcc_lo, v5, v4
	v_add_lshl_u32 v5, v6, v2, 2
	s_wait_dscnt 0x0
	s_wait_alu 0xfffd
	v_cndmask_b32_e32 v3, 0, v3, vcc_lo
	s_delay_alu instid0(VALU_DEP_1) | instskip(SKIP_3) | instid1(VALU_DEP_1)
	v_add_nc_u32_e32 v1, v1, v3
	v_lshlrev_b32_e32 v3, 2, v2
	ds_bpermute_b32 v5, v5, v1
	v_add_nc_u32_e32 v6, 8, v2
	v_cmp_lt_u32_e32 vcc_lo, v6, v4
	v_or_b32_e32 v6, 64, v3
	s_wait_dscnt 0x0
	s_wait_alu 0xfffd
	v_cndmask_b32_e32 v5, 0, v5, vcc_lo
	s_delay_alu instid0(VALU_DEP_1) | instskip(SKIP_2) | instid1(VALU_DEP_1)
	v_add_nc_u32_e32 v1, v1, v5
	ds_bpermute_b32 v5, v6, v1
	v_add_nc_u32_e32 v6, 16, v2
	v_cmp_lt_u32_e32 vcc_lo, v6, v4
	s_wait_dscnt 0x0
	s_wait_alu 0xfffd
	v_cndmask_b32_e32 v4, 0, v5, vcc_lo
	s_delay_alu instid0(VALU_DEP_1)
	v_add_nc_u32_e32 v1, v1, v4
	v_cmpx_eq_u32_e32 0, v2
; %bb.161:
	v_lshrrev_b32_e32 v4, 3, v0
	s_delay_alu instid0(VALU_DEP_1)
	v_and_b32_e32 v4, 28, v4
	ds_store_b32 v4, v1 offset:192
; %bb.162:
	s_or_b32 exec_lo, exec_lo, s3
	s_delay_alu instid0(SALU_CYCLE_1)
	s_mov_b32 s3, exec_lo
	s_wait_dscnt 0x0
	s_barrier_signal -1
	s_barrier_wait -1
	global_inv scope:SCOPE_SE
	v_cmpx_gt_u32_e32 8, v0
	s_cbranch_execz .LBB504_164
; %bb.163:
	ds_load_b32 v1, v3 offset:192
	v_and_b32_e32 v4, 7, v2
	s_add_co_i32 s2, s2, 31
	s_wait_alu 0xfffe
	s_lshr_b32 s2, s2, 5
	s_delay_alu instid0(VALU_DEP_1) | instskip(SKIP_4) | instid1(VALU_DEP_2)
	v_cmp_ne_u32_e32 vcc_lo, 7, v4
	v_add_nc_u32_e32 v6, 1, v4
	s_wait_alu 0xfffd
	v_add_co_ci_u32_e64 v5, null, 0, v2, vcc_lo
	v_cmp_gt_u32_e32 vcc_lo, 6, v4
	v_lshlrev_b32_e32 v5, 2, v5
	s_wait_alu 0xfffd
	v_cndmask_b32_e64 v7, 0, 2, vcc_lo
	s_wait_alu 0xfffe
	v_cmp_gt_u32_e32 vcc_lo, s2, v6
	s_wait_dscnt 0x0
	ds_bpermute_b32 v5, v5, v1
	v_add_lshl_u32 v2, v7, v2, 2
	s_wait_dscnt 0x0
	s_wait_alu 0xfffd
	v_cndmask_b32_e32 v5, 0, v5, vcc_lo
	s_delay_alu instid0(VALU_DEP_1)
	v_add_nc_u32_e32 v1, v5, v1
	v_add_nc_u32_e32 v5, 2, v4
	ds_bpermute_b32 v2, v2, v1
	v_cmp_gt_u32_e32 vcc_lo, s2, v5
	s_wait_dscnt 0x0
	s_wait_alu 0xfffd
	v_cndmask_b32_e32 v2, 0, v2, vcc_lo
	s_delay_alu instid0(VALU_DEP_1)
	v_add_nc_u32_e32 v1, v1, v2
	v_or_b32_e32 v2, 16, v3
	v_add_nc_u32_e32 v3, 4, v4
	ds_bpermute_b32 v2, v2, v1
	v_cmp_gt_u32_e32 vcc_lo, s2, v3
	s_wait_dscnt 0x0
	s_wait_alu 0xfffd
	v_cndmask_b32_e32 v2, 0, v2, vcc_lo
	s_delay_alu instid0(VALU_DEP_1)
	v_add_nc_u32_e32 v1, v1, v2
.LBB504_164:
	s_wait_alu 0xfffe
	s_or_b32 exec_lo, exec_lo, s3
.LBB504_165:
	v_cmp_eq_u32_e64 s2, 0, v0
	s_branch .LBB504_224
.LBB504_166:
	s_cmp_gt_i32 s33, 1
	s_cbranch_scc0 .LBB504_175
; %bb.167:
	s_cmp_gt_i32 s33, 3
	s_cbranch_scc0 .LBB504_176
; %bb.168:
	s_cmp_eq_u32 s33, 4
	s_cbranch_scc0 .LBB504_177
; %bb.169:
	s_mov_b32 s35, 0
	s_lshl_b32 s2, s34, 10
	s_mov_b32 s3, s35
	s_lshr_b64 s[4:5], s[38:39], 10
	s_lshl_b64 s[6:7], s[2:3], 2
	s_cmp_lg_u64 s[4:5], s[34:35]
	s_add_nc_u64 s[4:5], s[36:37], s[6:7]
	s_cbranch_scc0 .LBB504_179
; %bb.170:
	v_lshlrev_b32_e32 v1, 2, v0
	s_mov_b32 s3, exec_lo
	s_clause 0x3
	global_load_b32 v2, v1, s[4:5]
	global_load_b32 v3, v1, s[4:5] offset:1024
	global_load_b32 v4, v1, s[4:5] offset:2048
	;; [unrolled: 1-line block ×3, first 2 shown]
	s_wait_loadcnt 0x2
	v_add_nc_u32_e32 v2, v3, v2
	s_wait_loadcnt 0x0
	s_delay_alu instid0(VALU_DEP_1) | instskip(NEXT) | instid1(VALU_DEP_1)
	v_add3_u32 v1, v2, v4, v1
	v_mov_b32_dpp v2, v1 quad_perm:[1,0,3,2] row_mask:0xf bank_mask:0xf
	s_delay_alu instid0(VALU_DEP_1) | instskip(NEXT) | instid1(VALU_DEP_1)
	v_add_nc_u32_e32 v1, v2, v1
	v_mov_b32_dpp v2, v1 quad_perm:[2,3,0,1] row_mask:0xf bank_mask:0xf
	s_delay_alu instid0(VALU_DEP_1) | instskip(NEXT) | instid1(VALU_DEP_1)
	v_add_nc_u32_e32 v1, v1, v2
	v_mov_b32_dpp v2, v1 row_ror:4 row_mask:0xf bank_mask:0xf
	s_delay_alu instid0(VALU_DEP_1) | instskip(NEXT) | instid1(VALU_DEP_1)
	v_add_nc_u32_e32 v1, v1, v2
	v_mov_b32_dpp v2, v1 row_ror:8 row_mask:0xf bank_mask:0xf
	s_delay_alu instid0(VALU_DEP_1)
	v_add_nc_u32_e32 v1, v1, v2
	ds_swizzle_b32 v2, v1 offset:swizzle(BROADCAST,32,15)
	s_wait_dscnt 0x0
	v_dual_mov_b32 v2, 0 :: v_dual_add_nc_u32 v1, v1, v2
	ds_bpermute_b32 v1, v2, v1 offset:124
	v_mbcnt_lo_u32_b32 v2, -1, 0
	s_delay_alu instid0(VALU_DEP_1)
	v_cmpx_eq_u32_e32 0, v2
	s_cbranch_execz .LBB504_172
; %bb.171:
	v_lshrrev_b32_e32 v3, 3, v0
	s_delay_alu instid0(VALU_DEP_1)
	v_and_b32_e32 v3, 28, v3
	s_wait_dscnt 0x0
	ds_store_b32 v3, v1 offset:128
.LBB504_172:
	s_or_b32 exec_lo, exec_lo, s3
	s_delay_alu instid0(SALU_CYCLE_1)
	s_mov_b32 s3, exec_lo
	s_wait_dscnt 0x0
	s_barrier_signal -1
	s_barrier_wait -1
	global_inv scope:SCOPE_SE
	v_cmpx_gt_u32_e32 32, v0
	s_cbranch_execz .LBB504_174
; %bb.173:
	v_and_b32_e32 v1, 7, v2
	s_delay_alu instid0(VALU_DEP_1) | instskip(SKIP_4) | instid1(VALU_DEP_2)
	v_lshlrev_b32_e32 v3, 2, v1
	v_cmp_ne_u32_e32 vcc_lo, 7, v1
	ds_load_b32 v3, v3 offset:128
	v_add_co_ci_u32_e64 v4, null, 0, v2, vcc_lo
	v_cmp_gt_u32_e32 vcc_lo, 6, v1
	v_lshlrev_b32_e32 v4, 2, v4
	s_wait_alu 0xfffd
	v_cndmask_b32_e64 v1, 0, 2, vcc_lo
	s_delay_alu instid0(VALU_DEP_1) | instskip(SKIP_1) | instid1(VALU_DEP_1)
	v_add_lshl_u32 v1, v1, v2, 2
	v_lshlrev_b32_e32 v2, 2, v2
	v_or_b32_e32 v2, 16, v2
	s_wait_dscnt 0x0
	ds_bpermute_b32 v4, v4, v3
	s_wait_dscnt 0x0
	v_add_nc_u32_e32 v3, v4, v3
	ds_bpermute_b32 v1, v1, v3
	s_wait_dscnt 0x0
	v_add_nc_u32_e32 v1, v1, v3
	ds_bpermute_b32 v2, v2, v1
	s_wait_dscnt 0x0
	v_add_nc_u32_e32 v1, v2, v1
.LBB504_174:
	s_or_b32 exec_lo, exec_lo, s3
	s_mov_b32 s3, 0
	s_branch .LBB504_180
.LBB504_175:
                                        ; implicit-def: $vgpr1
	s_cbranch_execnz .LBB504_215
	s_branch .LBB504_224
.LBB504_176:
                                        ; implicit-def: $vgpr1
	s_cbranch_execz .LBB504_178
	s_branch .LBB504_195
.LBB504_177:
                                        ; implicit-def: $vgpr1
.LBB504_178:
	s_branch .LBB504_224
.LBB504_179:
	s_mov_b32 s3, -1
                                        ; implicit-def: $vgpr1
.LBB504_180:
	s_delay_alu instid0(SALU_CYCLE_1)
	s_and_b32 vcc_lo, exec_lo, s3
	s_wait_alu 0xfffe
	s_cbranch_vccz .LBB504_194
; %bb.181:
	v_mov_b32_e32 v1, 0
	s_sub_co_i32 s6, s38, s2
	s_mov_b32 s2, exec_lo
	s_delay_alu instid0(VALU_DEP_1)
	v_dual_mov_b32 v2, v1 :: v_dual_mov_b32 v3, v1
	v_mov_b32_e32 v4, v1
	v_cmpx_gt_u32_e64 s6, v0
	s_cbranch_execz .LBB504_183
; %bb.182:
	v_dual_mov_b32 v3, v1 :: v_dual_lshlrev_b32 v2, 2, v0
	v_dual_mov_b32 v4, v1 :: v_dual_mov_b32 v5, v1
	global_load_b32 v2, v2, s[4:5]
	s_wait_loadcnt 0x0
	v_mov_b32_e32 v1, v2
	v_mov_b32_e32 v2, v3
	;; [unrolled: 1-line block ×4, first 2 shown]
.LBB504_183:
	s_or_b32 exec_lo, exec_lo, s2
	v_or_b32_e32 v5, 0x100, v0
	s_delay_alu instid0(VALU_DEP_1)
	v_cmp_gt_u32_e32 vcc_lo, s6, v5
	s_and_saveexec_b32 s2, vcc_lo
	s_cbranch_execz .LBB504_185
; %bb.184:
	v_lshlrev_b32_e32 v2, 2, v0
	global_load_b32 v2, v2, s[4:5] offset:1024
.LBB504_185:
	s_or_b32 exec_lo, exec_lo, s2
	v_or_b32_e32 v5, 0x200, v0
	s_delay_alu instid0(VALU_DEP_1)
	v_cmp_gt_u32_e64 s2, s6, v5
	s_and_saveexec_b32 s3, s2
	s_cbranch_execz .LBB504_187
; %bb.186:
	v_lshlrev_b32_e32 v3, 2, v0
	global_load_b32 v3, v3, s[4:5] offset:2048
.LBB504_187:
	s_or_b32 exec_lo, exec_lo, s3
	v_or_b32_e32 v5, 0x300, v0
	s_delay_alu instid0(VALU_DEP_1)
	v_cmp_gt_u32_e64 s3, s6, v5
	s_and_saveexec_b32 s7, s3
	s_cbranch_execz .LBB504_189
; %bb.188:
	v_lshlrev_b32_e32 v4, 2, v0
	global_load_b32 v4, v4, s[4:5] offset:3072
.LBB504_189:
	s_wait_alu 0xfffe
	s_or_b32 exec_lo, exec_lo, s7
	s_wait_loadcnt 0x0
	v_cndmask_b32_e32 v5, 0, v2, vcc_lo
	v_mbcnt_lo_u32_b32 v2, -1, 0
	v_cndmask_b32_e64 v3, 0, v3, s2
	v_cndmask_b32_e64 v4, 0, v4, s3
	s_min_u32 s2, s6, 0x100
	v_add_nc_u32_e32 v1, v5, v1
	v_cmp_ne_u32_e32 vcc_lo, 31, v2
	s_mov_b32 s3, exec_lo
	s_delay_alu instid0(VALU_DEP_2) | instskip(SKIP_4) | instid1(VALU_DEP_3)
	v_add3_u32 v1, v1, v3, v4
	s_wait_alu 0xfffd
	v_add_co_ci_u32_e64 v5, null, 0, v2, vcc_lo
	v_and_b32_e32 v4, 0xe0, v0
	v_cmp_gt_u32_e32 vcc_lo, 30, v2
	v_lshlrev_b32_e32 v3, 2, v5
	v_add_nc_u32_e32 v5, 1, v2
	s_wait_alu 0xfffe
	v_sub_nc_u32_e64 v4, s2, v4 clamp
	s_wait_alu 0xfffd
	v_cndmask_b32_e64 v6, 0, 2, vcc_lo
	ds_bpermute_b32 v3, v3, v1
	v_cmp_lt_u32_e32 vcc_lo, v5, v4
	v_add_lshl_u32 v5, v6, v2, 2
	s_wait_dscnt 0x0
	s_wait_alu 0xfffd
	v_cndmask_b32_e32 v3, 0, v3, vcc_lo
	v_cmp_gt_u32_e32 vcc_lo, 28, v2
	s_delay_alu instid0(VALU_DEP_2) | instskip(SKIP_4) | instid1(VALU_DEP_1)
	v_add_nc_u32_e32 v1, v3, v1
	s_wait_alu 0xfffd
	v_cndmask_b32_e64 v6, 0, 4, vcc_lo
	ds_bpermute_b32 v3, v5, v1
	v_add_nc_u32_e32 v5, 2, v2
	v_cmp_lt_u32_e32 vcc_lo, v5, v4
	v_add_lshl_u32 v5, v6, v2, 2
	s_wait_dscnt 0x0
	s_wait_alu 0xfffd
	v_cndmask_b32_e32 v3, 0, v3, vcc_lo
	v_cmp_gt_u32_e32 vcc_lo, 24, v2
	s_delay_alu instid0(VALU_DEP_2) | instskip(SKIP_4) | instid1(VALU_DEP_1)
	v_add_nc_u32_e32 v1, v1, v3
	s_wait_alu 0xfffd
	v_cndmask_b32_e64 v6, 0, 8, vcc_lo
	ds_bpermute_b32 v3, v5, v1
	v_add_nc_u32_e32 v5, 4, v2
	v_cmp_lt_u32_e32 vcc_lo, v5, v4
	v_add_lshl_u32 v5, v6, v2, 2
	s_wait_dscnt 0x0
	s_wait_alu 0xfffd
	v_dual_cndmask_b32 v3, 0, v3 :: v_dual_add_nc_u32 v6, 8, v2
	s_delay_alu instid0(VALU_DEP_1) | instskip(NEXT) | instid1(VALU_DEP_2)
	v_cmp_lt_u32_e32 vcc_lo, v6, v4
	v_add_nc_u32_e32 v1, v1, v3
	v_lshlrev_b32_e32 v3, 2, v2
	ds_bpermute_b32 v5, v5, v1
	v_or_b32_e32 v6, 64, v3
	s_wait_dscnt 0x0
	s_wait_alu 0xfffd
	v_cndmask_b32_e32 v5, 0, v5, vcc_lo
	s_delay_alu instid0(VALU_DEP_1) | instskip(SKIP_2) | instid1(VALU_DEP_1)
	v_add_nc_u32_e32 v1, v1, v5
	ds_bpermute_b32 v5, v6, v1
	v_add_nc_u32_e32 v6, 16, v2
	v_cmp_lt_u32_e32 vcc_lo, v6, v4
	s_wait_dscnt 0x0
	s_wait_alu 0xfffd
	v_cndmask_b32_e32 v4, 0, v5, vcc_lo
	s_delay_alu instid0(VALU_DEP_1)
	v_add_nc_u32_e32 v1, v1, v4
	v_cmpx_eq_u32_e32 0, v2
; %bb.190:
	v_lshrrev_b32_e32 v4, 3, v0
	s_delay_alu instid0(VALU_DEP_1)
	v_and_b32_e32 v4, 28, v4
	ds_store_b32 v4, v1 offset:192
; %bb.191:
	s_or_b32 exec_lo, exec_lo, s3
	s_delay_alu instid0(SALU_CYCLE_1)
	s_mov_b32 s3, exec_lo
	s_wait_dscnt 0x0
	s_barrier_signal -1
	s_barrier_wait -1
	global_inv scope:SCOPE_SE
	v_cmpx_gt_u32_e32 8, v0
	s_cbranch_execz .LBB504_193
; %bb.192:
	ds_load_b32 v1, v3 offset:192
	v_and_b32_e32 v4, 7, v2
	s_add_co_i32 s2, s2, 31
	s_wait_alu 0xfffe
	s_lshr_b32 s2, s2, 5
	s_delay_alu instid0(VALU_DEP_1) | instskip(SKIP_4) | instid1(VALU_DEP_2)
	v_cmp_ne_u32_e32 vcc_lo, 7, v4
	v_add_nc_u32_e32 v6, 1, v4
	s_wait_alu 0xfffd
	v_add_co_ci_u32_e64 v5, null, 0, v2, vcc_lo
	v_cmp_gt_u32_e32 vcc_lo, 6, v4
	v_lshlrev_b32_e32 v5, 2, v5
	s_wait_alu 0xfffd
	v_cndmask_b32_e64 v7, 0, 2, vcc_lo
	s_wait_alu 0xfffe
	v_cmp_gt_u32_e32 vcc_lo, s2, v6
	s_wait_dscnt 0x0
	ds_bpermute_b32 v5, v5, v1
	v_add_lshl_u32 v2, v7, v2, 2
	s_wait_dscnt 0x0
	s_wait_alu 0xfffd
	v_cndmask_b32_e32 v5, 0, v5, vcc_lo
	s_delay_alu instid0(VALU_DEP_1)
	v_add_nc_u32_e32 v1, v5, v1
	v_add_nc_u32_e32 v5, 2, v4
	ds_bpermute_b32 v2, v2, v1
	v_cmp_gt_u32_e32 vcc_lo, s2, v5
	s_wait_dscnt 0x0
	s_wait_alu 0xfffd
	v_cndmask_b32_e32 v2, 0, v2, vcc_lo
	s_delay_alu instid0(VALU_DEP_1)
	v_add_nc_u32_e32 v1, v1, v2
	v_or_b32_e32 v2, 16, v3
	v_add_nc_u32_e32 v3, 4, v4
	ds_bpermute_b32 v2, v2, v1
	v_cmp_gt_u32_e32 vcc_lo, s2, v3
	s_wait_dscnt 0x0
	s_wait_alu 0xfffd
	v_cndmask_b32_e32 v2, 0, v2, vcc_lo
	s_delay_alu instid0(VALU_DEP_1)
	v_add_nc_u32_e32 v1, v1, v2
.LBB504_193:
	s_wait_alu 0xfffe
	s_or_b32 exec_lo, exec_lo, s3
.LBB504_194:
	v_cmp_eq_u32_e64 s2, 0, v0
	s_branch .LBB504_178
.LBB504_195:
	s_cmp_eq_u32 s33, 2
	s_cbranch_scc0 .LBB504_202
; %bb.196:
	s_mov_b32 s35, 0
	s_lshl_b32 s4, s34, 9
	s_mov_b32 s5, s35
	s_lshr_b64 s[2:3], s[38:39], 9
	s_lshl_b64 s[6:7], s[4:5], 2
	s_cmp_lg_u64 s[2:3], s[34:35]
	s_add_nc_u64 s[2:3], s[36:37], s[6:7]
	s_cbranch_scc0 .LBB504_203
; %bb.197:
	v_lshlrev_b32_e32 v1, 2, v0
	s_mov_b32 s5, exec_lo
	s_clause 0x1
	global_load_b32 v2, v1, s[2:3]
	global_load_b32 v1, v1, s[2:3] offset:1024
	s_wait_loadcnt 0x0
	v_add_nc_u32_e32 v1, v1, v2
	s_delay_alu instid0(VALU_DEP_1) | instskip(NEXT) | instid1(VALU_DEP_1)
	v_mov_b32_dpp v2, v1 quad_perm:[1,0,3,2] row_mask:0xf bank_mask:0xf
	v_add_nc_u32_e32 v1, v2, v1
	s_delay_alu instid0(VALU_DEP_1) | instskip(NEXT) | instid1(VALU_DEP_1)
	v_mov_b32_dpp v2, v1 quad_perm:[2,3,0,1] row_mask:0xf bank_mask:0xf
	v_add_nc_u32_e32 v1, v1, v2
	s_delay_alu instid0(VALU_DEP_1) | instskip(NEXT) | instid1(VALU_DEP_1)
	v_mov_b32_dpp v2, v1 row_ror:4 row_mask:0xf bank_mask:0xf
	v_add_nc_u32_e32 v1, v1, v2
	s_delay_alu instid0(VALU_DEP_1) | instskip(NEXT) | instid1(VALU_DEP_1)
	v_mov_b32_dpp v2, v1 row_ror:8 row_mask:0xf bank_mask:0xf
	v_add_nc_u32_e32 v1, v1, v2
	ds_swizzle_b32 v2, v1 offset:swizzle(BROADCAST,32,15)
	s_wait_dscnt 0x0
	v_dual_mov_b32 v2, 0 :: v_dual_add_nc_u32 v1, v1, v2
	ds_bpermute_b32 v1, v2, v1 offset:124
	v_mbcnt_lo_u32_b32 v2, -1, 0
	s_delay_alu instid0(VALU_DEP_1)
	v_cmpx_eq_u32_e32 0, v2
	s_cbranch_execz .LBB504_199
; %bb.198:
	v_lshrrev_b32_e32 v3, 3, v0
	s_delay_alu instid0(VALU_DEP_1)
	v_and_b32_e32 v3, 28, v3
	s_wait_dscnt 0x0
	ds_store_b32 v3, v1 offset:64
.LBB504_199:
	s_or_b32 exec_lo, exec_lo, s5
	s_delay_alu instid0(SALU_CYCLE_1)
	s_mov_b32 s5, exec_lo
	s_wait_dscnt 0x0
	s_barrier_signal -1
	s_barrier_wait -1
	global_inv scope:SCOPE_SE
	v_cmpx_gt_u32_e32 32, v0
	s_cbranch_execz .LBB504_201
; %bb.200:
	v_and_b32_e32 v1, 7, v2
	s_delay_alu instid0(VALU_DEP_1) | instskip(SKIP_4) | instid1(VALU_DEP_2)
	v_lshlrev_b32_e32 v3, 2, v1
	v_cmp_ne_u32_e32 vcc_lo, 7, v1
	ds_load_b32 v3, v3 offset:64
	v_add_co_ci_u32_e64 v4, null, 0, v2, vcc_lo
	v_cmp_gt_u32_e32 vcc_lo, 6, v1
	v_lshlrev_b32_e32 v4, 2, v4
	s_wait_alu 0xfffd
	v_cndmask_b32_e64 v1, 0, 2, vcc_lo
	s_delay_alu instid0(VALU_DEP_1) | instskip(SKIP_1) | instid1(VALU_DEP_1)
	v_add_lshl_u32 v1, v1, v2, 2
	v_lshlrev_b32_e32 v2, 2, v2
	v_or_b32_e32 v2, 16, v2
	s_wait_dscnt 0x0
	ds_bpermute_b32 v4, v4, v3
	s_wait_dscnt 0x0
	v_add_nc_u32_e32 v3, v4, v3
	ds_bpermute_b32 v1, v1, v3
	s_wait_dscnt 0x0
	v_add_nc_u32_e32 v1, v1, v3
	;; [unrolled: 3-line block ×3, first 2 shown]
.LBB504_201:
	s_or_b32 exec_lo, exec_lo, s5
	s_mov_b32 s5, 0
	s_branch .LBB504_204
.LBB504_202:
                                        ; implicit-def: $vgpr1
	s_branch .LBB504_224
.LBB504_203:
	s_mov_b32 s5, -1
                                        ; implicit-def: $vgpr1
.LBB504_204:
	s_delay_alu instid0(SALU_CYCLE_1)
	s_and_b32 vcc_lo, exec_lo, s5
	s_wait_alu 0xfffe
	s_cbranch_vccz .LBB504_214
; %bb.205:
	v_mov_b32_e32 v1, 0
	s_sub_co_i32 s4, s38, s4
	s_mov_b32 s5, exec_lo
	s_delay_alu instid0(VALU_DEP_1)
	v_mov_b32_e32 v2, v1
	v_cmpx_gt_u32_e64 s4, v0
	s_cbranch_execz .LBB504_207
; %bb.206:
	v_dual_mov_b32 v3, v1 :: v_dual_lshlrev_b32 v2, 2, v0
	global_load_b32 v2, v2, s[2:3]
	s_wait_loadcnt 0x0
	v_mov_b32_e32 v1, v2
	v_mov_b32_e32 v2, v3
.LBB504_207:
	s_or_b32 exec_lo, exec_lo, s5
	v_or_b32_e32 v3, 0x100, v0
	s_delay_alu instid0(VALU_DEP_1)
	v_cmp_gt_u32_e32 vcc_lo, s4, v3
	s_and_saveexec_b32 s5, vcc_lo
	s_cbranch_execz .LBB504_209
; %bb.208:
	v_lshlrev_b32_e32 v2, 2, v0
	global_load_b32 v2, v2, s[2:3] offset:1024
.LBB504_209:
	s_wait_alu 0xfffe
	s_or_b32 exec_lo, exec_lo, s5
	v_mbcnt_lo_u32_b32 v3, -1, 0
	s_wait_loadcnt 0x0
	v_cndmask_b32_e32 v2, 0, v2, vcc_lo
	s_min_u32 s2, s4, 0x100
	s_mov_b32 s3, exec_lo
	v_cmp_ne_u32_e32 vcc_lo, 31, v3
	v_add_nc_u32_e32 v5, 1, v3
	v_add_nc_u32_e32 v1, v2, v1
	s_wait_alu 0xfffd
	v_add_co_ci_u32_e64 v4, null, 0, v3, vcc_lo
	v_cmp_gt_u32_e32 vcc_lo, 30, v3
	s_delay_alu instid0(VALU_DEP_2)
	v_lshlrev_b32_e32 v2, 2, v4
	v_and_b32_e32 v4, 0xe0, v0
	s_wait_alu 0xfffd
	v_cndmask_b32_e64 v6, 0, 2, vcc_lo
	ds_bpermute_b32 v2, v2, v1
	v_sub_nc_u32_e64 v4, s2, v4 clamp
	s_delay_alu instid0(VALU_DEP_1)
	v_cmp_lt_u32_e32 vcc_lo, v5, v4
	v_add_lshl_u32 v5, v6, v3, 2
	s_wait_dscnt 0x0
	s_wait_alu 0xfffd
	v_cndmask_b32_e32 v2, 0, v2, vcc_lo
	v_cmp_gt_u32_e32 vcc_lo, 28, v3
	s_delay_alu instid0(VALU_DEP_2) | instskip(SKIP_4) | instid1(VALU_DEP_1)
	v_add_nc_u32_e32 v1, v2, v1
	s_wait_alu 0xfffd
	v_cndmask_b32_e64 v6, 0, 4, vcc_lo
	ds_bpermute_b32 v2, v5, v1
	v_add_nc_u32_e32 v5, 2, v3
	v_cmp_lt_u32_e32 vcc_lo, v5, v4
	v_add_lshl_u32 v5, v6, v3, 2
	s_wait_dscnt 0x0
	s_wait_alu 0xfffd
	v_cndmask_b32_e32 v2, 0, v2, vcc_lo
	v_cmp_gt_u32_e32 vcc_lo, 24, v3
	s_delay_alu instid0(VALU_DEP_2) | instskip(SKIP_4) | instid1(VALU_DEP_1)
	v_add_nc_u32_e32 v1, v1, v2
	s_wait_alu 0xfffd
	v_cndmask_b32_e64 v6, 0, 8, vcc_lo
	ds_bpermute_b32 v2, v5, v1
	v_add_nc_u32_e32 v5, 4, v3
	v_cmp_lt_u32_e32 vcc_lo, v5, v4
	v_add_lshl_u32 v5, v6, v3, 2
	v_add_nc_u32_e32 v6, 8, v3
	s_wait_dscnt 0x0
	s_wait_alu 0xfffd
	v_cndmask_b32_e32 v2, 0, v2, vcc_lo
	s_delay_alu instid0(VALU_DEP_2) | instskip(NEXT) | instid1(VALU_DEP_2)
	v_cmp_lt_u32_e32 vcc_lo, v6, v4
	v_add_nc_u32_e32 v1, v1, v2
	v_lshlrev_b32_e32 v2, 2, v3
	ds_bpermute_b32 v5, v5, v1
	v_or_b32_e32 v6, 64, v2
	s_wait_dscnt 0x0
	s_wait_alu 0xfffd
	v_cndmask_b32_e32 v5, 0, v5, vcc_lo
	s_delay_alu instid0(VALU_DEP_1) | instskip(SKIP_2) | instid1(VALU_DEP_1)
	v_add_nc_u32_e32 v1, v1, v5
	ds_bpermute_b32 v5, v6, v1
	v_add_nc_u32_e32 v6, 16, v3
	v_cmp_lt_u32_e32 vcc_lo, v6, v4
	s_wait_dscnt 0x0
	s_wait_alu 0xfffd
	v_cndmask_b32_e32 v4, 0, v5, vcc_lo
	s_delay_alu instid0(VALU_DEP_1)
	v_add_nc_u32_e32 v1, v1, v4
	v_cmpx_eq_u32_e32 0, v3
; %bb.210:
	v_lshrrev_b32_e32 v4, 3, v0
	s_delay_alu instid0(VALU_DEP_1)
	v_and_b32_e32 v4, 28, v4
	ds_store_b32 v4, v1 offset:192
; %bb.211:
	s_or_b32 exec_lo, exec_lo, s3
	s_delay_alu instid0(SALU_CYCLE_1)
	s_mov_b32 s3, exec_lo
	s_wait_dscnt 0x0
	s_barrier_signal -1
	s_barrier_wait -1
	global_inv scope:SCOPE_SE
	v_cmpx_gt_u32_e32 8, v0
	s_cbranch_execz .LBB504_213
; %bb.212:
	ds_load_b32 v1, v2 offset:192
	v_and_b32_e32 v4, 7, v3
	s_add_co_i32 s2, s2, 31
	v_or_b32_e32 v2, 16, v2
	s_wait_alu 0xfffe
	s_lshr_b32 s2, s2, 5
	v_cmp_ne_u32_e32 vcc_lo, 7, v4
	v_add_nc_u32_e32 v6, 1, v4
	s_wait_alu 0xfffd
	v_add_co_ci_u32_e64 v5, null, 0, v3, vcc_lo
	v_cmp_gt_u32_e32 vcc_lo, 6, v4
	s_delay_alu instid0(VALU_DEP_2)
	v_lshlrev_b32_e32 v5, 2, v5
	s_wait_alu 0xfffd
	v_cndmask_b32_e64 v7, 0, 2, vcc_lo
	s_wait_alu 0xfffe
	v_cmp_gt_u32_e32 vcc_lo, s2, v6
	s_wait_dscnt 0x0
	ds_bpermute_b32 v5, v5, v1
	v_add_lshl_u32 v3, v7, v3, 2
	s_wait_dscnt 0x0
	s_wait_alu 0xfffd
	v_cndmask_b32_e32 v5, 0, v5, vcc_lo
	s_delay_alu instid0(VALU_DEP_1)
	v_add_nc_u32_e32 v1, v5, v1
	v_add_nc_u32_e32 v5, 2, v4
	ds_bpermute_b32 v3, v3, v1
	v_cmp_gt_u32_e32 vcc_lo, s2, v5
	s_wait_dscnt 0x0
	s_wait_alu 0xfffd
	v_cndmask_b32_e32 v3, 0, v3, vcc_lo
	s_delay_alu instid0(VALU_DEP_1)
	v_add_nc_u32_e32 v1, v1, v3
	v_add_nc_u32_e32 v3, 4, v4
	ds_bpermute_b32 v2, v2, v1
	v_cmp_gt_u32_e32 vcc_lo, s2, v3
	s_wait_dscnt 0x0
	s_wait_alu 0xfffd
	v_cndmask_b32_e32 v2, 0, v2, vcc_lo
	s_delay_alu instid0(VALU_DEP_1)
	v_add_nc_u32_e32 v1, v1, v2
.LBB504_213:
	s_wait_alu 0xfffe
	s_or_b32 exec_lo, exec_lo, s3
.LBB504_214:
	v_cmp_eq_u32_e64 s2, 0, v0
	s_branch .LBB504_224
.LBB504_215:
	s_cmp_eq_u32 s33, 1
	s_cbranch_scc0 .LBB504_223
; %bb.216:
	s_mov_b32 s3, 0
	v_mbcnt_lo_u32_b32 v2, -1, 0
	s_lshr_b64 s[4:5], s[38:39], 8
	s_mov_b32 s35, s3
	s_lshl_b32 s2, s34, 8
	s_cmp_lg_u64 s[4:5], s[34:35]
	s_cbranch_scc0 .LBB504_227
; %bb.217:
	v_lshlrev_b32_e32 v1, 2, v0
	s_lshl_b64 s[4:5], s[2:3], 2
	s_delay_alu instid0(SALU_CYCLE_1) | instskip(SKIP_4) | instid1(VALU_DEP_1)
	s_add_nc_u64 s[4:5], s[36:37], s[4:5]
	global_load_b32 v1, v1, s[4:5]
	s_mov_b32 s4, exec_lo
	s_wait_loadcnt 0x0
	v_mov_b32_dpp v3, v1 quad_perm:[1,0,3,2] row_mask:0xf bank_mask:0xf
	v_add_nc_u32_e32 v1, v3, v1
	s_delay_alu instid0(VALU_DEP_1) | instskip(NEXT) | instid1(VALU_DEP_1)
	v_mov_b32_dpp v3, v1 quad_perm:[2,3,0,1] row_mask:0xf bank_mask:0xf
	v_add_nc_u32_e32 v1, v1, v3
	s_delay_alu instid0(VALU_DEP_1) | instskip(NEXT) | instid1(VALU_DEP_1)
	v_mov_b32_dpp v3, v1 row_ror:4 row_mask:0xf bank_mask:0xf
	v_add_nc_u32_e32 v1, v1, v3
	s_delay_alu instid0(VALU_DEP_1) | instskip(NEXT) | instid1(VALU_DEP_1)
	v_mov_b32_dpp v3, v1 row_ror:8 row_mask:0xf bank_mask:0xf
	v_add_nc_u32_e32 v1, v1, v3
	ds_swizzle_b32 v3, v1 offset:swizzle(BROADCAST,32,15)
	s_wait_dscnt 0x0
	v_add_nc_u32_e32 v1, v1, v3
	v_mov_b32_e32 v3, 0
	ds_bpermute_b32 v1, v3, v1 offset:124
	v_cmpx_eq_u32_e32 0, v2
	s_cbranch_execz .LBB504_219
; %bb.218:
	v_lshrrev_b32_e32 v3, 3, v0
	s_delay_alu instid0(VALU_DEP_1)
	v_and_b32_e32 v3, 28, v3
	s_wait_dscnt 0x0
	ds_store_b32 v3, v1 offset:32
.LBB504_219:
	s_or_b32 exec_lo, exec_lo, s4
	s_delay_alu instid0(SALU_CYCLE_1)
	s_mov_b32 s4, exec_lo
	s_wait_dscnt 0x0
	s_barrier_signal -1
	s_barrier_wait -1
	global_inv scope:SCOPE_SE
	v_cmpx_gt_u32_e32 32, v0
	s_cbranch_execz .LBB504_221
; %bb.220:
	v_and_b32_e32 v1, 7, v2
	s_delay_alu instid0(VALU_DEP_1) | instskip(SKIP_4) | instid1(VALU_DEP_2)
	v_lshlrev_b32_e32 v3, 2, v1
	v_cmp_ne_u32_e32 vcc_lo, 7, v1
	ds_load_b32 v3, v3 offset:32
	v_add_co_ci_u32_e64 v4, null, 0, v2, vcc_lo
	v_cmp_gt_u32_e32 vcc_lo, 6, v1
	v_lshlrev_b32_e32 v4, 2, v4
	s_wait_alu 0xfffd
	v_cndmask_b32_e64 v1, 0, 2, vcc_lo
	s_delay_alu instid0(VALU_DEP_1)
	v_add_lshl_u32 v1, v1, v2, 2
	s_wait_dscnt 0x0
	ds_bpermute_b32 v4, v4, v3
	s_wait_dscnt 0x0
	v_add_nc_u32_e32 v3, v4, v3
	v_lshlrev_b32_e32 v4, 2, v2
	ds_bpermute_b32 v1, v1, v3
	s_wait_dscnt 0x0
	v_add_nc_u32_e32 v1, v1, v3
	v_or_b32_e32 v3, 16, v4
	ds_bpermute_b32 v3, v3, v1
	s_wait_dscnt 0x0
	v_add_nc_u32_e32 v1, v3, v1
.LBB504_221:
	s_or_b32 exec_lo, exec_lo, s4
.LBB504_222:
	v_cmp_eq_u32_e64 s2, 0, v0
	s_and_saveexec_b32 s3, s2
	s_cbranch_execnz .LBB504_225
	s_branch .LBB504_226
.LBB504_223:
                                        ; implicit-def: $vgpr1
                                        ; implicit-def: $sgpr34_sgpr35
.LBB504_224:
	s_delay_alu instid0(VALU_DEP_1)
	s_and_saveexec_b32 s3, s2
	s_cbranch_execz .LBB504_226
.LBB504_225:
	s_load_b96 s[0:2], s[0:1], 0x18
	s_lshl_b64 s[4:5], s[34:35], 2
	s_cmp_lg_u64 s[38:39], 0
	s_cselect_b32 vcc_lo, -1, 0
	s_wait_alu 0xfffe
	v_dual_cndmask_b32 v0, 0, v1 :: v_dual_mov_b32 v1, 0
	s_wait_kmcnt 0x0
	s_delay_alu instid0(VALU_DEP_1)
	v_add_nc_u32_e32 v0, s2, v0
	s_add_nc_u64 s[0:1], s[0:1], s[4:5]
	global_store_b32 v1, v0, s[0:1]
.LBB504_226:
	s_endpgm
.LBB504_227:
                                        ; implicit-def: $vgpr1
	s_cbranch_execz .LBB504_222
; %bb.228:
	s_sub_co_i32 s4, s38, s2
	s_mov_b32 s5, exec_lo
                                        ; implicit-def: $vgpr1
	v_cmpx_gt_u32_e64 s4, v0
	s_cbranch_execz .LBB504_230
; %bb.229:
	v_lshlrev_b32_e32 v1, 2, v0
	s_lshl_b64 s[2:3], s[2:3], 2
	s_delay_alu instid0(SALU_CYCLE_1)
	s_add_nc_u64 s[2:3], s[36:37], s[2:3]
	global_load_b32 v1, v1, s[2:3]
.LBB504_230:
	s_or_b32 exec_lo, exec_lo, s5
	v_cmp_ne_u32_e32 vcc_lo, 31, v2
	s_min_u32 s2, s4, 0x100
	v_add_nc_u32_e32 v5, 1, v2
	s_mov_b32 s3, exec_lo
	v_add_co_ci_u32_e64 v3, null, 0, v2, vcc_lo
	v_cmp_gt_u32_e32 vcc_lo, 30, v2
	s_delay_alu instid0(VALU_DEP_2)
	v_lshlrev_b32_e32 v3, 2, v3
	s_wait_alu 0xfffd
	v_cndmask_b32_e64 v6, 0, 2, vcc_lo
	s_wait_loadcnt 0x0
	ds_bpermute_b32 v3, v3, v1
	v_and_b32_e32 v4, 0xe0, v0
	s_delay_alu instid0(VALU_DEP_1) | instskip(NEXT) | instid1(VALU_DEP_1)
	v_sub_nc_u32_e64 v4, s2, v4 clamp
	v_cmp_lt_u32_e32 vcc_lo, v5, v4
	v_add_lshl_u32 v5, v6, v2, 2
	s_wait_dscnt 0x0
	s_wait_alu 0xfffd
	v_cndmask_b32_e32 v3, 0, v3, vcc_lo
	v_cmp_gt_u32_e32 vcc_lo, 28, v2
	s_delay_alu instid0(VALU_DEP_2) | instskip(SKIP_4) | instid1(VALU_DEP_1)
	v_add_nc_u32_e32 v1, v3, v1
	s_wait_alu 0xfffd
	v_cndmask_b32_e64 v6, 0, 4, vcc_lo
	ds_bpermute_b32 v3, v5, v1
	v_add_nc_u32_e32 v5, 2, v2
	v_cmp_lt_u32_e32 vcc_lo, v5, v4
	v_add_lshl_u32 v5, v6, v2, 2
	s_wait_dscnt 0x0
	s_wait_alu 0xfffd
	v_cndmask_b32_e32 v3, 0, v3, vcc_lo
	v_cmp_gt_u32_e32 vcc_lo, 24, v2
	s_delay_alu instid0(VALU_DEP_2) | instskip(SKIP_4) | instid1(VALU_DEP_1)
	v_add_nc_u32_e32 v1, v1, v3
	s_wait_alu 0xfffd
	v_cndmask_b32_e64 v6, 0, 8, vcc_lo
	ds_bpermute_b32 v3, v5, v1
	v_add_nc_u32_e32 v5, 4, v2
	v_cmp_lt_u32_e32 vcc_lo, v5, v4
	v_add_lshl_u32 v5, v6, v2, 2
	s_wait_dscnt 0x0
	s_wait_alu 0xfffd
	v_dual_cndmask_b32 v3, 0, v3 :: v_dual_add_nc_u32 v6, 8, v2
	s_delay_alu instid0(VALU_DEP_1) | instskip(NEXT) | instid1(VALU_DEP_2)
	v_cmp_lt_u32_e32 vcc_lo, v6, v4
	v_add_nc_u32_e32 v1, v1, v3
	v_lshlrev_b32_e32 v3, 2, v2
	ds_bpermute_b32 v5, v5, v1
	v_or_b32_e32 v6, 64, v3
	s_wait_dscnt 0x0
	s_wait_alu 0xfffd
	v_cndmask_b32_e32 v5, 0, v5, vcc_lo
	s_delay_alu instid0(VALU_DEP_1) | instskip(SKIP_2) | instid1(VALU_DEP_1)
	v_add_nc_u32_e32 v1, v1, v5
	ds_bpermute_b32 v5, v6, v1
	v_add_nc_u32_e32 v6, 16, v2
	v_cmp_lt_u32_e32 vcc_lo, v6, v4
	s_wait_dscnt 0x0
	s_wait_alu 0xfffd
	v_cndmask_b32_e32 v4, 0, v5, vcc_lo
	s_delay_alu instid0(VALU_DEP_1)
	v_add_nc_u32_e32 v1, v1, v4
	v_cmpx_eq_u32_e32 0, v2
; %bb.231:
	v_lshrrev_b32_e32 v4, 3, v0
	s_delay_alu instid0(VALU_DEP_1)
	v_and_b32_e32 v4, 28, v4
	ds_store_b32 v4, v1 offset:192
; %bb.232:
	s_or_b32 exec_lo, exec_lo, s3
	s_delay_alu instid0(SALU_CYCLE_1)
	s_mov_b32 s3, exec_lo
	s_wait_dscnt 0x0
	s_barrier_signal -1
	s_barrier_wait -1
	global_inv scope:SCOPE_SE
	v_cmpx_gt_u32_e32 8, v0
	s_cbranch_execz .LBB504_234
; %bb.233:
	ds_load_b32 v1, v3 offset:192
	v_and_b32_e32 v4, 7, v2
	s_add_co_i32 s2, s2, 31
	s_wait_alu 0xfffe
	s_lshr_b32 s2, s2, 5
	s_delay_alu instid0(VALU_DEP_1) | instskip(SKIP_4) | instid1(VALU_DEP_2)
	v_cmp_ne_u32_e32 vcc_lo, 7, v4
	v_add_nc_u32_e32 v6, 1, v4
	s_wait_alu 0xfffd
	v_add_co_ci_u32_e64 v5, null, 0, v2, vcc_lo
	v_cmp_gt_u32_e32 vcc_lo, 6, v4
	v_lshlrev_b32_e32 v5, 2, v5
	s_wait_alu 0xfffd
	v_cndmask_b32_e64 v7, 0, 2, vcc_lo
	s_wait_alu 0xfffe
	v_cmp_gt_u32_e32 vcc_lo, s2, v6
	s_wait_dscnt 0x0
	ds_bpermute_b32 v5, v5, v1
	v_add_lshl_u32 v2, v7, v2, 2
	s_wait_dscnt 0x0
	s_wait_alu 0xfffd
	v_cndmask_b32_e32 v5, 0, v5, vcc_lo
	s_delay_alu instid0(VALU_DEP_1)
	v_add_nc_u32_e32 v1, v5, v1
	v_add_nc_u32_e32 v5, 2, v4
	ds_bpermute_b32 v2, v2, v1
	v_cmp_gt_u32_e32 vcc_lo, s2, v5
	s_wait_dscnt 0x0
	s_wait_alu 0xfffd
	v_cndmask_b32_e32 v2, 0, v2, vcc_lo
	s_delay_alu instid0(VALU_DEP_1)
	v_add_nc_u32_e32 v1, v1, v2
	v_or_b32_e32 v2, 16, v3
	v_add_nc_u32_e32 v3, 4, v4
	ds_bpermute_b32 v2, v2, v1
	v_cmp_gt_u32_e32 vcc_lo, s2, v3
	s_wait_dscnt 0x0
	s_wait_alu 0xfffd
	v_cndmask_b32_e32 v2, 0, v2, vcc_lo
	s_delay_alu instid0(VALU_DEP_1)
	v_add_nc_u32_e32 v1, v1, v2
.LBB504_234:
	s_wait_alu 0xfffe
	s_or_b32 exec_lo, exec_lo, s3
	v_cmp_eq_u32_e64 s2, 0, v0
	s_and_saveexec_b32 s3, s2
	s_cbranch_execnz .LBB504_225
	s_branch .LBB504_226
	.section	.rodata,"a",@progbits
	.p2align	6, 0x0
	.amdhsa_kernel _ZN7rocprim17ROCPRIM_400000_NS6detail17trampoline_kernelINS0_14default_configENS1_22reduce_config_selectorIiEEZNS1_11reduce_implILb1ES3_PiS7_iN6hipcub16HIPCUB_304000_NS6detail34convert_binary_result_type_wrapperINS9_3SumENS9_22TransformInputIteratorIbN2at6native12_GLOBAL__N_19NonZeroOpIN3c107complexIdEEEEPKSK_lEEiEEEE10hipError_tPvRmT1_T2_T3_mT4_P12ihipStream_tbEUlT_E1_NS1_11comp_targetILNS1_3genE10ELNS1_11target_archE1201ELNS1_3gpuE5ELNS1_3repE0EEENS1_30default_config_static_selectorELNS0_4arch9wavefront6targetE0EEEvST_
		.amdhsa_group_segment_fixed_size 224
		.amdhsa_private_segment_fixed_size 0
		.amdhsa_kernarg_size 40
		.amdhsa_user_sgpr_count 2
		.amdhsa_user_sgpr_dispatch_ptr 0
		.amdhsa_user_sgpr_queue_ptr 0
		.amdhsa_user_sgpr_kernarg_segment_ptr 1
		.amdhsa_user_sgpr_dispatch_id 0
		.amdhsa_user_sgpr_private_segment_size 0
		.amdhsa_wavefront_size32 1
		.amdhsa_uses_dynamic_stack 0
		.amdhsa_enable_private_segment 0
		.amdhsa_system_sgpr_workgroup_id_x 1
		.amdhsa_system_sgpr_workgroup_id_y 0
		.amdhsa_system_sgpr_workgroup_id_z 0
		.amdhsa_system_sgpr_workgroup_info 0
		.amdhsa_system_vgpr_workitem_id 0
		.amdhsa_next_free_vgpr 34
		.amdhsa_next_free_sgpr 45
		.amdhsa_reserve_vcc 1
		.amdhsa_float_round_mode_32 0
		.amdhsa_float_round_mode_16_64 0
		.amdhsa_float_denorm_mode_32 3
		.amdhsa_float_denorm_mode_16_64 3
		.amdhsa_fp16_overflow 0
		.amdhsa_workgroup_processor_mode 1
		.amdhsa_memory_ordered 1
		.amdhsa_forward_progress 1
		.amdhsa_inst_pref_size 93
		.amdhsa_round_robin_scheduling 0
		.amdhsa_exception_fp_ieee_invalid_op 0
		.amdhsa_exception_fp_denorm_src 0
		.amdhsa_exception_fp_ieee_div_zero 0
		.amdhsa_exception_fp_ieee_overflow 0
		.amdhsa_exception_fp_ieee_underflow 0
		.amdhsa_exception_fp_ieee_inexact 0
		.amdhsa_exception_int_div_zero 0
	.end_amdhsa_kernel
	.section	.text._ZN7rocprim17ROCPRIM_400000_NS6detail17trampoline_kernelINS0_14default_configENS1_22reduce_config_selectorIiEEZNS1_11reduce_implILb1ES3_PiS7_iN6hipcub16HIPCUB_304000_NS6detail34convert_binary_result_type_wrapperINS9_3SumENS9_22TransformInputIteratorIbN2at6native12_GLOBAL__N_19NonZeroOpIN3c107complexIdEEEEPKSK_lEEiEEEE10hipError_tPvRmT1_T2_T3_mT4_P12ihipStream_tbEUlT_E1_NS1_11comp_targetILNS1_3genE10ELNS1_11target_archE1201ELNS1_3gpuE5ELNS1_3repE0EEENS1_30default_config_static_selectorELNS0_4arch9wavefront6targetE0EEEvST_,"axG",@progbits,_ZN7rocprim17ROCPRIM_400000_NS6detail17trampoline_kernelINS0_14default_configENS1_22reduce_config_selectorIiEEZNS1_11reduce_implILb1ES3_PiS7_iN6hipcub16HIPCUB_304000_NS6detail34convert_binary_result_type_wrapperINS9_3SumENS9_22TransformInputIteratorIbN2at6native12_GLOBAL__N_19NonZeroOpIN3c107complexIdEEEEPKSK_lEEiEEEE10hipError_tPvRmT1_T2_T3_mT4_P12ihipStream_tbEUlT_E1_NS1_11comp_targetILNS1_3genE10ELNS1_11target_archE1201ELNS1_3gpuE5ELNS1_3repE0EEENS1_30default_config_static_selectorELNS0_4arch9wavefront6targetE0EEEvST_,comdat
.Lfunc_end504:
	.size	_ZN7rocprim17ROCPRIM_400000_NS6detail17trampoline_kernelINS0_14default_configENS1_22reduce_config_selectorIiEEZNS1_11reduce_implILb1ES3_PiS7_iN6hipcub16HIPCUB_304000_NS6detail34convert_binary_result_type_wrapperINS9_3SumENS9_22TransformInputIteratorIbN2at6native12_GLOBAL__N_19NonZeroOpIN3c107complexIdEEEEPKSK_lEEiEEEE10hipError_tPvRmT1_T2_T3_mT4_P12ihipStream_tbEUlT_E1_NS1_11comp_targetILNS1_3genE10ELNS1_11target_archE1201ELNS1_3gpuE5ELNS1_3repE0EEENS1_30default_config_static_selectorELNS0_4arch9wavefront6targetE0EEEvST_, .Lfunc_end504-_ZN7rocprim17ROCPRIM_400000_NS6detail17trampoline_kernelINS0_14default_configENS1_22reduce_config_selectorIiEEZNS1_11reduce_implILb1ES3_PiS7_iN6hipcub16HIPCUB_304000_NS6detail34convert_binary_result_type_wrapperINS9_3SumENS9_22TransformInputIteratorIbN2at6native12_GLOBAL__N_19NonZeroOpIN3c107complexIdEEEEPKSK_lEEiEEEE10hipError_tPvRmT1_T2_T3_mT4_P12ihipStream_tbEUlT_E1_NS1_11comp_targetILNS1_3genE10ELNS1_11target_archE1201ELNS1_3gpuE5ELNS1_3repE0EEENS1_30default_config_static_selectorELNS0_4arch9wavefront6targetE0EEEvST_
                                        ; -- End function
	.set _ZN7rocprim17ROCPRIM_400000_NS6detail17trampoline_kernelINS0_14default_configENS1_22reduce_config_selectorIiEEZNS1_11reduce_implILb1ES3_PiS7_iN6hipcub16HIPCUB_304000_NS6detail34convert_binary_result_type_wrapperINS9_3SumENS9_22TransformInputIteratorIbN2at6native12_GLOBAL__N_19NonZeroOpIN3c107complexIdEEEEPKSK_lEEiEEEE10hipError_tPvRmT1_T2_T3_mT4_P12ihipStream_tbEUlT_E1_NS1_11comp_targetILNS1_3genE10ELNS1_11target_archE1201ELNS1_3gpuE5ELNS1_3repE0EEENS1_30default_config_static_selectorELNS0_4arch9wavefront6targetE0EEEvST_.num_vgpr, 34
	.set _ZN7rocprim17ROCPRIM_400000_NS6detail17trampoline_kernelINS0_14default_configENS1_22reduce_config_selectorIiEEZNS1_11reduce_implILb1ES3_PiS7_iN6hipcub16HIPCUB_304000_NS6detail34convert_binary_result_type_wrapperINS9_3SumENS9_22TransformInputIteratorIbN2at6native12_GLOBAL__N_19NonZeroOpIN3c107complexIdEEEEPKSK_lEEiEEEE10hipError_tPvRmT1_T2_T3_mT4_P12ihipStream_tbEUlT_E1_NS1_11comp_targetILNS1_3genE10ELNS1_11target_archE1201ELNS1_3gpuE5ELNS1_3repE0EEENS1_30default_config_static_selectorELNS0_4arch9wavefront6targetE0EEEvST_.num_agpr, 0
	.set _ZN7rocprim17ROCPRIM_400000_NS6detail17trampoline_kernelINS0_14default_configENS1_22reduce_config_selectorIiEEZNS1_11reduce_implILb1ES3_PiS7_iN6hipcub16HIPCUB_304000_NS6detail34convert_binary_result_type_wrapperINS9_3SumENS9_22TransformInputIteratorIbN2at6native12_GLOBAL__N_19NonZeroOpIN3c107complexIdEEEEPKSK_lEEiEEEE10hipError_tPvRmT1_T2_T3_mT4_P12ihipStream_tbEUlT_E1_NS1_11comp_targetILNS1_3genE10ELNS1_11target_archE1201ELNS1_3gpuE5ELNS1_3repE0EEENS1_30default_config_static_selectorELNS0_4arch9wavefront6targetE0EEEvST_.numbered_sgpr, 45
	.set _ZN7rocprim17ROCPRIM_400000_NS6detail17trampoline_kernelINS0_14default_configENS1_22reduce_config_selectorIiEEZNS1_11reduce_implILb1ES3_PiS7_iN6hipcub16HIPCUB_304000_NS6detail34convert_binary_result_type_wrapperINS9_3SumENS9_22TransformInputIteratorIbN2at6native12_GLOBAL__N_19NonZeroOpIN3c107complexIdEEEEPKSK_lEEiEEEE10hipError_tPvRmT1_T2_T3_mT4_P12ihipStream_tbEUlT_E1_NS1_11comp_targetILNS1_3genE10ELNS1_11target_archE1201ELNS1_3gpuE5ELNS1_3repE0EEENS1_30default_config_static_selectorELNS0_4arch9wavefront6targetE0EEEvST_.num_named_barrier, 0
	.set _ZN7rocprim17ROCPRIM_400000_NS6detail17trampoline_kernelINS0_14default_configENS1_22reduce_config_selectorIiEEZNS1_11reduce_implILb1ES3_PiS7_iN6hipcub16HIPCUB_304000_NS6detail34convert_binary_result_type_wrapperINS9_3SumENS9_22TransformInputIteratorIbN2at6native12_GLOBAL__N_19NonZeroOpIN3c107complexIdEEEEPKSK_lEEiEEEE10hipError_tPvRmT1_T2_T3_mT4_P12ihipStream_tbEUlT_E1_NS1_11comp_targetILNS1_3genE10ELNS1_11target_archE1201ELNS1_3gpuE5ELNS1_3repE0EEENS1_30default_config_static_selectorELNS0_4arch9wavefront6targetE0EEEvST_.private_seg_size, 0
	.set _ZN7rocprim17ROCPRIM_400000_NS6detail17trampoline_kernelINS0_14default_configENS1_22reduce_config_selectorIiEEZNS1_11reduce_implILb1ES3_PiS7_iN6hipcub16HIPCUB_304000_NS6detail34convert_binary_result_type_wrapperINS9_3SumENS9_22TransformInputIteratorIbN2at6native12_GLOBAL__N_19NonZeroOpIN3c107complexIdEEEEPKSK_lEEiEEEE10hipError_tPvRmT1_T2_T3_mT4_P12ihipStream_tbEUlT_E1_NS1_11comp_targetILNS1_3genE10ELNS1_11target_archE1201ELNS1_3gpuE5ELNS1_3repE0EEENS1_30default_config_static_selectorELNS0_4arch9wavefront6targetE0EEEvST_.uses_vcc, 1
	.set _ZN7rocprim17ROCPRIM_400000_NS6detail17trampoline_kernelINS0_14default_configENS1_22reduce_config_selectorIiEEZNS1_11reduce_implILb1ES3_PiS7_iN6hipcub16HIPCUB_304000_NS6detail34convert_binary_result_type_wrapperINS9_3SumENS9_22TransformInputIteratorIbN2at6native12_GLOBAL__N_19NonZeroOpIN3c107complexIdEEEEPKSK_lEEiEEEE10hipError_tPvRmT1_T2_T3_mT4_P12ihipStream_tbEUlT_E1_NS1_11comp_targetILNS1_3genE10ELNS1_11target_archE1201ELNS1_3gpuE5ELNS1_3repE0EEENS1_30default_config_static_selectorELNS0_4arch9wavefront6targetE0EEEvST_.uses_flat_scratch, 0
	.set _ZN7rocprim17ROCPRIM_400000_NS6detail17trampoline_kernelINS0_14default_configENS1_22reduce_config_selectorIiEEZNS1_11reduce_implILb1ES3_PiS7_iN6hipcub16HIPCUB_304000_NS6detail34convert_binary_result_type_wrapperINS9_3SumENS9_22TransformInputIteratorIbN2at6native12_GLOBAL__N_19NonZeroOpIN3c107complexIdEEEEPKSK_lEEiEEEE10hipError_tPvRmT1_T2_T3_mT4_P12ihipStream_tbEUlT_E1_NS1_11comp_targetILNS1_3genE10ELNS1_11target_archE1201ELNS1_3gpuE5ELNS1_3repE0EEENS1_30default_config_static_selectorELNS0_4arch9wavefront6targetE0EEEvST_.has_dyn_sized_stack, 0
	.set _ZN7rocprim17ROCPRIM_400000_NS6detail17trampoline_kernelINS0_14default_configENS1_22reduce_config_selectorIiEEZNS1_11reduce_implILb1ES3_PiS7_iN6hipcub16HIPCUB_304000_NS6detail34convert_binary_result_type_wrapperINS9_3SumENS9_22TransformInputIteratorIbN2at6native12_GLOBAL__N_19NonZeroOpIN3c107complexIdEEEEPKSK_lEEiEEEE10hipError_tPvRmT1_T2_T3_mT4_P12ihipStream_tbEUlT_E1_NS1_11comp_targetILNS1_3genE10ELNS1_11target_archE1201ELNS1_3gpuE5ELNS1_3repE0EEENS1_30default_config_static_selectorELNS0_4arch9wavefront6targetE0EEEvST_.has_recursion, 0
	.set _ZN7rocprim17ROCPRIM_400000_NS6detail17trampoline_kernelINS0_14default_configENS1_22reduce_config_selectorIiEEZNS1_11reduce_implILb1ES3_PiS7_iN6hipcub16HIPCUB_304000_NS6detail34convert_binary_result_type_wrapperINS9_3SumENS9_22TransformInputIteratorIbN2at6native12_GLOBAL__N_19NonZeroOpIN3c107complexIdEEEEPKSK_lEEiEEEE10hipError_tPvRmT1_T2_T3_mT4_P12ihipStream_tbEUlT_E1_NS1_11comp_targetILNS1_3genE10ELNS1_11target_archE1201ELNS1_3gpuE5ELNS1_3repE0EEENS1_30default_config_static_selectorELNS0_4arch9wavefront6targetE0EEEvST_.has_indirect_call, 0
	.section	.AMDGPU.csdata,"",@progbits
; Kernel info:
; codeLenInByte = 11904
; TotalNumSgprs: 47
; NumVgprs: 34
; ScratchSize: 0
; MemoryBound: 0
; FloatMode: 240
; IeeeMode: 1
; LDSByteSize: 224 bytes/workgroup (compile time only)
; SGPRBlocks: 0
; VGPRBlocks: 4
; NumSGPRsForWavesPerEU: 47
; NumVGPRsForWavesPerEU: 34
; Occupancy: 16
; WaveLimiterHint : 1
; COMPUTE_PGM_RSRC2:SCRATCH_EN: 0
; COMPUTE_PGM_RSRC2:USER_SGPR: 2
; COMPUTE_PGM_RSRC2:TRAP_HANDLER: 0
; COMPUTE_PGM_RSRC2:TGID_X_EN: 1
; COMPUTE_PGM_RSRC2:TGID_Y_EN: 0
; COMPUTE_PGM_RSRC2:TGID_Z_EN: 0
; COMPUTE_PGM_RSRC2:TIDIG_COMP_CNT: 0
	.section	.text._ZN7rocprim17ROCPRIM_400000_NS6detail17trampoline_kernelINS0_14default_configENS1_22reduce_config_selectorIiEEZNS1_11reduce_implILb1ES3_PiS7_iN6hipcub16HIPCUB_304000_NS6detail34convert_binary_result_type_wrapperINS9_3SumENS9_22TransformInputIteratorIbN2at6native12_GLOBAL__N_19NonZeroOpIN3c107complexIdEEEEPKSK_lEEiEEEE10hipError_tPvRmT1_T2_T3_mT4_P12ihipStream_tbEUlT_E1_NS1_11comp_targetILNS1_3genE10ELNS1_11target_archE1200ELNS1_3gpuE4ELNS1_3repE0EEENS1_30default_config_static_selectorELNS0_4arch9wavefront6targetE0EEEvST_,"axG",@progbits,_ZN7rocprim17ROCPRIM_400000_NS6detail17trampoline_kernelINS0_14default_configENS1_22reduce_config_selectorIiEEZNS1_11reduce_implILb1ES3_PiS7_iN6hipcub16HIPCUB_304000_NS6detail34convert_binary_result_type_wrapperINS9_3SumENS9_22TransformInputIteratorIbN2at6native12_GLOBAL__N_19NonZeroOpIN3c107complexIdEEEEPKSK_lEEiEEEE10hipError_tPvRmT1_T2_T3_mT4_P12ihipStream_tbEUlT_E1_NS1_11comp_targetILNS1_3genE10ELNS1_11target_archE1200ELNS1_3gpuE4ELNS1_3repE0EEENS1_30default_config_static_selectorELNS0_4arch9wavefront6targetE0EEEvST_,comdat
	.globl	_ZN7rocprim17ROCPRIM_400000_NS6detail17trampoline_kernelINS0_14default_configENS1_22reduce_config_selectorIiEEZNS1_11reduce_implILb1ES3_PiS7_iN6hipcub16HIPCUB_304000_NS6detail34convert_binary_result_type_wrapperINS9_3SumENS9_22TransformInputIteratorIbN2at6native12_GLOBAL__N_19NonZeroOpIN3c107complexIdEEEEPKSK_lEEiEEEE10hipError_tPvRmT1_T2_T3_mT4_P12ihipStream_tbEUlT_E1_NS1_11comp_targetILNS1_3genE10ELNS1_11target_archE1200ELNS1_3gpuE4ELNS1_3repE0EEENS1_30default_config_static_selectorELNS0_4arch9wavefront6targetE0EEEvST_ ; -- Begin function _ZN7rocprim17ROCPRIM_400000_NS6detail17trampoline_kernelINS0_14default_configENS1_22reduce_config_selectorIiEEZNS1_11reduce_implILb1ES3_PiS7_iN6hipcub16HIPCUB_304000_NS6detail34convert_binary_result_type_wrapperINS9_3SumENS9_22TransformInputIteratorIbN2at6native12_GLOBAL__N_19NonZeroOpIN3c107complexIdEEEEPKSK_lEEiEEEE10hipError_tPvRmT1_T2_T3_mT4_P12ihipStream_tbEUlT_E1_NS1_11comp_targetILNS1_3genE10ELNS1_11target_archE1200ELNS1_3gpuE4ELNS1_3repE0EEENS1_30default_config_static_selectorELNS0_4arch9wavefront6targetE0EEEvST_
	.p2align	8
	.type	_ZN7rocprim17ROCPRIM_400000_NS6detail17trampoline_kernelINS0_14default_configENS1_22reduce_config_selectorIiEEZNS1_11reduce_implILb1ES3_PiS7_iN6hipcub16HIPCUB_304000_NS6detail34convert_binary_result_type_wrapperINS9_3SumENS9_22TransformInputIteratorIbN2at6native12_GLOBAL__N_19NonZeroOpIN3c107complexIdEEEEPKSK_lEEiEEEE10hipError_tPvRmT1_T2_T3_mT4_P12ihipStream_tbEUlT_E1_NS1_11comp_targetILNS1_3genE10ELNS1_11target_archE1200ELNS1_3gpuE4ELNS1_3repE0EEENS1_30default_config_static_selectorELNS0_4arch9wavefront6targetE0EEEvST_,@function
_ZN7rocprim17ROCPRIM_400000_NS6detail17trampoline_kernelINS0_14default_configENS1_22reduce_config_selectorIiEEZNS1_11reduce_implILb1ES3_PiS7_iN6hipcub16HIPCUB_304000_NS6detail34convert_binary_result_type_wrapperINS9_3SumENS9_22TransformInputIteratorIbN2at6native12_GLOBAL__N_19NonZeroOpIN3c107complexIdEEEEPKSK_lEEiEEEE10hipError_tPvRmT1_T2_T3_mT4_P12ihipStream_tbEUlT_E1_NS1_11comp_targetILNS1_3genE10ELNS1_11target_archE1200ELNS1_3gpuE4ELNS1_3repE0EEENS1_30default_config_static_selectorELNS0_4arch9wavefront6targetE0EEEvST_: ; @_ZN7rocprim17ROCPRIM_400000_NS6detail17trampoline_kernelINS0_14default_configENS1_22reduce_config_selectorIiEEZNS1_11reduce_implILb1ES3_PiS7_iN6hipcub16HIPCUB_304000_NS6detail34convert_binary_result_type_wrapperINS9_3SumENS9_22TransformInputIteratorIbN2at6native12_GLOBAL__N_19NonZeroOpIN3c107complexIdEEEEPKSK_lEEiEEEE10hipError_tPvRmT1_T2_T3_mT4_P12ihipStream_tbEUlT_E1_NS1_11comp_targetILNS1_3genE10ELNS1_11target_archE1200ELNS1_3gpuE4ELNS1_3repE0EEENS1_30default_config_static_selectorELNS0_4arch9wavefront6targetE0EEEvST_
; %bb.0:
	.section	.rodata,"a",@progbits
	.p2align	6, 0x0
	.amdhsa_kernel _ZN7rocprim17ROCPRIM_400000_NS6detail17trampoline_kernelINS0_14default_configENS1_22reduce_config_selectorIiEEZNS1_11reduce_implILb1ES3_PiS7_iN6hipcub16HIPCUB_304000_NS6detail34convert_binary_result_type_wrapperINS9_3SumENS9_22TransformInputIteratorIbN2at6native12_GLOBAL__N_19NonZeroOpIN3c107complexIdEEEEPKSK_lEEiEEEE10hipError_tPvRmT1_T2_T3_mT4_P12ihipStream_tbEUlT_E1_NS1_11comp_targetILNS1_3genE10ELNS1_11target_archE1200ELNS1_3gpuE4ELNS1_3repE0EEENS1_30default_config_static_selectorELNS0_4arch9wavefront6targetE0EEEvST_
		.amdhsa_group_segment_fixed_size 0
		.amdhsa_private_segment_fixed_size 0
		.amdhsa_kernarg_size 40
		.amdhsa_user_sgpr_count 2
		.amdhsa_user_sgpr_dispatch_ptr 0
		.amdhsa_user_sgpr_queue_ptr 0
		.amdhsa_user_sgpr_kernarg_segment_ptr 1
		.amdhsa_user_sgpr_dispatch_id 0
		.amdhsa_user_sgpr_private_segment_size 0
		.amdhsa_wavefront_size32 1
		.amdhsa_uses_dynamic_stack 0
		.amdhsa_enable_private_segment 0
		.amdhsa_system_sgpr_workgroup_id_x 1
		.amdhsa_system_sgpr_workgroup_id_y 0
		.amdhsa_system_sgpr_workgroup_id_z 0
		.amdhsa_system_sgpr_workgroup_info 0
		.amdhsa_system_vgpr_workitem_id 0
		.amdhsa_next_free_vgpr 1
		.amdhsa_next_free_sgpr 1
		.amdhsa_reserve_vcc 0
		.amdhsa_float_round_mode_32 0
		.amdhsa_float_round_mode_16_64 0
		.amdhsa_float_denorm_mode_32 3
		.amdhsa_float_denorm_mode_16_64 3
		.amdhsa_fp16_overflow 0
		.amdhsa_workgroup_processor_mode 1
		.amdhsa_memory_ordered 1
		.amdhsa_forward_progress 1
		.amdhsa_inst_pref_size 0
		.amdhsa_round_robin_scheduling 0
		.amdhsa_exception_fp_ieee_invalid_op 0
		.amdhsa_exception_fp_denorm_src 0
		.amdhsa_exception_fp_ieee_div_zero 0
		.amdhsa_exception_fp_ieee_overflow 0
		.amdhsa_exception_fp_ieee_underflow 0
		.amdhsa_exception_fp_ieee_inexact 0
		.amdhsa_exception_int_div_zero 0
	.end_amdhsa_kernel
	.section	.text._ZN7rocprim17ROCPRIM_400000_NS6detail17trampoline_kernelINS0_14default_configENS1_22reduce_config_selectorIiEEZNS1_11reduce_implILb1ES3_PiS7_iN6hipcub16HIPCUB_304000_NS6detail34convert_binary_result_type_wrapperINS9_3SumENS9_22TransformInputIteratorIbN2at6native12_GLOBAL__N_19NonZeroOpIN3c107complexIdEEEEPKSK_lEEiEEEE10hipError_tPvRmT1_T2_T3_mT4_P12ihipStream_tbEUlT_E1_NS1_11comp_targetILNS1_3genE10ELNS1_11target_archE1200ELNS1_3gpuE4ELNS1_3repE0EEENS1_30default_config_static_selectorELNS0_4arch9wavefront6targetE0EEEvST_,"axG",@progbits,_ZN7rocprim17ROCPRIM_400000_NS6detail17trampoline_kernelINS0_14default_configENS1_22reduce_config_selectorIiEEZNS1_11reduce_implILb1ES3_PiS7_iN6hipcub16HIPCUB_304000_NS6detail34convert_binary_result_type_wrapperINS9_3SumENS9_22TransformInputIteratorIbN2at6native12_GLOBAL__N_19NonZeroOpIN3c107complexIdEEEEPKSK_lEEiEEEE10hipError_tPvRmT1_T2_T3_mT4_P12ihipStream_tbEUlT_E1_NS1_11comp_targetILNS1_3genE10ELNS1_11target_archE1200ELNS1_3gpuE4ELNS1_3repE0EEENS1_30default_config_static_selectorELNS0_4arch9wavefront6targetE0EEEvST_,comdat
.Lfunc_end505:
	.size	_ZN7rocprim17ROCPRIM_400000_NS6detail17trampoline_kernelINS0_14default_configENS1_22reduce_config_selectorIiEEZNS1_11reduce_implILb1ES3_PiS7_iN6hipcub16HIPCUB_304000_NS6detail34convert_binary_result_type_wrapperINS9_3SumENS9_22TransformInputIteratorIbN2at6native12_GLOBAL__N_19NonZeroOpIN3c107complexIdEEEEPKSK_lEEiEEEE10hipError_tPvRmT1_T2_T3_mT4_P12ihipStream_tbEUlT_E1_NS1_11comp_targetILNS1_3genE10ELNS1_11target_archE1200ELNS1_3gpuE4ELNS1_3repE0EEENS1_30default_config_static_selectorELNS0_4arch9wavefront6targetE0EEEvST_, .Lfunc_end505-_ZN7rocprim17ROCPRIM_400000_NS6detail17trampoline_kernelINS0_14default_configENS1_22reduce_config_selectorIiEEZNS1_11reduce_implILb1ES3_PiS7_iN6hipcub16HIPCUB_304000_NS6detail34convert_binary_result_type_wrapperINS9_3SumENS9_22TransformInputIteratorIbN2at6native12_GLOBAL__N_19NonZeroOpIN3c107complexIdEEEEPKSK_lEEiEEEE10hipError_tPvRmT1_T2_T3_mT4_P12ihipStream_tbEUlT_E1_NS1_11comp_targetILNS1_3genE10ELNS1_11target_archE1200ELNS1_3gpuE4ELNS1_3repE0EEENS1_30default_config_static_selectorELNS0_4arch9wavefront6targetE0EEEvST_
                                        ; -- End function
	.set _ZN7rocprim17ROCPRIM_400000_NS6detail17trampoline_kernelINS0_14default_configENS1_22reduce_config_selectorIiEEZNS1_11reduce_implILb1ES3_PiS7_iN6hipcub16HIPCUB_304000_NS6detail34convert_binary_result_type_wrapperINS9_3SumENS9_22TransformInputIteratorIbN2at6native12_GLOBAL__N_19NonZeroOpIN3c107complexIdEEEEPKSK_lEEiEEEE10hipError_tPvRmT1_T2_T3_mT4_P12ihipStream_tbEUlT_E1_NS1_11comp_targetILNS1_3genE10ELNS1_11target_archE1200ELNS1_3gpuE4ELNS1_3repE0EEENS1_30default_config_static_selectorELNS0_4arch9wavefront6targetE0EEEvST_.num_vgpr, 0
	.set _ZN7rocprim17ROCPRIM_400000_NS6detail17trampoline_kernelINS0_14default_configENS1_22reduce_config_selectorIiEEZNS1_11reduce_implILb1ES3_PiS7_iN6hipcub16HIPCUB_304000_NS6detail34convert_binary_result_type_wrapperINS9_3SumENS9_22TransformInputIteratorIbN2at6native12_GLOBAL__N_19NonZeroOpIN3c107complexIdEEEEPKSK_lEEiEEEE10hipError_tPvRmT1_T2_T3_mT4_P12ihipStream_tbEUlT_E1_NS1_11comp_targetILNS1_3genE10ELNS1_11target_archE1200ELNS1_3gpuE4ELNS1_3repE0EEENS1_30default_config_static_selectorELNS0_4arch9wavefront6targetE0EEEvST_.num_agpr, 0
	.set _ZN7rocprim17ROCPRIM_400000_NS6detail17trampoline_kernelINS0_14default_configENS1_22reduce_config_selectorIiEEZNS1_11reduce_implILb1ES3_PiS7_iN6hipcub16HIPCUB_304000_NS6detail34convert_binary_result_type_wrapperINS9_3SumENS9_22TransformInputIteratorIbN2at6native12_GLOBAL__N_19NonZeroOpIN3c107complexIdEEEEPKSK_lEEiEEEE10hipError_tPvRmT1_T2_T3_mT4_P12ihipStream_tbEUlT_E1_NS1_11comp_targetILNS1_3genE10ELNS1_11target_archE1200ELNS1_3gpuE4ELNS1_3repE0EEENS1_30default_config_static_selectorELNS0_4arch9wavefront6targetE0EEEvST_.numbered_sgpr, 0
	.set _ZN7rocprim17ROCPRIM_400000_NS6detail17trampoline_kernelINS0_14default_configENS1_22reduce_config_selectorIiEEZNS1_11reduce_implILb1ES3_PiS7_iN6hipcub16HIPCUB_304000_NS6detail34convert_binary_result_type_wrapperINS9_3SumENS9_22TransformInputIteratorIbN2at6native12_GLOBAL__N_19NonZeroOpIN3c107complexIdEEEEPKSK_lEEiEEEE10hipError_tPvRmT1_T2_T3_mT4_P12ihipStream_tbEUlT_E1_NS1_11comp_targetILNS1_3genE10ELNS1_11target_archE1200ELNS1_3gpuE4ELNS1_3repE0EEENS1_30default_config_static_selectorELNS0_4arch9wavefront6targetE0EEEvST_.num_named_barrier, 0
	.set _ZN7rocprim17ROCPRIM_400000_NS6detail17trampoline_kernelINS0_14default_configENS1_22reduce_config_selectorIiEEZNS1_11reduce_implILb1ES3_PiS7_iN6hipcub16HIPCUB_304000_NS6detail34convert_binary_result_type_wrapperINS9_3SumENS9_22TransformInputIteratorIbN2at6native12_GLOBAL__N_19NonZeroOpIN3c107complexIdEEEEPKSK_lEEiEEEE10hipError_tPvRmT1_T2_T3_mT4_P12ihipStream_tbEUlT_E1_NS1_11comp_targetILNS1_3genE10ELNS1_11target_archE1200ELNS1_3gpuE4ELNS1_3repE0EEENS1_30default_config_static_selectorELNS0_4arch9wavefront6targetE0EEEvST_.private_seg_size, 0
	.set _ZN7rocprim17ROCPRIM_400000_NS6detail17trampoline_kernelINS0_14default_configENS1_22reduce_config_selectorIiEEZNS1_11reduce_implILb1ES3_PiS7_iN6hipcub16HIPCUB_304000_NS6detail34convert_binary_result_type_wrapperINS9_3SumENS9_22TransformInputIteratorIbN2at6native12_GLOBAL__N_19NonZeroOpIN3c107complexIdEEEEPKSK_lEEiEEEE10hipError_tPvRmT1_T2_T3_mT4_P12ihipStream_tbEUlT_E1_NS1_11comp_targetILNS1_3genE10ELNS1_11target_archE1200ELNS1_3gpuE4ELNS1_3repE0EEENS1_30default_config_static_selectorELNS0_4arch9wavefront6targetE0EEEvST_.uses_vcc, 0
	.set _ZN7rocprim17ROCPRIM_400000_NS6detail17trampoline_kernelINS0_14default_configENS1_22reduce_config_selectorIiEEZNS1_11reduce_implILb1ES3_PiS7_iN6hipcub16HIPCUB_304000_NS6detail34convert_binary_result_type_wrapperINS9_3SumENS9_22TransformInputIteratorIbN2at6native12_GLOBAL__N_19NonZeroOpIN3c107complexIdEEEEPKSK_lEEiEEEE10hipError_tPvRmT1_T2_T3_mT4_P12ihipStream_tbEUlT_E1_NS1_11comp_targetILNS1_3genE10ELNS1_11target_archE1200ELNS1_3gpuE4ELNS1_3repE0EEENS1_30default_config_static_selectorELNS0_4arch9wavefront6targetE0EEEvST_.uses_flat_scratch, 0
	.set _ZN7rocprim17ROCPRIM_400000_NS6detail17trampoline_kernelINS0_14default_configENS1_22reduce_config_selectorIiEEZNS1_11reduce_implILb1ES3_PiS7_iN6hipcub16HIPCUB_304000_NS6detail34convert_binary_result_type_wrapperINS9_3SumENS9_22TransformInputIteratorIbN2at6native12_GLOBAL__N_19NonZeroOpIN3c107complexIdEEEEPKSK_lEEiEEEE10hipError_tPvRmT1_T2_T3_mT4_P12ihipStream_tbEUlT_E1_NS1_11comp_targetILNS1_3genE10ELNS1_11target_archE1200ELNS1_3gpuE4ELNS1_3repE0EEENS1_30default_config_static_selectorELNS0_4arch9wavefront6targetE0EEEvST_.has_dyn_sized_stack, 0
	.set _ZN7rocprim17ROCPRIM_400000_NS6detail17trampoline_kernelINS0_14default_configENS1_22reduce_config_selectorIiEEZNS1_11reduce_implILb1ES3_PiS7_iN6hipcub16HIPCUB_304000_NS6detail34convert_binary_result_type_wrapperINS9_3SumENS9_22TransformInputIteratorIbN2at6native12_GLOBAL__N_19NonZeroOpIN3c107complexIdEEEEPKSK_lEEiEEEE10hipError_tPvRmT1_T2_T3_mT4_P12ihipStream_tbEUlT_E1_NS1_11comp_targetILNS1_3genE10ELNS1_11target_archE1200ELNS1_3gpuE4ELNS1_3repE0EEENS1_30default_config_static_selectorELNS0_4arch9wavefront6targetE0EEEvST_.has_recursion, 0
	.set _ZN7rocprim17ROCPRIM_400000_NS6detail17trampoline_kernelINS0_14default_configENS1_22reduce_config_selectorIiEEZNS1_11reduce_implILb1ES3_PiS7_iN6hipcub16HIPCUB_304000_NS6detail34convert_binary_result_type_wrapperINS9_3SumENS9_22TransformInputIteratorIbN2at6native12_GLOBAL__N_19NonZeroOpIN3c107complexIdEEEEPKSK_lEEiEEEE10hipError_tPvRmT1_T2_T3_mT4_P12ihipStream_tbEUlT_E1_NS1_11comp_targetILNS1_3genE10ELNS1_11target_archE1200ELNS1_3gpuE4ELNS1_3repE0EEENS1_30default_config_static_selectorELNS0_4arch9wavefront6targetE0EEEvST_.has_indirect_call, 0
	.section	.AMDGPU.csdata,"",@progbits
; Kernel info:
; codeLenInByte = 0
; TotalNumSgprs: 0
; NumVgprs: 0
; ScratchSize: 0
; MemoryBound: 0
; FloatMode: 240
; IeeeMode: 1
; LDSByteSize: 0 bytes/workgroup (compile time only)
; SGPRBlocks: 0
; VGPRBlocks: 0
; NumSGPRsForWavesPerEU: 1
; NumVGPRsForWavesPerEU: 1
; Occupancy: 16
; WaveLimiterHint : 0
; COMPUTE_PGM_RSRC2:SCRATCH_EN: 0
; COMPUTE_PGM_RSRC2:USER_SGPR: 2
; COMPUTE_PGM_RSRC2:TRAP_HANDLER: 0
; COMPUTE_PGM_RSRC2:TGID_X_EN: 1
; COMPUTE_PGM_RSRC2:TGID_Y_EN: 0
; COMPUTE_PGM_RSRC2:TGID_Z_EN: 0
; COMPUTE_PGM_RSRC2:TIDIG_COMP_CNT: 0
	.section	.text._ZN7rocprim17ROCPRIM_400000_NS6detail17trampoline_kernelINS0_14default_configENS1_22reduce_config_selectorIiEEZNS1_11reduce_implILb1ES3_PiS7_iN6hipcub16HIPCUB_304000_NS6detail34convert_binary_result_type_wrapperINS9_3SumENS9_22TransformInputIteratorIbN2at6native12_GLOBAL__N_19NonZeroOpIN3c107complexIdEEEEPKSK_lEEiEEEE10hipError_tPvRmT1_T2_T3_mT4_P12ihipStream_tbEUlT_E1_NS1_11comp_targetILNS1_3genE9ELNS1_11target_archE1100ELNS1_3gpuE3ELNS1_3repE0EEENS1_30default_config_static_selectorELNS0_4arch9wavefront6targetE0EEEvST_,"axG",@progbits,_ZN7rocprim17ROCPRIM_400000_NS6detail17trampoline_kernelINS0_14default_configENS1_22reduce_config_selectorIiEEZNS1_11reduce_implILb1ES3_PiS7_iN6hipcub16HIPCUB_304000_NS6detail34convert_binary_result_type_wrapperINS9_3SumENS9_22TransformInputIteratorIbN2at6native12_GLOBAL__N_19NonZeroOpIN3c107complexIdEEEEPKSK_lEEiEEEE10hipError_tPvRmT1_T2_T3_mT4_P12ihipStream_tbEUlT_E1_NS1_11comp_targetILNS1_3genE9ELNS1_11target_archE1100ELNS1_3gpuE3ELNS1_3repE0EEENS1_30default_config_static_selectorELNS0_4arch9wavefront6targetE0EEEvST_,comdat
	.globl	_ZN7rocprim17ROCPRIM_400000_NS6detail17trampoline_kernelINS0_14default_configENS1_22reduce_config_selectorIiEEZNS1_11reduce_implILb1ES3_PiS7_iN6hipcub16HIPCUB_304000_NS6detail34convert_binary_result_type_wrapperINS9_3SumENS9_22TransformInputIteratorIbN2at6native12_GLOBAL__N_19NonZeroOpIN3c107complexIdEEEEPKSK_lEEiEEEE10hipError_tPvRmT1_T2_T3_mT4_P12ihipStream_tbEUlT_E1_NS1_11comp_targetILNS1_3genE9ELNS1_11target_archE1100ELNS1_3gpuE3ELNS1_3repE0EEENS1_30default_config_static_selectorELNS0_4arch9wavefront6targetE0EEEvST_ ; -- Begin function _ZN7rocprim17ROCPRIM_400000_NS6detail17trampoline_kernelINS0_14default_configENS1_22reduce_config_selectorIiEEZNS1_11reduce_implILb1ES3_PiS7_iN6hipcub16HIPCUB_304000_NS6detail34convert_binary_result_type_wrapperINS9_3SumENS9_22TransformInputIteratorIbN2at6native12_GLOBAL__N_19NonZeroOpIN3c107complexIdEEEEPKSK_lEEiEEEE10hipError_tPvRmT1_T2_T3_mT4_P12ihipStream_tbEUlT_E1_NS1_11comp_targetILNS1_3genE9ELNS1_11target_archE1100ELNS1_3gpuE3ELNS1_3repE0EEENS1_30default_config_static_selectorELNS0_4arch9wavefront6targetE0EEEvST_
	.p2align	8
	.type	_ZN7rocprim17ROCPRIM_400000_NS6detail17trampoline_kernelINS0_14default_configENS1_22reduce_config_selectorIiEEZNS1_11reduce_implILb1ES3_PiS7_iN6hipcub16HIPCUB_304000_NS6detail34convert_binary_result_type_wrapperINS9_3SumENS9_22TransformInputIteratorIbN2at6native12_GLOBAL__N_19NonZeroOpIN3c107complexIdEEEEPKSK_lEEiEEEE10hipError_tPvRmT1_T2_T3_mT4_P12ihipStream_tbEUlT_E1_NS1_11comp_targetILNS1_3genE9ELNS1_11target_archE1100ELNS1_3gpuE3ELNS1_3repE0EEENS1_30default_config_static_selectorELNS0_4arch9wavefront6targetE0EEEvST_,@function
_ZN7rocprim17ROCPRIM_400000_NS6detail17trampoline_kernelINS0_14default_configENS1_22reduce_config_selectorIiEEZNS1_11reduce_implILb1ES3_PiS7_iN6hipcub16HIPCUB_304000_NS6detail34convert_binary_result_type_wrapperINS9_3SumENS9_22TransformInputIteratorIbN2at6native12_GLOBAL__N_19NonZeroOpIN3c107complexIdEEEEPKSK_lEEiEEEE10hipError_tPvRmT1_T2_T3_mT4_P12ihipStream_tbEUlT_E1_NS1_11comp_targetILNS1_3genE9ELNS1_11target_archE1100ELNS1_3gpuE3ELNS1_3repE0EEENS1_30default_config_static_selectorELNS0_4arch9wavefront6targetE0EEEvST_: ; @_ZN7rocprim17ROCPRIM_400000_NS6detail17trampoline_kernelINS0_14default_configENS1_22reduce_config_selectorIiEEZNS1_11reduce_implILb1ES3_PiS7_iN6hipcub16HIPCUB_304000_NS6detail34convert_binary_result_type_wrapperINS9_3SumENS9_22TransformInputIteratorIbN2at6native12_GLOBAL__N_19NonZeroOpIN3c107complexIdEEEEPKSK_lEEiEEEE10hipError_tPvRmT1_T2_T3_mT4_P12ihipStream_tbEUlT_E1_NS1_11comp_targetILNS1_3genE9ELNS1_11target_archE1100ELNS1_3gpuE3ELNS1_3repE0EEENS1_30default_config_static_selectorELNS0_4arch9wavefront6targetE0EEEvST_
; %bb.0:
	.section	.rodata,"a",@progbits
	.p2align	6, 0x0
	.amdhsa_kernel _ZN7rocprim17ROCPRIM_400000_NS6detail17trampoline_kernelINS0_14default_configENS1_22reduce_config_selectorIiEEZNS1_11reduce_implILb1ES3_PiS7_iN6hipcub16HIPCUB_304000_NS6detail34convert_binary_result_type_wrapperINS9_3SumENS9_22TransformInputIteratorIbN2at6native12_GLOBAL__N_19NonZeroOpIN3c107complexIdEEEEPKSK_lEEiEEEE10hipError_tPvRmT1_T2_T3_mT4_P12ihipStream_tbEUlT_E1_NS1_11comp_targetILNS1_3genE9ELNS1_11target_archE1100ELNS1_3gpuE3ELNS1_3repE0EEENS1_30default_config_static_selectorELNS0_4arch9wavefront6targetE0EEEvST_
		.amdhsa_group_segment_fixed_size 0
		.amdhsa_private_segment_fixed_size 0
		.amdhsa_kernarg_size 40
		.amdhsa_user_sgpr_count 2
		.amdhsa_user_sgpr_dispatch_ptr 0
		.amdhsa_user_sgpr_queue_ptr 0
		.amdhsa_user_sgpr_kernarg_segment_ptr 1
		.amdhsa_user_sgpr_dispatch_id 0
		.amdhsa_user_sgpr_private_segment_size 0
		.amdhsa_wavefront_size32 1
		.amdhsa_uses_dynamic_stack 0
		.amdhsa_enable_private_segment 0
		.amdhsa_system_sgpr_workgroup_id_x 1
		.amdhsa_system_sgpr_workgroup_id_y 0
		.amdhsa_system_sgpr_workgroup_id_z 0
		.amdhsa_system_sgpr_workgroup_info 0
		.amdhsa_system_vgpr_workitem_id 0
		.amdhsa_next_free_vgpr 1
		.amdhsa_next_free_sgpr 1
		.amdhsa_reserve_vcc 0
		.amdhsa_float_round_mode_32 0
		.amdhsa_float_round_mode_16_64 0
		.amdhsa_float_denorm_mode_32 3
		.amdhsa_float_denorm_mode_16_64 3
		.amdhsa_fp16_overflow 0
		.amdhsa_workgroup_processor_mode 1
		.amdhsa_memory_ordered 1
		.amdhsa_forward_progress 1
		.amdhsa_inst_pref_size 0
		.amdhsa_round_robin_scheduling 0
		.amdhsa_exception_fp_ieee_invalid_op 0
		.amdhsa_exception_fp_denorm_src 0
		.amdhsa_exception_fp_ieee_div_zero 0
		.amdhsa_exception_fp_ieee_overflow 0
		.amdhsa_exception_fp_ieee_underflow 0
		.amdhsa_exception_fp_ieee_inexact 0
		.amdhsa_exception_int_div_zero 0
	.end_amdhsa_kernel
	.section	.text._ZN7rocprim17ROCPRIM_400000_NS6detail17trampoline_kernelINS0_14default_configENS1_22reduce_config_selectorIiEEZNS1_11reduce_implILb1ES3_PiS7_iN6hipcub16HIPCUB_304000_NS6detail34convert_binary_result_type_wrapperINS9_3SumENS9_22TransformInputIteratorIbN2at6native12_GLOBAL__N_19NonZeroOpIN3c107complexIdEEEEPKSK_lEEiEEEE10hipError_tPvRmT1_T2_T3_mT4_P12ihipStream_tbEUlT_E1_NS1_11comp_targetILNS1_3genE9ELNS1_11target_archE1100ELNS1_3gpuE3ELNS1_3repE0EEENS1_30default_config_static_selectorELNS0_4arch9wavefront6targetE0EEEvST_,"axG",@progbits,_ZN7rocprim17ROCPRIM_400000_NS6detail17trampoline_kernelINS0_14default_configENS1_22reduce_config_selectorIiEEZNS1_11reduce_implILb1ES3_PiS7_iN6hipcub16HIPCUB_304000_NS6detail34convert_binary_result_type_wrapperINS9_3SumENS9_22TransformInputIteratorIbN2at6native12_GLOBAL__N_19NonZeroOpIN3c107complexIdEEEEPKSK_lEEiEEEE10hipError_tPvRmT1_T2_T3_mT4_P12ihipStream_tbEUlT_E1_NS1_11comp_targetILNS1_3genE9ELNS1_11target_archE1100ELNS1_3gpuE3ELNS1_3repE0EEENS1_30default_config_static_selectorELNS0_4arch9wavefront6targetE0EEEvST_,comdat
.Lfunc_end506:
	.size	_ZN7rocprim17ROCPRIM_400000_NS6detail17trampoline_kernelINS0_14default_configENS1_22reduce_config_selectorIiEEZNS1_11reduce_implILb1ES3_PiS7_iN6hipcub16HIPCUB_304000_NS6detail34convert_binary_result_type_wrapperINS9_3SumENS9_22TransformInputIteratorIbN2at6native12_GLOBAL__N_19NonZeroOpIN3c107complexIdEEEEPKSK_lEEiEEEE10hipError_tPvRmT1_T2_T3_mT4_P12ihipStream_tbEUlT_E1_NS1_11comp_targetILNS1_3genE9ELNS1_11target_archE1100ELNS1_3gpuE3ELNS1_3repE0EEENS1_30default_config_static_selectorELNS0_4arch9wavefront6targetE0EEEvST_, .Lfunc_end506-_ZN7rocprim17ROCPRIM_400000_NS6detail17trampoline_kernelINS0_14default_configENS1_22reduce_config_selectorIiEEZNS1_11reduce_implILb1ES3_PiS7_iN6hipcub16HIPCUB_304000_NS6detail34convert_binary_result_type_wrapperINS9_3SumENS9_22TransformInputIteratorIbN2at6native12_GLOBAL__N_19NonZeroOpIN3c107complexIdEEEEPKSK_lEEiEEEE10hipError_tPvRmT1_T2_T3_mT4_P12ihipStream_tbEUlT_E1_NS1_11comp_targetILNS1_3genE9ELNS1_11target_archE1100ELNS1_3gpuE3ELNS1_3repE0EEENS1_30default_config_static_selectorELNS0_4arch9wavefront6targetE0EEEvST_
                                        ; -- End function
	.set _ZN7rocprim17ROCPRIM_400000_NS6detail17trampoline_kernelINS0_14default_configENS1_22reduce_config_selectorIiEEZNS1_11reduce_implILb1ES3_PiS7_iN6hipcub16HIPCUB_304000_NS6detail34convert_binary_result_type_wrapperINS9_3SumENS9_22TransformInputIteratorIbN2at6native12_GLOBAL__N_19NonZeroOpIN3c107complexIdEEEEPKSK_lEEiEEEE10hipError_tPvRmT1_T2_T3_mT4_P12ihipStream_tbEUlT_E1_NS1_11comp_targetILNS1_3genE9ELNS1_11target_archE1100ELNS1_3gpuE3ELNS1_3repE0EEENS1_30default_config_static_selectorELNS0_4arch9wavefront6targetE0EEEvST_.num_vgpr, 0
	.set _ZN7rocprim17ROCPRIM_400000_NS6detail17trampoline_kernelINS0_14default_configENS1_22reduce_config_selectorIiEEZNS1_11reduce_implILb1ES3_PiS7_iN6hipcub16HIPCUB_304000_NS6detail34convert_binary_result_type_wrapperINS9_3SumENS9_22TransformInputIteratorIbN2at6native12_GLOBAL__N_19NonZeroOpIN3c107complexIdEEEEPKSK_lEEiEEEE10hipError_tPvRmT1_T2_T3_mT4_P12ihipStream_tbEUlT_E1_NS1_11comp_targetILNS1_3genE9ELNS1_11target_archE1100ELNS1_3gpuE3ELNS1_3repE0EEENS1_30default_config_static_selectorELNS0_4arch9wavefront6targetE0EEEvST_.num_agpr, 0
	.set _ZN7rocprim17ROCPRIM_400000_NS6detail17trampoline_kernelINS0_14default_configENS1_22reduce_config_selectorIiEEZNS1_11reduce_implILb1ES3_PiS7_iN6hipcub16HIPCUB_304000_NS6detail34convert_binary_result_type_wrapperINS9_3SumENS9_22TransformInputIteratorIbN2at6native12_GLOBAL__N_19NonZeroOpIN3c107complexIdEEEEPKSK_lEEiEEEE10hipError_tPvRmT1_T2_T3_mT4_P12ihipStream_tbEUlT_E1_NS1_11comp_targetILNS1_3genE9ELNS1_11target_archE1100ELNS1_3gpuE3ELNS1_3repE0EEENS1_30default_config_static_selectorELNS0_4arch9wavefront6targetE0EEEvST_.numbered_sgpr, 0
	.set _ZN7rocprim17ROCPRIM_400000_NS6detail17trampoline_kernelINS0_14default_configENS1_22reduce_config_selectorIiEEZNS1_11reduce_implILb1ES3_PiS7_iN6hipcub16HIPCUB_304000_NS6detail34convert_binary_result_type_wrapperINS9_3SumENS9_22TransformInputIteratorIbN2at6native12_GLOBAL__N_19NonZeroOpIN3c107complexIdEEEEPKSK_lEEiEEEE10hipError_tPvRmT1_T2_T3_mT4_P12ihipStream_tbEUlT_E1_NS1_11comp_targetILNS1_3genE9ELNS1_11target_archE1100ELNS1_3gpuE3ELNS1_3repE0EEENS1_30default_config_static_selectorELNS0_4arch9wavefront6targetE0EEEvST_.num_named_barrier, 0
	.set _ZN7rocprim17ROCPRIM_400000_NS6detail17trampoline_kernelINS0_14default_configENS1_22reduce_config_selectorIiEEZNS1_11reduce_implILb1ES3_PiS7_iN6hipcub16HIPCUB_304000_NS6detail34convert_binary_result_type_wrapperINS9_3SumENS9_22TransformInputIteratorIbN2at6native12_GLOBAL__N_19NonZeroOpIN3c107complexIdEEEEPKSK_lEEiEEEE10hipError_tPvRmT1_T2_T3_mT4_P12ihipStream_tbEUlT_E1_NS1_11comp_targetILNS1_3genE9ELNS1_11target_archE1100ELNS1_3gpuE3ELNS1_3repE0EEENS1_30default_config_static_selectorELNS0_4arch9wavefront6targetE0EEEvST_.private_seg_size, 0
	.set _ZN7rocprim17ROCPRIM_400000_NS6detail17trampoline_kernelINS0_14default_configENS1_22reduce_config_selectorIiEEZNS1_11reduce_implILb1ES3_PiS7_iN6hipcub16HIPCUB_304000_NS6detail34convert_binary_result_type_wrapperINS9_3SumENS9_22TransformInputIteratorIbN2at6native12_GLOBAL__N_19NonZeroOpIN3c107complexIdEEEEPKSK_lEEiEEEE10hipError_tPvRmT1_T2_T3_mT4_P12ihipStream_tbEUlT_E1_NS1_11comp_targetILNS1_3genE9ELNS1_11target_archE1100ELNS1_3gpuE3ELNS1_3repE0EEENS1_30default_config_static_selectorELNS0_4arch9wavefront6targetE0EEEvST_.uses_vcc, 0
	.set _ZN7rocprim17ROCPRIM_400000_NS6detail17trampoline_kernelINS0_14default_configENS1_22reduce_config_selectorIiEEZNS1_11reduce_implILb1ES3_PiS7_iN6hipcub16HIPCUB_304000_NS6detail34convert_binary_result_type_wrapperINS9_3SumENS9_22TransformInputIteratorIbN2at6native12_GLOBAL__N_19NonZeroOpIN3c107complexIdEEEEPKSK_lEEiEEEE10hipError_tPvRmT1_T2_T3_mT4_P12ihipStream_tbEUlT_E1_NS1_11comp_targetILNS1_3genE9ELNS1_11target_archE1100ELNS1_3gpuE3ELNS1_3repE0EEENS1_30default_config_static_selectorELNS0_4arch9wavefront6targetE0EEEvST_.uses_flat_scratch, 0
	.set _ZN7rocprim17ROCPRIM_400000_NS6detail17trampoline_kernelINS0_14default_configENS1_22reduce_config_selectorIiEEZNS1_11reduce_implILb1ES3_PiS7_iN6hipcub16HIPCUB_304000_NS6detail34convert_binary_result_type_wrapperINS9_3SumENS9_22TransformInputIteratorIbN2at6native12_GLOBAL__N_19NonZeroOpIN3c107complexIdEEEEPKSK_lEEiEEEE10hipError_tPvRmT1_T2_T3_mT4_P12ihipStream_tbEUlT_E1_NS1_11comp_targetILNS1_3genE9ELNS1_11target_archE1100ELNS1_3gpuE3ELNS1_3repE0EEENS1_30default_config_static_selectorELNS0_4arch9wavefront6targetE0EEEvST_.has_dyn_sized_stack, 0
	.set _ZN7rocprim17ROCPRIM_400000_NS6detail17trampoline_kernelINS0_14default_configENS1_22reduce_config_selectorIiEEZNS1_11reduce_implILb1ES3_PiS7_iN6hipcub16HIPCUB_304000_NS6detail34convert_binary_result_type_wrapperINS9_3SumENS9_22TransformInputIteratorIbN2at6native12_GLOBAL__N_19NonZeroOpIN3c107complexIdEEEEPKSK_lEEiEEEE10hipError_tPvRmT1_T2_T3_mT4_P12ihipStream_tbEUlT_E1_NS1_11comp_targetILNS1_3genE9ELNS1_11target_archE1100ELNS1_3gpuE3ELNS1_3repE0EEENS1_30default_config_static_selectorELNS0_4arch9wavefront6targetE0EEEvST_.has_recursion, 0
	.set _ZN7rocprim17ROCPRIM_400000_NS6detail17trampoline_kernelINS0_14default_configENS1_22reduce_config_selectorIiEEZNS1_11reduce_implILb1ES3_PiS7_iN6hipcub16HIPCUB_304000_NS6detail34convert_binary_result_type_wrapperINS9_3SumENS9_22TransformInputIteratorIbN2at6native12_GLOBAL__N_19NonZeroOpIN3c107complexIdEEEEPKSK_lEEiEEEE10hipError_tPvRmT1_T2_T3_mT4_P12ihipStream_tbEUlT_E1_NS1_11comp_targetILNS1_3genE9ELNS1_11target_archE1100ELNS1_3gpuE3ELNS1_3repE0EEENS1_30default_config_static_selectorELNS0_4arch9wavefront6targetE0EEEvST_.has_indirect_call, 0
	.section	.AMDGPU.csdata,"",@progbits
; Kernel info:
; codeLenInByte = 0
; TotalNumSgprs: 0
; NumVgprs: 0
; ScratchSize: 0
; MemoryBound: 0
; FloatMode: 240
; IeeeMode: 1
; LDSByteSize: 0 bytes/workgroup (compile time only)
; SGPRBlocks: 0
; VGPRBlocks: 0
; NumSGPRsForWavesPerEU: 1
; NumVGPRsForWavesPerEU: 1
; Occupancy: 16
; WaveLimiterHint : 0
; COMPUTE_PGM_RSRC2:SCRATCH_EN: 0
; COMPUTE_PGM_RSRC2:USER_SGPR: 2
; COMPUTE_PGM_RSRC2:TRAP_HANDLER: 0
; COMPUTE_PGM_RSRC2:TGID_X_EN: 1
; COMPUTE_PGM_RSRC2:TGID_Y_EN: 0
; COMPUTE_PGM_RSRC2:TGID_Z_EN: 0
; COMPUTE_PGM_RSRC2:TIDIG_COMP_CNT: 0
	.section	.text._ZN7rocprim17ROCPRIM_400000_NS6detail17trampoline_kernelINS0_14default_configENS1_22reduce_config_selectorIiEEZNS1_11reduce_implILb1ES3_PiS7_iN6hipcub16HIPCUB_304000_NS6detail34convert_binary_result_type_wrapperINS9_3SumENS9_22TransformInputIteratorIbN2at6native12_GLOBAL__N_19NonZeroOpIN3c107complexIdEEEEPKSK_lEEiEEEE10hipError_tPvRmT1_T2_T3_mT4_P12ihipStream_tbEUlT_E1_NS1_11comp_targetILNS1_3genE8ELNS1_11target_archE1030ELNS1_3gpuE2ELNS1_3repE0EEENS1_30default_config_static_selectorELNS0_4arch9wavefront6targetE0EEEvST_,"axG",@progbits,_ZN7rocprim17ROCPRIM_400000_NS6detail17trampoline_kernelINS0_14default_configENS1_22reduce_config_selectorIiEEZNS1_11reduce_implILb1ES3_PiS7_iN6hipcub16HIPCUB_304000_NS6detail34convert_binary_result_type_wrapperINS9_3SumENS9_22TransformInputIteratorIbN2at6native12_GLOBAL__N_19NonZeroOpIN3c107complexIdEEEEPKSK_lEEiEEEE10hipError_tPvRmT1_T2_T3_mT4_P12ihipStream_tbEUlT_E1_NS1_11comp_targetILNS1_3genE8ELNS1_11target_archE1030ELNS1_3gpuE2ELNS1_3repE0EEENS1_30default_config_static_selectorELNS0_4arch9wavefront6targetE0EEEvST_,comdat
	.globl	_ZN7rocprim17ROCPRIM_400000_NS6detail17trampoline_kernelINS0_14default_configENS1_22reduce_config_selectorIiEEZNS1_11reduce_implILb1ES3_PiS7_iN6hipcub16HIPCUB_304000_NS6detail34convert_binary_result_type_wrapperINS9_3SumENS9_22TransformInputIteratorIbN2at6native12_GLOBAL__N_19NonZeroOpIN3c107complexIdEEEEPKSK_lEEiEEEE10hipError_tPvRmT1_T2_T3_mT4_P12ihipStream_tbEUlT_E1_NS1_11comp_targetILNS1_3genE8ELNS1_11target_archE1030ELNS1_3gpuE2ELNS1_3repE0EEENS1_30default_config_static_selectorELNS0_4arch9wavefront6targetE0EEEvST_ ; -- Begin function _ZN7rocprim17ROCPRIM_400000_NS6detail17trampoline_kernelINS0_14default_configENS1_22reduce_config_selectorIiEEZNS1_11reduce_implILb1ES3_PiS7_iN6hipcub16HIPCUB_304000_NS6detail34convert_binary_result_type_wrapperINS9_3SumENS9_22TransformInputIteratorIbN2at6native12_GLOBAL__N_19NonZeroOpIN3c107complexIdEEEEPKSK_lEEiEEEE10hipError_tPvRmT1_T2_T3_mT4_P12ihipStream_tbEUlT_E1_NS1_11comp_targetILNS1_3genE8ELNS1_11target_archE1030ELNS1_3gpuE2ELNS1_3repE0EEENS1_30default_config_static_selectorELNS0_4arch9wavefront6targetE0EEEvST_
	.p2align	8
	.type	_ZN7rocprim17ROCPRIM_400000_NS6detail17trampoline_kernelINS0_14default_configENS1_22reduce_config_selectorIiEEZNS1_11reduce_implILb1ES3_PiS7_iN6hipcub16HIPCUB_304000_NS6detail34convert_binary_result_type_wrapperINS9_3SumENS9_22TransformInputIteratorIbN2at6native12_GLOBAL__N_19NonZeroOpIN3c107complexIdEEEEPKSK_lEEiEEEE10hipError_tPvRmT1_T2_T3_mT4_P12ihipStream_tbEUlT_E1_NS1_11comp_targetILNS1_3genE8ELNS1_11target_archE1030ELNS1_3gpuE2ELNS1_3repE0EEENS1_30default_config_static_selectorELNS0_4arch9wavefront6targetE0EEEvST_,@function
_ZN7rocprim17ROCPRIM_400000_NS6detail17trampoline_kernelINS0_14default_configENS1_22reduce_config_selectorIiEEZNS1_11reduce_implILb1ES3_PiS7_iN6hipcub16HIPCUB_304000_NS6detail34convert_binary_result_type_wrapperINS9_3SumENS9_22TransformInputIteratorIbN2at6native12_GLOBAL__N_19NonZeroOpIN3c107complexIdEEEEPKSK_lEEiEEEE10hipError_tPvRmT1_T2_T3_mT4_P12ihipStream_tbEUlT_E1_NS1_11comp_targetILNS1_3genE8ELNS1_11target_archE1030ELNS1_3gpuE2ELNS1_3repE0EEENS1_30default_config_static_selectorELNS0_4arch9wavefront6targetE0EEEvST_: ; @_ZN7rocprim17ROCPRIM_400000_NS6detail17trampoline_kernelINS0_14default_configENS1_22reduce_config_selectorIiEEZNS1_11reduce_implILb1ES3_PiS7_iN6hipcub16HIPCUB_304000_NS6detail34convert_binary_result_type_wrapperINS9_3SumENS9_22TransformInputIteratorIbN2at6native12_GLOBAL__N_19NonZeroOpIN3c107complexIdEEEEPKSK_lEEiEEEE10hipError_tPvRmT1_T2_T3_mT4_P12ihipStream_tbEUlT_E1_NS1_11comp_targetILNS1_3genE8ELNS1_11target_archE1030ELNS1_3gpuE2ELNS1_3repE0EEENS1_30default_config_static_selectorELNS0_4arch9wavefront6targetE0EEEvST_
; %bb.0:
	.section	.rodata,"a",@progbits
	.p2align	6, 0x0
	.amdhsa_kernel _ZN7rocprim17ROCPRIM_400000_NS6detail17trampoline_kernelINS0_14default_configENS1_22reduce_config_selectorIiEEZNS1_11reduce_implILb1ES3_PiS7_iN6hipcub16HIPCUB_304000_NS6detail34convert_binary_result_type_wrapperINS9_3SumENS9_22TransformInputIteratorIbN2at6native12_GLOBAL__N_19NonZeroOpIN3c107complexIdEEEEPKSK_lEEiEEEE10hipError_tPvRmT1_T2_T3_mT4_P12ihipStream_tbEUlT_E1_NS1_11comp_targetILNS1_3genE8ELNS1_11target_archE1030ELNS1_3gpuE2ELNS1_3repE0EEENS1_30default_config_static_selectorELNS0_4arch9wavefront6targetE0EEEvST_
		.amdhsa_group_segment_fixed_size 0
		.amdhsa_private_segment_fixed_size 0
		.amdhsa_kernarg_size 40
		.amdhsa_user_sgpr_count 2
		.amdhsa_user_sgpr_dispatch_ptr 0
		.amdhsa_user_sgpr_queue_ptr 0
		.amdhsa_user_sgpr_kernarg_segment_ptr 1
		.amdhsa_user_sgpr_dispatch_id 0
		.amdhsa_user_sgpr_private_segment_size 0
		.amdhsa_wavefront_size32 1
		.amdhsa_uses_dynamic_stack 0
		.amdhsa_enable_private_segment 0
		.amdhsa_system_sgpr_workgroup_id_x 1
		.amdhsa_system_sgpr_workgroup_id_y 0
		.amdhsa_system_sgpr_workgroup_id_z 0
		.amdhsa_system_sgpr_workgroup_info 0
		.amdhsa_system_vgpr_workitem_id 0
		.amdhsa_next_free_vgpr 1
		.amdhsa_next_free_sgpr 1
		.amdhsa_reserve_vcc 0
		.amdhsa_float_round_mode_32 0
		.amdhsa_float_round_mode_16_64 0
		.amdhsa_float_denorm_mode_32 3
		.amdhsa_float_denorm_mode_16_64 3
		.amdhsa_fp16_overflow 0
		.amdhsa_workgroup_processor_mode 1
		.amdhsa_memory_ordered 1
		.amdhsa_forward_progress 1
		.amdhsa_inst_pref_size 0
		.amdhsa_round_robin_scheduling 0
		.amdhsa_exception_fp_ieee_invalid_op 0
		.amdhsa_exception_fp_denorm_src 0
		.amdhsa_exception_fp_ieee_div_zero 0
		.amdhsa_exception_fp_ieee_overflow 0
		.amdhsa_exception_fp_ieee_underflow 0
		.amdhsa_exception_fp_ieee_inexact 0
		.amdhsa_exception_int_div_zero 0
	.end_amdhsa_kernel
	.section	.text._ZN7rocprim17ROCPRIM_400000_NS6detail17trampoline_kernelINS0_14default_configENS1_22reduce_config_selectorIiEEZNS1_11reduce_implILb1ES3_PiS7_iN6hipcub16HIPCUB_304000_NS6detail34convert_binary_result_type_wrapperINS9_3SumENS9_22TransformInputIteratorIbN2at6native12_GLOBAL__N_19NonZeroOpIN3c107complexIdEEEEPKSK_lEEiEEEE10hipError_tPvRmT1_T2_T3_mT4_P12ihipStream_tbEUlT_E1_NS1_11comp_targetILNS1_3genE8ELNS1_11target_archE1030ELNS1_3gpuE2ELNS1_3repE0EEENS1_30default_config_static_selectorELNS0_4arch9wavefront6targetE0EEEvST_,"axG",@progbits,_ZN7rocprim17ROCPRIM_400000_NS6detail17trampoline_kernelINS0_14default_configENS1_22reduce_config_selectorIiEEZNS1_11reduce_implILb1ES3_PiS7_iN6hipcub16HIPCUB_304000_NS6detail34convert_binary_result_type_wrapperINS9_3SumENS9_22TransformInputIteratorIbN2at6native12_GLOBAL__N_19NonZeroOpIN3c107complexIdEEEEPKSK_lEEiEEEE10hipError_tPvRmT1_T2_T3_mT4_P12ihipStream_tbEUlT_E1_NS1_11comp_targetILNS1_3genE8ELNS1_11target_archE1030ELNS1_3gpuE2ELNS1_3repE0EEENS1_30default_config_static_selectorELNS0_4arch9wavefront6targetE0EEEvST_,comdat
.Lfunc_end507:
	.size	_ZN7rocprim17ROCPRIM_400000_NS6detail17trampoline_kernelINS0_14default_configENS1_22reduce_config_selectorIiEEZNS1_11reduce_implILb1ES3_PiS7_iN6hipcub16HIPCUB_304000_NS6detail34convert_binary_result_type_wrapperINS9_3SumENS9_22TransformInputIteratorIbN2at6native12_GLOBAL__N_19NonZeroOpIN3c107complexIdEEEEPKSK_lEEiEEEE10hipError_tPvRmT1_T2_T3_mT4_P12ihipStream_tbEUlT_E1_NS1_11comp_targetILNS1_3genE8ELNS1_11target_archE1030ELNS1_3gpuE2ELNS1_3repE0EEENS1_30default_config_static_selectorELNS0_4arch9wavefront6targetE0EEEvST_, .Lfunc_end507-_ZN7rocprim17ROCPRIM_400000_NS6detail17trampoline_kernelINS0_14default_configENS1_22reduce_config_selectorIiEEZNS1_11reduce_implILb1ES3_PiS7_iN6hipcub16HIPCUB_304000_NS6detail34convert_binary_result_type_wrapperINS9_3SumENS9_22TransformInputIteratorIbN2at6native12_GLOBAL__N_19NonZeroOpIN3c107complexIdEEEEPKSK_lEEiEEEE10hipError_tPvRmT1_T2_T3_mT4_P12ihipStream_tbEUlT_E1_NS1_11comp_targetILNS1_3genE8ELNS1_11target_archE1030ELNS1_3gpuE2ELNS1_3repE0EEENS1_30default_config_static_selectorELNS0_4arch9wavefront6targetE0EEEvST_
                                        ; -- End function
	.set _ZN7rocprim17ROCPRIM_400000_NS6detail17trampoline_kernelINS0_14default_configENS1_22reduce_config_selectorIiEEZNS1_11reduce_implILb1ES3_PiS7_iN6hipcub16HIPCUB_304000_NS6detail34convert_binary_result_type_wrapperINS9_3SumENS9_22TransformInputIteratorIbN2at6native12_GLOBAL__N_19NonZeroOpIN3c107complexIdEEEEPKSK_lEEiEEEE10hipError_tPvRmT1_T2_T3_mT4_P12ihipStream_tbEUlT_E1_NS1_11comp_targetILNS1_3genE8ELNS1_11target_archE1030ELNS1_3gpuE2ELNS1_3repE0EEENS1_30default_config_static_selectorELNS0_4arch9wavefront6targetE0EEEvST_.num_vgpr, 0
	.set _ZN7rocprim17ROCPRIM_400000_NS6detail17trampoline_kernelINS0_14default_configENS1_22reduce_config_selectorIiEEZNS1_11reduce_implILb1ES3_PiS7_iN6hipcub16HIPCUB_304000_NS6detail34convert_binary_result_type_wrapperINS9_3SumENS9_22TransformInputIteratorIbN2at6native12_GLOBAL__N_19NonZeroOpIN3c107complexIdEEEEPKSK_lEEiEEEE10hipError_tPvRmT1_T2_T3_mT4_P12ihipStream_tbEUlT_E1_NS1_11comp_targetILNS1_3genE8ELNS1_11target_archE1030ELNS1_3gpuE2ELNS1_3repE0EEENS1_30default_config_static_selectorELNS0_4arch9wavefront6targetE0EEEvST_.num_agpr, 0
	.set _ZN7rocprim17ROCPRIM_400000_NS6detail17trampoline_kernelINS0_14default_configENS1_22reduce_config_selectorIiEEZNS1_11reduce_implILb1ES3_PiS7_iN6hipcub16HIPCUB_304000_NS6detail34convert_binary_result_type_wrapperINS9_3SumENS9_22TransformInputIteratorIbN2at6native12_GLOBAL__N_19NonZeroOpIN3c107complexIdEEEEPKSK_lEEiEEEE10hipError_tPvRmT1_T2_T3_mT4_P12ihipStream_tbEUlT_E1_NS1_11comp_targetILNS1_3genE8ELNS1_11target_archE1030ELNS1_3gpuE2ELNS1_3repE0EEENS1_30default_config_static_selectorELNS0_4arch9wavefront6targetE0EEEvST_.numbered_sgpr, 0
	.set _ZN7rocprim17ROCPRIM_400000_NS6detail17trampoline_kernelINS0_14default_configENS1_22reduce_config_selectorIiEEZNS1_11reduce_implILb1ES3_PiS7_iN6hipcub16HIPCUB_304000_NS6detail34convert_binary_result_type_wrapperINS9_3SumENS9_22TransformInputIteratorIbN2at6native12_GLOBAL__N_19NonZeroOpIN3c107complexIdEEEEPKSK_lEEiEEEE10hipError_tPvRmT1_T2_T3_mT4_P12ihipStream_tbEUlT_E1_NS1_11comp_targetILNS1_3genE8ELNS1_11target_archE1030ELNS1_3gpuE2ELNS1_3repE0EEENS1_30default_config_static_selectorELNS0_4arch9wavefront6targetE0EEEvST_.num_named_barrier, 0
	.set _ZN7rocprim17ROCPRIM_400000_NS6detail17trampoline_kernelINS0_14default_configENS1_22reduce_config_selectorIiEEZNS1_11reduce_implILb1ES3_PiS7_iN6hipcub16HIPCUB_304000_NS6detail34convert_binary_result_type_wrapperINS9_3SumENS9_22TransformInputIteratorIbN2at6native12_GLOBAL__N_19NonZeroOpIN3c107complexIdEEEEPKSK_lEEiEEEE10hipError_tPvRmT1_T2_T3_mT4_P12ihipStream_tbEUlT_E1_NS1_11comp_targetILNS1_3genE8ELNS1_11target_archE1030ELNS1_3gpuE2ELNS1_3repE0EEENS1_30default_config_static_selectorELNS0_4arch9wavefront6targetE0EEEvST_.private_seg_size, 0
	.set _ZN7rocprim17ROCPRIM_400000_NS6detail17trampoline_kernelINS0_14default_configENS1_22reduce_config_selectorIiEEZNS1_11reduce_implILb1ES3_PiS7_iN6hipcub16HIPCUB_304000_NS6detail34convert_binary_result_type_wrapperINS9_3SumENS9_22TransformInputIteratorIbN2at6native12_GLOBAL__N_19NonZeroOpIN3c107complexIdEEEEPKSK_lEEiEEEE10hipError_tPvRmT1_T2_T3_mT4_P12ihipStream_tbEUlT_E1_NS1_11comp_targetILNS1_3genE8ELNS1_11target_archE1030ELNS1_3gpuE2ELNS1_3repE0EEENS1_30default_config_static_selectorELNS0_4arch9wavefront6targetE0EEEvST_.uses_vcc, 0
	.set _ZN7rocprim17ROCPRIM_400000_NS6detail17trampoline_kernelINS0_14default_configENS1_22reduce_config_selectorIiEEZNS1_11reduce_implILb1ES3_PiS7_iN6hipcub16HIPCUB_304000_NS6detail34convert_binary_result_type_wrapperINS9_3SumENS9_22TransformInputIteratorIbN2at6native12_GLOBAL__N_19NonZeroOpIN3c107complexIdEEEEPKSK_lEEiEEEE10hipError_tPvRmT1_T2_T3_mT4_P12ihipStream_tbEUlT_E1_NS1_11comp_targetILNS1_3genE8ELNS1_11target_archE1030ELNS1_3gpuE2ELNS1_3repE0EEENS1_30default_config_static_selectorELNS0_4arch9wavefront6targetE0EEEvST_.uses_flat_scratch, 0
	.set _ZN7rocprim17ROCPRIM_400000_NS6detail17trampoline_kernelINS0_14default_configENS1_22reduce_config_selectorIiEEZNS1_11reduce_implILb1ES3_PiS7_iN6hipcub16HIPCUB_304000_NS6detail34convert_binary_result_type_wrapperINS9_3SumENS9_22TransformInputIteratorIbN2at6native12_GLOBAL__N_19NonZeroOpIN3c107complexIdEEEEPKSK_lEEiEEEE10hipError_tPvRmT1_T2_T3_mT4_P12ihipStream_tbEUlT_E1_NS1_11comp_targetILNS1_3genE8ELNS1_11target_archE1030ELNS1_3gpuE2ELNS1_3repE0EEENS1_30default_config_static_selectorELNS0_4arch9wavefront6targetE0EEEvST_.has_dyn_sized_stack, 0
	.set _ZN7rocprim17ROCPRIM_400000_NS6detail17trampoline_kernelINS0_14default_configENS1_22reduce_config_selectorIiEEZNS1_11reduce_implILb1ES3_PiS7_iN6hipcub16HIPCUB_304000_NS6detail34convert_binary_result_type_wrapperINS9_3SumENS9_22TransformInputIteratorIbN2at6native12_GLOBAL__N_19NonZeroOpIN3c107complexIdEEEEPKSK_lEEiEEEE10hipError_tPvRmT1_T2_T3_mT4_P12ihipStream_tbEUlT_E1_NS1_11comp_targetILNS1_3genE8ELNS1_11target_archE1030ELNS1_3gpuE2ELNS1_3repE0EEENS1_30default_config_static_selectorELNS0_4arch9wavefront6targetE0EEEvST_.has_recursion, 0
	.set _ZN7rocprim17ROCPRIM_400000_NS6detail17trampoline_kernelINS0_14default_configENS1_22reduce_config_selectorIiEEZNS1_11reduce_implILb1ES3_PiS7_iN6hipcub16HIPCUB_304000_NS6detail34convert_binary_result_type_wrapperINS9_3SumENS9_22TransformInputIteratorIbN2at6native12_GLOBAL__N_19NonZeroOpIN3c107complexIdEEEEPKSK_lEEiEEEE10hipError_tPvRmT1_T2_T3_mT4_P12ihipStream_tbEUlT_E1_NS1_11comp_targetILNS1_3genE8ELNS1_11target_archE1030ELNS1_3gpuE2ELNS1_3repE0EEENS1_30default_config_static_selectorELNS0_4arch9wavefront6targetE0EEEvST_.has_indirect_call, 0
	.section	.AMDGPU.csdata,"",@progbits
; Kernel info:
; codeLenInByte = 0
; TotalNumSgprs: 0
; NumVgprs: 0
; ScratchSize: 0
; MemoryBound: 0
; FloatMode: 240
; IeeeMode: 1
; LDSByteSize: 0 bytes/workgroup (compile time only)
; SGPRBlocks: 0
; VGPRBlocks: 0
; NumSGPRsForWavesPerEU: 1
; NumVGPRsForWavesPerEU: 1
; Occupancy: 16
; WaveLimiterHint : 0
; COMPUTE_PGM_RSRC2:SCRATCH_EN: 0
; COMPUTE_PGM_RSRC2:USER_SGPR: 2
; COMPUTE_PGM_RSRC2:TRAP_HANDLER: 0
; COMPUTE_PGM_RSRC2:TGID_X_EN: 1
; COMPUTE_PGM_RSRC2:TGID_Y_EN: 0
; COMPUTE_PGM_RSRC2:TGID_Z_EN: 0
; COMPUTE_PGM_RSRC2:TIDIG_COMP_CNT: 0
	.section	.text._ZN7rocprim17ROCPRIM_400000_NS6detail17trampoline_kernelINS0_14default_configENS1_22reduce_config_selectorIbEEZNS1_11reduce_implILb1ES3_N6hipcub16HIPCUB_304000_NS22TransformInputIteratorIbN2at6native12_GLOBAL__N_19NonZeroOpIN3c107complexIdEEEEPKSG_lEEPiiNS8_6detail34convert_binary_result_type_wrapperINS8_3SumESK_iEEEE10hipError_tPvRmT1_T2_T3_mT4_P12ihipStream_tbEUlT_E0_NS1_11comp_targetILNS1_3genE0ELNS1_11target_archE4294967295ELNS1_3gpuE0ELNS1_3repE0EEENS1_30default_config_static_selectorELNS0_4arch9wavefront6targetE0EEEvST_,"axG",@progbits,_ZN7rocprim17ROCPRIM_400000_NS6detail17trampoline_kernelINS0_14default_configENS1_22reduce_config_selectorIbEEZNS1_11reduce_implILb1ES3_N6hipcub16HIPCUB_304000_NS22TransformInputIteratorIbN2at6native12_GLOBAL__N_19NonZeroOpIN3c107complexIdEEEEPKSG_lEEPiiNS8_6detail34convert_binary_result_type_wrapperINS8_3SumESK_iEEEE10hipError_tPvRmT1_T2_T3_mT4_P12ihipStream_tbEUlT_E0_NS1_11comp_targetILNS1_3genE0ELNS1_11target_archE4294967295ELNS1_3gpuE0ELNS1_3repE0EEENS1_30default_config_static_selectorELNS0_4arch9wavefront6targetE0EEEvST_,comdat
	.globl	_ZN7rocprim17ROCPRIM_400000_NS6detail17trampoline_kernelINS0_14default_configENS1_22reduce_config_selectorIbEEZNS1_11reduce_implILb1ES3_N6hipcub16HIPCUB_304000_NS22TransformInputIteratorIbN2at6native12_GLOBAL__N_19NonZeroOpIN3c107complexIdEEEEPKSG_lEEPiiNS8_6detail34convert_binary_result_type_wrapperINS8_3SumESK_iEEEE10hipError_tPvRmT1_T2_T3_mT4_P12ihipStream_tbEUlT_E0_NS1_11comp_targetILNS1_3genE0ELNS1_11target_archE4294967295ELNS1_3gpuE0ELNS1_3repE0EEENS1_30default_config_static_selectorELNS0_4arch9wavefront6targetE0EEEvST_ ; -- Begin function _ZN7rocprim17ROCPRIM_400000_NS6detail17trampoline_kernelINS0_14default_configENS1_22reduce_config_selectorIbEEZNS1_11reduce_implILb1ES3_N6hipcub16HIPCUB_304000_NS22TransformInputIteratorIbN2at6native12_GLOBAL__N_19NonZeroOpIN3c107complexIdEEEEPKSG_lEEPiiNS8_6detail34convert_binary_result_type_wrapperINS8_3SumESK_iEEEE10hipError_tPvRmT1_T2_T3_mT4_P12ihipStream_tbEUlT_E0_NS1_11comp_targetILNS1_3genE0ELNS1_11target_archE4294967295ELNS1_3gpuE0ELNS1_3repE0EEENS1_30default_config_static_selectorELNS0_4arch9wavefront6targetE0EEEvST_
	.p2align	8
	.type	_ZN7rocprim17ROCPRIM_400000_NS6detail17trampoline_kernelINS0_14default_configENS1_22reduce_config_selectorIbEEZNS1_11reduce_implILb1ES3_N6hipcub16HIPCUB_304000_NS22TransformInputIteratorIbN2at6native12_GLOBAL__N_19NonZeroOpIN3c107complexIdEEEEPKSG_lEEPiiNS8_6detail34convert_binary_result_type_wrapperINS8_3SumESK_iEEEE10hipError_tPvRmT1_T2_T3_mT4_P12ihipStream_tbEUlT_E0_NS1_11comp_targetILNS1_3genE0ELNS1_11target_archE4294967295ELNS1_3gpuE0ELNS1_3repE0EEENS1_30default_config_static_selectorELNS0_4arch9wavefront6targetE0EEEvST_,@function
_ZN7rocprim17ROCPRIM_400000_NS6detail17trampoline_kernelINS0_14default_configENS1_22reduce_config_selectorIbEEZNS1_11reduce_implILb1ES3_N6hipcub16HIPCUB_304000_NS22TransformInputIteratorIbN2at6native12_GLOBAL__N_19NonZeroOpIN3c107complexIdEEEEPKSG_lEEPiiNS8_6detail34convert_binary_result_type_wrapperINS8_3SumESK_iEEEE10hipError_tPvRmT1_T2_T3_mT4_P12ihipStream_tbEUlT_E0_NS1_11comp_targetILNS1_3genE0ELNS1_11target_archE4294967295ELNS1_3gpuE0ELNS1_3repE0EEENS1_30default_config_static_selectorELNS0_4arch9wavefront6targetE0EEEvST_: ; @_ZN7rocprim17ROCPRIM_400000_NS6detail17trampoline_kernelINS0_14default_configENS1_22reduce_config_selectorIbEEZNS1_11reduce_implILb1ES3_N6hipcub16HIPCUB_304000_NS22TransformInputIteratorIbN2at6native12_GLOBAL__N_19NonZeroOpIN3c107complexIdEEEEPKSG_lEEPiiNS8_6detail34convert_binary_result_type_wrapperINS8_3SumESK_iEEEE10hipError_tPvRmT1_T2_T3_mT4_P12ihipStream_tbEUlT_E0_NS1_11comp_targetILNS1_3genE0ELNS1_11target_archE4294967295ELNS1_3gpuE0ELNS1_3repE0EEENS1_30default_config_static_selectorELNS0_4arch9wavefront6targetE0EEEvST_
; %bb.0:
	.section	.rodata,"a",@progbits
	.p2align	6, 0x0
	.amdhsa_kernel _ZN7rocprim17ROCPRIM_400000_NS6detail17trampoline_kernelINS0_14default_configENS1_22reduce_config_selectorIbEEZNS1_11reduce_implILb1ES3_N6hipcub16HIPCUB_304000_NS22TransformInputIteratorIbN2at6native12_GLOBAL__N_19NonZeroOpIN3c107complexIdEEEEPKSG_lEEPiiNS8_6detail34convert_binary_result_type_wrapperINS8_3SumESK_iEEEE10hipError_tPvRmT1_T2_T3_mT4_P12ihipStream_tbEUlT_E0_NS1_11comp_targetILNS1_3genE0ELNS1_11target_archE4294967295ELNS1_3gpuE0ELNS1_3repE0EEENS1_30default_config_static_selectorELNS0_4arch9wavefront6targetE0EEEvST_
		.amdhsa_group_segment_fixed_size 0
		.amdhsa_private_segment_fixed_size 0
		.amdhsa_kernarg_size 64
		.amdhsa_user_sgpr_count 2
		.amdhsa_user_sgpr_dispatch_ptr 0
		.amdhsa_user_sgpr_queue_ptr 0
		.amdhsa_user_sgpr_kernarg_segment_ptr 1
		.amdhsa_user_sgpr_dispatch_id 0
		.amdhsa_user_sgpr_private_segment_size 0
		.amdhsa_wavefront_size32 1
		.amdhsa_uses_dynamic_stack 0
		.amdhsa_enable_private_segment 0
		.amdhsa_system_sgpr_workgroup_id_x 1
		.amdhsa_system_sgpr_workgroup_id_y 0
		.amdhsa_system_sgpr_workgroup_id_z 0
		.amdhsa_system_sgpr_workgroup_info 0
		.amdhsa_system_vgpr_workitem_id 0
		.amdhsa_next_free_vgpr 1
		.amdhsa_next_free_sgpr 1
		.amdhsa_reserve_vcc 0
		.amdhsa_float_round_mode_32 0
		.amdhsa_float_round_mode_16_64 0
		.amdhsa_float_denorm_mode_32 3
		.amdhsa_float_denorm_mode_16_64 3
		.amdhsa_fp16_overflow 0
		.amdhsa_workgroup_processor_mode 1
		.amdhsa_memory_ordered 1
		.amdhsa_forward_progress 1
		.amdhsa_inst_pref_size 0
		.amdhsa_round_robin_scheduling 0
		.amdhsa_exception_fp_ieee_invalid_op 0
		.amdhsa_exception_fp_denorm_src 0
		.amdhsa_exception_fp_ieee_div_zero 0
		.amdhsa_exception_fp_ieee_overflow 0
		.amdhsa_exception_fp_ieee_underflow 0
		.amdhsa_exception_fp_ieee_inexact 0
		.amdhsa_exception_int_div_zero 0
	.end_amdhsa_kernel
	.section	.text._ZN7rocprim17ROCPRIM_400000_NS6detail17trampoline_kernelINS0_14default_configENS1_22reduce_config_selectorIbEEZNS1_11reduce_implILb1ES3_N6hipcub16HIPCUB_304000_NS22TransformInputIteratorIbN2at6native12_GLOBAL__N_19NonZeroOpIN3c107complexIdEEEEPKSG_lEEPiiNS8_6detail34convert_binary_result_type_wrapperINS8_3SumESK_iEEEE10hipError_tPvRmT1_T2_T3_mT4_P12ihipStream_tbEUlT_E0_NS1_11comp_targetILNS1_3genE0ELNS1_11target_archE4294967295ELNS1_3gpuE0ELNS1_3repE0EEENS1_30default_config_static_selectorELNS0_4arch9wavefront6targetE0EEEvST_,"axG",@progbits,_ZN7rocprim17ROCPRIM_400000_NS6detail17trampoline_kernelINS0_14default_configENS1_22reduce_config_selectorIbEEZNS1_11reduce_implILb1ES3_N6hipcub16HIPCUB_304000_NS22TransformInputIteratorIbN2at6native12_GLOBAL__N_19NonZeroOpIN3c107complexIdEEEEPKSG_lEEPiiNS8_6detail34convert_binary_result_type_wrapperINS8_3SumESK_iEEEE10hipError_tPvRmT1_T2_T3_mT4_P12ihipStream_tbEUlT_E0_NS1_11comp_targetILNS1_3genE0ELNS1_11target_archE4294967295ELNS1_3gpuE0ELNS1_3repE0EEENS1_30default_config_static_selectorELNS0_4arch9wavefront6targetE0EEEvST_,comdat
.Lfunc_end508:
	.size	_ZN7rocprim17ROCPRIM_400000_NS6detail17trampoline_kernelINS0_14default_configENS1_22reduce_config_selectorIbEEZNS1_11reduce_implILb1ES3_N6hipcub16HIPCUB_304000_NS22TransformInputIteratorIbN2at6native12_GLOBAL__N_19NonZeroOpIN3c107complexIdEEEEPKSG_lEEPiiNS8_6detail34convert_binary_result_type_wrapperINS8_3SumESK_iEEEE10hipError_tPvRmT1_T2_T3_mT4_P12ihipStream_tbEUlT_E0_NS1_11comp_targetILNS1_3genE0ELNS1_11target_archE4294967295ELNS1_3gpuE0ELNS1_3repE0EEENS1_30default_config_static_selectorELNS0_4arch9wavefront6targetE0EEEvST_, .Lfunc_end508-_ZN7rocprim17ROCPRIM_400000_NS6detail17trampoline_kernelINS0_14default_configENS1_22reduce_config_selectorIbEEZNS1_11reduce_implILb1ES3_N6hipcub16HIPCUB_304000_NS22TransformInputIteratorIbN2at6native12_GLOBAL__N_19NonZeroOpIN3c107complexIdEEEEPKSG_lEEPiiNS8_6detail34convert_binary_result_type_wrapperINS8_3SumESK_iEEEE10hipError_tPvRmT1_T2_T3_mT4_P12ihipStream_tbEUlT_E0_NS1_11comp_targetILNS1_3genE0ELNS1_11target_archE4294967295ELNS1_3gpuE0ELNS1_3repE0EEENS1_30default_config_static_selectorELNS0_4arch9wavefront6targetE0EEEvST_
                                        ; -- End function
	.set _ZN7rocprim17ROCPRIM_400000_NS6detail17trampoline_kernelINS0_14default_configENS1_22reduce_config_selectorIbEEZNS1_11reduce_implILb1ES3_N6hipcub16HIPCUB_304000_NS22TransformInputIteratorIbN2at6native12_GLOBAL__N_19NonZeroOpIN3c107complexIdEEEEPKSG_lEEPiiNS8_6detail34convert_binary_result_type_wrapperINS8_3SumESK_iEEEE10hipError_tPvRmT1_T2_T3_mT4_P12ihipStream_tbEUlT_E0_NS1_11comp_targetILNS1_3genE0ELNS1_11target_archE4294967295ELNS1_3gpuE0ELNS1_3repE0EEENS1_30default_config_static_selectorELNS0_4arch9wavefront6targetE0EEEvST_.num_vgpr, 0
	.set _ZN7rocprim17ROCPRIM_400000_NS6detail17trampoline_kernelINS0_14default_configENS1_22reduce_config_selectorIbEEZNS1_11reduce_implILb1ES3_N6hipcub16HIPCUB_304000_NS22TransformInputIteratorIbN2at6native12_GLOBAL__N_19NonZeroOpIN3c107complexIdEEEEPKSG_lEEPiiNS8_6detail34convert_binary_result_type_wrapperINS8_3SumESK_iEEEE10hipError_tPvRmT1_T2_T3_mT4_P12ihipStream_tbEUlT_E0_NS1_11comp_targetILNS1_3genE0ELNS1_11target_archE4294967295ELNS1_3gpuE0ELNS1_3repE0EEENS1_30default_config_static_selectorELNS0_4arch9wavefront6targetE0EEEvST_.num_agpr, 0
	.set _ZN7rocprim17ROCPRIM_400000_NS6detail17trampoline_kernelINS0_14default_configENS1_22reduce_config_selectorIbEEZNS1_11reduce_implILb1ES3_N6hipcub16HIPCUB_304000_NS22TransformInputIteratorIbN2at6native12_GLOBAL__N_19NonZeroOpIN3c107complexIdEEEEPKSG_lEEPiiNS8_6detail34convert_binary_result_type_wrapperINS8_3SumESK_iEEEE10hipError_tPvRmT1_T2_T3_mT4_P12ihipStream_tbEUlT_E0_NS1_11comp_targetILNS1_3genE0ELNS1_11target_archE4294967295ELNS1_3gpuE0ELNS1_3repE0EEENS1_30default_config_static_selectorELNS0_4arch9wavefront6targetE0EEEvST_.numbered_sgpr, 0
	.set _ZN7rocprim17ROCPRIM_400000_NS6detail17trampoline_kernelINS0_14default_configENS1_22reduce_config_selectorIbEEZNS1_11reduce_implILb1ES3_N6hipcub16HIPCUB_304000_NS22TransformInputIteratorIbN2at6native12_GLOBAL__N_19NonZeroOpIN3c107complexIdEEEEPKSG_lEEPiiNS8_6detail34convert_binary_result_type_wrapperINS8_3SumESK_iEEEE10hipError_tPvRmT1_T2_T3_mT4_P12ihipStream_tbEUlT_E0_NS1_11comp_targetILNS1_3genE0ELNS1_11target_archE4294967295ELNS1_3gpuE0ELNS1_3repE0EEENS1_30default_config_static_selectorELNS0_4arch9wavefront6targetE0EEEvST_.num_named_barrier, 0
	.set _ZN7rocprim17ROCPRIM_400000_NS6detail17trampoline_kernelINS0_14default_configENS1_22reduce_config_selectorIbEEZNS1_11reduce_implILb1ES3_N6hipcub16HIPCUB_304000_NS22TransformInputIteratorIbN2at6native12_GLOBAL__N_19NonZeroOpIN3c107complexIdEEEEPKSG_lEEPiiNS8_6detail34convert_binary_result_type_wrapperINS8_3SumESK_iEEEE10hipError_tPvRmT1_T2_T3_mT4_P12ihipStream_tbEUlT_E0_NS1_11comp_targetILNS1_3genE0ELNS1_11target_archE4294967295ELNS1_3gpuE0ELNS1_3repE0EEENS1_30default_config_static_selectorELNS0_4arch9wavefront6targetE0EEEvST_.private_seg_size, 0
	.set _ZN7rocprim17ROCPRIM_400000_NS6detail17trampoline_kernelINS0_14default_configENS1_22reduce_config_selectorIbEEZNS1_11reduce_implILb1ES3_N6hipcub16HIPCUB_304000_NS22TransformInputIteratorIbN2at6native12_GLOBAL__N_19NonZeroOpIN3c107complexIdEEEEPKSG_lEEPiiNS8_6detail34convert_binary_result_type_wrapperINS8_3SumESK_iEEEE10hipError_tPvRmT1_T2_T3_mT4_P12ihipStream_tbEUlT_E0_NS1_11comp_targetILNS1_3genE0ELNS1_11target_archE4294967295ELNS1_3gpuE0ELNS1_3repE0EEENS1_30default_config_static_selectorELNS0_4arch9wavefront6targetE0EEEvST_.uses_vcc, 0
	.set _ZN7rocprim17ROCPRIM_400000_NS6detail17trampoline_kernelINS0_14default_configENS1_22reduce_config_selectorIbEEZNS1_11reduce_implILb1ES3_N6hipcub16HIPCUB_304000_NS22TransformInputIteratorIbN2at6native12_GLOBAL__N_19NonZeroOpIN3c107complexIdEEEEPKSG_lEEPiiNS8_6detail34convert_binary_result_type_wrapperINS8_3SumESK_iEEEE10hipError_tPvRmT1_T2_T3_mT4_P12ihipStream_tbEUlT_E0_NS1_11comp_targetILNS1_3genE0ELNS1_11target_archE4294967295ELNS1_3gpuE0ELNS1_3repE0EEENS1_30default_config_static_selectorELNS0_4arch9wavefront6targetE0EEEvST_.uses_flat_scratch, 0
	.set _ZN7rocprim17ROCPRIM_400000_NS6detail17trampoline_kernelINS0_14default_configENS1_22reduce_config_selectorIbEEZNS1_11reduce_implILb1ES3_N6hipcub16HIPCUB_304000_NS22TransformInputIteratorIbN2at6native12_GLOBAL__N_19NonZeroOpIN3c107complexIdEEEEPKSG_lEEPiiNS8_6detail34convert_binary_result_type_wrapperINS8_3SumESK_iEEEE10hipError_tPvRmT1_T2_T3_mT4_P12ihipStream_tbEUlT_E0_NS1_11comp_targetILNS1_3genE0ELNS1_11target_archE4294967295ELNS1_3gpuE0ELNS1_3repE0EEENS1_30default_config_static_selectorELNS0_4arch9wavefront6targetE0EEEvST_.has_dyn_sized_stack, 0
	.set _ZN7rocprim17ROCPRIM_400000_NS6detail17trampoline_kernelINS0_14default_configENS1_22reduce_config_selectorIbEEZNS1_11reduce_implILb1ES3_N6hipcub16HIPCUB_304000_NS22TransformInputIteratorIbN2at6native12_GLOBAL__N_19NonZeroOpIN3c107complexIdEEEEPKSG_lEEPiiNS8_6detail34convert_binary_result_type_wrapperINS8_3SumESK_iEEEE10hipError_tPvRmT1_T2_T3_mT4_P12ihipStream_tbEUlT_E0_NS1_11comp_targetILNS1_3genE0ELNS1_11target_archE4294967295ELNS1_3gpuE0ELNS1_3repE0EEENS1_30default_config_static_selectorELNS0_4arch9wavefront6targetE0EEEvST_.has_recursion, 0
	.set _ZN7rocprim17ROCPRIM_400000_NS6detail17trampoline_kernelINS0_14default_configENS1_22reduce_config_selectorIbEEZNS1_11reduce_implILb1ES3_N6hipcub16HIPCUB_304000_NS22TransformInputIteratorIbN2at6native12_GLOBAL__N_19NonZeroOpIN3c107complexIdEEEEPKSG_lEEPiiNS8_6detail34convert_binary_result_type_wrapperINS8_3SumESK_iEEEE10hipError_tPvRmT1_T2_T3_mT4_P12ihipStream_tbEUlT_E0_NS1_11comp_targetILNS1_3genE0ELNS1_11target_archE4294967295ELNS1_3gpuE0ELNS1_3repE0EEENS1_30default_config_static_selectorELNS0_4arch9wavefront6targetE0EEEvST_.has_indirect_call, 0
	.section	.AMDGPU.csdata,"",@progbits
; Kernel info:
; codeLenInByte = 0
; TotalNumSgprs: 0
; NumVgprs: 0
; ScratchSize: 0
; MemoryBound: 0
; FloatMode: 240
; IeeeMode: 1
; LDSByteSize: 0 bytes/workgroup (compile time only)
; SGPRBlocks: 0
; VGPRBlocks: 0
; NumSGPRsForWavesPerEU: 1
; NumVGPRsForWavesPerEU: 1
; Occupancy: 16
; WaveLimiterHint : 0
; COMPUTE_PGM_RSRC2:SCRATCH_EN: 0
; COMPUTE_PGM_RSRC2:USER_SGPR: 2
; COMPUTE_PGM_RSRC2:TRAP_HANDLER: 0
; COMPUTE_PGM_RSRC2:TGID_X_EN: 1
; COMPUTE_PGM_RSRC2:TGID_Y_EN: 0
; COMPUTE_PGM_RSRC2:TGID_Z_EN: 0
; COMPUTE_PGM_RSRC2:TIDIG_COMP_CNT: 0
	.section	.text._ZN7rocprim17ROCPRIM_400000_NS6detail17trampoline_kernelINS0_14default_configENS1_22reduce_config_selectorIbEEZNS1_11reduce_implILb1ES3_N6hipcub16HIPCUB_304000_NS22TransformInputIteratorIbN2at6native12_GLOBAL__N_19NonZeroOpIN3c107complexIdEEEEPKSG_lEEPiiNS8_6detail34convert_binary_result_type_wrapperINS8_3SumESK_iEEEE10hipError_tPvRmT1_T2_T3_mT4_P12ihipStream_tbEUlT_E0_NS1_11comp_targetILNS1_3genE5ELNS1_11target_archE942ELNS1_3gpuE9ELNS1_3repE0EEENS1_30default_config_static_selectorELNS0_4arch9wavefront6targetE0EEEvST_,"axG",@progbits,_ZN7rocprim17ROCPRIM_400000_NS6detail17trampoline_kernelINS0_14default_configENS1_22reduce_config_selectorIbEEZNS1_11reduce_implILb1ES3_N6hipcub16HIPCUB_304000_NS22TransformInputIteratorIbN2at6native12_GLOBAL__N_19NonZeroOpIN3c107complexIdEEEEPKSG_lEEPiiNS8_6detail34convert_binary_result_type_wrapperINS8_3SumESK_iEEEE10hipError_tPvRmT1_T2_T3_mT4_P12ihipStream_tbEUlT_E0_NS1_11comp_targetILNS1_3genE5ELNS1_11target_archE942ELNS1_3gpuE9ELNS1_3repE0EEENS1_30default_config_static_selectorELNS0_4arch9wavefront6targetE0EEEvST_,comdat
	.globl	_ZN7rocprim17ROCPRIM_400000_NS6detail17trampoline_kernelINS0_14default_configENS1_22reduce_config_selectorIbEEZNS1_11reduce_implILb1ES3_N6hipcub16HIPCUB_304000_NS22TransformInputIteratorIbN2at6native12_GLOBAL__N_19NonZeroOpIN3c107complexIdEEEEPKSG_lEEPiiNS8_6detail34convert_binary_result_type_wrapperINS8_3SumESK_iEEEE10hipError_tPvRmT1_T2_T3_mT4_P12ihipStream_tbEUlT_E0_NS1_11comp_targetILNS1_3genE5ELNS1_11target_archE942ELNS1_3gpuE9ELNS1_3repE0EEENS1_30default_config_static_selectorELNS0_4arch9wavefront6targetE0EEEvST_ ; -- Begin function _ZN7rocprim17ROCPRIM_400000_NS6detail17trampoline_kernelINS0_14default_configENS1_22reduce_config_selectorIbEEZNS1_11reduce_implILb1ES3_N6hipcub16HIPCUB_304000_NS22TransformInputIteratorIbN2at6native12_GLOBAL__N_19NonZeroOpIN3c107complexIdEEEEPKSG_lEEPiiNS8_6detail34convert_binary_result_type_wrapperINS8_3SumESK_iEEEE10hipError_tPvRmT1_T2_T3_mT4_P12ihipStream_tbEUlT_E0_NS1_11comp_targetILNS1_3genE5ELNS1_11target_archE942ELNS1_3gpuE9ELNS1_3repE0EEENS1_30default_config_static_selectorELNS0_4arch9wavefront6targetE0EEEvST_
	.p2align	8
	.type	_ZN7rocprim17ROCPRIM_400000_NS6detail17trampoline_kernelINS0_14default_configENS1_22reduce_config_selectorIbEEZNS1_11reduce_implILb1ES3_N6hipcub16HIPCUB_304000_NS22TransformInputIteratorIbN2at6native12_GLOBAL__N_19NonZeroOpIN3c107complexIdEEEEPKSG_lEEPiiNS8_6detail34convert_binary_result_type_wrapperINS8_3SumESK_iEEEE10hipError_tPvRmT1_T2_T3_mT4_P12ihipStream_tbEUlT_E0_NS1_11comp_targetILNS1_3genE5ELNS1_11target_archE942ELNS1_3gpuE9ELNS1_3repE0EEENS1_30default_config_static_selectorELNS0_4arch9wavefront6targetE0EEEvST_,@function
_ZN7rocprim17ROCPRIM_400000_NS6detail17trampoline_kernelINS0_14default_configENS1_22reduce_config_selectorIbEEZNS1_11reduce_implILb1ES3_N6hipcub16HIPCUB_304000_NS22TransformInputIteratorIbN2at6native12_GLOBAL__N_19NonZeroOpIN3c107complexIdEEEEPKSG_lEEPiiNS8_6detail34convert_binary_result_type_wrapperINS8_3SumESK_iEEEE10hipError_tPvRmT1_T2_T3_mT4_P12ihipStream_tbEUlT_E0_NS1_11comp_targetILNS1_3genE5ELNS1_11target_archE942ELNS1_3gpuE9ELNS1_3repE0EEENS1_30default_config_static_selectorELNS0_4arch9wavefront6targetE0EEEvST_: ; @_ZN7rocprim17ROCPRIM_400000_NS6detail17trampoline_kernelINS0_14default_configENS1_22reduce_config_selectorIbEEZNS1_11reduce_implILb1ES3_N6hipcub16HIPCUB_304000_NS22TransformInputIteratorIbN2at6native12_GLOBAL__N_19NonZeroOpIN3c107complexIdEEEEPKSG_lEEPiiNS8_6detail34convert_binary_result_type_wrapperINS8_3SumESK_iEEEE10hipError_tPvRmT1_T2_T3_mT4_P12ihipStream_tbEUlT_E0_NS1_11comp_targetILNS1_3genE5ELNS1_11target_archE942ELNS1_3gpuE9ELNS1_3repE0EEENS1_30default_config_static_selectorELNS0_4arch9wavefront6targetE0EEEvST_
; %bb.0:
	.section	.rodata,"a",@progbits
	.p2align	6, 0x0
	.amdhsa_kernel _ZN7rocprim17ROCPRIM_400000_NS6detail17trampoline_kernelINS0_14default_configENS1_22reduce_config_selectorIbEEZNS1_11reduce_implILb1ES3_N6hipcub16HIPCUB_304000_NS22TransformInputIteratorIbN2at6native12_GLOBAL__N_19NonZeroOpIN3c107complexIdEEEEPKSG_lEEPiiNS8_6detail34convert_binary_result_type_wrapperINS8_3SumESK_iEEEE10hipError_tPvRmT1_T2_T3_mT4_P12ihipStream_tbEUlT_E0_NS1_11comp_targetILNS1_3genE5ELNS1_11target_archE942ELNS1_3gpuE9ELNS1_3repE0EEENS1_30default_config_static_selectorELNS0_4arch9wavefront6targetE0EEEvST_
		.amdhsa_group_segment_fixed_size 0
		.amdhsa_private_segment_fixed_size 0
		.amdhsa_kernarg_size 64
		.amdhsa_user_sgpr_count 2
		.amdhsa_user_sgpr_dispatch_ptr 0
		.amdhsa_user_sgpr_queue_ptr 0
		.amdhsa_user_sgpr_kernarg_segment_ptr 1
		.amdhsa_user_sgpr_dispatch_id 0
		.amdhsa_user_sgpr_private_segment_size 0
		.amdhsa_wavefront_size32 1
		.amdhsa_uses_dynamic_stack 0
		.amdhsa_enable_private_segment 0
		.amdhsa_system_sgpr_workgroup_id_x 1
		.amdhsa_system_sgpr_workgroup_id_y 0
		.amdhsa_system_sgpr_workgroup_id_z 0
		.amdhsa_system_sgpr_workgroup_info 0
		.amdhsa_system_vgpr_workitem_id 0
		.amdhsa_next_free_vgpr 1
		.amdhsa_next_free_sgpr 1
		.amdhsa_reserve_vcc 0
		.amdhsa_float_round_mode_32 0
		.amdhsa_float_round_mode_16_64 0
		.amdhsa_float_denorm_mode_32 3
		.amdhsa_float_denorm_mode_16_64 3
		.amdhsa_fp16_overflow 0
		.amdhsa_workgroup_processor_mode 1
		.amdhsa_memory_ordered 1
		.amdhsa_forward_progress 1
		.amdhsa_inst_pref_size 0
		.amdhsa_round_robin_scheduling 0
		.amdhsa_exception_fp_ieee_invalid_op 0
		.amdhsa_exception_fp_denorm_src 0
		.amdhsa_exception_fp_ieee_div_zero 0
		.amdhsa_exception_fp_ieee_overflow 0
		.amdhsa_exception_fp_ieee_underflow 0
		.amdhsa_exception_fp_ieee_inexact 0
		.amdhsa_exception_int_div_zero 0
	.end_amdhsa_kernel
	.section	.text._ZN7rocprim17ROCPRIM_400000_NS6detail17trampoline_kernelINS0_14default_configENS1_22reduce_config_selectorIbEEZNS1_11reduce_implILb1ES3_N6hipcub16HIPCUB_304000_NS22TransformInputIteratorIbN2at6native12_GLOBAL__N_19NonZeroOpIN3c107complexIdEEEEPKSG_lEEPiiNS8_6detail34convert_binary_result_type_wrapperINS8_3SumESK_iEEEE10hipError_tPvRmT1_T2_T3_mT4_P12ihipStream_tbEUlT_E0_NS1_11comp_targetILNS1_3genE5ELNS1_11target_archE942ELNS1_3gpuE9ELNS1_3repE0EEENS1_30default_config_static_selectorELNS0_4arch9wavefront6targetE0EEEvST_,"axG",@progbits,_ZN7rocprim17ROCPRIM_400000_NS6detail17trampoline_kernelINS0_14default_configENS1_22reduce_config_selectorIbEEZNS1_11reduce_implILb1ES3_N6hipcub16HIPCUB_304000_NS22TransformInputIteratorIbN2at6native12_GLOBAL__N_19NonZeroOpIN3c107complexIdEEEEPKSG_lEEPiiNS8_6detail34convert_binary_result_type_wrapperINS8_3SumESK_iEEEE10hipError_tPvRmT1_T2_T3_mT4_P12ihipStream_tbEUlT_E0_NS1_11comp_targetILNS1_3genE5ELNS1_11target_archE942ELNS1_3gpuE9ELNS1_3repE0EEENS1_30default_config_static_selectorELNS0_4arch9wavefront6targetE0EEEvST_,comdat
.Lfunc_end509:
	.size	_ZN7rocprim17ROCPRIM_400000_NS6detail17trampoline_kernelINS0_14default_configENS1_22reduce_config_selectorIbEEZNS1_11reduce_implILb1ES3_N6hipcub16HIPCUB_304000_NS22TransformInputIteratorIbN2at6native12_GLOBAL__N_19NonZeroOpIN3c107complexIdEEEEPKSG_lEEPiiNS8_6detail34convert_binary_result_type_wrapperINS8_3SumESK_iEEEE10hipError_tPvRmT1_T2_T3_mT4_P12ihipStream_tbEUlT_E0_NS1_11comp_targetILNS1_3genE5ELNS1_11target_archE942ELNS1_3gpuE9ELNS1_3repE0EEENS1_30default_config_static_selectorELNS0_4arch9wavefront6targetE0EEEvST_, .Lfunc_end509-_ZN7rocprim17ROCPRIM_400000_NS6detail17trampoline_kernelINS0_14default_configENS1_22reduce_config_selectorIbEEZNS1_11reduce_implILb1ES3_N6hipcub16HIPCUB_304000_NS22TransformInputIteratorIbN2at6native12_GLOBAL__N_19NonZeroOpIN3c107complexIdEEEEPKSG_lEEPiiNS8_6detail34convert_binary_result_type_wrapperINS8_3SumESK_iEEEE10hipError_tPvRmT1_T2_T3_mT4_P12ihipStream_tbEUlT_E0_NS1_11comp_targetILNS1_3genE5ELNS1_11target_archE942ELNS1_3gpuE9ELNS1_3repE0EEENS1_30default_config_static_selectorELNS0_4arch9wavefront6targetE0EEEvST_
                                        ; -- End function
	.set _ZN7rocprim17ROCPRIM_400000_NS6detail17trampoline_kernelINS0_14default_configENS1_22reduce_config_selectorIbEEZNS1_11reduce_implILb1ES3_N6hipcub16HIPCUB_304000_NS22TransformInputIteratorIbN2at6native12_GLOBAL__N_19NonZeroOpIN3c107complexIdEEEEPKSG_lEEPiiNS8_6detail34convert_binary_result_type_wrapperINS8_3SumESK_iEEEE10hipError_tPvRmT1_T2_T3_mT4_P12ihipStream_tbEUlT_E0_NS1_11comp_targetILNS1_3genE5ELNS1_11target_archE942ELNS1_3gpuE9ELNS1_3repE0EEENS1_30default_config_static_selectorELNS0_4arch9wavefront6targetE0EEEvST_.num_vgpr, 0
	.set _ZN7rocprim17ROCPRIM_400000_NS6detail17trampoline_kernelINS0_14default_configENS1_22reduce_config_selectorIbEEZNS1_11reduce_implILb1ES3_N6hipcub16HIPCUB_304000_NS22TransformInputIteratorIbN2at6native12_GLOBAL__N_19NonZeroOpIN3c107complexIdEEEEPKSG_lEEPiiNS8_6detail34convert_binary_result_type_wrapperINS8_3SumESK_iEEEE10hipError_tPvRmT1_T2_T3_mT4_P12ihipStream_tbEUlT_E0_NS1_11comp_targetILNS1_3genE5ELNS1_11target_archE942ELNS1_3gpuE9ELNS1_3repE0EEENS1_30default_config_static_selectorELNS0_4arch9wavefront6targetE0EEEvST_.num_agpr, 0
	.set _ZN7rocprim17ROCPRIM_400000_NS6detail17trampoline_kernelINS0_14default_configENS1_22reduce_config_selectorIbEEZNS1_11reduce_implILb1ES3_N6hipcub16HIPCUB_304000_NS22TransformInputIteratorIbN2at6native12_GLOBAL__N_19NonZeroOpIN3c107complexIdEEEEPKSG_lEEPiiNS8_6detail34convert_binary_result_type_wrapperINS8_3SumESK_iEEEE10hipError_tPvRmT1_T2_T3_mT4_P12ihipStream_tbEUlT_E0_NS1_11comp_targetILNS1_3genE5ELNS1_11target_archE942ELNS1_3gpuE9ELNS1_3repE0EEENS1_30default_config_static_selectorELNS0_4arch9wavefront6targetE0EEEvST_.numbered_sgpr, 0
	.set _ZN7rocprim17ROCPRIM_400000_NS6detail17trampoline_kernelINS0_14default_configENS1_22reduce_config_selectorIbEEZNS1_11reduce_implILb1ES3_N6hipcub16HIPCUB_304000_NS22TransformInputIteratorIbN2at6native12_GLOBAL__N_19NonZeroOpIN3c107complexIdEEEEPKSG_lEEPiiNS8_6detail34convert_binary_result_type_wrapperINS8_3SumESK_iEEEE10hipError_tPvRmT1_T2_T3_mT4_P12ihipStream_tbEUlT_E0_NS1_11comp_targetILNS1_3genE5ELNS1_11target_archE942ELNS1_3gpuE9ELNS1_3repE0EEENS1_30default_config_static_selectorELNS0_4arch9wavefront6targetE0EEEvST_.num_named_barrier, 0
	.set _ZN7rocprim17ROCPRIM_400000_NS6detail17trampoline_kernelINS0_14default_configENS1_22reduce_config_selectorIbEEZNS1_11reduce_implILb1ES3_N6hipcub16HIPCUB_304000_NS22TransformInputIteratorIbN2at6native12_GLOBAL__N_19NonZeroOpIN3c107complexIdEEEEPKSG_lEEPiiNS8_6detail34convert_binary_result_type_wrapperINS8_3SumESK_iEEEE10hipError_tPvRmT1_T2_T3_mT4_P12ihipStream_tbEUlT_E0_NS1_11comp_targetILNS1_3genE5ELNS1_11target_archE942ELNS1_3gpuE9ELNS1_3repE0EEENS1_30default_config_static_selectorELNS0_4arch9wavefront6targetE0EEEvST_.private_seg_size, 0
	.set _ZN7rocprim17ROCPRIM_400000_NS6detail17trampoline_kernelINS0_14default_configENS1_22reduce_config_selectorIbEEZNS1_11reduce_implILb1ES3_N6hipcub16HIPCUB_304000_NS22TransformInputIteratorIbN2at6native12_GLOBAL__N_19NonZeroOpIN3c107complexIdEEEEPKSG_lEEPiiNS8_6detail34convert_binary_result_type_wrapperINS8_3SumESK_iEEEE10hipError_tPvRmT1_T2_T3_mT4_P12ihipStream_tbEUlT_E0_NS1_11comp_targetILNS1_3genE5ELNS1_11target_archE942ELNS1_3gpuE9ELNS1_3repE0EEENS1_30default_config_static_selectorELNS0_4arch9wavefront6targetE0EEEvST_.uses_vcc, 0
	.set _ZN7rocprim17ROCPRIM_400000_NS6detail17trampoline_kernelINS0_14default_configENS1_22reduce_config_selectorIbEEZNS1_11reduce_implILb1ES3_N6hipcub16HIPCUB_304000_NS22TransformInputIteratorIbN2at6native12_GLOBAL__N_19NonZeroOpIN3c107complexIdEEEEPKSG_lEEPiiNS8_6detail34convert_binary_result_type_wrapperINS8_3SumESK_iEEEE10hipError_tPvRmT1_T2_T3_mT4_P12ihipStream_tbEUlT_E0_NS1_11comp_targetILNS1_3genE5ELNS1_11target_archE942ELNS1_3gpuE9ELNS1_3repE0EEENS1_30default_config_static_selectorELNS0_4arch9wavefront6targetE0EEEvST_.uses_flat_scratch, 0
	.set _ZN7rocprim17ROCPRIM_400000_NS6detail17trampoline_kernelINS0_14default_configENS1_22reduce_config_selectorIbEEZNS1_11reduce_implILb1ES3_N6hipcub16HIPCUB_304000_NS22TransformInputIteratorIbN2at6native12_GLOBAL__N_19NonZeroOpIN3c107complexIdEEEEPKSG_lEEPiiNS8_6detail34convert_binary_result_type_wrapperINS8_3SumESK_iEEEE10hipError_tPvRmT1_T2_T3_mT4_P12ihipStream_tbEUlT_E0_NS1_11comp_targetILNS1_3genE5ELNS1_11target_archE942ELNS1_3gpuE9ELNS1_3repE0EEENS1_30default_config_static_selectorELNS0_4arch9wavefront6targetE0EEEvST_.has_dyn_sized_stack, 0
	.set _ZN7rocprim17ROCPRIM_400000_NS6detail17trampoline_kernelINS0_14default_configENS1_22reduce_config_selectorIbEEZNS1_11reduce_implILb1ES3_N6hipcub16HIPCUB_304000_NS22TransformInputIteratorIbN2at6native12_GLOBAL__N_19NonZeroOpIN3c107complexIdEEEEPKSG_lEEPiiNS8_6detail34convert_binary_result_type_wrapperINS8_3SumESK_iEEEE10hipError_tPvRmT1_T2_T3_mT4_P12ihipStream_tbEUlT_E0_NS1_11comp_targetILNS1_3genE5ELNS1_11target_archE942ELNS1_3gpuE9ELNS1_3repE0EEENS1_30default_config_static_selectorELNS0_4arch9wavefront6targetE0EEEvST_.has_recursion, 0
	.set _ZN7rocprim17ROCPRIM_400000_NS6detail17trampoline_kernelINS0_14default_configENS1_22reduce_config_selectorIbEEZNS1_11reduce_implILb1ES3_N6hipcub16HIPCUB_304000_NS22TransformInputIteratorIbN2at6native12_GLOBAL__N_19NonZeroOpIN3c107complexIdEEEEPKSG_lEEPiiNS8_6detail34convert_binary_result_type_wrapperINS8_3SumESK_iEEEE10hipError_tPvRmT1_T2_T3_mT4_P12ihipStream_tbEUlT_E0_NS1_11comp_targetILNS1_3genE5ELNS1_11target_archE942ELNS1_3gpuE9ELNS1_3repE0EEENS1_30default_config_static_selectorELNS0_4arch9wavefront6targetE0EEEvST_.has_indirect_call, 0
	.section	.AMDGPU.csdata,"",@progbits
; Kernel info:
; codeLenInByte = 0
; TotalNumSgprs: 0
; NumVgprs: 0
; ScratchSize: 0
; MemoryBound: 0
; FloatMode: 240
; IeeeMode: 1
; LDSByteSize: 0 bytes/workgroup (compile time only)
; SGPRBlocks: 0
; VGPRBlocks: 0
; NumSGPRsForWavesPerEU: 1
; NumVGPRsForWavesPerEU: 1
; Occupancy: 16
; WaveLimiterHint : 0
; COMPUTE_PGM_RSRC2:SCRATCH_EN: 0
; COMPUTE_PGM_RSRC2:USER_SGPR: 2
; COMPUTE_PGM_RSRC2:TRAP_HANDLER: 0
; COMPUTE_PGM_RSRC2:TGID_X_EN: 1
; COMPUTE_PGM_RSRC2:TGID_Y_EN: 0
; COMPUTE_PGM_RSRC2:TGID_Z_EN: 0
; COMPUTE_PGM_RSRC2:TIDIG_COMP_CNT: 0
	.section	.text._ZN7rocprim17ROCPRIM_400000_NS6detail17trampoline_kernelINS0_14default_configENS1_22reduce_config_selectorIbEEZNS1_11reduce_implILb1ES3_N6hipcub16HIPCUB_304000_NS22TransformInputIteratorIbN2at6native12_GLOBAL__N_19NonZeroOpIN3c107complexIdEEEEPKSG_lEEPiiNS8_6detail34convert_binary_result_type_wrapperINS8_3SumESK_iEEEE10hipError_tPvRmT1_T2_T3_mT4_P12ihipStream_tbEUlT_E0_NS1_11comp_targetILNS1_3genE4ELNS1_11target_archE910ELNS1_3gpuE8ELNS1_3repE0EEENS1_30default_config_static_selectorELNS0_4arch9wavefront6targetE0EEEvST_,"axG",@progbits,_ZN7rocprim17ROCPRIM_400000_NS6detail17trampoline_kernelINS0_14default_configENS1_22reduce_config_selectorIbEEZNS1_11reduce_implILb1ES3_N6hipcub16HIPCUB_304000_NS22TransformInputIteratorIbN2at6native12_GLOBAL__N_19NonZeroOpIN3c107complexIdEEEEPKSG_lEEPiiNS8_6detail34convert_binary_result_type_wrapperINS8_3SumESK_iEEEE10hipError_tPvRmT1_T2_T3_mT4_P12ihipStream_tbEUlT_E0_NS1_11comp_targetILNS1_3genE4ELNS1_11target_archE910ELNS1_3gpuE8ELNS1_3repE0EEENS1_30default_config_static_selectorELNS0_4arch9wavefront6targetE0EEEvST_,comdat
	.globl	_ZN7rocprim17ROCPRIM_400000_NS6detail17trampoline_kernelINS0_14default_configENS1_22reduce_config_selectorIbEEZNS1_11reduce_implILb1ES3_N6hipcub16HIPCUB_304000_NS22TransformInputIteratorIbN2at6native12_GLOBAL__N_19NonZeroOpIN3c107complexIdEEEEPKSG_lEEPiiNS8_6detail34convert_binary_result_type_wrapperINS8_3SumESK_iEEEE10hipError_tPvRmT1_T2_T3_mT4_P12ihipStream_tbEUlT_E0_NS1_11comp_targetILNS1_3genE4ELNS1_11target_archE910ELNS1_3gpuE8ELNS1_3repE0EEENS1_30default_config_static_selectorELNS0_4arch9wavefront6targetE0EEEvST_ ; -- Begin function _ZN7rocprim17ROCPRIM_400000_NS6detail17trampoline_kernelINS0_14default_configENS1_22reduce_config_selectorIbEEZNS1_11reduce_implILb1ES3_N6hipcub16HIPCUB_304000_NS22TransformInputIteratorIbN2at6native12_GLOBAL__N_19NonZeroOpIN3c107complexIdEEEEPKSG_lEEPiiNS8_6detail34convert_binary_result_type_wrapperINS8_3SumESK_iEEEE10hipError_tPvRmT1_T2_T3_mT4_P12ihipStream_tbEUlT_E0_NS1_11comp_targetILNS1_3genE4ELNS1_11target_archE910ELNS1_3gpuE8ELNS1_3repE0EEENS1_30default_config_static_selectorELNS0_4arch9wavefront6targetE0EEEvST_
	.p2align	8
	.type	_ZN7rocprim17ROCPRIM_400000_NS6detail17trampoline_kernelINS0_14default_configENS1_22reduce_config_selectorIbEEZNS1_11reduce_implILb1ES3_N6hipcub16HIPCUB_304000_NS22TransformInputIteratorIbN2at6native12_GLOBAL__N_19NonZeroOpIN3c107complexIdEEEEPKSG_lEEPiiNS8_6detail34convert_binary_result_type_wrapperINS8_3SumESK_iEEEE10hipError_tPvRmT1_T2_T3_mT4_P12ihipStream_tbEUlT_E0_NS1_11comp_targetILNS1_3genE4ELNS1_11target_archE910ELNS1_3gpuE8ELNS1_3repE0EEENS1_30default_config_static_selectorELNS0_4arch9wavefront6targetE0EEEvST_,@function
_ZN7rocprim17ROCPRIM_400000_NS6detail17trampoline_kernelINS0_14default_configENS1_22reduce_config_selectorIbEEZNS1_11reduce_implILb1ES3_N6hipcub16HIPCUB_304000_NS22TransformInputIteratorIbN2at6native12_GLOBAL__N_19NonZeroOpIN3c107complexIdEEEEPKSG_lEEPiiNS8_6detail34convert_binary_result_type_wrapperINS8_3SumESK_iEEEE10hipError_tPvRmT1_T2_T3_mT4_P12ihipStream_tbEUlT_E0_NS1_11comp_targetILNS1_3genE4ELNS1_11target_archE910ELNS1_3gpuE8ELNS1_3repE0EEENS1_30default_config_static_selectorELNS0_4arch9wavefront6targetE0EEEvST_: ; @_ZN7rocprim17ROCPRIM_400000_NS6detail17trampoline_kernelINS0_14default_configENS1_22reduce_config_selectorIbEEZNS1_11reduce_implILb1ES3_N6hipcub16HIPCUB_304000_NS22TransformInputIteratorIbN2at6native12_GLOBAL__N_19NonZeroOpIN3c107complexIdEEEEPKSG_lEEPiiNS8_6detail34convert_binary_result_type_wrapperINS8_3SumESK_iEEEE10hipError_tPvRmT1_T2_T3_mT4_P12ihipStream_tbEUlT_E0_NS1_11comp_targetILNS1_3genE4ELNS1_11target_archE910ELNS1_3gpuE8ELNS1_3repE0EEENS1_30default_config_static_selectorELNS0_4arch9wavefront6targetE0EEEvST_
; %bb.0:
	.section	.rodata,"a",@progbits
	.p2align	6, 0x0
	.amdhsa_kernel _ZN7rocprim17ROCPRIM_400000_NS6detail17trampoline_kernelINS0_14default_configENS1_22reduce_config_selectorIbEEZNS1_11reduce_implILb1ES3_N6hipcub16HIPCUB_304000_NS22TransformInputIteratorIbN2at6native12_GLOBAL__N_19NonZeroOpIN3c107complexIdEEEEPKSG_lEEPiiNS8_6detail34convert_binary_result_type_wrapperINS8_3SumESK_iEEEE10hipError_tPvRmT1_T2_T3_mT4_P12ihipStream_tbEUlT_E0_NS1_11comp_targetILNS1_3genE4ELNS1_11target_archE910ELNS1_3gpuE8ELNS1_3repE0EEENS1_30default_config_static_selectorELNS0_4arch9wavefront6targetE0EEEvST_
		.amdhsa_group_segment_fixed_size 0
		.amdhsa_private_segment_fixed_size 0
		.amdhsa_kernarg_size 64
		.amdhsa_user_sgpr_count 2
		.amdhsa_user_sgpr_dispatch_ptr 0
		.amdhsa_user_sgpr_queue_ptr 0
		.amdhsa_user_sgpr_kernarg_segment_ptr 1
		.amdhsa_user_sgpr_dispatch_id 0
		.amdhsa_user_sgpr_private_segment_size 0
		.amdhsa_wavefront_size32 1
		.amdhsa_uses_dynamic_stack 0
		.amdhsa_enable_private_segment 0
		.amdhsa_system_sgpr_workgroup_id_x 1
		.amdhsa_system_sgpr_workgroup_id_y 0
		.amdhsa_system_sgpr_workgroup_id_z 0
		.amdhsa_system_sgpr_workgroup_info 0
		.amdhsa_system_vgpr_workitem_id 0
		.amdhsa_next_free_vgpr 1
		.amdhsa_next_free_sgpr 1
		.amdhsa_reserve_vcc 0
		.amdhsa_float_round_mode_32 0
		.amdhsa_float_round_mode_16_64 0
		.amdhsa_float_denorm_mode_32 3
		.amdhsa_float_denorm_mode_16_64 3
		.amdhsa_fp16_overflow 0
		.amdhsa_workgroup_processor_mode 1
		.amdhsa_memory_ordered 1
		.amdhsa_forward_progress 1
		.amdhsa_inst_pref_size 0
		.amdhsa_round_robin_scheduling 0
		.amdhsa_exception_fp_ieee_invalid_op 0
		.amdhsa_exception_fp_denorm_src 0
		.amdhsa_exception_fp_ieee_div_zero 0
		.amdhsa_exception_fp_ieee_overflow 0
		.amdhsa_exception_fp_ieee_underflow 0
		.amdhsa_exception_fp_ieee_inexact 0
		.amdhsa_exception_int_div_zero 0
	.end_amdhsa_kernel
	.section	.text._ZN7rocprim17ROCPRIM_400000_NS6detail17trampoline_kernelINS0_14default_configENS1_22reduce_config_selectorIbEEZNS1_11reduce_implILb1ES3_N6hipcub16HIPCUB_304000_NS22TransformInputIteratorIbN2at6native12_GLOBAL__N_19NonZeroOpIN3c107complexIdEEEEPKSG_lEEPiiNS8_6detail34convert_binary_result_type_wrapperINS8_3SumESK_iEEEE10hipError_tPvRmT1_T2_T3_mT4_P12ihipStream_tbEUlT_E0_NS1_11comp_targetILNS1_3genE4ELNS1_11target_archE910ELNS1_3gpuE8ELNS1_3repE0EEENS1_30default_config_static_selectorELNS0_4arch9wavefront6targetE0EEEvST_,"axG",@progbits,_ZN7rocprim17ROCPRIM_400000_NS6detail17trampoline_kernelINS0_14default_configENS1_22reduce_config_selectorIbEEZNS1_11reduce_implILb1ES3_N6hipcub16HIPCUB_304000_NS22TransformInputIteratorIbN2at6native12_GLOBAL__N_19NonZeroOpIN3c107complexIdEEEEPKSG_lEEPiiNS8_6detail34convert_binary_result_type_wrapperINS8_3SumESK_iEEEE10hipError_tPvRmT1_T2_T3_mT4_P12ihipStream_tbEUlT_E0_NS1_11comp_targetILNS1_3genE4ELNS1_11target_archE910ELNS1_3gpuE8ELNS1_3repE0EEENS1_30default_config_static_selectorELNS0_4arch9wavefront6targetE0EEEvST_,comdat
.Lfunc_end510:
	.size	_ZN7rocprim17ROCPRIM_400000_NS6detail17trampoline_kernelINS0_14default_configENS1_22reduce_config_selectorIbEEZNS1_11reduce_implILb1ES3_N6hipcub16HIPCUB_304000_NS22TransformInputIteratorIbN2at6native12_GLOBAL__N_19NonZeroOpIN3c107complexIdEEEEPKSG_lEEPiiNS8_6detail34convert_binary_result_type_wrapperINS8_3SumESK_iEEEE10hipError_tPvRmT1_T2_T3_mT4_P12ihipStream_tbEUlT_E0_NS1_11comp_targetILNS1_3genE4ELNS1_11target_archE910ELNS1_3gpuE8ELNS1_3repE0EEENS1_30default_config_static_selectorELNS0_4arch9wavefront6targetE0EEEvST_, .Lfunc_end510-_ZN7rocprim17ROCPRIM_400000_NS6detail17trampoline_kernelINS0_14default_configENS1_22reduce_config_selectorIbEEZNS1_11reduce_implILb1ES3_N6hipcub16HIPCUB_304000_NS22TransformInputIteratorIbN2at6native12_GLOBAL__N_19NonZeroOpIN3c107complexIdEEEEPKSG_lEEPiiNS8_6detail34convert_binary_result_type_wrapperINS8_3SumESK_iEEEE10hipError_tPvRmT1_T2_T3_mT4_P12ihipStream_tbEUlT_E0_NS1_11comp_targetILNS1_3genE4ELNS1_11target_archE910ELNS1_3gpuE8ELNS1_3repE0EEENS1_30default_config_static_selectorELNS0_4arch9wavefront6targetE0EEEvST_
                                        ; -- End function
	.set _ZN7rocprim17ROCPRIM_400000_NS6detail17trampoline_kernelINS0_14default_configENS1_22reduce_config_selectorIbEEZNS1_11reduce_implILb1ES3_N6hipcub16HIPCUB_304000_NS22TransformInputIteratorIbN2at6native12_GLOBAL__N_19NonZeroOpIN3c107complexIdEEEEPKSG_lEEPiiNS8_6detail34convert_binary_result_type_wrapperINS8_3SumESK_iEEEE10hipError_tPvRmT1_T2_T3_mT4_P12ihipStream_tbEUlT_E0_NS1_11comp_targetILNS1_3genE4ELNS1_11target_archE910ELNS1_3gpuE8ELNS1_3repE0EEENS1_30default_config_static_selectorELNS0_4arch9wavefront6targetE0EEEvST_.num_vgpr, 0
	.set _ZN7rocprim17ROCPRIM_400000_NS6detail17trampoline_kernelINS0_14default_configENS1_22reduce_config_selectorIbEEZNS1_11reduce_implILb1ES3_N6hipcub16HIPCUB_304000_NS22TransformInputIteratorIbN2at6native12_GLOBAL__N_19NonZeroOpIN3c107complexIdEEEEPKSG_lEEPiiNS8_6detail34convert_binary_result_type_wrapperINS8_3SumESK_iEEEE10hipError_tPvRmT1_T2_T3_mT4_P12ihipStream_tbEUlT_E0_NS1_11comp_targetILNS1_3genE4ELNS1_11target_archE910ELNS1_3gpuE8ELNS1_3repE0EEENS1_30default_config_static_selectorELNS0_4arch9wavefront6targetE0EEEvST_.num_agpr, 0
	.set _ZN7rocprim17ROCPRIM_400000_NS6detail17trampoline_kernelINS0_14default_configENS1_22reduce_config_selectorIbEEZNS1_11reduce_implILb1ES3_N6hipcub16HIPCUB_304000_NS22TransformInputIteratorIbN2at6native12_GLOBAL__N_19NonZeroOpIN3c107complexIdEEEEPKSG_lEEPiiNS8_6detail34convert_binary_result_type_wrapperINS8_3SumESK_iEEEE10hipError_tPvRmT1_T2_T3_mT4_P12ihipStream_tbEUlT_E0_NS1_11comp_targetILNS1_3genE4ELNS1_11target_archE910ELNS1_3gpuE8ELNS1_3repE0EEENS1_30default_config_static_selectorELNS0_4arch9wavefront6targetE0EEEvST_.numbered_sgpr, 0
	.set _ZN7rocprim17ROCPRIM_400000_NS6detail17trampoline_kernelINS0_14default_configENS1_22reduce_config_selectorIbEEZNS1_11reduce_implILb1ES3_N6hipcub16HIPCUB_304000_NS22TransformInputIteratorIbN2at6native12_GLOBAL__N_19NonZeroOpIN3c107complexIdEEEEPKSG_lEEPiiNS8_6detail34convert_binary_result_type_wrapperINS8_3SumESK_iEEEE10hipError_tPvRmT1_T2_T3_mT4_P12ihipStream_tbEUlT_E0_NS1_11comp_targetILNS1_3genE4ELNS1_11target_archE910ELNS1_3gpuE8ELNS1_3repE0EEENS1_30default_config_static_selectorELNS0_4arch9wavefront6targetE0EEEvST_.num_named_barrier, 0
	.set _ZN7rocprim17ROCPRIM_400000_NS6detail17trampoline_kernelINS0_14default_configENS1_22reduce_config_selectorIbEEZNS1_11reduce_implILb1ES3_N6hipcub16HIPCUB_304000_NS22TransformInputIteratorIbN2at6native12_GLOBAL__N_19NonZeroOpIN3c107complexIdEEEEPKSG_lEEPiiNS8_6detail34convert_binary_result_type_wrapperINS8_3SumESK_iEEEE10hipError_tPvRmT1_T2_T3_mT4_P12ihipStream_tbEUlT_E0_NS1_11comp_targetILNS1_3genE4ELNS1_11target_archE910ELNS1_3gpuE8ELNS1_3repE0EEENS1_30default_config_static_selectorELNS0_4arch9wavefront6targetE0EEEvST_.private_seg_size, 0
	.set _ZN7rocprim17ROCPRIM_400000_NS6detail17trampoline_kernelINS0_14default_configENS1_22reduce_config_selectorIbEEZNS1_11reduce_implILb1ES3_N6hipcub16HIPCUB_304000_NS22TransformInputIteratorIbN2at6native12_GLOBAL__N_19NonZeroOpIN3c107complexIdEEEEPKSG_lEEPiiNS8_6detail34convert_binary_result_type_wrapperINS8_3SumESK_iEEEE10hipError_tPvRmT1_T2_T3_mT4_P12ihipStream_tbEUlT_E0_NS1_11comp_targetILNS1_3genE4ELNS1_11target_archE910ELNS1_3gpuE8ELNS1_3repE0EEENS1_30default_config_static_selectorELNS0_4arch9wavefront6targetE0EEEvST_.uses_vcc, 0
	.set _ZN7rocprim17ROCPRIM_400000_NS6detail17trampoline_kernelINS0_14default_configENS1_22reduce_config_selectorIbEEZNS1_11reduce_implILb1ES3_N6hipcub16HIPCUB_304000_NS22TransformInputIteratorIbN2at6native12_GLOBAL__N_19NonZeroOpIN3c107complexIdEEEEPKSG_lEEPiiNS8_6detail34convert_binary_result_type_wrapperINS8_3SumESK_iEEEE10hipError_tPvRmT1_T2_T3_mT4_P12ihipStream_tbEUlT_E0_NS1_11comp_targetILNS1_3genE4ELNS1_11target_archE910ELNS1_3gpuE8ELNS1_3repE0EEENS1_30default_config_static_selectorELNS0_4arch9wavefront6targetE0EEEvST_.uses_flat_scratch, 0
	.set _ZN7rocprim17ROCPRIM_400000_NS6detail17trampoline_kernelINS0_14default_configENS1_22reduce_config_selectorIbEEZNS1_11reduce_implILb1ES3_N6hipcub16HIPCUB_304000_NS22TransformInputIteratorIbN2at6native12_GLOBAL__N_19NonZeroOpIN3c107complexIdEEEEPKSG_lEEPiiNS8_6detail34convert_binary_result_type_wrapperINS8_3SumESK_iEEEE10hipError_tPvRmT1_T2_T3_mT4_P12ihipStream_tbEUlT_E0_NS1_11comp_targetILNS1_3genE4ELNS1_11target_archE910ELNS1_3gpuE8ELNS1_3repE0EEENS1_30default_config_static_selectorELNS0_4arch9wavefront6targetE0EEEvST_.has_dyn_sized_stack, 0
	.set _ZN7rocprim17ROCPRIM_400000_NS6detail17trampoline_kernelINS0_14default_configENS1_22reduce_config_selectorIbEEZNS1_11reduce_implILb1ES3_N6hipcub16HIPCUB_304000_NS22TransformInputIteratorIbN2at6native12_GLOBAL__N_19NonZeroOpIN3c107complexIdEEEEPKSG_lEEPiiNS8_6detail34convert_binary_result_type_wrapperINS8_3SumESK_iEEEE10hipError_tPvRmT1_T2_T3_mT4_P12ihipStream_tbEUlT_E0_NS1_11comp_targetILNS1_3genE4ELNS1_11target_archE910ELNS1_3gpuE8ELNS1_3repE0EEENS1_30default_config_static_selectorELNS0_4arch9wavefront6targetE0EEEvST_.has_recursion, 0
	.set _ZN7rocprim17ROCPRIM_400000_NS6detail17trampoline_kernelINS0_14default_configENS1_22reduce_config_selectorIbEEZNS1_11reduce_implILb1ES3_N6hipcub16HIPCUB_304000_NS22TransformInputIteratorIbN2at6native12_GLOBAL__N_19NonZeroOpIN3c107complexIdEEEEPKSG_lEEPiiNS8_6detail34convert_binary_result_type_wrapperINS8_3SumESK_iEEEE10hipError_tPvRmT1_T2_T3_mT4_P12ihipStream_tbEUlT_E0_NS1_11comp_targetILNS1_3genE4ELNS1_11target_archE910ELNS1_3gpuE8ELNS1_3repE0EEENS1_30default_config_static_selectorELNS0_4arch9wavefront6targetE0EEEvST_.has_indirect_call, 0
	.section	.AMDGPU.csdata,"",@progbits
; Kernel info:
; codeLenInByte = 0
; TotalNumSgprs: 0
; NumVgprs: 0
; ScratchSize: 0
; MemoryBound: 0
; FloatMode: 240
; IeeeMode: 1
; LDSByteSize: 0 bytes/workgroup (compile time only)
; SGPRBlocks: 0
; VGPRBlocks: 0
; NumSGPRsForWavesPerEU: 1
; NumVGPRsForWavesPerEU: 1
; Occupancy: 16
; WaveLimiterHint : 0
; COMPUTE_PGM_RSRC2:SCRATCH_EN: 0
; COMPUTE_PGM_RSRC2:USER_SGPR: 2
; COMPUTE_PGM_RSRC2:TRAP_HANDLER: 0
; COMPUTE_PGM_RSRC2:TGID_X_EN: 1
; COMPUTE_PGM_RSRC2:TGID_Y_EN: 0
; COMPUTE_PGM_RSRC2:TGID_Z_EN: 0
; COMPUTE_PGM_RSRC2:TIDIG_COMP_CNT: 0
	.section	.text._ZN7rocprim17ROCPRIM_400000_NS6detail17trampoline_kernelINS0_14default_configENS1_22reduce_config_selectorIbEEZNS1_11reduce_implILb1ES3_N6hipcub16HIPCUB_304000_NS22TransformInputIteratorIbN2at6native12_GLOBAL__N_19NonZeroOpIN3c107complexIdEEEEPKSG_lEEPiiNS8_6detail34convert_binary_result_type_wrapperINS8_3SumESK_iEEEE10hipError_tPvRmT1_T2_T3_mT4_P12ihipStream_tbEUlT_E0_NS1_11comp_targetILNS1_3genE3ELNS1_11target_archE908ELNS1_3gpuE7ELNS1_3repE0EEENS1_30default_config_static_selectorELNS0_4arch9wavefront6targetE0EEEvST_,"axG",@progbits,_ZN7rocprim17ROCPRIM_400000_NS6detail17trampoline_kernelINS0_14default_configENS1_22reduce_config_selectorIbEEZNS1_11reduce_implILb1ES3_N6hipcub16HIPCUB_304000_NS22TransformInputIteratorIbN2at6native12_GLOBAL__N_19NonZeroOpIN3c107complexIdEEEEPKSG_lEEPiiNS8_6detail34convert_binary_result_type_wrapperINS8_3SumESK_iEEEE10hipError_tPvRmT1_T2_T3_mT4_P12ihipStream_tbEUlT_E0_NS1_11comp_targetILNS1_3genE3ELNS1_11target_archE908ELNS1_3gpuE7ELNS1_3repE0EEENS1_30default_config_static_selectorELNS0_4arch9wavefront6targetE0EEEvST_,comdat
	.globl	_ZN7rocprim17ROCPRIM_400000_NS6detail17trampoline_kernelINS0_14default_configENS1_22reduce_config_selectorIbEEZNS1_11reduce_implILb1ES3_N6hipcub16HIPCUB_304000_NS22TransformInputIteratorIbN2at6native12_GLOBAL__N_19NonZeroOpIN3c107complexIdEEEEPKSG_lEEPiiNS8_6detail34convert_binary_result_type_wrapperINS8_3SumESK_iEEEE10hipError_tPvRmT1_T2_T3_mT4_P12ihipStream_tbEUlT_E0_NS1_11comp_targetILNS1_3genE3ELNS1_11target_archE908ELNS1_3gpuE7ELNS1_3repE0EEENS1_30default_config_static_selectorELNS0_4arch9wavefront6targetE0EEEvST_ ; -- Begin function _ZN7rocprim17ROCPRIM_400000_NS6detail17trampoline_kernelINS0_14default_configENS1_22reduce_config_selectorIbEEZNS1_11reduce_implILb1ES3_N6hipcub16HIPCUB_304000_NS22TransformInputIteratorIbN2at6native12_GLOBAL__N_19NonZeroOpIN3c107complexIdEEEEPKSG_lEEPiiNS8_6detail34convert_binary_result_type_wrapperINS8_3SumESK_iEEEE10hipError_tPvRmT1_T2_T3_mT4_P12ihipStream_tbEUlT_E0_NS1_11comp_targetILNS1_3genE3ELNS1_11target_archE908ELNS1_3gpuE7ELNS1_3repE0EEENS1_30default_config_static_selectorELNS0_4arch9wavefront6targetE0EEEvST_
	.p2align	8
	.type	_ZN7rocprim17ROCPRIM_400000_NS6detail17trampoline_kernelINS0_14default_configENS1_22reduce_config_selectorIbEEZNS1_11reduce_implILb1ES3_N6hipcub16HIPCUB_304000_NS22TransformInputIteratorIbN2at6native12_GLOBAL__N_19NonZeroOpIN3c107complexIdEEEEPKSG_lEEPiiNS8_6detail34convert_binary_result_type_wrapperINS8_3SumESK_iEEEE10hipError_tPvRmT1_T2_T3_mT4_P12ihipStream_tbEUlT_E0_NS1_11comp_targetILNS1_3genE3ELNS1_11target_archE908ELNS1_3gpuE7ELNS1_3repE0EEENS1_30default_config_static_selectorELNS0_4arch9wavefront6targetE0EEEvST_,@function
_ZN7rocprim17ROCPRIM_400000_NS6detail17trampoline_kernelINS0_14default_configENS1_22reduce_config_selectorIbEEZNS1_11reduce_implILb1ES3_N6hipcub16HIPCUB_304000_NS22TransformInputIteratorIbN2at6native12_GLOBAL__N_19NonZeroOpIN3c107complexIdEEEEPKSG_lEEPiiNS8_6detail34convert_binary_result_type_wrapperINS8_3SumESK_iEEEE10hipError_tPvRmT1_T2_T3_mT4_P12ihipStream_tbEUlT_E0_NS1_11comp_targetILNS1_3genE3ELNS1_11target_archE908ELNS1_3gpuE7ELNS1_3repE0EEENS1_30default_config_static_selectorELNS0_4arch9wavefront6targetE0EEEvST_: ; @_ZN7rocprim17ROCPRIM_400000_NS6detail17trampoline_kernelINS0_14default_configENS1_22reduce_config_selectorIbEEZNS1_11reduce_implILb1ES3_N6hipcub16HIPCUB_304000_NS22TransformInputIteratorIbN2at6native12_GLOBAL__N_19NonZeroOpIN3c107complexIdEEEEPKSG_lEEPiiNS8_6detail34convert_binary_result_type_wrapperINS8_3SumESK_iEEEE10hipError_tPvRmT1_T2_T3_mT4_P12ihipStream_tbEUlT_E0_NS1_11comp_targetILNS1_3genE3ELNS1_11target_archE908ELNS1_3gpuE7ELNS1_3repE0EEENS1_30default_config_static_selectorELNS0_4arch9wavefront6targetE0EEEvST_
; %bb.0:
	.section	.rodata,"a",@progbits
	.p2align	6, 0x0
	.amdhsa_kernel _ZN7rocprim17ROCPRIM_400000_NS6detail17trampoline_kernelINS0_14default_configENS1_22reduce_config_selectorIbEEZNS1_11reduce_implILb1ES3_N6hipcub16HIPCUB_304000_NS22TransformInputIteratorIbN2at6native12_GLOBAL__N_19NonZeroOpIN3c107complexIdEEEEPKSG_lEEPiiNS8_6detail34convert_binary_result_type_wrapperINS8_3SumESK_iEEEE10hipError_tPvRmT1_T2_T3_mT4_P12ihipStream_tbEUlT_E0_NS1_11comp_targetILNS1_3genE3ELNS1_11target_archE908ELNS1_3gpuE7ELNS1_3repE0EEENS1_30default_config_static_selectorELNS0_4arch9wavefront6targetE0EEEvST_
		.amdhsa_group_segment_fixed_size 0
		.amdhsa_private_segment_fixed_size 0
		.amdhsa_kernarg_size 64
		.amdhsa_user_sgpr_count 2
		.amdhsa_user_sgpr_dispatch_ptr 0
		.amdhsa_user_sgpr_queue_ptr 0
		.amdhsa_user_sgpr_kernarg_segment_ptr 1
		.amdhsa_user_sgpr_dispatch_id 0
		.amdhsa_user_sgpr_private_segment_size 0
		.amdhsa_wavefront_size32 1
		.amdhsa_uses_dynamic_stack 0
		.amdhsa_enable_private_segment 0
		.amdhsa_system_sgpr_workgroup_id_x 1
		.amdhsa_system_sgpr_workgroup_id_y 0
		.amdhsa_system_sgpr_workgroup_id_z 0
		.amdhsa_system_sgpr_workgroup_info 0
		.amdhsa_system_vgpr_workitem_id 0
		.amdhsa_next_free_vgpr 1
		.amdhsa_next_free_sgpr 1
		.amdhsa_reserve_vcc 0
		.amdhsa_float_round_mode_32 0
		.amdhsa_float_round_mode_16_64 0
		.amdhsa_float_denorm_mode_32 3
		.amdhsa_float_denorm_mode_16_64 3
		.amdhsa_fp16_overflow 0
		.amdhsa_workgroup_processor_mode 1
		.amdhsa_memory_ordered 1
		.amdhsa_forward_progress 1
		.amdhsa_inst_pref_size 0
		.amdhsa_round_robin_scheduling 0
		.amdhsa_exception_fp_ieee_invalid_op 0
		.amdhsa_exception_fp_denorm_src 0
		.amdhsa_exception_fp_ieee_div_zero 0
		.amdhsa_exception_fp_ieee_overflow 0
		.amdhsa_exception_fp_ieee_underflow 0
		.amdhsa_exception_fp_ieee_inexact 0
		.amdhsa_exception_int_div_zero 0
	.end_amdhsa_kernel
	.section	.text._ZN7rocprim17ROCPRIM_400000_NS6detail17trampoline_kernelINS0_14default_configENS1_22reduce_config_selectorIbEEZNS1_11reduce_implILb1ES3_N6hipcub16HIPCUB_304000_NS22TransformInputIteratorIbN2at6native12_GLOBAL__N_19NonZeroOpIN3c107complexIdEEEEPKSG_lEEPiiNS8_6detail34convert_binary_result_type_wrapperINS8_3SumESK_iEEEE10hipError_tPvRmT1_T2_T3_mT4_P12ihipStream_tbEUlT_E0_NS1_11comp_targetILNS1_3genE3ELNS1_11target_archE908ELNS1_3gpuE7ELNS1_3repE0EEENS1_30default_config_static_selectorELNS0_4arch9wavefront6targetE0EEEvST_,"axG",@progbits,_ZN7rocprim17ROCPRIM_400000_NS6detail17trampoline_kernelINS0_14default_configENS1_22reduce_config_selectorIbEEZNS1_11reduce_implILb1ES3_N6hipcub16HIPCUB_304000_NS22TransformInputIteratorIbN2at6native12_GLOBAL__N_19NonZeroOpIN3c107complexIdEEEEPKSG_lEEPiiNS8_6detail34convert_binary_result_type_wrapperINS8_3SumESK_iEEEE10hipError_tPvRmT1_T2_T3_mT4_P12ihipStream_tbEUlT_E0_NS1_11comp_targetILNS1_3genE3ELNS1_11target_archE908ELNS1_3gpuE7ELNS1_3repE0EEENS1_30default_config_static_selectorELNS0_4arch9wavefront6targetE0EEEvST_,comdat
.Lfunc_end511:
	.size	_ZN7rocprim17ROCPRIM_400000_NS6detail17trampoline_kernelINS0_14default_configENS1_22reduce_config_selectorIbEEZNS1_11reduce_implILb1ES3_N6hipcub16HIPCUB_304000_NS22TransformInputIteratorIbN2at6native12_GLOBAL__N_19NonZeroOpIN3c107complexIdEEEEPKSG_lEEPiiNS8_6detail34convert_binary_result_type_wrapperINS8_3SumESK_iEEEE10hipError_tPvRmT1_T2_T3_mT4_P12ihipStream_tbEUlT_E0_NS1_11comp_targetILNS1_3genE3ELNS1_11target_archE908ELNS1_3gpuE7ELNS1_3repE0EEENS1_30default_config_static_selectorELNS0_4arch9wavefront6targetE0EEEvST_, .Lfunc_end511-_ZN7rocprim17ROCPRIM_400000_NS6detail17trampoline_kernelINS0_14default_configENS1_22reduce_config_selectorIbEEZNS1_11reduce_implILb1ES3_N6hipcub16HIPCUB_304000_NS22TransformInputIteratorIbN2at6native12_GLOBAL__N_19NonZeroOpIN3c107complexIdEEEEPKSG_lEEPiiNS8_6detail34convert_binary_result_type_wrapperINS8_3SumESK_iEEEE10hipError_tPvRmT1_T2_T3_mT4_P12ihipStream_tbEUlT_E0_NS1_11comp_targetILNS1_3genE3ELNS1_11target_archE908ELNS1_3gpuE7ELNS1_3repE0EEENS1_30default_config_static_selectorELNS0_4arch9wavefront6targetE0EEEvST_
                                        ; -- End function
	.set _ZN7rocprim17ROCPRIM_400000_NS6detail17trampoline_kernelINS0_14default_configENS1_22reduce_config_selectorIbEEZNS1_11reduce_implILb1ES3_N6hipcub16HIPCUB_304000_NS22TransformInputIteratorIbN2at6native12_GLOBAL__N_19NonZeroOpIN3c107complexIdEEEEPKSG_lEEPiiNS8_6detail34convert_binary_result_type_wrapperINS8_3SumESK_iEEEE10hipError_tPvRmT1_T2_T3_mT4_P12ihipStream_tbEUlT_E0_NS1_11comp_targetILNS1_3genE3ELNS1_11target_archE908ELNS1_3gpuE7ELNS1_3repE0EEENS1_30default_config_static_selectorELNS0_4arch9wavefront6targetE0EEEvST_.num_vgpr, 0
	.set _ZN7rocprim17ROCPRIM_400000_NS6detail17trampoline_kernelINS0_14default_configENS1_22reduce_config_selectorIbEEZNS1_11reduce_implILb1ES3_N6hipcub16HIPCUB_304000_NS22TransformInputIteratorIbN2at6native12_GLOBAL__N_19NonZeroOpIN3c107complexIdEEEEPKSG_lEEPiiNS8_6detail34convert_binary_result_type_wrapperINS8_3SumESK_iEEEE10hipError_tPvRmT1_T2_T3_mT4_P12ihipStream_tbEUlT_E0_NS1_11comp_targetILNS1_3genE3ELNS1_11target_archE908ELNS1_3gpuE7ELNS1_3repE0EEENS1_30default_config_static_selectorELNS0_4arch9wavefront6targetE0EEEvST_.num_agpr, 0
	.set _ZN7rocprim17ROCPRIM_400000_NS6detail17trampoline_kernelINS0_14default_configENS1_22reduce_config_selectorIbEEZNS1_11reduce_implILb1ES3_N6hipcub16HIPCUB_304000_NS22TransformInputIteratorIbN2at6native12_GLOBAL__N_19NonZeroOpIN3c107complexIdEEEEPKSG_lEEPiiNS8_6detail34convert_binary_result_type_wrapperINS8_3SumESK_iEEEE10hipError_tPvRmT1_T2_T3_mT4_P12ihipStream_tbEUlT_E0_NS1_11comp_targetILNS1_3genE3ELNS1_11target_archE908ELNS1_3gpuE7ELNS1_3repE0EEENS1_30default_config_static_selectorELNS0_4arch9wavefront6targetE0EEEvST_.numbered_sgpr, 0
	.set _ZN7rocprim17ROCPRIM_400000_NS6detail17trampoline_kernelINS0_14default_configENS1_22reduce_config_selectorIbEEZNS1_11reduce_implILb1ES3_N6hipcub16HIPCUB_304000_NS22TransformInputIteratorIbN2at6native12_GLOBAL__N_19NonZeroOpIN3c107complexIdEEEEPKSG_lEEPiiNS8_6detail34convert_binary_result_type_wrapperINS8_3SumESK_iEEEE10hipError_tPvRmT1_T2_T3_mT4_P12ihipStream_tbEUlT_E0_NS1_11comp_targetILNS1_3genE3ELNS1_11target_archE908ELNS1_3gpuE7ELNS1_3repE0EEENS1_30default_config_static_selectorELNS0_4arch9wavefront6targetE0EEEvST_.num_named_barrier, 0
	.set _ZN7rocprim17ROCPRIM_400000_NS6detail17trampoline_kernelINS0_14default_configENS1_22reduce_config_selectorIbEEZNS1_11reduce_implILb1ES3_N6hipcub16HIPCUB_304000_NS22TransformInputIteratorIbN2at6native12_GLOBAL__N_19NonZeroOpIN3c107complexIdEEEEPKSG_lEEPiiNS8_6detail34convert_binary_result_type_wrapperINS8_3SumESK_iEEEE10hipError_tPvRmT1_T2_T3_mT4_P12ihipStream_tbEUlT_E0_NS1_11comp_targetILNS1_3genE3ELNS1_11target_archE908ELNS1_3gpuE7ELNS1_3repE0EEENS1_30default_config_static_selectorELNS0_4arch9wavefront6targetE0EEEvST_.private_seg_size, 0
	.set _ZN7rocprim17ROCPRIM_400000_NS6detail17trampoline_kernelINS0_14default_configENS1_22reduce_config_selectorIbEEZNS1_11reduce_implILb1ES3_N6hipcub16HIPCUB_304000_NS22TransformInputIteratorIbN2at6native12_GLOBAL__N_19NonZeroOpIN3c107complexIdEEEEPKSG_lEEPiiNS8_6detail34convert_binary_result_type_wrapperINS8_3SumESK_iEEEE10hipError_tPvRmT1_T2_T3_mT4_P12ihipStream_tbEUlT_E0_NS1_11comp_targetILNS1_3genE3ELNS1_11target_archE908ELNS1_3gpuE7ELNS1_3repE0EEENS1_30default_config_static_selectorELNS0_4arch9wavefront6targetE0EEEvST_.uses_vcc, 0
	.set _ZN7rocprim17ROCPRIM_400000_NS6detail17trampoline_kernelINS0_14default_configENS1_22reduce_config_selectorIbEEZNS1_11reduce_implILb1ES3_N6hipcub16HIPCUB_304000_NS22TransformInputIteratorIbN2at6native12_GLOBAL__N_19NonZeroOpIN3c107complexIdEEEEPKSG_lEEPiiNS8_6detail34convert_binary_result_type_wrapperINS8_3SumESK_iEEEE10hipError_tPvRmT1_T2_T3_mT4_P12ihipStream_tbEUlT_E0_NS1_11comp_targetILNS1_3genE3ELNS1_11target_archE908ELNS1_3gpuE7ELNS1_3repE0EEENS1_30default_config_static_selectorELNS0_4arch9wavefront6targetE0EEEvST_.uses_flat_scratch, 0
	.set _ZN7rocprim17ROCPRIM_400000_NS6detail17trampoline_kernelINS0_14default_configENS1_22reduce_config_selectorIbEEZNS1_11reduce_implILb1ES3_N6hipcub16HIPCUB_304000_NS22TransformInputIteratorIbN2at6native12_GLOBAL__N_19NonZeroOpIN3c107complexIdEEEEPKSG_lEEPiiNS8_6detail34convert_binary_result_type_wrapperINS8_3SumESK_iEEEE10hipError_tPvRmT1_T2_T3_mT4_P12ihipStream_tbEUlT_E0_NS1_11comp_targetILNS1_3genE3ELNS1_11target_archE908ELNS1_3gpuE7ELNS1_3repE0EEENS1_30default_config_static_selectorELNS0_4arch9wavefront6targetE0EEEvST_.has_dyn_sized_stack, 0
	.set _ZN7rocprim17ROCPRIM_400000_NS6detail17trampoline_kernelINS0_14default_configENS1_22reduce_config_selectorIbEEZNS1_11reduce_implILb1ES3_N6hipcub16HIPCUB_304000_NS22TransformInputIteratorIbN2at6native12_GLOBAL__N_19NonZeroOpIN3c107complexIdEEEEPKSG_lEEPiiNS8_6detail34convert_binary_result_type_wrapperINS8_3SumESK_iEEEE10hipError_tPvRmT1_T2_T3_mT4_P12ihipStream_tbEUlT_E0_NS1_11comp_targetILNS1_3genE3ELNS1_11target_archE908ELNS1_3gpuE7ELNS1_3repE0EEENS1_30default_config_static_selectorELNS0_4arch9wavefront6targetE0EEEvST_.has_recursion, 0
	.set _ZN7rocprim17ROCPRIM_400000_NS6detail17trampoline_kernelINS0_14default_configENS1_22reduce_config_selectorIbEEZNS1_11reduce_implILb1ES3_N6hipcub16HIPCUB_304000_NS22TransformInputIteratorIbN2at6native12_GLOBAL__N_19NonZeroOpIN3c107complexIdEEEEPKSG_lEEPiiNS8_6detail34convert_binary_result_type_wrapperINS8_3SumESK_iEEEE10hipError_tPvRmT1_T2_T3_mT4_P12ihipStream_tbEUlT_E0_NS1_11comp_targetILNS1_3genE3ELNS1_11target_archE908ELNS1_3gpuE7ELNS1_3repE0EEENS1_30default_config_static_selectorELNS0_4arch9wavefront6targetE0EEEvST_.has_indirect_call, 0
	.section	.AMDGPU.csdata,"",@progbits
; Kernel info:
; codeLenInByte = 0
; TotalNumSgprs: 0
; NumVgprs: 0
; ScratchSize: 0
; MemoryBound: 0
; FloatMode: 240
; IeeeMode: 1
; LDSByteSize: 0 bytes/workgroup (compile time only)
; SGPRBlocks: 0
; VGPRBlocks: 0
; NumSGPRsForWavesPerEU: 1
; NumVGPRsForWavesPerEU: 1
; Occupancy: 16
; WaveLimiterHint : 0
; COMPUTE_PGM_RSRC2:SCRATCH_EN: 0
; COMPUTE_PGM_RSRC2:USER_SGPR: 2
; COMPUTE_PGM_RSRC2:TRAP_HANDLER: 0
; COMPUTE_PGM_RSRC2:TGID_X_EN: 1
; COMPUTE_PGM_RSRC2:TGID_Y_EN: 0
; COMPUTE_PGM_RSRC2:TGID_Z_EN: 0
; COMPUTE_PGM_RSRC2:TIDIG_COMP_CNT: 0
	.section	.text._ZN7rocprim17ROCPRIM_400000_NS6detail17trampoline_kernelINS0_14default_configENS1_22reduce_config_selectorIbEEZNS1_11reduce_implILb1ES3_N6hipcub16HIPCUB_304000_NS22TransformInputIteratorIbN2at6native12_GLOBAL__N_19NonZeroOpIN3c107complexIdEEEEPKSG_lEEPiiNS8_6detail34convert_binary_result_type_wrapperINS8_3SumESK_iEEEE10hipError_tPvRmT1_T2_T3_mT4_P12ihipStream_tbEUlT_E0_NS1_11comp_targetILNS1_3genE2ELNS1_11target_archE906ELNS1_3gpuE6ELNS1_3repE0EEENS1_30default_config_static_selectorELNS0_4arch9wavefront6targetE0EEEvST_,"axG",@progbits,_ZN7rocprim17ROCPRIM_400000_NS6detail17trampoline_kernelINS0_14default_configENS1_22reduce_config_selectorIbEEZNS1_11reduce_implILb1ES3_N6hipcub16HIPCUB_304000_NS22TransformInputIteratorIbN2at6native12_GLOBAL__N_19NonZeroOpIN3c107complexIdEEEEPKSG_lEEPiiNS8_6detail34convert_binary_result_type_wrapperINS8_3SumESK_iEEEE10hipError_tPvRmT1_T2_T3_mT4_P12ihipStream_tbEUlT_E0_NS1_11comp_targetILNS1_3genE2ELNS1_11target_archE906ELNS1_3gpuE6ELNS1_3repE0EEENS1_30default_config_static_selectorELNS0_4arch9wavefront6targetE0EEEvST_,comdat
	.globl	_ZN7rocprim17ROCPRIM_400000_NS6detail17trampoline_kernelINS0_14default_configENS1_22reduce_config_selectorIbEEZNS1_11reduce_implILb1ES3_N6hipcub16HIPCUB_304000_NS22TransformInputIteratorIbN2at6native12_GLOBAL__N_19NonZeroOpIN3c107complexIdEEEEPKSG_lEEPiiNS8_6detail34convert_binary_result_type_wrapperINS8_3SumESK_iEEEE10hipError_tPvRmT1_T2_T3_mT4_P12ihipStream_tbEUlT_E0_NS1_11comp_targetILNS1_3genE2ELNS1_11target_archE906ELNS1_3gpuE6ELNS1_3repE0EEENS1_30default_config_static_selectorELNS0_4arch9wavefront6targetE0EEEvST_ ; -- Begin function _ZN7rocprim17ROCPRIM_400000_NS6detail17trampoline_kernelINS0_14default_configENS1_22reduce_config_selectorIbEEZNS1_11reduce_implILb1ES3_N6hipcub16HIPCUB_304000_NS22TransformInputIteratorIbN2at6native12_GLOBAL__N_19NonZeroOpIN3c107complexIdEEEEPKSG_lEEPiiNS8_6detail34convert_binary_result_type_wrapperINS8_3SumESK_iEEEE10hipError_tPvRmT1_T2_T3_mT4_P12ihipStream_tbEUlT_E0_NS1_11comp_targetILNS1_3genE2ELNS1_11target_archE906ELNS1_3gpuE6ELNS1_3repE0EEENS1_30default_config_static_selectorELNS0_4arch9wavefront6targetE0EEEvST_
	.p2align	8
	.type	_ZN7rocprim17ROCPRIM_400000_NS6detail17trampoline_kernelINS0_14default_configENS1_22reduce_config_selectorIbEEZNS1_11reduce_implILb1ES3_N6hipcub16HIPCUB_304000_NS22TransformInputIteratorIbN2at6native12_GLOBAL__N_19NonZeroOpIN3c107complexIdEEEEPKSG_lEEPiiNS8_6detail34convert_binary_result_type_wrapperINS8_3SumESK_iEEEE10hipError_tPvRmT1_T2_T3_mT4_P12ihipStream_tbEUlT_E0_NS1_11comp_targetILNS1_3genE2ELNS1_11target_archE906ELNS1_3gpuE6ELNS1_3repE0EEENS1_30default_config_static_selectorELNS0_4arch9wavefront6targetE0EEEvST_,@function
_ZN7rocprim17ROCPRIM_400000_NS6detail17trampoline_kernelINS0_14default_configENS1_22reduce_config_selectorIbEEZNS1_11reduce_implILb1ES3_N6hipcub16HIPCUB_304000_NS22TransformInputIteratorIbN2at6native12_GLOBAL__N_19NonZeroOpIN3c107complexIdEEEEPKSG_lEEPiiNS8_6detail34convert_binary_result_type_wrapperINS8_3SumESK_iEEEE10hipError_tPvRmT1_T2_T3_mT4_P12ihipStream_tbEUlT_E0_NS1_11comp_targetILNS1_3genE2ELNS1_11target_archE906ELNS1_3gpuE6ELNS1_3repE0EEENS1_30default_config_static_selectorELNS0_4arch9wavefront6targetE0EEEvST_: ; @_ZN7rocprim17ROCPRIM_400000_NS6detail17trampoline_kernelINS0_14default_configENS1_22reduce_config_selectorIbEEZNS1_11reduce_implILb1ES3_N6hipcub16HIPCUB_304000_NS22TransformInputIteratorIbN2at6native12_GLOBAL__N_19NonZeroOpIN3c107complexIdEEEEPKSG_lEEPiiNS8_6detail34convert_binary_result_type_wrapperINS8_3SumESK_iEEEE10hipError_tPvRmT1_T2_T3_mT4_P12ihipStream_tbEUlT_E0_NS1_11comp_targetILNS1_3genE2ELNS1_11target_archE906ELNS1_3gpuE6ELNS1_3repE0EEENS1_30default_config_static_selectorELNS0_4arch9wavefront6targetE0EEEvST_
; %bb.0:
	.section	.rodata,"a",@progbits
	.p2align	6, 0x0
	.amdhsa_kernel _ZN7rocprim17ROCPRIM_400000_NS6detail17trampoline_kernelINS0_14default_configENS1_22reduce_config_selectorIbEEZNS1_11reduce_implILb1ES3_N6hipcub16HIPCUB_304000_NS22TransformInputIteratorIbN2at6native12_GLOBAL__N_19NonZeroOpIN3c107complexIdEEEEPKSG_lEEPiiNS8_6detail34convert_binary_result_type_wrapperINS8_3SumESK_iEEEE10hipError_tPvRmT1_T2_T3_mT4_P12ihipStream_tbEUlT_E0_NS1_11comp_targetILNS1_3genE2ELNS1_11target_archE906ELNS1_3gpuE6ELNS1_3repE0EEENS1_30default_config_static_selectorELNS0_4arch9wavefront6targetE0EEEvST_
		.amdhsa_group_segment_fixed_size 0
		.amdhsa_private_segment_fixed_size 0
		.amdhsa_kernarg_size 64
		.amdhsa_user_sgpr_count 2
		.amdhsa_user_sgpr_dispatch_ptr 0
		.amdhsa_user_sgpr_queue_ptr 0
		.amdhsa_user_sgpr_kernarg_segment_ptr 1
		.amdhsa_user_sgpr_dispatch_id 0
		.amdhsa_user_sgpr_private_segment_size 0
		.amdhsa_wavefront_size32 1
		.amdhsa_uses_dynamic_stack 0
		.amdhsa_enable_private_segment 0
		.amdhsa_system_sgpr_workgroup_id_x 1
		.amdhsa_system_sgpr_workgroup_id_y 0
		.amdhsa_system_sgpr_workgroup_id_z 0
		.amdhsa_system_sgpr_workgroup_info 0
		.amdhsa_system_vgpr_workitem_id 0
		.amdhsa_next_free_vgpr 1
		.amdhsa_next_free_sgpr 1
		.amdhsa_reserve_vcc 0
		.amdhsa_float_round_mode_32 0
		.amdhsa_float_round_mode_16_64 0
		.amdhsa_float_denorm_mode_32 3
		.amdhsa_float_denorm_mode_16_64 3
		.amdhsa_fp16_overflow 0
		.amdhsa_workgroup_processor_mode 1
		.amdhsa_memory_ordered 1
		.amdhsa_forward_progress 1
		.amdhsa_inst_pref_size 0
		.amdhsa_round_robin_scheduling 0
		.amdhsa_exception_fp_ieee_invalid_op 0
		.amdhsa_exception_fp_denorm_src 0
		.amdhsa_exception_fp_ieee_div_zero 0
		.amdhsa_exception_fp_ieee_overflow 0
		.amdhsa_exception_fp_ieee_underflow 0
		.amdhsa_exception_fp_ieee_inexact 0
		.amdhsa_exception_int_div_zero 0
	.end_amdhsa_kernel
	.section	.text._ZN7rocprim17ROCPRIM_400000_NS6detail17trampoline_kernelINS0_14default_configENS1_22reduce_config_selectorIbEEZNS1_11reduce_implILb1ES3_N6hipcub16HIPCUB_304000_NS22TransformInputIteratorIbN2at6native12_GLOBAL__N_19NonZeroOpIN3c107complexIdEEEEPKSG_lEEPiiNS8_6detail34convert_binary_result_type_wrapperINS8_3SumESK_iEEEE10hipError_tPvRmT1_T2_T3_mT4_P12ihipStream_tbEUlT_E0_NS1_11comp_targetILNS1_3genE2ELNS1_11target_archE906ELNS1_3gpuE6ELNS1_3repE0EEENS1_30default_config_static_selectorELNS0_4arch9wavefront6targetE0EEEvST_,"axG",@progbits,_ZN7rocprim17ROCPRIM_400000_NS6detail17trampoline_kernelINS0_14default_configENS1_22reduce_config_selectorIbEEZNS1_11reduce_implILb1ES3_N6hipcub16HIPCUB_304000_NS22TransformInputIteratorIbN2at6native12_GLOBAL__N_19NonZeroOpIN3c107complexIdEEEEPKSG_lEEPiiNS8_6detail34convert_binary_result_type_wrapperINS8_3SumESK_iEEEE10hipError_tPvRmT1_T2_T3_mT4_P12ihipStream_tbEUlT_E0_NS1_11comp_targetILNS1_3genE2ELNS1_11target_archE906ELNS1_3gpuE6ELNS1_3repE0EEENS1_30default_config_static_selectorELNS0_4arch9wavefront6targetE0EEEvST_,comdat
.Lfunc_end512:
	.size	_ZN7rocprim17ROCPRIM_400000_NS6detail17trampoline_kernelINS0_14default_configENS1_22reduce_config_selectorIbEEZNS1_11reduce_implILb1ES3_N6hipcub16HIPCUB_304000_NS22TransformInputIteratorIbN2at6native12_GLOBAL__N_19NonZeroOpIN3c107complexIdEEEEPKSG_lEEPiiNS8_6detail34convert_binary_result_type_wrapperINS8_3SumESK_iEEEE10hipError_tPvRmT1_T2_T3_mT4_P12ihipStream_tbEUlT_E0_NS1_11comp_targetILNS1_3genE2ELNS1_11target_archE906ELNS1_3gpuE6ELNS1_3repE0EEENS1_30default_config_static_selectorELNS0_4arch9wavefront6targetE0EEEvST_, .Lfunc_end512-_ZN7rocprim17ROCPRIM_400000_NS6detail17trampoline_kernelINS0_14default_configENS1_22reduce_config_selectorIbEEZNS1_11reduce_implILb1ES3_N6hipcub16HIPCUB_304000_NS22TransformInputIteratorIbN2at6native12_GLOBAL__N_19NonZeroOpIN3c107complexIdEEEEPKSG_lEEPiiNS8_6detail34convert_binary_result_type_wrapperINS8_3SumESK_iEEEE10hipError_tPvRmT1_T2_T3_mT4_P12ihipStream_tbEUlT_E0_NS1_11comp_targetILNS1_3genE2ELNS1_11target_archE906ELNS1_3gpuE6ELNS1_3repE0EEENS1_30default_config_static_selectorELNS0_4arch9wavefront6targetE0EEEvST_
                                        ; -- End function
	.set _ZN7rocprim17ROCPRIM_400000_NS6detail17trampoline_kernelINS0_14default_configENS1_22reduce_config_selectorIbEEZNS1_11reduce_implILb1ES3_N6hipcub16HIPCUB_304000_NS22TransformInputIteratorIbN2at6native12_GLOBAL__N_19NonZeroOpIN3c107complexIdEEEEPKSG_lEEPiiNS8_6detail34convert_binary_result_type_wrapperINS8_3SumESK_iEEEE10hipError_tPvRmT1_T2_T3_mT4_P12ihipStream_tbEUlT_E0_NS1_11comp_targetILNS1_3genE2ELNS1_11target_archE906ELNS1_3gpuE6ELNS1_3repE0EEENS1_30default_config_static_selectorELNS0_4arch9wavefront6targetE0EEEvST_.num_vgpr, 0
	.set _ZN7rocprim17ROCPRIM_400000_NS6detail17trampoline_kernelINS0_14default_configENS1_22reduce_config_selectorIbEEZNS1_11reduce_implILb1ES3_N6hipcub16HIPCUB_304000_NS22TransformInputIteratorIbN2at6native12_GLOBAL__N_19NonZeroOpIN3c107complexIdEEEEPKSG_lEEPiiNS8_6detail34convert_binary_result_type_wrapperINS8_3SumESK_iEEEE10hipError_tPvRmT1_T2_T3_mT4_P12ihipStream_tbEUlT_E0_NS1_11comp_targetILNS1_3genE2ELNS1_11target_archE906ELNS1_3gpuE6ELNS1_3repE0EEENS1_30default_config_static_selectorELNS0_4arch9wavefront6targetE0EEEvST_.num_agpr, 0
	.set _ZN7rocprim17ROCPRIM_400000_NS6detail17trampoline_kernelINS0_14default_configENS1_22reduce_config_selectorIbEEZNS1_11reduce_implILb1ES3_N6hipcub16HIPCUB_304000_NS22TransformInputIteratorIbN2at6native12_GLOBAL__N_19NonZeroOpIN3c107complexIdEEEEPKSG_lEEPiiNS8_6detail34convert_binary_result_type_wrapperINS8_3SumESK_iEEEE10hipError_tPvRmT1_T2_T3_mT4_P12ihipStream_tbEUlT_E0_NS1_11comp_targetILNS1_3genE2ELNS1_11target_archE906ELNS1_3gpuE6ELNS1_3repE0EEENS1_30default_config_static_selectorELNS0_4arch9wavefront6targetE0EEEvST_.numbered_sgpr, 0
	.set _ZN7rocprim17ROCPRIM_400000_NS6detail17trampoline_kernelINS0_14default_configENS1_22reduce_config_selectorIbEEZNS1_11reduce_implILb1ES3_N6hipcub16HIPCUB_304000_NS22TransformInputIteratorIbN2at6native12_GLOBAL__N_19NonZeroOpIN3c107complexIdEEEEPKSG_lEEPiiNS8_6detail34convert_binary_result_type_wrapperINS8_3SumESK_iEEEE10hipError_tPvRmT1_T2_T3_mT4_P12ihipStream_tbEUlT_E0_NS1_11comp_targetILNS1_3genE2ELNS1_11target_archE906ELNS1_3gpuE6ELNS1_3repE0EEENS1_30default_config_static_selectorELNS0_4arch9wavefront6targetE0EEEvST_.num_named_barrier, 0
	.set _ZN7rocprim17ROCPRIM_400000_NS6detail17trampoline_kernelINS0_14default_configENS1_22reduce_config_selectorIbEEZNS1_11reduce_implILb1ES3_N6hipcub16HIPCUB_304000_NS22TransformInputIteratorIbN2at6native12_GLOBAL__N_19NonZeroOpIN3c107complexIdEEEEPKSG_lEEPiiNS8_6detail34convert_binary_result_type_wrapperINS8_3SumESK_iEEEE10hipError_tPvRmT1_T2_T3_mT4_P12ihipStream_tbEUlT_E0_NS1_11comp_targetILNS1_3genE2ELNS1_11target_archE906ELNS1_3gpuE6ELNS1_3repE0EEENS1_30default_config_static_selectorELNS0_4arch9wavefront6targetE0EEEvST_.private_seg_size, 0
	.set _ZN7rocprim17ROCPRIM_400000_NS6detail17trampoline_kernelINS0_14default_configENS1_22reduce_config_selectorIbEEZNS1_11reduce_implILb1ES3_N6hipcub16HIPCUB_304000_NS22TransformInputIteratorIbN2at6native12_GLOBAL__N_19NonZeroOpIN3c107complexIdEEEEPKSG_lEEPiiNS8_6detail34convert_binary_result_type_wrapperINS8_3SumESK_iEEEE10hipError_tPvRmT1_T2_T3_mT4_P12ihipStream_tbEUlT_E0_NS1_11comp_targetILNS1_3genE2ELNS1_11target_archE906ELNS1_3gpuE6ELNS1_3repE0EEENS1_30default_config_static_selectorELNS0_4arch9wavefront6targetE0EEEvST_.uses_vcc, 0
	.set _ZN7rocprim17ROCPRIM_400000_NS6detail17trampoline_kernelINS0_14default_configENS1_22reduce_config_selectorIbEEZNS1_11reduce_implILb1ES3_N6hipcub16HIPCUB_304000_NS22TransformInputIteratorIbN2at6native12_GLOBAL__N_19NonZeroOpIN3c107complexIdEEEEPKSG_lEEPiiNS8_6detail34convert_binary_result_type_wrapperINS8_3SumESK_iEEEE10hipError_tPvRmT1_T2_T3_mT4_P12ihipStream_tbEUlT_E0_NS1_11comp_targetILNS1_3genE2ELNS1_11target_archE906ELNS1_3gpuE6ELNS1_3repE0EEENS1_30default_config_static_selectorELNS0_4arch9wavefront6targetE0EEEvST_.uses_flat_scratch, 0
	.set _ZN7rocprim17ROCPRIM_400000_NS6detail17trampoline_kernelINS0_14default_configENS1_22reduce_config_selectorIbEEZNS1_11reduce_implILb1ES3_N6hipcub16HIPCUB_304000_NS22TransformInputIteratorIbN2at6native12_GLOBAL__N_19NonZeroOpIN3c107complexIdEEEEPKSG_lEEPiiNS8_6detail34convert_binary_result_type_wrapperINS8_3SumESK_iEEEE10hipError_tPvRmT1_T2_T3_mT4_P12ihipStream_tbEUlT_E0_NS1_11comp_targetILNS1_3genE2ELNS1_11target_archE906ELNS1_3gpuE6ELNS1_3repE0EEENS1_30default_config_static_selectorELNS0_4arch9wavefront6targetE0EEEvST_.has_dyn_sized_stack, 0
	.set _ZN7rocprim17ROCPRIM_400000_NS6detail17trampoline_kernelINS0_14default_configENS1_22reduce_config_selectorIbEEZNS1_11reduce_implILb1ES3_N6hipcub16HIPCUB_304000_NS22TransformInputIteratorIbN2at6native12_GLOBAL__N_19NonZeroOpIN3c107complexIdEEEEPKSG_lEEPiiNS8_6detail34convert_binary_result_type_wrapperINS8_3SumESK_iEEEE10hipError_tPvRmT1_T2_T3_mT4_P12ihipStream_tbEUlT_E0_NS1_11comp_targetILNS1_3genE2ELNS1_11target_archE906ELNS1_3gpuE6ELNS1_3repE0EEENS1_30default_config_static_selectorELNS0_4arch9wavefront6targetE0EEEvST_.has_recursion, 0
	.set _ZN7rocprim17ROCPRIM_400000_NS6detail17trampoline_kernelINS0_14default_configENS1_22reduce_config_selectorIbEEZNS1_11reduce_implILb1ES3_N6hipcub16HIPCUB_304000_NS22TransformInputIteratorIbN2at6native12_GLOBAL__N_19NonZeroOpIN3c107complexIdEEEEPKSG_lEEPiiNS8_6detail34convert_binary_result_type_wrapperINS8_3SumESK_iEEEE10hipError_tPvRmT1_T2_T3_mT4_P12ihipStream_tbEUlT_E0_NS1_11comp_targetILNS1_3genE2ELNS1_11target_archE906ELNS1_3gpuE6ELNS1_3repE0EEENS1_30default_config_static_selectorELNS0_4arch9wavefront6targetE0EEEvST_.has_indirect_call, 0
	.section	.AMDGPU.csdata,"",@progbits
; Kernel info:
; codeLenInByte = 0
; TotalNumSgprs: 0
; NumVgprs: 0
; ScratchSize: 0
; MemoryBound: 0
; FloatMode: 240
; IeeeMode: 1
; LDSByteSize: 0 bytes/workgroup (compile time only)
; SGPRBlocks: 0
; VGPRBlocks: 0
; NumSGPRsForWavesPerEU: 1
; NumVGPRsForWavesPerEU: 1
; Occupancy: 16
; WaveLimiterHint : 0
; COMPUTE_PGM_RSRC2:SCRATCH_EN: 0
; COMPUTE_PGM_RSRC2:USER_SGPR: 2
; COMPUTE_PGM_RSRC2:TRAP_HANDLER: 0
; COMPUTE_PGM_RSRC2:TGID_X_EN: 1
; COMPUTE_PGM_RSRC2:TGID_Y_EN: 0
; COMPUTE_PGM_RSRC2:TGID_Z_EN: 0
; COMPUTE_PGM_RSRC2:TIDIG_COMP_CNT: 0
	.section	.text._ZN7rocprim17ROCPRIM_400000_NS6detail17trampoline_kernelINS0_14default_configENS1_22reduce_config_selectorIbEEZNS1_11reduce_implILb1ES3_N6hipcub16HIPCUB_304000_NS22TransformInputIteratorIbN2at6native12_GLOBAL__N_19NonZeroOpIN3c107complexIdEEEEPKSG_lEEPiiNS8_6detail34convert_binary_result_type_wrapperINS8_3SumESK_iEEEE10hipError_tPvRmT1_T2_T3_mT4_P12ihipStream_tbEUlT_E0_NS1_11comp_targetILNS1_3genE10ELNS1_11target_archE1201ELNS1_3gpuE5ELNS1_3repE0EEENS1_30default_config_static_selectorELNS0_4arch9wavefront6targetE0EEEvST_,"axG",@progbits,_ZN7rocprim17ROCPRIM_400000_NS6detail17trampoline_kernelINS0_14default_configENS1_22reduce_config_selectorIbEEZNS1_11reduce_implILb1ES3_N6hipcub16HIPCUB_304000_NS22TransformInputIteratorIbN2at6native12_GLOBAL__N_19NonZeroOpIN3c107complexIdEEEEPKSG_lEEPiiNS8_6detail34convert_binary_result_type_wrapperINS8_3SumESK_iEEEE10hipError_tPvRmT1_T2_T3_mT4_P12ihipStream_tbEUlT_E0_NS1_11comp_targetILNS1_3genE10ELNS1_11target_archE1201ELNS1_3gpuE5ELNS1_3repE0EEENS1_30default_config_static_selectorELNS0_4arch9wavefront6targetE0EEEvST_,comdat
	.globl	_ZN7rocprim17ROCPRIM_400000_NS6detail17trampoline_kernelINS0_14default_configENS1_22reduce_config_selectorIbEEZNS1_11reduce_implILb1ES3_N6hipcub16HIPCUB_304000_NS22TransformInputIteratorIbN2at6native12_GLOBAL__N_19NonZeroOpIN3c107complexIdEEEEPKSG_lEEPiiNS8_6detail34convert_binary_result_type_wrapperINS8_3SumESK_iEEEE10hipError_tPvRmT1_T2_T3_mT4_P12ihipStream_tbEUlT_E0_NS1_11comp_targetILNS1_3genE10ELNS1_11target_archE1201ELNS1_3gpuE5ELNS1_3repE0EEENS1_30default_config_static_selectorELNS0_4arch9wavefront6targetE0EEEvST_ ; -- Begin function _ZN7rocprim17ROCPRIM_400000_NS6detail17trampoline_kernelINS0_14default_configENS1_22reduce_config_selectorIbEEZNS1_11reduce_implILb1ES3_N6hipcub16HIPCUB_304000_NS22TransformInputIteratorIbN2at6native12_GLOBAL__N_19NonZeroOpIN3c107complexIdEEEEPKSG_lEEPiiNS8_6detail34convert_binary_result_type_wrapperINS8_3SumESK_iEEEE10hipError_tPvRmT1_T2_T3_mT4_P12ihipStream_tbEUlT_E0_NS1_11comp_targetILNS1_3genE10ELNS1_11target_archE1201ELNS1_3gpuE5ELNS1_3repE0EEENS1_30default_config_static_selectorELNS0_4arch9wavefront6targetE0EEEvST_
	.p2align	8
	.type	_ZN7rocprim17ROCPRIM_400000_NS6detail17trampoline_kernelINS0_14default_configENS1_22reduce_config_selectorIbEEZNS1_11reduce_implILb1ES3_N6hipcub16HIPCUB_304000_NS22TransformInputIteratorIbN2at6native12_GLOBAL__N_19NonZeroOpIN3c107complexIdEEEEPKSG_lEEPiiNS8_6detail34convert_binary_result_type_wrapperINS8_3SumESK_iEEEE10hipError_tPvRmT1_T2_T3_mT4_P12ihipStream_tbEUlT_E0_NS1_11comp_targetILNS1_3genE10ELNS1_11target_archE1201ELNS1_3gpuE5ELNS1_3repE0EEENS1_30default_config_static_selectorELNS0_4arch9wavefront6targetE0EEEvST_,@function
_ZN7rocprim17ROCPRIM_400000_NS6detail17trampoline_kernelINS0_14default_configENS1_22reduce_config_selectorIbEEZNS1_11reduce_implILb1ES3_N6hipcub16HIPCUB_304000_NS22TransformInputIteratorIbN2at6native12_GLOBAL__N_19NonZeroOpIN3c107complexIdEEEEPKSG_lEEPiiNS8_6detail34convert_binary_result_type_wrapperINS8_3SumESK_iEEEE10hipError_tPvRmT1_T2_T3_mT4_P12ihipStream_tbEUlT_E0_NS1_11comp_targetILNS1_3genE10ELNS1_11target_archE1201ELNS1_3gpuE5ELNS1_3repE0EEENS1_30default_config_static_selectorELNS0_4arch9wavefront6targetE0EEEvST_: ; @_ZN7rocprim17ROCPRIM_400000_NS6detail17trampoline_kernelINS0_14default_configENS1_22reduce_config_selectorIbEEZNS1_11reduce_implILb1ES3_N6hipcub16HIPCUB_304000_NS22TransformInputIteratorIbN2at6native12_GLOBAL__N_19NonZeroOpIN3c107complexIdEEEEPKSG_lEEPiiNS8_6detail34convert_binary_result_type_wrapperINS8_3SumESK_iEEEE10hipError_tPvRmT1_T2_T3_mT4_P12ihipStream_tbEUlT_E0_NS1_11comp_targetILNS1_3genE10ELNS1_11target_archE1201ELNS1_3gpuE5ELNS1_3repE0EEENS1_30default_config_static_selectorELNS0_4arch9wavefront6targetE0EEEvST_
; %bb.0:
	s_clause 0x2
	s_load_b256 s[36:43], s[0:1], 0x10
	s_load_b64 s[2:3], s[0:1], 0x0
	s_load_b64 s[44:45], s[0:1], 0x30
	s_lshl_b32 s46, ttmp9, 12
	s_mov_b32 s47, 0
	v_mbcnt_lo_u32_b32 v18, -1, 0
	v_lshlrev_b32_e32 v19, 4, v0
	s_mov_b32 s34, ttmp9
	s_mov_b32 s35, s47
	s_wait_kmcnt 0x0
	s_lshl_b64 s[4:5], s[36:37], 4
	s_lshr_b64 s[6:7], s[38:39], 12
	s_add_nc_u64 s[2:3], s[2:3], s[4:5]
	s_lshl_b64 s[4:5], s[46:47], 4
	s_cmp_lg_u64 s[6:7], s[34:35]
	s_add_nc_u64 s[36:37], s[2:3], s[4:5]
	s_cbranch_scc0 .LBB513_6
; %bb.1:
	s_clause 0xf
	global_load_b128 v[1:4], v19, s[36:37]
	global_load_b128 v[5:8], v19, s[36:37] offset:8192
	global_load_b128 v[9:12], v19, s[36:37] offset:4096
	;; [unrolled: 1-line block ×15, first 2 shown]
	s_wait_loadcnt 0xf
	v_cmp_neq_f64_e32 vcc_lo, 0, v[1:2]
	v_cmp_neq_f64_e64 s2, 0, v[3:4]
	s_wait_loadcnt 0xe
	v_cmp_neq_f64_e64 s3, 0, v[5:6]
	v_cmp_neq_f64_e64 s4, 0, v[7:8]
	s_wait_loadcnt 0xd
	v_cmp_neq_f64_e64 s5, 0, v[9:10]
	;; [unrolled: 3-line block ×15, first 2 shown]
	v_cmp_neq_f64_e64 s33, 0, v[66:67]
	s_or_b32 s2, vcc_lo, s2
	s_delay_alu instid0(SALU_CYCLE_1)
	v_cndmask_b32_e64 v1, 0, 1, s2
	s_or_b32 s2, s3, s4
	s_or_b32 vcc_lo, s5, s6
	s_wait_alu 0xfffe
	v_cndmask_b32_e64 v2, 0, 1, s2
	s_or_b32 s2, s7, s8
	v_add_co_ci_u32_e64 v1, null, 0, v1, vcc_lo
	s_or_b32 vcc_lo, s9, s10
	s_wait_alu 0xfffe
	v_cndmask_b32_e64 v3, 0, 1, s2
	s_or_b32 s2, s11, s12
	v_add_co_ci_u32_e64 v1, null, v1, v2, vcc_lo
	;; [unrolled: 5-line block ×6, first 2 shown]
	s_or_b32 vcc_lo, s29, s30
	s_wait_alu 0xfffe
	v_cndmask_b32_e64 v2, 0, 1, s2
	s_mov_b32 s2, exec_lo
	v_add_co_ci_u32_e64 v1, null, v1, v3, vcc_lo
	s_or_b32 vcc_lo, s31, s33
	s_wait_alu 0xfffe
	v_add_co_ci_u32_e64 v1, null, v1, v2, vcc_lo
	s_delay_alu instid0(VALU_DEP_1) | instskip(NEXT) | instid1(VALU_DEP_1)
	v_mov_b32_dpp v2, v1 quad_perm:[1,0,3,2] row_mask:0xf bank_mask:0xf
	v_add_nc_u32_e32 v1, v1, v2
	s_delay_alu instid0(VALU_DEP_1) | instskip(NEXT) | instid1(VALU_DEP_1)
	v_mov_b32_dpp v2, v1 quad_perm:[2,3,0,1] row_mask:0xf bank_mask:0xf
	v_add_nc_u32_e32 v1, v1, v2
	s_delay_alu instid0(VALU_DEP_1) | instskip(NEXT) | instid1(VALU_DEP_1)
	v_mov_b32_dpp v2, v1 row_ror:4 row_mask:0xf bank_mask:0xf
	v_add_nc_u32_e32 v1, v1, v2
	s_delay_alu instid0(VALU_DEP_1) | instskip(NEXT) | instid1(VALU_DEP_1)
	v_mov_b32_dpp v2, v1 row_ror:8 row_mask:0xf bank_mask:0xf
	v_add_nc_u32_e32 v1, v1, v2
	ds_swizzle_b32 v2, v1 offset:swizzle(BROADCAST,32,15)
	s_wait_dscnt 0x0
	v_dual_mov_b32 v2, 0 :: v_dual_add_nc_u32 v1, v1, v2
	ds_bpermute_b32 v1, v2, v1 offset:124
	v_cmpx_eq_u32_e32 0, v18
	s_cbranch_execz .LBB513_3
; %bb.2:
	v_lshrrev_b32_e32 v2, 3, v0
	s_delay_alu instid0(VALU_DEP_1)
	v_and_b32_e32 v2, 28, v2
	s_wait_dscnt 0x0
	ds_store_b32 v2, v1
.LBB513_3:
	s_or_b32 exec_lo, exec_lo, s2
	s_delay_alu instid0(SALU_CYCLE_1)
	s_mov_b32 s2, exec_lo
	s_wait_dscnt 0x0
	s_barrier_signal -1
	s_barrier_wait -1
	global_inv scope:SCOPE_SE
	v_cmpx_gt_u32_e32 32, v0
	s_cbranch_execz .LBB513_5
; %bb.4:
	v_and_b32_e32 v1, 7, v18
	s_delay_alu instid0(VALU_DEP_1)
	v_lshlrev_b32_e32 v2, 2, v1
	v_cmp_ne_u32_e32 vcc_lo, 7, v1
	ds_load_b32 v2, v2
	s_wait_alu 0xfffd
	v_add_co_ci_u32_e64 v3, null, 0, v18, vcc_lo
	v_cmp_gt_u32_e32 vcc_lo, 6, v1
	s_delay_alu instid0(VALU_DEP_2) | instskip(SKIP_2) | instid1(VALU_DEP_1)
	v_lshlrev_b32_e32 v3, 2, v3
	s_wait_alu 0xfffd
	v_cndmask_b32_e64 v1, 0, 2, vcc_lo
	v_add_lshl_u32 v1, v1, v18, 2
	s_wait_dscnt 0x0
	ds_bpermute_b32 v3, v3, v2
	s_wait_dscnt 0x0
	v_add_nc_u32_e32 v2, v3, v2
	v_lshlrev_b32_e32 v3, 2, v18
	ds_bpermute_b32 v1, v1, v2
	s_wait_dscnt 0x0
	v_add_nc_u32_e32 v1, v1, v2
	v_or_b32_e32 v2, 16, v3
	ds_bpermute_b32 v2, v2, v1
	s_wait_dscnt 0x0
	v_add_nc_u32_e32 v1, v2, v1
.LBB513_5:
	s_wait_alu 0xfffe
	s_or_b32 exec_lo, exec_lo, s2
	s_branch .LBB513_44
.LBB513_6:
                                        ; implicit-def: $vgpr1
	s_cbranch_execz .LBB513_44
; %bb.7:
	v_mov_b32_e32 v1, 0
	s_sub_co_i32 s18, s38, s46
	s_mov_b32 s3, exec_lo
	s_delay_alu instid0(VALU_DEP_1)
	v_dual_mov_b32 v2, v1 :: v_dual_mov_b32 v3, v1
	v_dual_mov_b32 v4, v1 :: v_dual_mov_b32 v5, v1
	;; [unrolled: 1-line block ×7, first 2 shown]
	v_mov_b32_e32 v16, v1
	v_cmpx_gt_u32_e64 s18, v0
	s_cbranch_execz .LBB513_9
; %bb.8:
	global_load_b128 v[2:5], v19, s[36:37]
	v_dual_mov_b32 v7, v1 :: v_dual_mov_b32 v8, v1
	v_dual_mov_b32 v9, v1 :: v_dual_mov_b32 v10, v1
	v_dual_mov_b32 v11, v1 :: v_dual_mov_b32 v12, v1
	v_dual_mov_b32 v13, v1 :: v_dual_mov_b32 v14, v1
	v_dual_mov_b32 v15, v1 :: v_dual_mov_b32 v16, v1
	v_dual_mov_b32 v6, v1 :: v_dual_mov_b32 v17, v1
	s_wait_loadcnt 0x0
	v_cmp_neq_f64_e32 vcc_lo, 0, v[2:3]
	v_cmp_neq_f64_e64 s2, 0, v[4:5]
	v_dual_mov_b32 v3, v1 :: v_dual_mov_b32 v4, v1
	v_mov_b32_e32 v5, v1
	s_or_b32 s2, vcc_lo, s2
	s_delay_alu instid0(SALU_CYCLE_1) | instskip(NEXT) | instid1(VALU_DEP_1)
	v_cndmask_b32_e64 v2, 0, 1, s2
	v_and_b32_e32 v2, 0xffff, v2
	s_delay_alu instid0(VALU_DEP_1)
	v_mov_b32_e32 v1, v2
	v_mov_b32_e32 v2, v3
	v_mov_b32_e32 v3, v4
	v_mov_b32_e32 v4, v5
	v_mov_b32_e32 v5, v6
	v_mov_b32_e32 v6, v7
	v_mov_b32_e32 v7, v8
	v_mov_b32_e32 v8, v9
	v_mov_b32_e32 v9, v10
	v_mov_b32_e32 v10, v11
	v_mov_b32_e32 v11, v12
	v_mov_b32_e32 v12, v13
	v_mov_b32_e32 v13, v14
	v_mov_b32_e32 v14, v15
	v_mov_b32_e32 v15, v16
	v_mov_b32_e32 v16, v17
.LBB513_9:
	s_or_b32 exec_lo, exec_lo, s3
	v_or_b32_e32 v17, 0x100, v0
	s_delay_alu instid0(VALU_DEP_1)
	v_cmp_gt_u32_e32 vcc_lo, s18, v17
	s_and_saveexec_b32 s4, vcc_lo
	s_cbranch_execz .LBB513_11
; %bb.10:
	global_load_b128 v[20:23], v19, s[36:37] offset:4096
	s_wait_loadcnt 0x0
	v_cmp_neq_f64_e64 s2, 0, v[20:21]
	v_cmp_neq_f64_e64 s3, 0, v[22:23]
	s_or_b32 s2, s2, s3
	s_wait_alu 0xfffe
	v_cndmask_b32_e64 v2, 0, 1, s2
.LBB513_11:
	s_or_b32 exec_lo, exec_lo, s4
	v_or_b32_e32 v17, 0x200, v0
	s_delay_alu instid0(VALU_DEP_1)
	v_cmp_gt_u32_e64 s2, s18, v17
	s_and_saveexec_b32 s5, s2
	s_cbranch_execz .LBB513_13
; %bb.12:
	global_load_b128 v[20:23], v19, s[36:37] offset:8192
	s_wait_loadcnt 0x0
	v_cmp_neq_f64_e64 s3, 0, v[20:21]
	v_cmp_neq_f64_e64 s4, 0, v[22:23]
	s_or_b32 s3, s3, s4
	s_wait_alu 0xfffe
	v_cndmask_b32_e64 v3, 0, 1, s3
.LBB513_13:
	s_or_b32 exec_lo, exec_lo, s5
	v_or_b32_e32 v17, 0x300, v0
	s_delay_alu instid0(VALU_DEP_1)
	v_cmp_gt_u32_e64 s3, s18, v17
	s_and_saveexec_b32 s6, s3
	s_cbranch_execz .LBB513_15
; %bb.14:
	global_load_b128 v[20:23], v19, s[36:37] offset:12288
	s_wait_loadcnt 0x0
	v_cmp_neq_f64_e64 s4, 0, v[20:21]
	v_cmp_neq_f64_e64 s5, 0, v[22:23]
	s_or_b32 s4, s4, s5
	s_delay_alu instid0(SALU_CYCLE_1)
	v_cndmask_b32_e64 v4, 0, 1, s4
.LBB513_15:
	s_or_b32 exec_lo, exec_lo, s6
	v_or_b32_e32 v17, 0x400, v0
	s_delay_alu instid0(VALU_DEP_1)
	v_cmp_gt_u32_e64 s4, s18, v17
	s_and_saveexec_b32 s7, s4
	s_cbranch_execz .LBB513_17
; %bb.16:
	global_load_b128 v[20:23], v19, s[36:37] offset:16384
	s_wait_loadcnt 0x0
	v_cmp_neq_f64_e64 s5, 0, v[20:21]
	v_cmp_neq_f64_e64 s6, 0, v[22:23]
	s_or_b32 s5, s5, s6
	s_wait_alu 0xfffe
	v_cndmask_b32_e64 v5, 0, 1, s5
.LBB513_17:
	s_or_b32 exec_lo, exec_lo, s7
	v_or_b32_e32 v17, 0x500, v0
	s_delay_alu instid0(VALU_DEP_1)
	v_cmp_gt_u32_e64 s5, s18, v17
	s_and_saveexec_b32 s8, s5
	s_cbranch_execz .LBB513_19
; %bb.18:
	global_load_b128 v[20:23], v19, s[36:37] offset:20480
	s_wait_loadcnt 0x0
	v_cmp_neq_f64_e64 s6, 0, v[20:21]
	v_cmp_neq_f64_e64 s7, 0, v[22:23]
	s_or_b32 s6, s6, s7
	s_delay_alu instid0(SALU_CYCLE_1)
	v_cndmask_b32_e64 v6, 0, 1, s6
.LBB513_19:
	s_or_b32 exec_lo, exec_lo, s8
	v_or_b32_e32 v17, 0x600, v0
	s_delay_alu instid0(VALU_DEP_1)
	v_cmp_gt_u32_e64 s6, s18, v17
	s_and_saveexec_b32 s9, s6
	s_cbranch_execz .LBB513_21
; %bb.20:
	global_load_b128 v[20:23], v19, s[36:37] offset:24576
	s_wait_loadcnt 0x0
	v_cmp_neq_f64_e64 s7, 0, v[20:21]
	v_cmp_neq_f64_e64 s8, 0, v[22:23]
	s_or_b32 s7, s7, s8
	s_wait_alu 0xfffe
	v_cndmask_b32_e64 v7, 0, 1, s7
.LBB513_21:
	s_or_b32 exec_lo, exec_lo, s9
	v_or_b32_e32 v17, 0x700, v0
	s_delay_alu instid0(VALU_DEP_1)
	v_cmp_gt_u32_e64 s7, s18, v17
	s_and_saveexec_b32 s10, s7
	s_cbranch_execz .LBB513_23
; %bb.22:
	global_load_b128 v[20:23], v19, s[36:37] offset:28672
	s_wait_loadcnt 0x0
	v_cmp_neq_f64_e64 s8, 0, v[20:21]
	v_cmp_neq_f64_e64 s9, 0, v[22:23]
	s_or_b32 s8, s8, s9
	s_delay_alu instid0(SALU_CYCLE_1)
	v_cndmask_b32_e64 v8, 0, 1, s8
.LBB513_23:
	s_or_b32 exec_lo, exec_lo, s10
	v_or_b32_e32 v17, 0x800, v0
	s_delay_alu instid0(VALU_DEP_1)
	v_cmp_gt_u32_e64 s8, s18, v17
	s_and_saveexec_b32 s11, s8
	s_cbranch_execz .LBB513_25
; %bb.24:
	global_load_b128 v[20:23], v19, s[36:37] offset:32768
	s_wait_loadcnt 0x0
	v_cmp_neq_f64_e64 s9, 0, v[20:21]
	v_cmp_neq_f64_e64 s10, 0, v[22:23]
	s_or_b32 s9, s9, s10
	s_wait_alu 0xfffe
	v_cndmask_b32_e64 v9, 0, 1, s9
.LBB513_25:
	s_or_b32 exec_lo, exec_lo, s11
	v_or_b32_e32 v17, 0x900, v0
	s_delay_alu instid0(VALU_DEP_1)
	v_cmp_gt_u32_e64 s9, s18, v17
	s_and_saveexec_b32 s12, s9
	s_cbranch_execz .LBB513_27
; %bb.26:
	global_load_b128 v[20:23], v19, s[36:37] offset:36864
	s_wait_loadcnt 0x0
	v_cmp_neq_f64_e64 s10, 0, v[20:21]
	v_cmp_neq_f64_e64 s11, 0, v[22:23]
	s_or_b32 s10, s10, s11
	s_delay_alu instid0(SALU_CYCLE_1)
	v_cndmask_b32_e64 v10, 0, 1, s10
.LBB513_27:
	s_or_b32 exec_lo, exec_lo, s12
	v_or_b32_e32 v17, 0xa00, v0
	s_delay_alu instid0(VALU_DEP_1)
	v_cmp_gt_u32_e64 s10, s18, v17
	s_and_saveexec_b32 s13, s10
	s_cbranch_execz .LBB513_29
; %bb.28:
	global_load_b128 v[20:23], v19, s[36:37] offset:40960
	s_wait_loadcnt 0x0
	v_cmp_neq_f64_e64 s11, 0, v[20:21]
	v_cmp_neq_f64_e64 s12, 0, v[22:23]
	s_or_b32 s11, s11, s12
	s_wait_alu 0xfffe
	v_cndmask_b32_e64 v11, 0, 1, s11
.LBB513_29:
	s_or_b32 exec_lo, exec_lo, s13
	v_or_b32_e32 v17, 0xb00, v0
	s_delay_alu instid0(VALU_DEP_1)
	v_cmp_gt_u32_e64 s11, s18, v17
	s_and_saveexec_b32 s14, s11
	s_cbranch_execz .LBB513_31
; %bb.30:
	global_load_b128 v[20:23], v19, s[36:37] offset:45056
	s_wait_loadcnt 0x0
	v_cmp_neq_f64_e64 s12, 0, v[20:21]
	v_cmp_neq_f64_e64 s13, 0, v[22:23]
	s_or_b32 s12, s12, s13
	s_delay_alu instid0(SALU_CYCLE_1)
	v_cndmask_b32_e64 v12, 0, 1, s12
.LBB513_31:
	s_or_b32 exec_lo, exec_lo, s14
	v_or_b32_e32 v17, 0xc00, v0
	s_delay_alu instid0(VALU_DEP_1)
	v_cmp_gt_u32_e64 s12, s18, v17
	s_and_saveexec_b32 s15, s12
	s_cbranch_execz .LBB513_33
; %bb.32:
	global_load_b128 v[20:23], v19, s[36:37] offset:49152
	s_wait_loadcnt 0x0
	v_cmp_neq_f64_e64 s13, 0, v[20:21]
	v_cmp_neq_f64_e64 s14, 0, v[22:23]
	s_or_b32 s13, s13, s14
	s_wait_alu 0xfffe
	v_cndmask_b32_e64 v13, 0, 1, s13
.LBB513_33:
	s_or_b32 exec_lo, exec_lo, s15
	v_or_b32_e32 v17, 0xd00, v0
	s_delay_alu instid0(VALU_DEP_1)
	v_cmp_gt_u32_e64 s13, s18, v17
	s_and_saveexec_b32 s16, s13
	s_cbranch_execz .LBB513_35
; %bb.34:
	global_load_b128 v[20:23], v19, s[36:37] offset:53248
	s_wait_loadcnt 0x0
	v_cmp_neq_f64_e64 s14, 0, v[20:21]
	v_cmp_neq_f64_e64 s15, 0, v[22:23]
	s_or_b32 s14, s14, s15
	s_delay_alu instid0(SALU_CYCLE_1)
	v_cndmask_b32_e64 v14, 0, 1, s14
.LBB513_35:
	s_or_b32 exec_lo, exec_lo, s16
	v_or_b32_e32 v17, 0xe00, v0
	s_delay_alu instid0(VALU_DEP_1)
	v_cmp_gt_u32_e64 s14, s18, v17
	s_and_saveexec_b32 s17, s14
	s_cbranch_execz .LBB513_37
; %bb.36:
	global_load_b128 v[20:23], v19, s[36:37] offset:57344
	s_wait_loadcnt 0x0
	v_cmp_neq_f64_e64 s15, 0, v[20:21]
	v_cmp_neq_f64_e64 s16, 0, v[22:23]
	s_or_b32 s15, s15, s16
	s_wait_alu 0xfffe
	v_cndmask_b32_e64 v15, 0, 1, s15
.LBB513_37:
	s_or_b32 exec_lo, exec_lo, s17
	v_or_b32_e32 v17, 0xf00, v0
	s_delay_alu instid0(VALU_DEP_1)
	v_cmp_gt_u32_e64 s15, s18, v17
	s_and_saveexec_b32 s19, s15
	s_cbranch_execz .LBB513_39
; %bb.38:
	global_load_b128 v[19:22], v19, s[36:37] offset:61440
	s_wait_loadcnt 0x0
	v_cmp_neq_f64_e64 s16, 0, v[19:20]
	v_cmp_neq_f64_e64 s17, 0, v[21:22]
	s_or_b32 s16, s16, s17
	s_delay_alu instid0(SALU_CYCLE_1)
	v_cndmask_b32_e64 v16, 0, 1, s16
.LBB513_39:
	s_wait_alu 0xfffe
	s_or_b32 exec_lo, exec_lo, s19
	v_cndmask_b32_e32 v2, 0, v2, vcc_lo
	v_cndmask_b32_e64 v3, 0, v3, s2
	v_cndmask_b32_e64 v4, 0, v4, s3
	v_cmp_ne_u32_e32 vcc_lo, 31, v18
	s_min_u32 s2, s18, 0x100
	v_add_nc_u32_e32 v1, v2, v1
	v_cndmask_b32_e64 v2, 0, v5, s4
	v_cndmask_b32_e64 v5, 0, v6, s5
	;; [unrolled: 1-line block ×3, first 2 shown]
	s_mov_b32 s3, exec_lo
	v_add3_u32 v1, v1, v3, v4
	v_cndmask_b32_e64 v3, 0, v7, s6
	v_cndmask_b32_e64 v4, 0, v8, s7
	s_delay_alu instid0(VALU_DEP_3) | instskip(SKIP_2) | instid1(VALU_DEP_3)
	v_add3_u32 v1, v1, v2, v5
	v_cndmask_b32_e64 v2, 0, v9, s8
	v_cndmask_b32_e64 v5, 0, v10, s9
	v_add3_u32 v1, v1, v3, v4
	v_cndmask_b32_e64 v3, 0, v11, s10
	v_cndmask_b32_e64 v4, 0, v12, s11
	s_delay_alu instid0(VALU_DEP_3) | instskip(SKIP_2) | instid1(VALU_DEP_3)
	v_add3_u32 v1, v1, v2, v5
	v_cndmask_b32_e64 v2, 0, v13, s12
	v_cndmask_b32_e64 v5, 0, v14, s13
	v_add3_u32 v1, v1, v3, v4
	v_cndmask_b32_e64 v3, 0, v16, s15
	s_wait_alu 0xfffd
	v_add_co_ci_u32_e64 v4, null, 0, v18, vcc_lo
	v_cmp_gt_u32_e32 vcc_lo, 30, v18
	v_add3_u32 v1, v1, v2, v5
	s_delay_alu instid0(VALU_DEP_3)
	v_lshlrev_b32_e32 v2, 2, v4
	v_add_nc_u32_e32 v4, 1, v18
	s_wait_alu 0xfffd
	v_cndmask_b32_e64 v5, 0, 2, vcc_lo
	v_add3_u32 v1, v1, v6, v3
	v_and_b32_e32 v3, 0xe0, v0
	ds_bpermute_b32 v2, v2, v1
	s_wait_alu 0xfffe
	v_sub_nc_u32_e64 v3, s2, v3 clamp
	s_delay_alu instid0(VALU_DEP_1)
	v_cmp_lt_u32_e32 vcc_lo, v4, v3
	v_add_lshl_u32 v4, v5, v18, 2
	s_wait_dscnt 0x0
	s_wait_alu 0xfffd
	v_cndmask_b32_e32 v2, 0, v2, vcc_lo
	v_cmp_gt_u32_e32 vcc_lo, 28, v18
	s_delay_alu instid0(VALU_DEP_2) | instskip(SKIP_4) | instid1(VALU_DEP_1)
	v_add_nc_u32_e32 v1, v1, v2
	s_wait_alu 0xfffd
	v_cndmask_b32_e64 v5, 0, 4, vcc_lo
	ds_bpermute_b32 v2, v4, v1
	v_add_nc_u32_e32 v4, 2, v18
	v_cmp_lt_u32_e32 vcc_lo, v4, v3
	v_add_lshl_u32 v4, v5, v18, 2
	s_wait_dscnt 0x0
	s_wait_alu 0xfffd
	v_cndmask_b32_e32 v2, 0, v2, vcc_lo
	v_cmp_gt_u32_e32 vcc_lo, 24, v18
	s_delay_alu instid0(VALU_DEP_2) | instskip(SKIP_4) | instid1(VALU_DEP_1)
	v_add_nc_u32_e32 v1, v1, v2
	s_wait_alu 0xfffd
	v_cndmask_b32_e64 v5, 0, 8, vcc_lo
	ds_bpermute_b32 v2, v4, v1
	v_add_nc_u32_e32 v4, 4, v18
	v_cmp_lt_u32_e32 vcc_lo, v4, v3
	v_add_lshl_u32 v4, v5, v18, 2
	v_add_nc_u32_e32 v5, 8, v18
	s_wait_dscnt 0x0
	s_wait_alu 0xfffd
	v_cndmask_b32_e32 v2, 0, v2, vcc_lo
	s_delay_alu instid0(VALU_DEP_2) | instskip(NEXT) | instid1(VALU_DEP_2)
	v_cmp_lt_u32_e32 vcc_lo, v5, v3
	v_add_nc_u32_e32 v1, v1, v2
	v_lshlrev_b32_e32 v2, 2, v18
	ds_bpermute_b32 v4, v4, v1
	v_or_b32_e32 v5, 64, v2
	s_wait_dscnt 0x0
	s_wait_alu 0xfffd
	v_cndmask_b32_e32 v4, 0, v4, vcc_lo
	s_delay_alu instid0(VALU_DEP_1) | instskip(SKIP_2) | instid1(VALU_DEP_1)
	v_add_nc_u32_e32 v1, v1, v4
	ds_bpermute_b32 v4, v5, v1
	v_add_nc_u32_e32 v5, 16, v18
	v_cmp_lt_u32_e32 vcc_lo, v5, v3
	s_wait_dscnt 0x0
	s_wait_alu 0xfffd
	v_cndmask_b32_e32 v3, 0, v4, vcc_lo
	s_delay_alu instid0(VALU_DEP_1)
	v_add_nc_u32_e32 v1, v1, v3
	v_cmpx_eq_u32_e32 0, v18
; %bb.40:
	v_lshrrev_b32_e32 v3, 3, v0
	s_delay_alu instid0(VALU_DEP_1)
	v_and_b32_e32 v3, 28, v3
	ds_store_b32 v3, v1 offset:32
; %bb.41:
	s_or_b32 exec_lo, exec_lo, s3
	s_delay_alu instid0(SALU_CYCLE_1)
	s_mov_b32 s3, exec_lo
	s_wait_loadcnt_dscnt 0x0
	s_barrier_signal -1
	s_barrier_wait -1
	global_inv scope:SCOPE_SE
	v_cmpx_gt_u32_e32 8, v0
	s_cbranch_execz .LBB513_43
; %bb.42:
	ds_load_b32 v1, v2 offset:32
	v_and_b32_e32 v3, 7, v18
	s_add_co_i32 s2, s2, 31
	v_or_b32_e32 v2, 16, v2
	s_wait_alu 0xfffe
	s_lshr_b32 s2, s2, 5
	v_cmp_ne_u32_e32 vcc_lo, 7, v3
	v_add_nc_u32_e32 v5, 1, v3
	s_wait_alu 0xfffd
	v_add_co_ci_u32_e64 v4, null, 0, v18, vcc_lo
	v_cmp_gt_u32_e32 vcc_lo, 6, v3
	s_delay_alu instid0(VALU_DEP_2)
	v_lshlrev_b32_e32 v4, 2, v4
	s_wait_alu 0xfffd
	v_cndmask_b32_e64 v6, 0, 2, vcc_lo
	s_wait_alu 0xfffe
	v_cmp_gt_u32_e32 vcc_lo, s2, v5
	s_wait_dscnt 0x0
	ds_bpermute_b32 v4, v4, v1
	v_add_lshl_u32 v5, v6, v18, 2
	s_wait_dscnt 0x0
	s_wait_alu 0xfffd
	v_cndmask_b32_e32 v4, 0, v4, vcc_lo
	s_delay_alu instid0(VALU_DEP_1) | instskip(SKIP_3) | instid1(VALU_DEP_2)
	v_add_nc_u32_e32 v1, v4, v1
	ds_bpermute_b32 v4, v5, v1
	v_add_nc_u32_e32 v5, 2, v3
	v_add_nc_u32_e32 v3, 4, v3
	v_cmp_gt_u32_e32 vcc_lo, s2, v5
	s_wait_dscnt 0x0
	s_wait_alu 0xfffd
	v_cndmask_b32_e32 v4, 0, v4, vcc_lo
	v_cmp_gt_u32_e32 vcc_lo, s2, v3
	s_delay_alu instid0(VALU_DEP_2) | instskip(SKIP_4) | instid1(VALU_DEP_1)
	v_add_nc_u32_e32 v1, v1, v4
	ds_bpermute_b32 v2, v2, v1
	s_wait_dscnt 0x0
	s_wait_alu 0xfffd
	v_cndmask_b32_e32 v2, 0, v2, vcc_lo
	v_add_nc_u32_e32 v1, v1, v2
.LBB513_43:
	s_wait_alu 0xfffe
	s_or_b32 exec_lo, exec_lo, s3
.LBB513_44:
	s_load_b32 s0, s[0:1], 0x38
	s_mov_b32 s1, exec_lo
	v_cmpx_eq_u32_e32 0, v0
	s_cbranch_execz .LBB513_46
; %bb.45:
	s_mul_u64 s[2:3], s[44:45], s[42:43]
	s_wait_alu 0xfffe
	s_lshl_b64 s[2:3], s[2:3], 2
	s_cmp_eq_u64 s[38:39], 0
	s_wait_alu 0xfffe
	s_add_nc_u64 s[2:3], s[40:41], s[2:3]
	s_cselect_b32 s1, -1, 0
	s_wait_kmcnt 0x0
	v_cndmask_b32_e64 v0, v1, s0, s1
	v_mov_b32_e32 v1, 0
	s_lshl_b64 s[0:1], s[34:35], 2
	s_wait_alu 0xfffe
	s_add_nc_u64 s[0:1], s[2:3], s[0:1]
	global_store_b32 v1, v0, s[0:1]
.LBB513_46:
	s_endpgm
	.section	.rodata,"a",@progbits
	.p2align	6, 0x0
	.amdhsa_kernel _ZN7rocprim17ROCPRIM_400000_NS6detail17trampoline_kernelINS0_14default_configENS1_22reduce_config_selectorIbEEZNS1_11reduce_implILb1ES3_N6hipcub16HIPCUB_304000_NS22TransformInputIteratorIbN2at6native12_GLOBAL__N_19NonZeroOpIN3c107complexIdEEEEPKSG_lEEPiiNS8_6detail34convert_binary_result_type_wrapperINS8_3SumESK_iEEEE10hipError_tPvRmT1_T2_T3_mT4_P12ihipStream_tbEUlT_E0_NS1_11comp_targetILNS1_3genE10ELNS1_11target_archE1201ELNS1_3gpuE5ELNS1_3repE0EEENS1_30default_config_static_selectorELNS0_4arch9wavefront6targetE0EEEvST_
		.amdhsa_group_segment_fixed_size 64
		.amdhsa_private_segment_fixed_size 0
		.amdhsa_kernarg_size 64
		.amdhsa_user_sgpr_count 2
		.amdhsa_user_sgpr_dispatch_ptr 0
		.amdhsa_user_sgpr_queue_ptr 0
		.amdhsa_user_sgpr_kernarg_segment_ptr 1
		.amdhsa_user_sgpr_dispatch_id 0
		.amdhsa_user_sgpr_private_segment_size 0
		.amdhsa_wavefront_size32 1
		.amdhsa_uses_dynamic_stack 0
		.amdhsa_enable_private_segment 0
		.amdhsa_system_sgpr_workgroup_id_x 1
		.amdhsa_system_sgpr_workgroup_id_y 0
		.amdhsa_system_sgpr_workgroup_id_z 0
		.amdhsa_system_sgpr_workgroup_info 0
		.amdhsa_system_vgpr_workitem_id 0
		.amdhsa_next_free_vgpr 68
		.amdhsa_next_free_sgpr 48
		.amdhsa_reserve_vcc 1
		.amdhsa_float_round_mode_32 0
		.amdhsa_float_round_mode_16_64 0
		.amdhsa_float_denorm_mode_32 3
		.amdhsa_float_denorm_mode_16_64 3
		.amdhsa_fp16_overflow 0
		.amdhsa_workgroup_processor_mode 1
		.amdhsa_memory_ordered 1
		.amdhsa_forward_progress 1
		.amdhsa_inst_pref_size 28
		.amdhsa_round_robin_scheduling 0
		.amdhsa_exception_fp_ieee_invalid_op 0
		.amdhsa_exception_fp_denorm_src 0
		.amdhsa_exception_fp_ieee_div_zero 0
		.amdhsa_exception_fp_ieee_overflow 0
		.amdhsa_exception_fp_ieee_underflow 0
		.amdhsa_exception_fp_ieee_inexact 0
		.amdhsa_exception_int_div_zero 0
	.end_amdhsa_kernel
	.section	.text._ZN7rocprim17ROCPRIM_400000_NS6detail17trampoline_kernelINS0_14default_configENS1_22reduce_config_selectorIbEEZNS1_11reduce_implILb1ES3_N6hipcub16HIPCUB_304000_NS22TransformInputIteratorIbN2at6native12_GLOBAL__N_19NonZeroOpIN3c107complexIdEEEEPKSG_lEEPiiNS8_6detail34convert_binary_result_type_wrapperINS8_3SumESK_iEEEE10hipError_tPvRmT1_T2_T3_mT4_P12ihipStream_tbEUlT_E0_NS1_11comp_targetILNS1_3genE10ELNS1_11target_archE1201ELNS1_3gpuE5ELNS1_3repE0EEENS1_30default_config_static_selectorELNS0_4arch9wavefront6targetE0EEEvST_,"axG",@progbits,_ZN7rocprim17ROCPRIM_400000_NS6detail17trampoline_kernelINS0_14default_configENS1_22reduce_config_selectorIbEEZNS1_11reduce_implILb1ES3_N6hipcub16HIPCUB_304000_NS22TransformInputIteratorIbN2at6native12_GLOBAL__N_19NonZeroOpIN3c107complexIdEEEEPKSG_lEEPiiNS8_6detail34convert_binary_result_type_wrapperINS8_3SumESK_iEEEE10hipError_tPvRmT1_T2_T3_mT4_P12ihipStream_tbEUlT_E0_NS1_11comp_targetILNS1_3genE10ELNS1_11target_archE1201ELNS1_3gpuE5ELNS1_3repE0EEENS1_30default_config_static_selectorELNS0_4arch9wavefront6targetE0EEEvST_,comdat
.Lfunc_end513:
	.size	_ZN7rocprim17ROCPRIM_400000_NS6detail17trampoline_kernelINS0_14default_configENS1_22reduce_config_selectorIbEEZNS1_11reduce_implILb1ES3_N6hipcub16HIPCUB_304000_NS22TransformInputIteratorIbN2at6native12_GLOBAL__N_19NonZeroOpIN3c107complexIdEEEEPKSG_lEEPiiNS8_6detail34convert_binary_result_type_wrapperINS8_3SumESK_iEEEE10hipError_tPvRmT1_T2_T3_mT4_P12ihipStream_tbEUlT_E0_NS1_11comp_targetILNS1_3genE10ELNS1_11target_archE1201ELNS1_3gpuE5ELNS1_3repE0EEENS1_30default_config_static_selectorELNS0_4arch9wavefront6targetE0EEEvST_, .Lfunc_end513-_ZN7rocprim17ROCPRIM_400000_NS6detail17trampoline_kernelINS0_14default_configENS1_22reduce_config_selectorIbEEZNS1_11reduce_implILb1ES3_N6hipcub16HIPCUB_304000_NS22TransformInputIteratorIbN2at6native12_GLOBAL__N_19NonZeroOpIN3c107complexIdEEEEPKSG_lEEPiiNS8_6detail34convert_binary_result_type_wrapperINS8_3SumESK_iEEEE10hipError_tPvRmT1_T2_T3_mT4_P12ihipStream_tbEUlT_E0_NS1_11comp_targetILNS1_3genE10ELNS1_11target_archE1201ELNS1_3gpuE5ELNS1_3repE0EEENS1_30default_config_static_selectorELNS0_4arch9wavefront6targetE0EEEvST_
                                        ; -- End function
	.set _ZN7rocprim17ROCPRIM_400000_NS6detail17trampoline_kernelINS0_14default_configENS1_22reduce_config_selectorIbEEZNS1_11reduce_implILb1ES3_N6hipcub16HIPCUB_304000_NS22TransformInputIteratorIbN2at6native12_GLOBAL__N_19NonZeroOpIN3c107complexIdEEEEPKSG_lEEPiiNS8_6detail34convert_binary_result_type_wrapperINS8_3SumESK_iEEEE10hipError_tPvRmT1_T2_T3_mT4_P12ihipStream_tbEUlT_E0_NS1_11comp_targetILNS1_3genE10ELNS1_11target_archE1201ELNS1_3gpuE5ELNS1_3repE0EEENS1_30default_config_static_selectorELNS0_4arch9wavefront6targetE0EEEvST_.num_vgpr, 68
	.set _ZN7rocprim17ROCPRIM_400000_NS6detail17trampoline_kernelINS0_14default_configENS1_22reduce_config_selectorIbEEZNS1_11reduce_implILb1ES3_N6hipcub16HIPCUB_304000_NS22TransformInputIteratorIbN2at6native12_GLOBAL__N_19NonZeroOpIN3c107complexIdEEEEPKSG_lEEPiiNS8_6detail34convert_binary_result_type_wrapperINS8_3SumESK_iEEEE10hipError_tPvRmT1_T2_T3_mT4_P12ihipStream_tbEUlT_E0_NS1_11comp_targetILNS1_3genE10ELNS1_11target_archE1201ELNS1_3gpuE5ELNS1_3repE0EEENS1_30default_config_static_selectorELNS0_4arch9wavefront6targetE0EEEvST_.num_agpr, 0
	.set _ZN7rocprim17ROCPRIM_400000_NS6detail17trampoline_kernelINS0_14default_configENS1_22reduce_config_selectorIbEEZNS1_11reduce_implILb1ES3_N6hipcub16HIPCUB_304000_NS22TransformInputIteratorIbN2at6native12_GLOBAL__N_19NonZeroOpIN3c107complexIdEEEEPKSG_lEEPiiNS8_6detail34convert_binary_result_type_wrapperINS8_3SumESK_iEEEE10hipError_tPvRmT1_T2_T3_mT4_P12ihipStream_tbEUlT_E0_NS1_11comp_targetILNS1_3genE10ELNS1_11target_archE1201ELNS1_3gpuE5ELNS1_3repE0EEENS1_30default_config_static_selectorELNS0_4arch9wavefront6targetE0EEEvST_.numbered_sgpr, 48
	.set _ZN7rocprim17ROCPRIM_400000_NS6detail17trampoline_kernelINS0_14default_configENS1_22reduce_config_selectorIbEEZNS1_11reduce_implILb1ES3_N6hipcub16HIPCUB_304000_NS22TransformInputIteratorIbN2at6native12_GLOBAL__N_19NonZeroOpIN3c107complexIdEEEEPKSG_lEEPiiNS8_6detail34convert_binary_result_type_wrapperINS8_3SumESK_iEEEE10hipError_tPvRmT1_T2_T3_mT4_P12ihipStream_tbEUlT_E0_NS1_11comp_targetILNS1_3genE10ELNS1_11target_archE1201ELNS1_3gpuE5ELNS1_3repE0EEENS1_30default_config_static_selectorELNS0_4arch9wavefront6targetE0EEEvST_.num_named_barrier, 0
	.set _ZN7rocprim17ROCPRIM_400000_NS6detail17trampoline_kernelINS0_14default_configENS1_22reduce_config_selectorIbEEZNS1_11reduce_implILb1ES3_N6hipcub16HIPCUB_304000_NS22TransformInputIteratorIbN2at6native12_GLOBAL__N_19NonZeroOpIN3c107complexIdEEEEPKSG_lEEPiiNS8_6detail34convert_binary_result_type_wrapperINS8_3SumESK_iEEEE10hipError_tPvRmT1_T2_T3_mT4_P12ihipStream_tbEUlT_E0_NS1_11comp_targetILNS1_3genE10ELNS1_11target_archE1201ELNS1_3gpuE5ELNS1_3repE0EEENS1_30default_config_static_selectorELNS0_4arch9wavefront6targetE0EEEvST_.private_seg_size, 0
	.set _ZN7rocprim17ROCPRIM_400000_NS6detail17trampoline_kernelINS0_14default_configENS1_22reduce_config_selectorIbEEZNS1_11reduce_implILb1ES3_N6hipcub16HIPCUB_304000_NS22TransformInputIteratorIbN2at6native12_GLOBAL__N_19NonZeroOpIN3c107complexIdEEEEPKSG_lEEPiiNS8_6detail34convert_binary_result_type_wrapperINS8_3SumESK_iEEEE10hipError_tPvRmT1_T2_T3_mT4_P12ihipStream_tbEUlT_E0_NS1_11comp_targetILNS1_3genE10ELNS1_11target_archE1201ELNS1_3gpuE5ELNS1_3repE0EEENS1_30default_config_static_selectorELNS0_4arch9wavefront6targetE0EEEvST_.uses_vcc, 1
	.set _ZN7rocprim17ROCPRIM_400000_NS6detail17trampoline_kernelINS0_14default_configENS1_22reduce_config_selectorIbEEZNS1_11reduce_implILb1ES3_N6hipcub16HIPCUB_304000_NS22TransformInputIteratorIbN2at6native12_GLOBAL__N_19NonZeroOpIN3c107complexIdEEEEPKSG_lEEPiiNS8_6detail34convert_binary_result_type_wrapperINS8_3SumESK_iEEEE10hipError_tPvRmT1_T2_T3_mT4_P12ihipStream_tbEUlT_E0_NS1_11comp_targetILNS1_3genE10ELNS1_11target_archE1201ELNS1_3gpuE5ELNS1_3repE0EEENS1_30default_config_static_selectorELNS0_4arch9wavefront6targetE0EEEvST_.uses_flat_scratch, 0
	.set _ZN7rocprim17ROCPRIM_400000_NS6detail17trampoline_kernelINS0_14default_configENS1_22reduce_config_selectorIbEEZNS1_11reduce_implILb1ES3_N6hipcub16HIPCUB_304000_NS22TransformInputIteratorIbN2at6native12_GLOBAL__N_19NonZeroOpIN3c107complexIdEEEEPKSG_lEEPiiNS8_6detail34convert_binary_result_type_wrapperINS8_3SumESK_iEEEE10hipError_tPvRmT1_T2_T3_mT4_P12ihipStream_tbEUlT_E0_NS1_11comp_targetILNS1_3genE10ELNS1_11target_archE1201ELNS1_3gpuE5ELNS1_3repE0EEENS1_30default_config_static_selectorELNS0_4arch9wavefront6targetE0EEEvST_.has_dyn_sized_stack, 0
	.set _ZN7rocprim17ROCPRIM_400000_NS6detail17trampoline_kernelINS0_14default_configENS1_22reduce_config_selectorIbEEZNS1_11reduce_implILb1ES3_N6hipcub16HIPCUB_304000_NS22TransformInputIteratorIbN2at6native12_GLOBAL__N_19NonZeroOpIN3c107complexIdEEEEPKSG_lEEPiiNS8_6detail34convert_binary_result_type_wrapperINS8_3SumESK_iEEEE10hipError_tPvRmT1_T2_T3_mT4_P12ihipStream_tbEUlT_E0_NS1_11comp_targetILNS1_3genE10ELNS1_11target_archE1201ELNS1_3gpuE5ELNS1_3repE0EEENS1_30default_config_static_selectorELNS0_4arch9wavefront6targetE0EEEvST_.has_recursion, 0
	.set _ZN7rocprim17ROCPRIM_400000_NS6detail17trampoline_kernelINS0_14default_configENS1_22reduce_config_selectorIbEEZNS1_11reduce_implILb1ES3_N6hipcub16HIPCUB_304000_NS22TransformInputIteratorIbN2at6native12_GLOBAL__N_19NonZeroOpIN3c107complexIdEEEEPKSG_lEEPiiNS8_6detail34convert_binary_result_type_wrapperINS8_3SumESK_iEEEE10hipError_tPvRmT1_T2_T3_mT4_P12ihipStream_tbEUlT_E0_NS1_11comp_targetILNS1_3genE10ELNS1_11target_archE1201ELNS1_3gpuE5ELNS1_3repE0EEENS1_30default_config_static_selectorELNS0_4arch9wavefront6targetE0EEEvST_.has_indirect_call, 0
	.section	.AMDGPU.csdata,"",@progbits
; Kernel info:
; codeLenInByte = 3476
; TotalNumSgprs: 50
; NumVgprs: 68
; ScratchSize: 0
; MemoryBound: 0
; FloatMode: 240
; IeeeMode: 1
; LDSByteSize: 64 bytes/workgroup (compile time only)
; SGPRBlocks: 0
; VGPRBlocks: 8
; NumSGPRsForWavesPerEU: 50
; NumVGPRsForWavesPerEU: 68
; Occupancy: 16
; WaveLimiterHint : 1
; COMPUTE_PGM_RSRC2:SCRATCH_EN: 0
; COMPUTE_PGM_RSRC2:USER_SGPR: 2
; COMPUTE_PGM_RSRC2:TRAP_HANDLER: 0
; COMPUTE_PGM_RSRC2:TGID_X_EN: 1
; COMPUTE_PGM_RSRC2:TGID_Y_EN: 0
; COMPUTE_PGM_RSRC2:TGID_Z_EN: 0
; COMPUTE_PGM_RSRC2:TIDIG_COMP_CNT: 0
	.section	.text._ZN7rocprim17ROCPRIM_400000_NS6detail17trampoline_kernelINS0_14default_configENS1_22reduce_config_selectorIbEEZNS1_11reduce_implILb1ES3_N6hipcub16HIPCUB_304000_NS22TransformInputIteratorIbN2at6native12_GLOBAL__N_19NonZeroOpIN3c107complexIdEEEEPKSG_lEEPiiNS8_6detail34convert_binary_result_type_wrapperINS8_3SumESK_iEEEE10hipError_tPvRmT1_T2_T3_mT4_P12ihipStream_tbEUlT_E0_NS1_11comp_targetILNS1_3genE10ELNS1_11target_archE1200ELNS1_3gpuE4ELNS1_3repE0EEENS1_30default_config_static_selectorELNS0_4arch9wavefront6targetE0EEEvST_,"axG",@progbits,_ZN7rocprim17ROCPRIM_400000_NS6detail17trampoline_kernelINS0_14default_configENS1_22reduce_config_selectorIbEEZNS1_11reduce_implILb1ES3_N6hipcub16HIPCUB_304000_NS22TransformInputIteratorIbN2at6native12_GLOBAL__N_19NonZeroOpIN3c107complexIdEEEEPKSG_lEEPiiNS8_6detail34convert_binary_result_type_wrapperINS8_3SumESK_iEEEE10hipError_tPvRmT1_T2_T3_mT4_P12ihipStream_tbEUlT_E0_NS1_11comp_targetILNS1_3genE10ELNS1_11target_archE1200ELNS1_3gpuE4ELNS1_3repE0EEENS1_30default_config_static_selectorELNS0_4arch9wavefront6targetE0EEEvST_,comdat
	.globl	_ZN7rocprim17ROCPRIM_400000_NS6detail17trampoline_kernelINS0_14default_configENS1_22reduce_config_selectorIbEEZNS1_11reduce_implILb1ES3_N6hipcub16HIPCUB_304000_NS22TransformInputIteratorIbN2at6native12_GLOBAL__N_19NonZeroOpIN3c107complexIdEEEEPKSG_lEEPiiNS8_6detail34convert_binary_result_type_wrapperINS8_3SumESK_iEEEE10hipError_tPvRmT1_T2_T3_mT4_P12ihipStream_tbEUlT_E0_NS1_11comp_targetILNS1_3genE10ELNS1_11target_archE1200ELNS1_3gpuE4ELNS1_3repE0EEENS1_30default_config_static_selectorELNS0_4arch9wavefront6targetE0EEEvST_ ; -- Begin function _ZN7rocprim17ROCPRIM_400000_NS6detail17trampoline_kernelINS0_14default_configENS1_22reduce_config_selectorIbEEZNS1_11reduce_implILb1ES3_N6hipcub16HIPCUB_304000_NS22TransformInputIteratorIbN2at6native12_GLOBAL__N_19NonZeroOpIN3c107complexIdEEEEPKSG_lEEPiiNS8_6detail34convert_binary_result_type_wrapperINS8_3SumESK_iEEEE10hipError_tPvRmT1_T2_T3_mT4_P12ihipStream_tbEUlT_E0_NS1_11comp_targetILNS1_3genE10ELNS1_11target_archE1200ELNS1_3gpuE4ELNS1_3repE0EEENS1_30default_config_static_selectorELNS0_4arch9wavefront6targetE0EEEvST_
	.p2align	8
	.type	_ZN7rocprim17ROCPRIM_400000_NS6detail17trampoline_kernelINS0_14default_configENS1_22reduce_config_selectorIbEEZNS1_11reduce_implILb1ES3_N6hipcub16HIPCUB_304000_NS22TransformInputIteratorIbN2at6native12_GLOBAL__N_19NonZeroOpIN3c107complexIdEEEEPKSG_lEEPiiNS8_6detail34convert_binary_result_type_wrapperINS8_3SumESK_iEEEE10hipError_tPvRmT1_T2_T3_mT4_P12ihipStream_tbEUlT_E0_NS1_11comp_targetILNS1_3genE10ELNS1_11target_archE1200ELNS1_3gpuE4ELNS1_3repE0EEENS1_30default_config_static_selectorELNS0_4arch9wavefront6targetE0EEEvST_,@function
_ZN7rocprim17ROCPRIM_400000_NS6detail17trampoline_kernelINS0_14default_configENS1_22reduce_config_selectorIbEEZNS1_11reduce_implILb1ES3_N6hipcub16HIPCUB_304000_NS22TransformInputIteratorIbN2at6native12_GLOBAL__N_19NonZeroOpIN3c107complexIdEEEEPKSG_lEEPiiNS8_6detail34convert_binary_result_type_wrapperINS8_3SumESK_iEEEE10hipError_tPvRmT1_T2_T3_mT4_P12ihipStream_tbEUlT_E0_NS1_11comp_targetILNS1_3genE10ELNS1_11target_archE1200ELNS1_3gpuE4ELNS1_3repE0EEENS1_30default_config_static_selectorELNS0_4arch9wavefront6targetE0EEEvST_: ; @_ZN7rocprim17ROCPRIM_400000_NS6detail17trampoline_kernelINS0_14default_configENS1_22reduce_config_selectorIbEEZNS1_11reduce_implILb1ES3_N6hipcub16HIPCUB_304000_NS22TransformInputIteratorIbN2at6native12_GLOBAL__N_19NonZeroOpIN3c107complexIdEEEEPKSG_lEEPiiNS8_6detail34convert_binary_result_type_wrapperINS8_3SumESK_iEEEE10hipError_tPvRmT1_T2_T3_mT4_P12ihipStream_tbEUlT_E0_NS1_11comp_targetILNS1_3genE10ELNS1_11target_archE1200ELNS1_3gpuE4ELNS1_3repE0EEENS1_30default_config_static_selectorELNS0_4arch9wavefront6targetE0EEEvST_
; %bb.0:
	.section	.rodata,"a",@progbits
	.p2align	6, 0x0
	.amdhsa_kernel _ZN7rocprim17ROCPRIM_400000_NS6detail17trampoline_kernelINS0_14default_configENS1_22reduce_config_selectorIbEEZNS1_11reduce_implILb1ES3_N6hipcub16HIPCUB_304000_NS22TransformInputIteratorIbN2at6native12_GLOBAL__N_19NonZeroOpIN3c107complexIdEEEEPKSG_lEEPiiNS8_6detail34convert_binary_result_type_wrapperINS8_3SumESK_iEEEE10hipError_tPvRmT1_T2_T3_mT4_P12ihipStream_tbEUlT_E0_NS1_11comp_targetILNS1_3genE10ELNS1_11target_archE1200ELNS1_3gpuE4ELNS1_3repE0EEENS1_30default_config_static_selectorELNS0_4arch9wavefront6targetE0EEEvST_
		.amdhsa_group_segment_fixed_size 0
		.amdhsa_private_segment_fixed_size 0
		.amdhsa_kernarg_size 64
		.amdhsa_user_sgpr_count 2
		.amdhsa_user_sgpr_dispatch_ptr 0
		.amdhsa_user_sgpr_queue_ptr 0
		.amdhsa_user_sgpr_kernarg_segment_ptr 1
		.amdhsa_user_sgpr_dispatch_id 0
		.amdhsa_user_sgpr_private_segment_size 0
		.amdhsa_wavefront_size32 1
		.amdhsa_uses_dynamic_stack 0
		.amdhsa_enable_private_segment 0
		.amdhsa_system_sgpr_workgroup_id_x 1
		.amdhsa_system_sgpr_workgroup_id_y 0
		.amdhsa_system_sgpr_workgroup_id_z 0
		.amdhsa_system_sgpr_workgroup_info 0
		.amdhsa_system_vgpr_workitem_id 0
		.amdhsa_next_free_vgpr 1
		.amdhsa_next_free_sgpr 1
		.amdhsa_reserve_vcc 0
		.amdhsa_float_round_mode_32 0
		.amdhsa_float_round_mode_16_64 0
		.amdhsa_float_denorm_mode_32 3
		.amdhsa_float_denorm_mode_16_64 3
		.amdhsa_fp16_overflow 0
		.amdhsa_workgroup_processor_mode 1
		.amdhsa_memory_ordered 1
		.amdhsa_forward_progress 1
		.amdhsa_inst_pref_size 0
		.amdhsa_round_robin_scheduling 0
		.amdhsa_exception_fp_ieee_invalid_op 0
		.amdhsa_exception_fp_denorm_src 0
		.amdhsa_exception_fp_ieee_div_zero 0
		.amdhsa_exception_fp_ieee_overflow 0
		.amdhsa_exception_fp_ieee_underflow 0
		.amdhsa_exception_fp_ieee_inexact 0
		.amdhsa_exception_int_div_zero 0
	.end_amdhsa_kernel
	.section	.text._ZN7rocprim17ROCPRIM_400000_NS6detail17trampoline_kernelINS0_14default_configENS1_22reduce_config_selectorIbEEZNS1_11reduce_implILb1ES3_N6hipcub16HIPCUB_304000_NS22TransformInputIteratorIbN2at6native12_GLOBAL__N_19NonZeroOpIN3c107complexIdEEEEPKSG_lEEPiiNS8_6detail34convert_binary_result_type_wrapperINS8_3SumESK_iEEEE10hipError_tPvRmT1_T2_T3_mT4_P12ihipStream_tbEUlT_E0_NS1_11comp_targetILNS1_3genE10ELNS1_11target_archE1200ELNS1_3gpuE4ELNS1_3repE0EEENS1_30default_config_static_selectorELNS0_4arch9wavefront6targetE0EEEvST_,"axG",@progbits,_ZN7rocprim17ROCPRIM_400000_NS6detail17trampoline_kernelINS0_14default_configENS1_22reduce_config_selectorIbEEZNS1_11reduce_implILb1ES3_N6hipcub16HIPCUB_304000_NS22TransformInputIteratorIbN2at6native12_GLOBAL__N_19NonZeroOpIN3c107complexIdEEEEPKSG_lEEPiiNS8_6detail34convert_binary_result_type_wrapperINS8_3SumESK_iEEEE10hipError_tPvRmT1_T2_T3_mT4_P12ihipStream_tbEUlT_E0_NS1_11comp_targetILNS1_3genE10ELNS1_11target_archE1200ELNS1_3gpuE4ELNS1_3repE0EEENS1_30default_config_static_selectorELNS0_4arch9wavefront6targetE0EEEvST_,comdat
.Lfunc_end514:
	.size	_ZN7rocprim17ROCPRIM_400000_NS6detail17trampoline_kernelINS0_14default_configENS1_22reduce_config_selectorIbEEZNS1_11reduce_implILb1ES3_N6hipcub16HIPCUB_304000_NS22TransformInputIteratorIbN2at6native12_GLOBAL__N_19NonZeroOpIN3c107complexIdEEEEPKSG_lEEPiiNS8_6detail34convert_binary_result_type_wrapperINS8_3SumESK_iEEEE10hipError_tPvRmT1_T2_T3_mT4_P12ihipStream_tbEUlT_E0_NS1_11comp_targetILNS1_3genE10ELNS1_11target_archE1200ELNS1_3gpuE4ELNS1_3repE0EEENS1_30default_config_static_selectorELNS0_4arch9wavefront6targetE0EEEvST_, .Lfunc_end514-_ZN7rocprim17ROCPRIM_400000_NS6detail17trampoline_kernelINS0_14default_configENS1_22reduce_config_selectorIbEEZNS1_11reduce_implILb1ES3_N6hipcub16HIPCUB_304000_NS22TransformInputIteratorIbN2at6native12_GLOBAL__N_19NonZeroOpIN3c107complexIdEEEEPKSG_lEEPiiNS8_6detail34convert_binary_result_type_wrapperINS8_3SumESK_iEEEE10hipError_tPvRmT1_T2_T3_mT4_P12ihipStream_tbEUlT_E0_NS1_11comp_targetILNS1_3genE10ELNS1_11target_archE1200ELNS1_3gpuE4ELNS1_3repE0EEENS1_30default_config_static_selectorELNS0_4arch9wavefront6targetE0EEEvST_
                                        ; -- End function
	.set _ZN7rocprim17ROCPRIM_400000_NS6detail17trampoline_kernelINS0_14default_configENS1_22reduce_config_selectorIbEEZNS1_11reduce_implILb1ES3_N6hipcub16HIPCUB_304000_NS22TransformInputIteratorIbN2at6native12_GLOBAL__N_19NonZeroOpIN3c107complexIdEEEEPKSG_lEEPiiNS8_6detail34convert_binary_result_type_wrapperINS8_3SumESK_iEEEE10hipError_tPvRmT1_T2_T3_mT4_P12ihipStream_tbEUlT_E0_NS1_11comp_targetILNS1_3genE10ELNS1_11target_archE1200ELNS1_3gpuE4ELNS1_3repE0EEENS1_30default_config_static_selectorELNS0_4arch9wavefront6targetE0EEEvST_.num_vgpr, 0
	.set _ZN7rocprim17ROCPRIM_400000_NS6detail17trampoline_kernelINS0_14default_configENS1_22reduce_config_selectorIbEEZNS1_11reduce_implILb1ES3_N6hipcub16HIPCUB_304000_NS22TransformInputIteratorIbN2at6native12_GLOBAL__N_19NonZeroOpIN3c107complexIdEEEEPKSG_lEEPiiNS8_6detail34convert_binary_result_type_wrapperINS8_3SumESK_iEEEE10hipError_tPvRmT1_T2_T3_mT4_P12ihipStream_tbEUlT_E0_NS1_11comp_targetILNS1_3genE10ELNS1_11target_archE1200ELNS1_3gpuE4ELNS1_3repE0EEENS1_30default_config_static_selectorELNS0_4arch9wavefront6targetE0EEEvST_.num_agpr, 0
	.set _ZN7rocprim17ROCPRIM_400000_NS6detail17trampoline_kernelINS0_14default_configENS1_22reduce_config_selectorIbEEZNS1_11reduce_implILb1ES3_N6hipcub16HIPCUB_304000_NS22TransformInputIteratorIbN2at6native12_GLOBAL__N_19NonZeroOpIN3c107complexIdEEEEPKSG_lEEPiiNS8_6detail34convert_binary_result_type_wrapperINS8_3SumESK_iEEEE10hipError_tPvRmT1_T2_T3_mT4_P12ihipStream_tbEUlT_E0_NS1_11comp_targetILNS1_3genE10ELNS1_11target_archE1200ELNS1_3gpuE4ELNS1_3repE0EEENS1_30default_config_static_selectorELNS0_4arch9wavefront6targetE0EEEvST_.numbered_sgpr, 0
	.set _ZN7rocprim17ROCPRIM_400000_NS6detail17trampoline_kernelINS0_14default_configENS1_22reduce_config_selectorIbEEZNS1_11reduce_implILb1ES3_N6hipcub16HIPCUB_304000_NS22TransformInputIteratorIbN2at6native12_GLOBAL__N_19NonZeroOpIN3c107complexIdEEEEPKSG_lEEPiiNS8_6detail34convert_binary_result_type_wrapperINS8_3SumESK_iEEEE10hipError_tPvRmT1_T2_T3_mT4_P12ihipStream_tbEUlT_E0_NS1_11comp_targetILNS1_3genE10ELNS1_11target_archE1200ELNS1_3gpuE4ELNS1_3repE0EEENS1_30default_config_static_selectorELNS0_4arch9wavefront6targetE0EEEvST_.num_named_barrier, 0
	.set _ZN7rocprim17ROCPRIM_400000_NS6detail17trampoline_kernelINS0_14default_configENS1_22reduce_config_selectorIbEEZNS1_11reduce_implILb1ES3_N6hipcub16HIPCUB_304000_NS22TransformInputIteratorIbN2at6native12_GLOBAL__N_19NonZeroOpIN3c107complexIdEEEEPKSG_lEEPiiNS8_6detail34convert_binary_result_type_wrapperINS8_3SumESK_iEEEE10hipError_tPvRmT1_T2_T3_mT4_P12ihipStream_tbEUlT_E0_NS1_11comp_targetILNS1_3genE10ELNS1_11target_archE1200ELNS1_3gpuE4ELNS1_3repE0EEENS1_30default_config_static_selectorELNS0_4arch9wavefront6targetE0EEEvST_.private_seg_size, 0
	.set _ZN7rocprim17ROCPRIM_400000_NS6detail17trampoline_kernelINS0_14default_configENS1_22reduce_config_selectorIbEEZNS1_11reduce_implILb1ES3_N6hipcub16HIPCUB_304000_NS22TransformInputIteratorIbN2at6native12_GLOBAL__N_19NonZeroOpIN3c107complexIdEEEEPKSG_lEEPiiNS8_6detail34convert_binary_result_type_wrapperINS8_3SumESK_iEEEE10hipError_tPvRmT1_T2_T3_mT4_P12ihipStream_tbEUlT_E0_NS1_11comp_targetILNS1_3genE10ELNS1_11target_archE1200ELNS1_3gpuE4ELNS1_3repE0EEENS1_30default_config_static_selectorELNS0_4arch9wavefront6targetE0EEEvST_.uses_vcc, 0
	.set _ZN7rocprim17ROCPRIM_400000_NS6detail17trampoline_kernelINS0_14default_configENS1_22reduce_config_selectorIbEEZNS1_11reduce_implILb1ES3_N6hipcub16HIPCUB_304000_NS22TransformInputIteratorIbN2at6native12_GLOBAL__N_19NonZeroOpIN3c107complexIdEEEEPKSG_lEEPiiNS8_6detail34convert_binary_result_type_wrapperINS8_3SumESK_iEEEE10hipError_tPvRmT1_T2_T3_mT4_P12ihipStream_tbEUlT_E0_NS1_11comp_targetILNS1_3genE10ELNS1_11target_archE1200ELNS1_3gpuE4ELNS1_3repE0EEENS1_30default_config_static_selectorELNS0_4arch9wavefront6targetE0EEEvST_.uses_flat_scratch, 0
	.set _ZN7rocprim17ROCPRIM_400000_NS6detail17trampoline_kernelINS0_14default_configENS1_22reduce_config_selectorIbEEZNS1_11reduce_implILb1ES3_N6hipcub16HIPCUB_304000_NS22TransformInputIteratorIbN2at6native12_GLOBAL__N_19NonZeroOpIN3c107complexIdEEEEPKSG_lEEPiiNS8_6detail34convert_binary_result_type_wrapperINS8_3SumESK_iEEEE10hipError_tPvRmT1_T2_T3_mT4_P12ihipStream_tbEUlT_E0_NS1_11comp_targetILNS1_3genE10ELNS1_11target_archE1200ELNS1_3gpuE4ELNS1_3repE0EEENS1_30default_config_static_selectorELNS0_4arch9wavefront6targetE0EEEvST_.has_dyn_sized_stack, 0
	.set _ZN7rocprim17ROCPRIM_400000_NS6detail17trampoline_kernelINS0_14default_configENS1_22reduce_config_selectorIbEEZNS1_11reduce_implILb1ES3_N6hipcub16HIPCUB_304000_NS22TransformInputIteratorIbN2at6native12_GLOBAL__N_19NonZeroOpIN3c107complexIdEEEEPKSG_lEEPiiNS8_6detail34convert_binary_result_type_wrapperINS8_3SumESK_iEEEE10hipError_tPvRmT1_T2_T3_mT4_P12ihipStream_tbEUlT_E0_NS1_11comp_targetILNS1_3genE10ELNS1_11target_archE1200ELNS1_3gpuE4ELNS1_3repE0EEENS1_30default_config_static_selectorELNS0_4arch9wavefront6targetE0EEEvST_.has_recursion, 0
	.set _ZN7rocprim17ROCPRIM_400000_NS6detail17trampoline_kernelINS0_14default_configENS1_22reduce_config_selectorIbEEZNS1_11reduce_implILb1ES3_N6hipcub16HIPCUB_304000_NS22TransformInputIteratorIbN2at6native12_GLOBAL__N_19NonZeroOpIN3c107complexIdEEEEPKSG_lEEPiiNS8_6detail34convert_binary_result_type_wrapperINS8_3SumESK_iEEEE10hipError_tPvRmT1_T2_T3_mT4_P12ihipStream_tbEUlT_E0_NS1_11comp_targetILNS1_3genE10ELNS1_11target_archE1200ELNS1_3gpuE4ELNS1_3repE0EEENS1_30default_config_static_selectorELNS0_4arch9wavefront6targetE0EEEvST_.has_indirect_call, 0
	.section	.AMDGPU.csdata,"",@progbits
; Kernel info:
; codeLenInByte = 0
; TotalNumSgprs: 0
; NumVgprs: 0
; ScratchSize: 0
; MemoryBound: 0
; FloatMode: 240
; IeeeMode: 1
; LDSByteSize: 0 bytes/workgroup (compile time only)
; SGPRBlocks: 0
; VGPRBlocks: 0
; NumSGPRsForWavesPerEU: 1
; NumVGPRsForWavesPerEU: 1
; Occupancy: 16
; WaveLimiterHint : 0
; COMPUTE_PGM_RSRC2:SCRATCH_EN: 0
; COMPUTE_PGM_RSRC2:USER_SGPR: 2
; COMPUTE_PGM_RSRC2:TRAP_HANDLER: 0
; COMPUTE_PGM_RSRC2:TGID_X_EN: 1
; COMPUTE_PGM_RSRC2:TGID_Y_EN: 0
; COMPUTE_PGM_RSRC2:TGID_Z_EN: 0
; COMPUTE_PGM_RSRC2:TIDIG_COMP_CNT: 0
	.section	.text._ZN7rocprim17ROCPRIM_400000_NS6detail17trampoline_kernelINS0_14default_configENS1_22reduce_config_selectorIbEEZNS1_11reduce_implILb1ES3_N6hipcub16HIPCUB_304000_NS22TransformInputIteratorIbN2at6native12_GLOBAL__N_19NonZeroOpIN3c107complexIdEEEEPKSG_lEEPiiNS8_6detail34convert_binary_result_type_wrapperINS8_3SumESK_iEEEE10hipError_tPvRmT1_T2_T3_mT4_P12ihipStream_tbEUlT_E0_NS1_11comp_targetILNS1_3genE9ELNS1_11target_archE1100ELNS1_3gpuE3ELNS1_3repE0EEENS1_30default_config_static_selectorELNS0_4arch9wavefront6targetE0EEEvST_,"axG",@progbits,_ZN7rocprim17ROCPRIM_400000_NS6detail17trampoline_kernelINS0_14default_configENS1_22reduce_config_selectorIbEEZNS1_11reduce_implILb1ES3_N6hipcub16HIPCUB_304000_NS22TransformInputIteratorIbN2at6native12_GLOBAL__N_19NonZeroOpIN3c107complexIdEEEEPKSG_lEEPiiNS8_6detail34convert_binary_result_type_wrapperINS8_3SumESK_iEEEE10hipError_tPvRmT1_T2_T3_mT4_P12ihipStream_tbEUlT_E0_NS1_11comp_targetILNS1_3genE9ELNS1_11target_archE1100ELNS1_3gpuE3ELNS1_3repE0EEENS1_30default_config_static_selectorELNS0_4arch9wavefront6targetE0EEEvST_,comdat
	.globl	_ZN7rocprim17ROCPRIM_400000_NS6detail17trampoline_kernelINS0_14default_configENS1_22reduce_config_selectorIbEEZNS1_11reduce_implILb1ES3_N6hipcub16HIPCUB_304000_NS22TransformInputIteratorIbN2at6native12_GLOBAL__N_19NonZeroOpIN3c107complexIdEEEEPKSG_lEEPiiNS8_6detail34convert_binary_result_type_wrapperINS8_3SumESK_iEEEE10hipError_tPvRmT1_T2_T3_mT4_P12ihipStream_tbEUlT_E0_NS1_11comp_targetILNS1_3genE9ELNS1_11target_archE1100ELNS1_3gpuE3ELNS1_3repE0EEENS1_30default_config_static_selectorELNS0_4arch9wavefront6targetE0EEEvST_ ; -- Begin function _ZN7rocprim17ROCPRIM_400000_NS6detail17trampoline_kernelINS0_14default_configENS1_22reduce_config_selectorIbEEZNS1_11reduce_implILb1ES3_N6hipcub16HIPCUB_304000_NS22TransformInputIteratorIbN2at6native12_GLOBAL__N_19NonZeroOpIN3c107complexIdEEEEPKSG_lEEPiiNS8_6detail34convert_binary_result_type_wrapperINS8_3SumESK_iEEEE10hipError_tPvRmT1_T2_T3_mT4_P12ihipStream_tbEUlT_E0_NS1_11comp_targetILNS1_3genE9ELNS1_11target_archE1100ELNS1_3gpuE3ELNS1_3repE0EEENS1_30default_config_static_selectorELNS0_4arch9wavefront6targetE0EEEvST_
	.p2align	8
	.type	_ZN7rocprim17ROCPRIM_400000_NS6detail17trampoline_kernelINS0_14default_configENS1_22reduce_config_selectorIbEEZNS1_11reduce_implILb1ES3_N6hipcub16HIPCUB_304000_NS22TransformInputIteratorIbN2at6native12_GLOBAL__N_19NonZeroOpIN3c107complexIdEEEEPKSG_lEEPiiNS8_6detail34convert_binary_result_type_wrapperINS8_3SumESK_iEEEE10hipError_tPvRmT1_T2_T3_mT4_P12ihipStream_tbEUlT_E0_NS1_11comp_targetILNS1_3genE9ELNS1_11target_archE1100ELNS1_3gpuE3ELNS1_3repE0EEENS1_30default_config_static_selectorELNS0_4arch9wavefront6targetE0EEEvST_,@function
_ZN7rocprim17ROCPRIM_400000_NS6detail17trampoline_kernelINS0_14default_configENS1_22reduce_config_selectorIbEEZNS1_11reduce_implILb1ES3_N6hipcub16HIPCUB_304000_NS22TransformInputIteratorIbN2at6native12_GLOBAL__N_19NonZeroOpIN3c107complexIdEEEEPKSG_lEEPiiNS8_6detail34convert_binary_result_type_wrapperINS8_3SumESK_iEEEE10hipError_tPvRmT1_T2_T3_mT4_P12ihipStream_tbEUlT_E0_NS1_11comp_targetILNS1_3genE9ELNS1_11target_archE1100ELNS1_3gpuE3ELNS1_3repE0EEENS1_30default_config_static_selectorELNS0_4arch9wavefront6targetE0EEEvST_: ; @_ZN7rocprim17ROCPRIM_400000_NS6detail17trampoline_kernelINS0_14default_configENS1_22reduce_config_selectorIbEEZNS1_11reduce_implILb1ES3_N6hipcub16HIPCUB_304000_NS22TransformInputIteratorIbN2at6native12_GLOBAL__N_19NonZeroOpIN3c107complexIdEEEEPKSG_lEEPiiNS8_6detail34convert_binary_result_type_wrapperINS8_3SumESK_iEEEE10hipError_tPvRmT1_T2_T3_mT4_P12ihipStream_tbEUlT_E0_NS1_11comp_targetILNS1_3genE9ELNS1_11target_archE1100ELNS1_3gpuE3ELNS1_3repE0EEENS1_30default_config_static_selectorELNS0_4arch9wavefront6targetE0EEEvST_
; %bb.0:
	.section	.rodata,"a",@progbits
	.p2align	6, 0x0
	.amdhsa_kernel _ZN7rocprim17ROCPRIM_400000_NS6detail17trampoline_kernelINS0_14default_configENS1_22reduce_config_selectorIbEEZNS1_11reduce_implILb1ES3_N6hipcub16HIPCUB_304000_NS22TransformInputIteratorIbN2at6native12_GLOBAL__N_19NonZeroOpIN3c107complexIdEEEEPKSG_lEEPiiNS8_6detail34convert_binary_result_type_wrapperINS8_3SumESK_iEEEE10hipError_tPvRmT1_T2_T3_mT4_P12ihipStream_tbEUlT_E0_NS1_11comp_targetILNS1_3genE9ELNS1_11target_archE1100ELNS1_3gpuE3ELNS1_3repE0EEENS1_30default_config_static_selectorELNS0_4arch9wavefront6targetE0EEEvST_
		.amdhsa_group_segment_fixed_size 0
		.amdhsa_private_segment_fixed_size 0
		.amdhsa_kernarg_size 64
		.amdhsa_user_sgpr_count 2
		.amdhsa_user_sgpr_dispatch_ptr 0
		.amdhsa_user_sgpr_queue_ptr 0
		.amdhsa_user_sgpr_kernarg_segment_ptr 1
		.amdhsa_user_sgpr_dispatch_id 0
		.amdhsa_user_sgpr_private_segment_size 0
		.amdhsa_wavefront_size32 1
		.amdhsa_uses_dynamic_stack 0
		.amdhsa_enable_private_segment 0
		.amdhsa_system_sgpr_workgroup_id_x 1
		.amdhsa_system_sgpr_workgroup_id_y 0
		.amdhsa_system_sgpr_workgroup_id_z 0
		.amdhsa_system_sgpr_workgroup_info 0
		.amdhsa_system_vgpr_workitem_id 0
		.amdhsa_next_free_vgpr 1
		.amdhsa_next_free_sgpr 1
		.amdhsa_reserve_vcc 0
		.amdhsa_float_round_mode_32 0
		.amdhsa_float_round_mode_16_64 0
		.amdhsa_float_denorm_mode_32 3
		.amdhsa_float_denorm_mode_16_64 3
		.amdhsa_fp16_overflow 0
		.amdhsa_workgroup_processor_mode 1
		.amdhsa_memory_ordered 1
		.amdhsa_forward_progress 1
		.amdhsa_inst_pref_size 0
		.amdhsa_round_robin_scheduling 0
		.amdhsa_exception_fp_ieee_invalid_op 0
		.amdhsa_exception_fp_denorm_src 0
		.amdhsa_exception_fp_ieee_div_zero 0
		.amdhsa_exception_fp_ieee_overflow 0
		.amdhsa_exception_fp_ieee_underflow 0
		.amdhsa_exception_fp_ieee_inexact 0
		.amdhsa_exception_int_div_zero 0
	.end_amdhsa_kernel
	.section	.text._ZN7rocprim17ROCPRIM_400000_NS6detail17trampoline_kernelINS0_14default_configENS1_22reduce_config_selectorIbEEZNS1_11reduce_implILb1ES3_N6hipcub16HIPCUB_304000_NS22TransformInputIteratorIbN2at6native12_GLOBAL__N_19NonZeroOpIN3c107complexIdEEEEPKSG_lEEPiiNS8_6detail34convert_binary_result_type_wrapperINS8_3SumESK_iEEEE10hipError_tPvRmT1_T2_T3_mT4_P12ihipStream_tbEUlT_E0_NS1_11comp_targetILNS1_3genE9ELNS1_11target_archE1100ELNS1_3gpuE3ELNS1_3repE0EEENS1_30default_config_static_selectorELNS0_4arch9wavefront6targetE0EEEvST_,"axG",@progbits,_ZN7rocprim17ROCPRIM_400000_NS6detail17trampoline_kernelINS0_14default_configENS1_22reduce_config_selectorIbEEZNS1_11reduce_implILb1ES3_N6hipcub16HIPCUB_304000_NS22TransformInputIteratorIbN2at6native12_GLOBAL__N_19NonZeroOpIN3c107complexIdEEEEPKSG_lEEPiiNS8_6detail34convert_binary_result_type_wrapperINS8_3SumESK_iEEEE10hipError_tPvRmT1_T2_T3_mT4_P12ihipStream_tbEUlT_E0_NS1_11comp_targetILNS1_3genE9ELNS1_11target_archE1100ELNS1_3gpuE3ELNS1_3repE0EEENS1_30default_config_static_selectorELNS0_4arch9wavefront6targetE0EEEvST_,comdat
.Lfunc_end515:
	.size	_ZN7rocprim17ROCPRIM_400000_NS6detail17trampoline_kernelINS0_14default_configENS1_22reduce_config_selectorIbEEZNS1_11reduce_implILb1ES3_N6hipcub16HIPCUB_304000_NS22TransformInputIteratorIbN2at6native12_GLOBAL__N_19NonZeroOpIN3c107complexIdEEEEPKSG_lEEPiiNS8_6detail34convert_binary_result_type_wrapperINS8_3SumESK_iEEEE10hipError_tPvRmT1_T2_T3_mT4_P12ihipStream_tbEUlT_E0_NS1_11comp_targetILNS1_3genE9ELNS1_11target_archE1100ELNS1_3gpuE3ELNS1_3repE0EEENS1_30default_config_static_selectorELNS0_4arch9wavefront6targetE0EEEvST_, .Lfunc_end515-_ZN7rocprim17ROCPRIM_400000_NS6detail17trampoline_kernelINS0_14default_configENS1_22reduce_config_selectorIbEEZNS1_11reduce_implILb1ES3_N6hipcub16HIPCUB_304000_NS22TransformInputIteratorIbN2at6native12_GLOBAL__N_19NonZeroOpIN3c107complexIdEEEEPKSG_lEEPiiNS8_6detail34convert_binary_result_type_wrapperINS8_3SumESK_iEEEE10hipError_tPvRmT1_T2_T3_mT4_P12ihipStream_tbEUlT_E0_NS1_11comp_targetILNS1_3genE9ELNS1_11target_archE1100ELNS1_3gpuE3ELNS1_3repE0EEENS1_30default_config_static_selectorELNS0_4arch9wavefront6targetE0EEEvST_
                                        ; -- End function
	.set _ZN7rocprim17ROCPRIM_400000_NS6detail17trampoline_kernelINS0_14default_configENS1_22reduce_config_selectorIbEEZNS1_11reduce_implILb1ES3_N6hipcub16HIPCUB_304000_NS22TransformInputIteratorIbN2at6native12_GLOBAL__N_19NonZeroOpIN3c107complexIdEEEEPKSG_lEEPiiNS8_6detail34convert_binary_result_type_wrapperINS8_3SumESK_iEEEE10hipError_tPvRmT1_T2_T3_mT4_P12ihipStream_tbEUlT_E0_NS1_11comp_targetILNS1_3genE9ELNS1_11target_archE1100ELNS1_3gpuE3ELNS1_3repE0EEENS1_30default_config_static_selectorELNS0_4arch9wavefront6targetE0EEEvST_.num_vgpr, 0
	.set _ZN7rocprim17ROCPRIM_400000_NS6detail17trampoline_kernelINS0_14default_configENS1_22reduce_config_selectorIbEEZNS1_11reduce_implILb1ES3_N6hipcub16HIPCUB_304000_NS22TransformInputIteratorIbN2at6native12_GLOBAL__N_19NonZeroOpIN3c107complexIdEEEEPKSG_lEEPiiNS8_6detail34convert_binary_result_type_wrapperINS8_3SumESK_iEEEE10hipError_tPvRmT1_T2_T3_mT4_P12ihipStream_tbEUlT_E0_NS1_11comp_targetILNS1_3genE9ELNS1_11target_archE1100ELNS1_3gpuE3ELNS1_3repE0EEENS1_30default_config_static_selectorELNS0_4arch9wavefront6targetE0EEEvST_.num_agpr, 0
	.set _ZN7rocprim17ROCPRIM_400000_NS6detail17trampoline_kernelINS0_14default_configENS1_22reduce_config_selectorIbEEZNS1_11reduce_implILb1ES3_N6hipcub16HIPCUB_304000_NS22TransformInputIteratorIbN2at6native12_GLOBAL__N_19NonZeroOpIN3c107complexIdEEEEPKSG_lEEPiiNS8_6detail34convert_binary_result_type_wrapperINS8_3SumESK_iEEEE10hipError_tPvRmT1_T2_T3_mT4_P12ihipStream_tbEUlT_E0_NS1_11comp_targetILNS1_3genE9ELNS1_11target_archE1100ELNS1_3gpuE3ELNS1_3repE0EEENS1_30default_config_static_selectorELNS0_4arch9wavefront6targetE0EEEvST_.numbered_sgpr, 0
	.set _ZN7rocprim17ROCPRIM_400000_NS6detail17trampoline_kernelINS0_14default_configENS1_22reduce_config_selectorIbEEZNS1_11reduce_implILb1ES3_N6hipcub16HIPCUB_304000_NS22TransformInputIteratorIbN2at6native12_GLOBAL__N_19NonZeroOpIN3c107complexIdEEEEPKSG_lEEPiiNS8_6detail34convert_binary_result_type_wrapperINS8_3SumESK_iEEEE10hipError_tPvRmT1_T2_T3_mT4_P12ihipStream_tbEUlT_E0_NS1_11comp_targetILNS1_3genE9ELNS1_11target_archE1100ELNS1_3gpuE3ELNS1_3repE0EEENS1_30default_config_static_selectorELNS0_4arch9wavefront6targetE0EEEvST_.num_named_barrier, 0
	.set _ZN7rocprim17ROCPRIM_400000_NS6detail17trampoline_kernelINS0_14default_configENS1_22reduce_config_selectorIbEEZNS1_11reduce_implILb1ES3_N6hipcub16HIPCUB_304000_NS22TransformInputIteratorIbN2at6native12_GLOBAL__N_19NonZeroOpIN3c107complexIdEEEEPKSG_lEEPiiNS8_6detail34convert_binary_result_type_wrapperINS8_3SumESK_iEEEE10hipError_tPvRmT1_T2_T3_mT4_P12ihipStream_tbEUlT_E0_NS1_11comp_targetILNS1_3genE9ELNS1_11target_archE1100ELNS1_3gpuE3ELNS1_3repE0EEENS1_30default_config_static_selectorELNS0_4arch9wavefront6targetE0EEEvST_.private_seg_size, 0
	.set _ZN7rocprim17ROCPRIM_400000_NS6detail17trampoline_kernelINS0_14default_configENS1_22reduce_config_selectorIbEEZNS1_11reduce_implILb1ES3_N6hipcub16HIPCUB_304000_NS22TransformInputIteratorIbN2at6native12_GLOBAL__N_19NonZeroOpIN3c107complexIdEEEEPKSG_lEEPiiNS8_6detail34convert_binary_result_type_wrapperINS8_3SumESK_iEEEE10hipError_tPvRmT1_T2_T3_mT4_P12ihipStream_tbEUlT_E0_NS1_11comp_targetILNS1_3genE9ELNS1_11target_archE1100ELNS1_3gpuE3ELNS1_3repE0EEENS1_30default_config_static_selectorELNS0_4arch9wavefront6targetE0EEEvST_.uses_vcc, 0
	.set _ZN7rocprim17ROCPRIM_400000_NS6detail17trampoline_kernelINS0_14default_configENS1_22reduce_config_selectorIbEEZNS1_11reduce_implILb1ES3_N6hipcub16HIPCUB_304000_NS22TransformInputIteratorIbN2at6native12_GLOBAL__N_19NonZeroOpIN3c107complexIdEEEEPKSG_lEEPiiNS8_6detail34convert_binary_result_type_wrapperINS8_3SumESK_iEEEE10hipError_tPvRmT1_T2_T3_mT4_P12ihipStream_tbEUlT_E0_NS1_11comp_targetILNS1_3genE9ELNS1_11target_archE1100ELNS1_3gpuE3ELNS1_3repE0EEENS1_30default_config_static_selectorELNS0_4arch9wavefront6targetE0EEEvST_.uses_flat_scratch, 0
	.set _ZN7rocprim17ROCPRIM_400000_NS6detail17trampoline_kernelINS0_14default_configENS1_22reduce_config_selectorIbEEZNS1_11reduce_implILb1ES3_N6hipcub16HIPCUB_304000_NS22TransformInputIteratorIbN2at6native12_GLOBAL__N_19NonZeroOpIN3c107complexIdEEEEPKSG_lEEPiiNS8_6detail34convert_binary_result_type_wrapperINS8_3SumESK_iEEEE10hipError_tPvRmT1_T2_T3_mT4_P12ihipStream_tbEUlT_E0_NS1_11comp_targetILNS1_3genE9ELNS1_11target_archE1100ELNS1_3gpuE3ELNS1_3repE0EEENS1_30default_config_static_selectorELNS0_4arch9wavefront6targetE0EEEvST_.has_dyn_sized_stack, 0
	.set _ZN7rocprim17ROCPRIM_400000_NS6detail17trampoline_kernelINS0_14default_configENS1_22reduce_config_selectorIbEEZNS1_11reduce_implILb1ES3_N6hipcub16HIPCUB_304000_NS22TransformInputIteratorIbN2at6native12_GLOBAL__N_19NonZeroOpIN3c107complexIdEEEEPKSG_lEEPiiNS8_6detail34convert_binary_result_type_wrapperINS8_3SumESK_iEEEE10hipError_tPvRmT1_T2_T3_mT4_P12ihipStream_tbEUlT_E0_NS1_11comp_targetILNS1_3genE9ELNS1_11target_archE1100ELNS1_3gpuE3ELNS1_3repE0EEENS1_30default_config_static_selectorELNS0_4arch9wavefront6targetE0EEEvST_.has_recursion, 0
	.set _ZN7rocprim17ROCPRIM_400000_NS6detail17trampoline_kernelINS0_14default_configENS1_22reduce_config_selectorIbEEZNS1_11reduce_implILb1ES3_N6hipcub16HIPCUB_304000_NS22TransformInputIteratorIbN2at6native12_GLOBAL__N_19NonZeroOpIN3c107complexIdEEEEPKSG_lEEPiiNS8_6detail34convert_binary_result_type_wrapperINS8_3SumESK_iEEEE10hipError_tPvRmT1_T2_T3_mT4_P12ihipStream_tbEUlT_E0_NS1_11comp_targetILNS1_3genE9ELNS1_11target_archE1100ELNS1_3gpuE3ELNS1_3repE0EEENS1_30default_config_static_selectorELNS0_4arch9wavefront6targetE0EEEvST_.has_indirect_call, 0
	.section	.AMDGPU.csdata,"",@progbits
; Kernel info:
; codeLenInByte = 0
; TotalNumSgprs: 0
; NumVgprs: 0
; ScratchSize: 0
; MemoryBound: 0
; FloatMode: 240
; IeeeMode: 1
; LDSByteSize: 0 bytes/workgroup (compile time only)
; SGPRBlocks: 0
; VGPRBlocks: 0
; NumSGPRsForWavesPerEU: 1
; NumVGPRsForWavesPerEU: 1
; Occupancy: 16
; WaveLimiterHint : 0
; COMPUTE_PGM_RSRC2:SCRATCH_EN: 0
; COMPUTE_PGM_RSRC2:USER_SGPR: 2
; COMPUTE_PGM_RSRC2:TRAP_HANDLER: 0
; COMPUTE_PGM_RSRC2:TGID_X_EN: 1
; COMPUTE_PGM_RSRC2:TGID_Y_EN: 0
; COMPUTE_PGM_RSRC2:TGID_Z_EN: 0
; COMPUTE_PGM_RSRC2:TIDIG_COMP_CNT: 0
	.section	.text._ZN7rocprim17ROCPRIM_400000_NS6detail17trampoline_kernelINS0_14default_configENS1_22reduce_config_selectorIbEEZNS1_11reduce_implILb1ES3_N6hipcub16HIPCUB_304000_NS22TransformInputIteratorIbN2at6native12_GLOBAL__N_19NonZeroOpIN3c107complexIdEEEEPKSG_lEEPiiNS8_6detail34convert_binary_result_type_wrapperINS8_3SumESK_iEEEE10hipError_tPvRmT1_T2_T3_mT4_P12ihipStream_tbEUlT_E0_NS1_11comp_targetILNS1_3genE8ELNS1_11target_archE1030ELNS1_3gpuE2ELNS1_3repE0EEENS1_30default_config_static_selectorELNS0_4arch9wavefront6targetE0EEEvST_,"axG",@progbits,_ZN7rocprim17ROCPRIM_400000_NS6detail17trampoline_kernelINS0_14default_configENS1_22reduce_config_selectorIbEEZNS1_11reduce_implILb1ES3_N6hipcub16HIPCUB_304000_NS22TransformInputIteratorIbN2at6native12_GLOBAL__N_19NonZeroOpIN3c107complexIdEEEEPKSG_lEEPiiNS8_6detail34convert_binary_result_type_wrapperINS8_3SumESK_iEEEE10hipError_tPvRmT1_T2_T3_mT4_P12ihipStream_tbEUlT_E0_NS1_11comp_targetILNS1_3genE8ELNS1_11target_archE1030ELNS1_3gpuE2ELNS1_3repE0EEENS1_30default_config_static_selectorELNS0_4arch9wavefront6targetE0EEEvST_,comdat
	.globl	_ZN7rocprim17ROCPRIM_400000_NS6detail17trampoline_kernelINS0_14default_configENS1_22reduce_config_selectorIbEEZNS1_11reduce_implILb1ES3_N6hipcub16HIPCUB_304000_NS22TransformInputIteratorIbN2at6native12_GLOBAL__N_19NonZeroOpIN3c107complexIdEEEEPKSG_lEEPiiNS8_6detail34convert_binary_result_type_wrapperINS8_3SumESK_iEEEE10hipError_tPvRmT1_T2_T3_mT4_P12ihipStream_tbEUlT_E0_NS1_11comp_targetILNS1_3genE8ELNS1_11target_archE1030ELNS1_3gpuE2ELNS1_3repE0EEENS1_30default_config_static_selectorELNS0_4arch9wavefront6targetE0EEEvST_ ; -- Begin function _ZN7rocprim17ROCPRIM_400000_NS6detail17trampoline_kernelINS0_14default_configENS1_22reduce_config_selectorIbEEZNS1_11reduce_implILb1ES3_N6hipcub16HIPCUB_304000_NS22TransformInputIteratorIbN2at6native12_GLOBAL__N_19NonZeroOpIN3c107complexIdEEEEPKSG_lEEPiiNS8_6detail34convert_binary_result_type_wrapperINS8_3SumESK_iEEEE10hipError_tPvRmT1_T2_T3_mT4_P12ihipStream_tbEUlT_E0_NS1_11comp_targetILNS1_3genE8ELNS1_11target_archE1030ELNS1_3gpuE2ELNS1_3repE0EEENS1_30default_config_static_selectorELNS0_4arch9wavefront6targetE0EEEvST_
	.p2align	8
	.type	_ZN7rocprim17ROCPRIM_400000_NS6detail17trampoline_kernelINS0_14default_configENS1_22reduce_config_selectorIbEEZNS1_11reduce_implILb1ES3_N6hipcub16HIPCUB_304000_NS22TransformInputIteratorIbN2at6native12_GLOBAL__N_19NonZeroOpIN3c107complexIdEEEEPKSG_lEEPiiNS8_6detail34convert_binary_result_type_wrapperINS8_3SumESK_iEEEE10hipError_tPvRmT1_T2_T3_mT4_P12ihipStream_tbEUlT_E0_NS1_11comp_targetILNS1_3genE8ELNS1_11target_archE1030ELNS1_3gpuE2ELNS1_3repE0EEENS1_30default_config_static_selectorELNS0_4arch9wavefront6targetE0EEEvST_,@function
_ZN7rocprim17ROCPRIM_400000_NS6detail17trampoline_kernelINS0_14default_configENS1_22reduce_config_selectorIbEEZNS1_11reduce_implILb1ES3_N6hipcub16HIPCUB_304000_NS22TransformInputIteratorIbN2at6native12_GLOBAL__N_19NonZeroOpIN3c107complexIdEEEEPKSG_lEEPiiNS8_6detail34convert_binary_result_type_wrapperINS8_3SumESK_iEEEE10hipError_tPvRmT1_T2_T3_mT4_P12ihipStream_tbEUlT_E0_NS1_11comp_targetILNS1_3genE8ELNS1_11target_archE1030ELNS1_3gpuE2ELNS1_3repE0EEENS1_30default_config_static_selectorELNS0_4arch9wavefront6targetE0EEEvST_: ; @_ZN7rocprim17ROCPRIM_400000_NS6detail17trampoline_kernelINS0_14default_configENS1_22reduce_config_selectorIbEEZNS1_11reduce_implILb1ES3_N6hipcub16HIPCUB_304000_NS22TransformInputIteratorIbN2at6native12_GLOBAL__N_19NonZeroOpIN3c107complexIdEEEEPKSG_lEEPiiNS8_6detail34convert_binary_result_type_wrapperINS8_3SumESK_iEEEE10hipError_tPvRmT1_T2_T3_mT4_P12ihipStream_tbEUlT_E0_NS1_11comp_targetILNS1_3genE8ELNS1_11target_archE1030ELNS1_3gpuE2ELNS1_3repE0EEENS1_30default_config_static_selectorELNS0_4arch9wavefront6targetE0EEEvST_
; %bb.0:
	.section	.rodata,"a",@progbits
	.p2align	6, 0x0
	.amdhsa_kernel _ZN7rocprim17ROCPRIM_400000_NS6detail17trampoline_kernelINS0_14default_configENS1_22reduce_config_selectorIbEEZNS1_11reduce_implILb1ES3_N6hipcub16HIPCUB_304000_NS22TransformInputIteratorIbN2at6native12_GLOBAL__N_19NonZeroOpIN3c107complexIdEEEEPKSG_lEEPiiNS8_6detail34convert_binary_result_type_wrapperINS8_3SumESK_iEEEE10hipError_tPvRmT1_T2_T3_mT4_P12ihipStream_tbEUlT_E0_NS1_11comp_targetILNS1_3genE8ELNS1_11target_archE1030ELNS1_3gpuE2ELNS1_3repE0EEENS1_30default_config_static_selectorELNS0_4arch9wavefront6targetE0EEEvST_
		.amdhsa_group_segment_fixed_size 0
		.amdhsa_private_segment_fixed_size 0
		.amdhsa_kernarg_size 64
		.amdhsa_user_sgpr_count 2
		.amdhsa_user_sgpr_dispatch_ptr 0
		.amdhsa_user_sgpr_queue_ptr 0
		.amdhsa_user_sgpr_kernarg_segment_ptr 1
		.amdhsa_user_sgpr_dispatch_id 0
		.amdhsa_user_sgpr_private_segment_size 0
		.amdhsa_wavefront_size32 1
		.amdhsa_uses_dynamic_stack 0
		.amdhsa_enable_private_segment 0
		.amdhsa_system_sgpr_workgroup_id_x 1
		.amdhsa_system_sgpr_workgroup_id_y 0
		.amdhsa_system_sgpr_workgroup_id_z 0
		.amdhsa_system_sgpr_workgroup_info 0
		.amdhsa_system_vgpr_workitem_id 0
		.amdhsa_next_free_vgpr 1
		.amdhsa_next_free_sgpr 1
		.amdhsa_reserve_vcc 0
		.amdhsa_float_round_mode_32 0
		.amdhsa_float_round_mode_16_64 0
		.amdhsa_float_denorm_mode_32 3
		.amdhsa_float_denorm_mode_16_64 3
		.amdhsa_fp16_overflow 0
		.amdhsa_workgroup_processor_mode 1
		.amdhsa_memory_ordered 1
		.amdhsa_forward_progress 1
		.amdhsa_inst_pref_size 0
		.amdhsa_round_robin_scheduling 0
		.amdhsa_exception_fp_ieee_invalid_op 0
		.amdhsa_exception_fp_denorm_src 0
		.amdhsa_exception_fp_ieee_div_zero 0
		.amdhsa_exception_fp_ieee_overflow 0
		.amdhsa_exception_fp_ieee_underflow 0
		.amdhsa_exception_fp_ieee_inexact 0
		.amdhsa_exception_int_div_zero 0
	.end_amdhsa_kernel
	.section	.text._ZN7rocprim17ROCPRIM_400000_NS6detail17trampoline_kernelINS0_14default_configENS1_22reduce_config_selectorIbEEZNS1_11reduce_implILb1ES3_N6hipcub16HIPCUB_304000_NS22TransformInputIteratorIbN2at6native12_GLOBAL__N_19NonZeroOpIN3c107complexIdEEEEPKSG_lEEPiiNS8_6detail34convert_binary_result_type_wrapperINS8_3SumESK_iEEEE10hipError_tPvRmT1_T2_T3_mT4_P12ihipStream_tbEUlT_E0_NS1_11comp_targetILNS1_3genE8ELNS1_11target_archE1030ELNS1_3gpuE2ELNS1_3repE0EEENS1_30default_config_static_selectorELNS0_4arch9wavefront6targetE0EEEvST_,"axG",@progbits,_ZN7rocprim17ROCPRIM_400000_NS6detail17trampoline_kernelINS0_14default_configENS1_22reduce_config_selectorIbEEZNS1_11reduce_implILb1ES3_N6hipcub16HIPCUB_304000_NS22TransformInputIteratorIbN2at6native12_GLOBAL__N_19NonZeroOpIN3c107complexIdEEEEPKSG_lEEPiiNS8_6detail34convert_binary_result_type_wrapperINS8_3SumESK_iEEEE10hipError_tPvRmT1_T2_T3_mT4_P12ihipStream_tbEUlT_E0_NS1_11comp_targetILNS1_3genE8ELNS1_11target_archE1030ELNS1_3gpuE2ELNS1_3repE0EEENS1_30default_config_static_selectorELNS0_4arch9wavefront6targetE0EEEvST_,comdat
.Lfunc_end516:
	.size	_ZN7rocprim17ROCPRIM_400000_NS6detail17trampoline_kernelINS0_14default_configENS1_22reduce_config_selectorIbEEZNS1_11reduce_implILb1ES3_N6hipcub16HIPCUB_304000_NS22TransformInputIteratorIbN2at6native12_GLOBAL__N_19NonZeroOpIN3c107complexIdEEEEPKSG_lEEPiiNS8_6detail34convert_binary_result_type_wrapperINS8_3SumESK_iEEEE10hipError_tPvRmT1_T2_T3_mT4_P12ihipStream_tbEUlT_E0_NS1_11comp_targetILNS1_3genE8ELNS1_11target_archE1030ELNS1_3gpuE2ELNS1_3repE0EEENS1_30default_config_static_selectorELNS0_4arch9wavefront6targetE0EEEvST_, .Lfunc_end516-_ZN7rocprim17ROCPRIM_400000_NS6detail17trampoline_kernelINS0_14default_configENS1_22reduce_config_selectorIbEEZNS1_11reduce_implILb1ES3_N6hipcub16HIPCUB_304000_NS22TransformInputIteratorIbN2at6native12_GLOBAL__N_19NonZeroOpIN3c107complexIdEEEEPKSG_lEEPiiNS8_6detail34convert_binary_result_type_wrapperINS8_3SumESK_iEEEE10hipError_tPvRmT1_T2_T3_mT4_P12ihipStream_tbEUlT_E0_NS1_11comp_targetILNS1_3genE8ELNS1_11target_archE1030ELNS1_3gpuE2ELNS1_3repE0EEENS1_30default_config_static_selectorELNS0_4arch9wavefront6targetE0EEEvST_
                                        ; -- End function
	.set _ZN7rocprim17ROCPRIM_400000_NS6detail17trampoline_kernelINS0_14default_configENS1_22reduce_config_selectorIbEEZNS1_11reduce_implILb1ES3_N6hipcub16HIPCUB_304000_NS22TransformInputIteratorIbN2at6native12_GLOBAL__N_19NonZeroOpIN3c107complexIdEEEEPKSG_lEEPiiNS8_6detail34convert_binary_result_type_wrapperINS8_3SumESK_iEEEE10hipError_tPvRmT1_T2_T3_mT4_P12ihipStream_tbEUlT_E0_NS1_11comp_targetILNS1_3genE8ELNS1_11target_archE1030ELNS1_3gpuE2ELNS1_3repE0EEENS1_30default_config_static_selectorELNS0_4arch9wavefront6targetE0EEEvST_.num_vgpr, 0
	.set _ZN7rocprim17ROCPRIM_400000_NS6detail17trampoline_kernelINS0_14default_configENS1_22reduce_config_selectorIbEEZNS1_11reduce_implILb1ES3_N6hipcub16HIPCUB_304000_NS22TransformInputIteratorIbN2at6native12_GLOBAL__N_19NonZeroOpIN3c107complexIdEEEEPKSG_lEEPiiNS8_6detail34convert_binary_result_type_wrapperINS8_3SumESK_iEEEE10hipError_tPvRmT1_T2_T3_mT4_P12ihipStream_tbEUlT_E0_NS1_11comp_targetILNS1_3genE8ELNS1_11target_archE1030ELNS1_3gpuE2ELNS1_3repE0EEENS1_30default_config_static_selectorELNS0_4arch9wavefront6targetE0EEEvST_.num_agpr, 0
	.set _ZN7rocprim17ROCPRIM_400000_NS6detail17trampoline_kernelINS0_14default_configENS1_22reduce_config_selectorIbEEZNS1_11reduce_implILb1ES3_N6hipcub16HIPCUB_304000_NS22TransformInputIteratorIbN2at6native12_GLOBAL__N_19NonZeroOpIN3c107complexIdEEEEPKSG_lEEPiiNS8_6detail34convert_binary_result_type_wrapperINS8_3SumESK_iEEEE10hipError_tPvRmT1_T2_T3_mT4_P12ihipStream_tbEUlT_E0_NS1_11comp_targetILNS1_3genE8ELNS1_11target_archE1030ELNS1_3gpuE2ELNS1_3repE0EEENS1_30default_config_static_selectorELNS0_4arch9wavefront6targetE0EEEvST_.numbered_sgpr, 0
	.set _ZN7rocprim17ROCPRIM_400000_NS6detail17trampoline_kernelINS0_14default_configENS1_22reduce_config_selectorIbEEZNS1_11reduce_implILb1ES3_N6hipcub16HIPCUB_304000_NS22TransformInputIteratorIbN2at6native12_GLOBAL__N_19NonZeroOpIN3c107complexIdEEEEPKSG_lEEPiiNS8_6detail34convert_binary_result_type_wrapperINS8_3SumESK_iEEEE10hipError_tPvRmT1_T2_T3_mT4_P12ihipStream_tbEUlT_E0_NS1_11comp_targetILNS1_3genE8ELNS1_11target_archE1030ELNS1_3gpuE2ELNS1_3repE0EEENS1_30default_config_static_selectorELNS0_4arch9wavefront6targetE0EEEvST_.num_named_barrier, 0
	.set _ZN7rocprim17ROCPRIM_400000_NS6detail17trampoline_kernelINS0_14default_configENS1_22reduce_config_selectorIbEEZNS1_11reduce_implILb1ES3_N6hipcub16HIPCUB_304000_NS22TransformInputIteratorIbN2at6native12_GLOBAL__N_19NonZeroOpIN3c107complexIdEEEEPKSG_lEEPiiNS8_6detail34convert_binary_result_type_wrapperINS8_3SumESK_iEEEE10hipError_tPvRmT1_T2_T3_mT4_P12ihipStream_tbEUlT_E0_NS1_11comp_targetILNS1_3genE8ELNS1_11target_archE1030ELNS1_3gpuE2ELNS1_3repE0EEENS1_30default_config_static_selectorELNS0_4arch9wavefront6targetE0EEEvST_.private_seg_size, 0
	.set _ZN7rocprim17ROCPRIM_400000_NS6detail17trampoline_kernelINS0_14default_configENS1_22reduce_config_selectorIbEEZNS1_11reduce_implILb1ES3_N6hipcub16HIPCUB_304000_NS22TransformInputIteratorIbN2at6native12_GLOBAL__N_19NonZeroOpIN3c107complexIdEEEEPKSG_lEEPiiNS8_6detail34convert_binary_result_type_wrapperINS8_3SumESK_iEEEE10hipError_tPvRmT1_T2_T3_mT4_P12ihipStream_tbEUlT_E0_NS1_11comp_targetILNS1_3genE8ELNS1_11target_archE1030ELNS1_3gpuE2ELNS1_3repE0EEENS1_30default_config_static_selectorELNS0_4arch9wavefront6targetE0EEEvST_.uses_vcc, 0
	.set _ZN7rocprim17ROCPRIM_400000_NS6detail17trampoline_kernelINS0_14default_configENS1_22reduce_config_selectorIbEEZNS1_11reduce_implILb1ES3_N6hipcub16HIPCUB_304000_NS22TransformInputIteratorIbN2at6native12_GLOBAL__N_19NonZeroOpIN3c107complexIdEEEEPKSG_lEEPiiNS8_6detail34convert_binary_result_type_wrapperINS8_3SumESK_iEEEE10hipError_tPvRmT1_T2_T3_mT4_P12ihipStream_tbEUlT_E0_NS1_11comp_targetILNS1_3genE8ELNS1_11target_archE1030ELNS1_3gpuE2ELNS1_3repE0EEENS1_30default_config_static_selectorELNS0_4arch9wavefront6targetE0EEEvST_.uses_flat_scratch, 0
	.set _ZN7rocprim17ROCPRIM_400000_NS6detail17trampoline_kernelINS0_14default_configENS1_22reduce_config_selectorIbEEZNS1_11reduce_implILb1ES3_N6hipcub16HIPCUB_304000_NS22TransformInputIteratorIbN2at6native12_GLOBAL__N_19NonZeroOpIN3c107complexIdEEEEPKSG_lEEPiiNS8_6detail34convert_binary_result_type_wrapperINS8_3SumESK_iEEEE10hipError_tPvRmT1_T2_T3_mT4_P12ihipStream_tbEUlT_E0_NS1_11comp_targetILNS1_3genE8ELNS1_11target_archE1030ELNS1_3gpuE2ELNS1_3repE0EEENS1_30default_config_static_selectorELNS0_4arch9wavefront6targetE0EEEvST_.has_dyn_sized_stack, 0
	.set _ZN7rocprim17ROCPRIM_400000_NS6detail17trampoline_kernelINS0_14default_configENS1_22reduce_config_selectorIbEEZNS1_11reduce_implILb1ES3_N6hipcub16HIPCUB_304000_NS22TransformInputIteratorIbN2at6native12_GLOBAL__N_19NonZeroOpIN3c107complexIdEEEEPKSG_lEEPiiNS8_6detail34convert_binary_result_type_wrapperINS8_3SumESK_iEEEE10hipError_tPvRmT1_T2_T3_mT4_P12ihipStream_tbEUlT_E0_NS1_11comp_targetILNS1_3genE8ELNS1_11target_archE1030ELNS1_3gpuE2ELNS1_3repE0EEENS1_30default_config_static_selectorELNS0_4arch9wavefront6targetE0EEEvST_.has_recursion, 0
	.set _ZN7rocprim17ROCPRIM_400000_NS6detail17trampoline_kernelINS0_14default_configENS1_22reduce_config_selectorIbEEZNS1_11reduce_implILb1ES3_N6hipcub16HIPCUB_304000_NS22TransformInputIteratorIbN2at6native12_GLOBAL__N_19NonZeroOpIN3c107complexIdEEEEPKSG_lEEPiiNS8_6detail34convert_binary_result_type_wrapperINS8_3SumESK_iEEEE10hipError_tPvRmT1_T2_T3_mT4_P12ihipStream_tbEUlT_E0_NS1_11comp_targetILNS1_3genE8ELNS1_11target_archE1030ELNS1_3gpuE2ELNS1_3repE0EEENS1_30default_config_static_selectorELNS0_4arch9wavefront6targetE0EEEvST_.has_indirect_call, 0
	.section	.AMDGPU.csdata,"",@progbits
; Kernel info:
; codeLenInByte = 0
; TotalNumSgprs: 0
; NumVgprs: 0
; ScratchSize: 0
; MemoryBound: 0
; FloatMode: 240
; IeeeMode: 1
; LDSByteSize: 0 bytes/workgroup (compile time only)
; SGPRBlocks: 0
; VGPRBlocks: 0
; NumSGPRsForWavesPerEU: 1
; NumVGPRsForWavesPerEU: 1
; Occupancy: 16
; WaveLimiterHint : 0
; COMPUTE_PGM_RSRC2:SCRATCH_EN: 0
; COMPUTE_PGM_RSRC2:USER_SGPR: 2
; COMPUTE_PGM_RSRC2:TRAP_HANDLER: 0
; COMPUTE_PGM_RSRC2:TGID_X_EN: 1
; COMPUTE_PGM_RSRC2:TGID_Y_EN: 0
; COMPUTE_PGM_RSRC2:TGID_Z_EN: 0
; COMPUTE_PGM_RSRC2:TIDIG_COMP_CNT: 0
	.section	.text._ZN7rocprim17ROCPRIM_400000_NS6detail17trampoline_kernelINS0_14default_configENS1_22reduce_config_selectorIbEEZNS1_11reduce_implILb1ES3_N6hipcub16HIPCUB_304000_NS22TransformInputIteratorIbN2at6native12_GLOBAL__N_19NonZeroOpIN3c107complexIdEEEEPKSG_lEEPiiNS8_6detail34convert_binary_result_type_wrapperINS8_3SumESK_iEEEE10hipError_tPvRmT1_T2_T3_mT4_P12ihipStream_tbEUlT_E1_NS1_11comp_targetILNS1_3genE0ELNS1_11target_archE4294967295ELNS1_3gpuE0ELNS1_3repE0EEENS1_30default_config_static_selectorELNS0_4arch9wavefront6targetE0EEEvST_,"axG",@progbits,_ZN7rocprim17ROCPRIM_400000_NS6detail17trampoline_kernelINS0_14default_configENS1_22reduce_config_selectorIbEEZNS1_11reduce_implILb1ES3_N6hipcub16HIPCUB_304000_NS22TransformInputIteratorIbN2at6native12_GLOBAL__N_19NonZeroOpIN3c107complexIdEEEEPKSG_lEEPiiNS8_6detail34convert_binary_result_type_wrapperINS8_3SumESK_iEEEE10hipError_tPvRmT1_T2_T3_mT4_P12ihipStream_tbEUlT_E1_NS1_11comp_targetILNS1_3genE0ELNS1_11target_archE4294967295ELNS1_3gpuE0ELNS1_3repE0EEENS1_30default_config_static_selectorELNS0_4arch9wavefront6targetE0EEEvST_,comdat
	.globl	_ZN7rocprim17ROCPRIM_400000_NS6detail17trampoline_kernelINS0_14default_configENS1_22reduce_config_selectorIbEEZNS1_11reduce_implILb1ES3_N6hipcub16HIPCUB_304000_NS22TransformInputIteratorIbN2at6native12_GLOBAL__N_19NonZeroOpIN3c107complexIdEEEEPKSG_lEEPiiNS8_6detail34convert_binary_result_type_wrapperINS8_3SumESK_iEEEE10hipError_tPvRmT1_T2_T3_mT4_P12ihipStream_tbEUlT_E1_NS1_11comp_targetILNS1_3genE0ELNS1_11target_archE4294967295ELNS1_3gpuE0ELNS1_3repE0EEENS1_30default_config_static_selectorELNS0_4arch9wavefront6targetE0EEEvST_ ; -- Begin function _ZN7rocprim17ROCPRIM_400000_NS6detail17trampoline_kernelINS0_14default_configENS1_22reduce_config_selectorIbEEZNS1_11reduce_implILb1ES3_N6hipcub16HIPCUB_304000_NS22TransformInputIteratorIbN2at6native12_GLOBAL__N_19NonZeroOpIN3c107complexIdEEEEPKSG_lEEPiiNS8_6detail34convert_binary_result_type_wrapperINS8_3SumESK_iEEEE10hipError_tPvRmT1_T2_T3_mT4_P12ihipStream_tbEUlT_E1_NS1_11comp_targetILNS1_3genE0ELNS1_11target_archE4294967295ELNS1_3gpuE0ELNS1_3repE0EEENS1_30default_config_static_selectorELNS0_4arch9wavefront6targetE0EEEvST_
	.p2align	8
	.type	_ZN7rocprim17ROCPRIM_400000_NS6detail17trampoline_kernelINS0_14default_configENS1_22reduce_config_selectorIbEEZNS1_11reduce_implILb1ES3_N6hipcub16HIPCUB_304000_NS22TransformInputIteratorIbN2at6native12_GLOBAL__N_19NonZeroOpIN3c107complexIdEEEEPKSG_lEEPiiNS8_6detail34convert_binary_result_type_wrapperINS8_3SumESK_iEEEE10hipError_tPvRmT1_T2_T3_mT4_P12ihipStream_tbEUlT_E1_NS1_11comp_targetILNS1_3genE0ELNS1_11target_archE4294967295ELNS1_3gpuE0ELNS1_3repE0EEENS1_30default_config_static_selectorELNS0_4arch9wavefront6targetE0EEEvST_,@function
_ZN7rocprim17ROCPRIM_400000_NS6detail17trampoline_kernelINS0_14default_configENS1_22reduce_config_selectorIbEEZNS1_11reduce_implILb1ES3_N6hipcub16HIPCUB_304000_NS22TransformInputIteratorIbN2at6native12_GLOBAL__N_19NonZeroOpIN3c107complexIdEEEEPKSG_lEEPiiNS8_6detail34convert_binary_result_type_wrapperINS8_3SumESK_iEEEE10hipError_tPvRmT1_T2_T3_mT4_P12ihipStream_tbEUlT_E1_NS1_11comp_targetILNS1_3genE0ELNS1_11target_archE4294967295ELNS1_3gpuE0ELNS1_3repE0EEENS1_30default_config_static_selectorELNS0_4arch9wavefront6targetE0EEEvST_: ; @_ZN7rocprim17ROCPRIM_400000_NS6detail17trampoline_kernelINS0_14default_configENS1_22reduce_config_selectorIbEEZNS1_11reduce_implILb1ES3_N6hipcub16HIPCUB_304000_NS22TransformInputIteratorIbN2at6native12_GLOBAL__N_19NonZeroOpIN3c107complexIdEEEEPKSG_lEEPiiNS8_6detail34convert_binary_result_type_wrapperINS8_3SumESK_iEEEE10hipError_tPvRmT1_T2_T3_mT4_P12ihipStream_tbEUlT_E1_NS1_11comp_targetILNS1_3genE0ELNS1_11target_archE4294967295ELNS1_3gpuE0ELNS1_3repE0EEENS1_30default_config_static_selectorELNS0_4arch9wavefront6targetE0EEEvST_
; %bb.0:
	.section	.rodata,"a",@progbits
	.p2align	6, 0x0
	.amdhsa_kernel _ZN7rocprim17ROCPRIM_400000_NS6detail17trampoline_kernelINS0_14default_configENS1_22reduce_config_selectorIbEEZNS1_11reduce_implILb1ES3_N6hipcub16HIPCUB_304000_NS22TransformInputIteratorIbN2at6native12_GLOBAL__N_19NonZeroOpIN3c107complexIdEEEEPKSG_lEEPiiNS8_6detail34convert_binary_result_type_wrapperINS8_3SumESK_iEEEE10hipError_tPvRmT1_T2_T3_mT4_P12ihipStream_tbEUlT_E1_NS1_11comp_targetILNS1_3genE0ELNS1_11target_archE4294967295ELNS1_3gpuE0ELNS1_3repE0EEENS1_30default_config_static_selectorELNS0_4arch9wavefront6targetE0EEEvST_
		.amdhsa_group_segment_fixed_size 0
		.amdhsa_private_segment_fixed_size 0
		.amdhsa_kernarg_size 48
		.amdhsa_user_sgpr_count 2
		.amdhsa_user_sgpr_dispatch_ptr 0
		.amdhsa_user_sgpr_queue_ptr 0
		.amdhsa_user_sgpr_kernarg_segment_ptr 1
		.amdhsa_user_sgpr_dispatch_id 0
		.amdhsa_user_sgpr_private_segment_size 0
		.amdhsa_wavefront_size32 1
		.amdhsa_uses_dynamic_stack 0
		.amdhsa_enable_private_segment 0
		.amdhsa_system_sgpr_workgroup_id_x 1
		.amdhsa_system_sgpr_workgroup_id_y 0
		.amdhsa_system_sgpr_workgroup_id_z 0
		.amdhsa_system_sgpr_workgroup_info 0
		.amdhsa_system_vgpr_workitem_id 0
		.amdhsa_next_free_vgpr 1
		.amdhsa_next_free_sgpr 1
		.amdhsa_reserve_vcc 0
		.amdhsa_float_round_mode_32 0
		.amdhsa_float_round_mode_16_64 0
		.amdhsa_float_denorm_mode_32 3
		.amdhsa_float_denorm_mode_16_64 3
		.amdhsa_fp16_overflow 0
		.amdhsa_workgroup_processor_mode 1
		.amdhsa_memory_ordered 1
		.amdhsa_forward_progress 1
		.amdhsa_inst_pref_size 0
		.amdhsa_round_robin_scheduling 0
		.amdhsa_exception_fp_ieee_invalid_op 0
		.amdhsa_exception_fp_denorm_src 0
		.amdhsa_exception_fp_ieee_div_zero 0
		.amdhsa_exception_fp_ieee_overflow 0
		.amdhsa_exception_fp_ieee_underflow 0
		.amdhsa_exception_fp_ieee_inexact 0
		.amdhsa_exception_int_div_zero 0
	.end_amdhsa_kernel
	.section	.text._ZN7rocprim17ROCPRIM_400000_NS6detail17trampoline_kernelINS0_14default_configENS1_22reduce_config_selectorIbEEZNS1_11reduce_implILb1ES3_N6hipcub16HIPCUB_304000_NS22TransformInputIteratorIbN2at6native12_GLOBAL__N_19NonZeroOpIN3c107complexIdEEEEPKSG_lEEPiiNS8_6detail34convert_binary_result_type_wrapperINS8_3SumESK_iEEEE10hipError_tPvRmT1_T2_T3_mT4_P12ihipStream_tbEUlT_E1_NS1_11comp_targetILNS1_3genE0ELNS1_11target_archE4294967295ELNS1_3gpuE0ELNS1_3repE0EEENS1_30default_config_static_selectorELNS0_4arch9wavefront6targetE0EEEvST_,"axG",@progbits,_ZN7rocprim17ROCPRIM_400000_NS6detail17trampoline_kernelINS0_14default_configENS1_22reduce_config_selectorIbEEZNS1_11reduce_implILb1ES3_N6hipcub16HIPCUB_304000_NS22TransformInputIteratorIbN2at6native12_GLOBAL__N_19NonZeroOpIN3c107complexIdEEEEPKSG_lEEPiiNS8_6detail34convert_binary_result_type_wrapperINS8_3SumESK_iEEEE10hipError_tPvRmT1_T2_T3_mT4_P12ihipStream_tbEUlT_E1_NS1_11comp_targetILNS1_3genE0ELNS1_11target_archE4294967295ELNS1_3gpuE0ELNS1_3repE0EEENS1_30default_config_static_selectorELNS0_4arch9wavefront6targetE0EEEvST_,comdat
.Lfunc_end517:
	.size	_ZN7rocprim17ROCPRIM_400000_NS6detail17trampoline_kernelINS0_14default_configENS1_22reduce_config_selectorIbEEZNS1_11reduce_implILb1ES3_N6hipcub16HIPCUB_304000_NS22TransformInputIteratorIbN2at6native12_GLOBAL__N_19NonZeroOpIN3c107complexIdEEEEPKSG_lEEPiiNS8_6detail34convert_binary_result_type_wrapperINS8_3SumESK_iEEEE10hipError_tPvRmT1_T2_T3_mT4_P12ihipStream_tbEUlT_E1_NS1_11comp_targetILNS1_3genE0ELNS1_11target_archE4294967295ELNS1_3gpuE0ELNS1_3repE0EEENS1_30default_config_static_selectorELNS0_4arch9wavefront6targetE0EEEvST_, .Lfunc_end517-_ZN7rocprim17ROCPRIM_400000_NS6detail17trampoline_kernelINS0_14default_configENS1_22reduce_config_selectorIbEEZNS1_11reduce_implILb1ES3_N6hipcub16HIPCUB_304000_NS22TransformInputIteratorIbN2at6native12_GLOBAL__N_19NonZeroOpIN3c107complexIdEEEEPKSG_lEEPiiNS8_6detail34convert_binary_result_type_wrapperINS8_3SumESK_iEEEE10hipError_tPvRmT1_T2_T3_mT4_P12ihipStream_tbEUlT_E1_NS1_11comp_targetILNS1_3genE0ELNS1_11target_archE4294967295ELNS1_3gpuE0ELNS1_3repE0EEENS1_30default_config_static_selectorELNS0_4arch9wavefront6targetE0EEEvST_
                                        ; -- End function
	.set _ZN7rocprim17ROCPRIM_400000_NS6detail17trampoline_kernelINS0_14default_configENS1_22reduce_config_selectorIbEEZNS1_11reduce_implILb1ES3_N6hipcub16HIPCUB_304000_NS22TransformInputIteratorIbN2at6native12_GLOBAL__N_19NonZeroOpIN3c107complexIdEEEEPKSG_lEEPiiNS8_6detail34convert_binary_result_type_wrapperINS8_3SumESK_iEEEE10hipError_tPvRmT1_T2_T3_mT4_P12ihipStream_tbEUlT_E1_NS1_11comp_targetILNS1_3genE0ELNS1_11target_archE4294967295ELNS1_3gpuE0ELNS1_3repE0EEENS1_30default_config_static_selectorELNS0_4arch9wavefront6targetE0EEEvST_.num_vgpr, 0
	.set _ZN7rocprim17ROCPRIM_400000_NS6detail17trampoline_kernelINS0_14default_configENS1_22reduce_config_selectorIbEEZNS1_11reduce_implILb1ES3_N6hipcub16HIPCUB_304000_NS22TransformInputIteratorIbN2at6native12_GLOBAL__N_19NonZeroOpIN3c107complexIdEEEEPKSG_lEEPiiNS8_6detail34convert_binary_result_type_wrapperINS8_3SumESK_iEEEE10hipError_tPvRmT1_T2_T3_mT4_P12ihipStream_tbEUlT_E1_NS1_11comp_targetILNS1_3genE0ELNS1_11target_archE4294967295ELNS1_3gpuE0ELNS1_3repE0EEENS1_30default_config_static_selectorELNS0_4arch9wavefront6targetE0EEEvST_.num_agpr, 0
	.set _ZN7rocprim17ROCPRIM_400000_NS6detail17trampoline_kernelINS0_14default_configENS1_22reduce_config_selectorIbEEZNS1_11reduce_implILb1ES3_N6hipcub16HIPCUB_304000_NS22TransformInputIteratorIbN2at6native12_GLOBAL__N_19NonZeroOpIN3c107complexIdEEEEPKSG_lEEPiiNS8_6detail34convert_binary_result_type_wrapperINS8_3SumESK_iEEEE10hipError_tPvRmT1_T2_T3_mT4_P12ihipStream_tbEUlT_E1_NS1_11comp_targetILNS1_3genE0ELNS1_11target_archE4294967295ELNS1_3gpuE0ELNS1_3repE0EEENS1_30default_config_static_selectorELNS0_4arch9wavefront6targetE0EEEvST_.numbered_sgpr, 0
	.set _ZN7rocprim17ROCPRIM_400000_NS6detail17trampoline_kernelINS0_14default_configENS1_22reduce_config_selectorIbEEZNS1_11reduce_implILb1ES3_N6hipcub16HIPCUB_304000_NS22TransformInputIteratorIbN2at6native12_GLOBAL__N_19NonZeroOpIN3c107complexIdEEEEPKSG_lEEPiiNS8_6detail34convert_binary_result_type_wrapperINS8_3SumESK_iEEEE10hipError_tPvRmT1_T2_T3_mT4_P12ihipStream_tbEUlT_E1_NS1_11comp_targetILNS1_3genE0ELNS1_11target_archE4294967295ELNS1_3gpuE0ELNS1_3repE0EEENS1_30default_config_static_selectorELNS0_4arch9wavefront6targetE0EEEvST_.num_named_barrier, 0
	.set _ZN7rocprim17ROCPRIM_400000_NS6detail17trampoline_kernelINS0_14default_configENS1_22reduce_config_selectorIbEEZNS1_11reduce_implILb1ES3_N6hipcub16HIPCUB_304000_NS22TransformInputIteratorIbN2at6native12_GLOBAL__N_19NonZeroOpIN3c107complexIdEEEEPKSG_lEEPiiNS8_6detail34convert_binary_result_type_wrapperINS8_3SumESK_iEEEE10hipError_tPvRmT1_T2_T3_mT4_P12ihipStream_tbEUlT_E1_NS1_11comp_targetILNS1_3genE0ELNS1_11target_archE4294967295ELNS1_3gpuE0ELNS1_3repE0EEENS1_30default_config_static_selectorELNS0_4arch9wavefront6targetE0EEEvST_.private_seg_size, 0
	.set _ZN7rocprim17ROCPRIM_400000_NS6detail17trampoline_kernelINS0_14default_configENS1_22reduce_config_selectorIbEEZNS1_11reduce_implILb1ES3_N6hipcub16HIPCUB_304000_NS22TransformInputIteratorIbN2at6native12_GLOBAL__N_19NonZeroOpIN3c107complexIdEEEEPKSG_lEEPiiNS8_6detail34convert_binary_result_type_wrapperINS8_3SumESK_iEEEE10hipError_tPvRmT1_T2_T3_mT4_P12ihipStream_tbEUlT_E1_NS1_11comp_targetILNS1_3genE0ELNS1_11target_archE4294967295ELNS1_3gpuE0ELNS1_3repE0EEENS1_30default_config_static_selectorELNS0_4arch9wavefront6targetE0EEEvST_.uses_vcc, 0
	.set _ZN7rocprim17ROCPRIM_400000_NS6detail17trampoline_kernelINS0_14default_configENS1_22reduce_config_selectorIbEEZNS1_11reduce_implILb1ES3_N6hipcub16HIPCUB_304000_NS22TransformInputIteratorIbN2at6native12_GLOBAL__N_19NonZeroOpIN3c107complexIdEEEEPKSG_lEEPiiNS8_6detail34convert_binary_result_type_wrapperINS8_3SumESK_iEEEE10hipError_tPvRmT1_T2_T3_mT4_P12ihipStream_tbEUlT_E1_NS1_11comp_targetILNS1_3genE0ELNS1_11target_archE4294967295ELNS1_3gpuE0ELNS1_3repE0EEENS1_30default_config_static_selectorELNS0_4arch9wavefront6targetE0EEEvST_.uses_flat_scratch, 0
	.set _ZN7rocprim17ROCPRIM_400000_NS6detail17trampoline_kernelINS0_14default_configENS1_22reduce_config_selectorIbEEZNS1_11reduce_implILb1ES3_N6hipcub16HIPCUB_304000_NS22TransformInputIteratorIbN2at6native12_GLOBAL__N_19NonZeroOpIN3c107complexIdEEEEPKSG_lEEPiiNS8_6detail34convert_binary_result_type_wrapperINS8_3SumESK_iEEEE10hipError_tPvRmT1_T2_T3_mT4_P12ihipStream_tbEUlT_E1_NS1_11comp_targetILNS1_3genE0ELNS1_11target_archE4294967295ELNS1_3gpuE0ELNS1_3repE0EEENS1_30default_config_static_selectorELNS0_4arch9wavefront6targetE0EEEvST_.has_dyn_sized_stack, 0
	.set _ZN7rocprim17ROCPRIM_400000_NS6detail17trampoline_kernelINS0_14default_configENS1_22reduce_config_selectorIbEEZNS1_11reduce_implILb1ES3_N6hipcub16HIPCUB_304000_NS22TransformInputIteratorIbN2at6native12_GLOBAL__N_19NonZeroOpIN3c107complexIdEEEEPKSG_lEEPiiNS8_6detail34convert_binary_result_type_wrapperINS8_3SumESK_iEEEE10hipError_tPvRmT1_T2_T3_mT4_P12ihipStream_tbEUlT_E1_NS1_11comp_targetILNS1_3genE0ELNS1_11target_archE4294967295ELNS1_3gpuE0ELNS1_3repE0EEENS1_30default_config_static_selectorELNS0_4arch9wavefront6targetE0EEEvST_.has_recursion, 0
	.set _ZN7rocprim17ROCPRIM_400000_NS6detail17trampoline_kernelINS0_14default_configENS1_22reduce_config_selectorIbEEZNS1_11reduce_implILb1ES3_N6hipcub16HIPCUB_304000_NS22TransformInputIteratorIbN2at6native12_GLOBAL__N_19NonZeroOpIN3c107complexIdEEEEPKSG_lEEPiiNS8_6detail34convert_binary_result_type_wrapperINS8_3SumESK_iEEEE10hipError_tPvRmT1_T2_T3_mT4_P12ihipStream_tbEUlT_E1_NS1_11comp_targetILNS1_3genE0ELNS1_11target_archE4294967295ELNS1_3gpuE0ELNS1_3repE0EEENS1_30default_config_static_selectorELNS0_4arch9wavefront6targetE0EEEvST_.has_indirect_call, 0
	.section	.AMDGPU.csdata,"",@progbits
; Kernel info:
; codeLenInByte = 0
; TotalNumSgprs: 0
; NumVgprs: 0
; ScratchSize: 0
; MemoryBound: 0
; FloatMode: 240
; IeeeMode: 1
; LDSByteSize: 0 bytes/workgroup (compile time only)
; SGPRBlocks: 0
; VGPRBlocks: 0
; NumSGPRsForWavesPerEU: 1
; NumVGPRsForWavesPerEU: 1
; Occupancy: 16
; WaveLimiterHint : 0
; COMPUTE_PGM_RSRC2:SCRATCH_EN: 0
; COMPUTE_PGM_RSRC2:USER_SGPR: 2
; COMPUTE_PGM_RSRC2:TRAP_HANDLER: 0
; COMPUTE_PGM_RSRC2:TGID_X_EN: 1
; COMPUTE_PGM_RSRC2:TGID_Y_EN: 0
; COMPUTE_PGM_RSRC2:TGID_Z_EN: 0
; COMPUTE_PGM_RSRC2:TIDIG_COMP_CNT: 0
	.section	.text._ZN7rocprim17ROCPRIM_400000_NS6detail17trampoline_kernelINS0_14default_configENS1_22reduce_config_selectorIbEEZNS1_11reduce_implILb1ES3_N6hipcub16HIPCUB_304000_NS22TransformInputIteratorIbN2at6native12_GLOBAL__N_19NonZeroOpIN3c107complexIdEEEEPKSG_lEEPiiNS8_6detail34convert_binary_result_type_wrapperINS8_3SumESK_iEEEE10hipError_tPvRmT1_T2_T3_mT4_P12ihipStream_tbEUlT_E1_NS1_11comp_targetILNS1_3genE5ELNS1_11target_archE942ELNS1_3gpuE9ELNS1_3repE0EEENS1_30default_config_static_selectorELNS0_4arch9wavefront6targetE0EEEvST_,"axG",@progbits,_ZN7rocprim17ROCPRIM_400000_NS6detail17trampoline_kernelINS0_14default_configENS1_22reduce_config_selectorIbEEZNS1_11reduce_implILb1ES3_N6hipcub16HIPCUB_304000_NS22TransformInputIteratorIbN2at6native12_GLOBAL__N_19NonZeroOpIN3c107complexIdEEEEPKSG_lEEPiiNS8_6detail34convert_binary_result_type_wrapperINS8_3SumESK_iEEEE10hipError_tPvRmT1_T2_T3_mT4_P12ihipStream_tbEUlT_E1_NS1_11comp_targetILNS1_3genE5ELNS1_11target_archE942ELNS1_3gpuE9ELNS1_3repE0EEENS1_30default_config_static_selectorELNS0_4arch9wavefront6targetE0EEEvST_,comdat
	.globl	_ZN7rocprim17ROCPRIM_400000_NS6detail17trampoline_kernelINS0_14default_configENS1_22reduce_config_selectorIbEEZNS1_11reduce_implILb1ES3_N6hipcub16HIPCUB_304000_NS22TransformInputIteratorIbN2at6native12_GLOBAL__N_19NonZeroOpIN3c107complexIdEEEEPKSG_lEEPiiNS8_6detail34convert_binary_result_type_wrapperINS8_3SumESK_iEEEE10hipError_tPvRmT1_T2_T3_mT4_P12ihipStream_tbEUlT_E1_NS1_11comp_targetILNS1_3genE5ELNS1_11target_archE942ELNS1_3gpuE9ELNS1_3repE0EEENS1_30default_config_static_selectorELNS0_4arch9wavefront6targetE0EEEvST_ ; -- Begin function _ZN7rocprim17ROCPRIM_400000_NS6detail17trampoline_kernelINS0_14default_configENS1_22reduce_config_selectorIbEEZNS1_11reduce_implILb1ES3_N6hipcub16HIPCUB_304000_NS22TransformInputIteratorIbN2at6native12_GLOBAL__N_19NonZeroOpIN3c107complexIdEEEEPKSG_lEEPiiNS8_6detail34convert_binary_result_type_wrapperINS8_3SumESK_iEEEE10hipError_tPvRmT1_T2_T3_mT4_P12ihipStream_tbEUlT_E1_NS1_11comp_targetILNS1_3genE5ELNS1_11target_archE942ELNS1_3gpuE9ELNS1_3repE0EEENS1_30default_config_static_selectorELNS0_4arch9wavefront6targetE0EEEvST_
	.p2align	8
	.type	_ZN7rocprim17ROCPRIM_400000_NS6detail17trampoline_kernelINS0_14default_configENS1_22reduce_config_selectorIbEEZNS1_11reduce_implILb1ES3_N6hipcub16HIPCUB_304000_NS22TransformInputIteratorIbN2at6native12_GLOBAL__N_19NonZeroOpIN3c107complexIdEEEEPKSG_lEEPiiNS8_6detail34convert_binary_result_type_wrapperINS8_3SumESK_iEEEE10hipError_tPvRmT1_T2_T3_mT4_P12ihipStream_tbEUlT_E1_NS1_11comp_targetILNS1_3genE5ELNS1_11target_archE942ELNS1_3gpuE9ELNS1_3repE0EEENS1_30default_config_static_selectorELNS0_4arch9wavefront6targetE0EEEvST_,@function
_ZN7rocprim17ROCPRIM_400000_NS6detail17trampoline_kernelINS0_14default_configENS1_22reduce_config_selectorIbEEZNS1_11reduce_implILb1ES3_N6hipcub16HIPCUB_304000_NS22TransformInputIteratorIbN2at6native12_GLOBAL__N_19NonZeroOpIN3c107complexIdEEEEPKSG_lEEPiiNS8_6detail34convert_binary_result_type_wrapperINS8_3SumESK_iEEEE10hipError_tPvRmT1_T2_T3_mT4_P12ihipStream_tbEUlT_E1_NS1_11comp_targetILNS1_3genE5ELNS1_11target_archE942ELNS1_3gpuE9ELNS1_3repE0EEENS1_30default_config_static_selectorELNS0_4arch9wavefront6targetE0EEEvST_: ; @_ZN7rocprim17ROCPRIM_400000_NS6detail17trampoline_kernelINS0_14default_configENS1_22reduce_config_selectorIbEEZNS1_11reduce_implILb1ES3_N6hipcub16HIPCUB_304000_NS22TransformInputIteratorIbN2at6native12_GLOBAL__N_19NonZeroOpIN3c107complexIdEEEEPKSG_lEEPiiNS8_6detail34convert_binary_result_type_wrapperINS8_3SumESK_iEEEE10hipError_tPvRmT1_T2_T3_mT4_P12ihipStream_tbEUlT_E1_NS1_11comp_targetILNS1_3genE5ELNS1_11target_archE942ELNS1_3gpuE9ELNS1_3repE0EEENS1_30default_config_static_selectorELNS0_4arch9wavefront6targetE0EEEvST_
; %bb.0:
	.section	.rodata,"a",@progbits
	.p2align	6, 0x0
	.amdhsa_kernel _ZN7rocprim17ROCPRIM_400000_NS6detail17trampoline_kernelINS0_14default_configENS1_22reduce_config_selectorIbEEZNS1_11reduce_implILb1ES3_N6hipcub16HIPCUB_304000_NS22TransformInputIteratorIbN2at6native12_GLOBAL__N_19NonZeroOpIN3c107complexIdEEEEPKSG_lEEPiiNS8_6detail34convert_binary_result_type_wrapperINS8_3SumESK_iEEEE10hipError_tPvRmT1_T2_T3_mT4_P12ihipStream_tbEUlT_E1_NS1_11comp_targetILNS1_3genE5ELNS1_11target_archE942ELNS1_3gpuE9ELNS1_3repE0EEENS1_30default_config_static_selectorELNS0_4arch9wavefront6targetE0EEEvST_
		.amdhsa_group_segment_fixed_size 0
		.amdhsa_private_segment_fixed_size 0
		.amdhsa_kernarg_size 48
		.amdhsa_user_sgpr_count 2
		.amdhsa_user_sgpr_dispatch_ptr 0
		.amdhsa_user_sgpr_queue_ptr 0
		.amdhsa_user_sgpr_kernarg_segment_ptr 1
		.amdhsa_user_sgpr_dispatch_id 0
		.amdhsa_user_sgpr_private_segment_size 0
		.amdhsa_wavefront_size32 1
		.amdhsa_uses_dynamic_stack 0
		.amdhsa_enable_private_segment 0
		.amdhsa_system_sgpr_workgroup_id_x 1
		.amdhsa_system_sgpr_workgroup_id_y 0
		.amdhsa_system_sgpr_workgroup_id_z 0
		.amdhsa_system_sgpr_workgroup_info 0
		.amdhsa_system_vgpr_workitem_id 0
		.amdhsa_next_free_vgpr 1
		.amdhsa_next_free_sgpr 1
		.amdhsa_reserve_vcc 0
		.amdhsa_float_round_mode_32 0
		.amdhsa_float_round_mode_16_64 0
		.amdhsa_float_denorm_mode_32 3
		.amdhsa_float_denorm_mode_16_64 3
		.amdhsa_fp16_overflow 0
		.amdhsa_workgroup_processor_mode 1
		.amdhsa_memory_ordered 1
		.amdhsa_forward_progress 1
		.amdhsa_inst_pref_size 0
		.amdhsa_round_robin_scheduling 0
		.amdhsa_exception_fp_ieee_invalid_op 0
		.amdhsa_exception_fp_denorm_src 0
		.amdhsa_exception_fp_ieee_div_zero 0
		.amdhsa_exception_fp_ieee_overflow 0
		.amdhsa_exception_fp_ieee_underflow 0
		.amdhsa_exception_fp_ieee_inexact 0
		.amdhsa_exception_int_div_zero 0
	.end_amdhsa_kernel
	.section	.text._ZN7rocprim17ROCPRIM_400000_NS6detail17trampoline_kernelINS0_14default_configENS1_22reduce_config_selectorIbEEZNS1_11reduce_implILb1ES3_N6hipcub16HIPCUB_304000_NS22TransformInputIteratorIbN2at6native12_GLOBAL__N_19NonZeroOpIN3c107complexIdEEEEPKSG_lEEPiiNS8_6detail34convert_binary_result_type_wrapperINS8_3SumESK_iEEEE10hipError_tPvRmT1_T2_T3_mT4_P12ihipStream_tbEUlT_E1_NS1_11comp_targetILNS1_3genE5ELNS1_11target_archE942ELNS1_3gpuE9ELNS1_3repE0EEENS1_30default_config_static_selectorELNS0_4arch9wavefront6targetE0EEEvST_,"axG",@progbits,_ZN7rocprim17ROCPRIM_400000_NS6detail17trampoline_kernelINS0_14default_configENS1_22reduce_config_selectorIbEEZNS1_11reduce_implILb1ES3_N6hipcub16HIPCUB_304000_NS22TransformInputIteratorIbN2at6native12_GLOBAL__N_19NonZeroOpIN3c107complexIdEEEEPKSG_lEEPiiNS8_6detail34convert_binary_result_type_wrapperINS8_3SumESK_iEEEE10hipError_tPvRmT1_T2_T3_mT4_P12ihipStream_tbEUlT_E1_NS1_11comp_targetILNS1_3genE5ELNS1_11target_archE942ELNS1_3gpuE9ELNS1_3repE0EEENS1_30default_config_static_selectorELNS0_4arch9wavefront6targetE0EEEvST_,comdat
.Lfunc_end518:
	.size	_ZN7rocprim17ROCPRIM_400000_NS6detail17trampoline_kernelINS0_14default_configENS1_22reduce_config_selectorIbEEZNS1_11reduce_implILb1ES3_N6hipcub16HIPCUB_304000_NS22TransformInputIteratorIbN2at6native12_GLOBAL__N_19NonZeroOpIN3c107complexIdEEEEPKSG_lEEPiiNS8_6detail34convert_binary_result_type_wrapperINS8_3SumESK_iEEEE10hipError_tPvRmT1_T2_T3_mT4_P12ihipStream_tbEUlT_E1_NS1_11comp_targetILNS1_3genE5ELNS1_11target_archE942ELNS1_3gpuE9ELNS1_3repE0EEENS1_30default_config_static_selectorELNS0_4arch9wavefront6targetE0EEEvST_, .Lfunc_end518-_ZN7rocprim17ROCPRIM_400000_NS6detail17trampoline_kernelINS0_14default_configENS1_22reduce_config_selectorIbEEZNS1_11reduce_implILb1ES3_N6hipcub16HIPCUB_304000_NS22TransformInputIteratorIbN2at6native12_GLOBAL__N_19NonZeroOpIN3c107complexIdEEEEPKSG_lEEPiiNS8_6detail34convert_binary_result_type_wrapperINS8_3SumESK_iEEEE10hipError_tPvRmT1_T2_T3_mT4_P12ihipStream_tbEUlT_E1_NS1_11comp_targetILNS1_3genE5ELNS1_11target_archE942ELNS1_3gpuE9ELNS1_3repE0EEENS1_30default_config_static_selectorELNS0_4arch9wavefront6targetE0EEEvST_
                                        ; -- End function
	.set _ZN7rocprim17ROCPRIM_400000_NS6detail17trampoline_kernelINS0_14default_configENS1_22reduce_config_selectorIbEEZNS1_11reduce_implILb1ES3_N6hipcub16HIPCUB_304000_NS22TransformInputIteratorIbN2at6native12_GLOBAL__N_19NonZeroOpIN3c107complexIdEEEEPKSG_lEEPiiNS8_6detail34convert_binary_result_type_wrapperINS8_3SumESK_iEEEE10hipError_tPvRmT1_T2_T3_mT4_P12ihipStream_tbEUlT_E1_NS1_11comp_targetILNS1_3genE5ELNS1_11target_archE942ELNS1_3gpuE9ELNS1_3repE0EEENS1_30default_config_static_selectorELNS0_4arch9wavefront6targetE0EEEvST_.num_vgpr, 0
	.set _ZN7rocprim17ROCPRIM_400000_NS6detail17trampoline_kernelINS0_14default_configENS1_22reduce_config_selectorIbEEZNS1_11reduce_implILb1ES3_N6hipcub16HIPCUB_304000_NS22TransformInputIteratorIbN2at6native12_GLOBAL__N_19NonZeroOpIN3c107complexIdEEEEPKSG_lEEPiiNS8_6detail34convert_binary_result_type_wrapperINS8_3SumESK_iEEEE10hipError_tPvRmT1_T2_T3_mT4_P12ihipStream_tbEUlT_E1_NS1_11comp_targetILNS1_3genE5ELNS1_11target_archE942ELNS1_3gpuE9ELNS1_3repE0EEENS1_30default_config_static_selectorELNS0_4arch9wavefront6targetE0EEEvST_.num_agpr, 0
	.set _ZN7rocprim17ROCPRIM_400000_NS6detail17trampoline_kernelINS0_14default_configENS1_22reduce_config_selectorIbEEZNS1_11reduce_implILb1ES3_N6hipcub16HIPCUB_304000_NS22TransformInputIteratorIbN2at6native12_GLOBAL__N_19NonZeroOpIN3c107complexIdEEEEPKSG_lEEPiiNS8_6detail34convert_binary_result_type_wrapperINS8_3SumESK_iEEEE10hipError_tPvRmT1_T2_T3_mT4_P12ihipStream_tbEUlT_E1_NS1_11comp_targetILNS1_3genE5ELNS1_11target_archE942ELNS1_3gpuE9ELNS1_3repE0EEENS1_30default_config_static_selectorELNS0_4arch9wavefront6targetE0EEEvST_.numbered_sgpr, 0
	.set _ZN7rocprim17ROCPRIM_400000_NS6detail17trampoline_kernelINS0_14default_configENS1_22reduce_config_selectorIbEEZNS1_11reduce_implILb1ES3_N6hipcub16HIPCUB_304000_NS22TransformInputIteratorIbN2at6native12_GLOBAL__N_19NonZeroOpIN3c107complexIdEEEEPKSG_lEEPiiNS8_6detail34convert_binary_result_type_wrapperINS8_3SumESK_iEEEE10hipError_tPvRmT1_T2_T3_mT4_P12ihipStream_tbEUlT_E1_NS1_11comp_targetILNS1_3genE5ELNS1_11target_archE942ELNS1_3gpuE9ELNS1_3repE0EEENS1_30default_config_static_selectorELNS0_4arch9wavefront6targetE0EEEvST_.num_named_barrier, 0
	.set _ZN7rocprim17ROCPRIM_400000_NS6detail17trampoline_kernelINS0_14default_configENS1_22reduce_config_selectorIbEEZNS1_11reduce_implILb1ES3_N6hipcub16HIPCUB_304000_NS22TransformInputIteratorIbN2at6native12_GLOBAL__N_19NonZeroOpIN3c107complexIdEEEEPKSG_lEEPiiNS8_6detail34convert_binary_result_type_wrapperINS8_3SumESK_iEEEE10hipError_tPvRmT1_T2_T3_mT4_P12ihipStream_tbEUlT_E1_NS1_11comp_targetILNS1_3genE5ELNS1_11target_archE942ELNS1_3gpuE9ELNS1_3repE0EEENS1_30default_config_static_selectorELNS0_4arch9wavefront6targetE0EEEvST_.private_seg_size, 0
	.set _ZN7rocprim17ROCPRIM_400000_NS6detail17trampoline_kernelINS0_14default_configENS1_22reduce_config_selectorIbEEZNS1_11reduce_implILb1ES3_N6hipcub16HIPCUB_304000_NS22TransformInputIteratorIbN2at6native12_GLOBAL__N_19NonZeroOpIN3c107complexIdEEEEPKSG_lEEPiiNS8_6detail34convert_binary_result_type_wrapperINS8_3SumESK_iEEEE10hipError_tPvRmT1_T2_T3_mT4_P12ihipStream_tbEUlT_E1_NS1_11comp_targetILNS1_3genE5ELNS1_11target_archE942ELNS1_3gpuE9ELNS1_3repE0EEENS1_30default_config_static_selectorELNS0_4arch9wavefront6targetE0EEEvST_.uses_vcc, 0
	.set _ZN7rocprim17ROCPRIM_400000_NS6detail17trampoline_kernelINS0_14default_configENS1_22reduce_config_selectorIbEEZNS1_11reduce_implILb1ES3_N6hipcub16HIPCUB_304000_NS22TransformInputIteratorIbN2at6native12_GLOBAL__N_19NonZeroOpIN3c107complexIdEEEEPKSG_lEEPiiNS8_6detail34convert_binary_result_type_wrapperINS8_3SumESK_iEEEE10hipError_tPvRmT1_T2_T3_mT4_P12ihipStream_tbEUlT_E1_NS1_11comp_targetILNS1_3genE5ELNS1_11target_archE942ELNS1_3gpuE9ELNS1_3repE0EEENS1_30default_config_static_selectorELNS0_4arch9wavefront6targetE0EEEvST_.uses_flat_scratch, 0
	.set _ZN7rocprim17ROCPRIM_400000_NS6detail17trampoline_kernelINS0_14default_configENS1_22reduce_config_selectorIbEEZNS1_11reduce_implILb1ES3_N6hipcub16HIPCUB_304000_NS22TransformInputIteratorIbN2at6native12_GLOBAL__N_19NonZeroOpIN3c107complexIdEEEEPKSG_lEEPiiNS8_6detail34convert_binary_result_type_wrapperINS8_3SumESK_iEEEE10hipError_tPvRmT1_T2_T3_mT4_P12ihipStream_tbEUlT_E1_NS1_11comp_targetILNS1_3genE5ELNS1_11target_archE942ELNS1_3gpuE9ELNS1_3repE0EEENS1_30default_config_static_selectorELNS0_4arch9wavefront6targetE0EEEvST_.has_dyn_sized_stack, 0
	.set _ZN7rocprim17ROCPRIM_400000_NS6detail17trampoline_kernelINS0_14default_configENS1_22reduce_config_selectorIbEEZNS1_11reduce_implILb1ES3_N6hipcub16HIPCUB_304000_NS22TransformInputIteratorIbN2at6native12_GLOBAL__N_19NonZeroOpIN3c107complexIdEEEEPKSG_lEEPiiNS8_6detail34convert_binary_result_type_wrapperINS8_3SumESK_iEEEE10hipError_tPvRmT1_T2_T3_mT4_P12ihipStream_tbEUlT_E1_NS1_11comp_targetILNS1_3genE5ELNS1_11target_archE942ELNS1_3gpuE9ELNS1_3repE0EEENS1_30default_config_static_selectorELNS0_4arch9wavefront6targetE0EEEvST_.has_recursion, 0
	.set _ZN7rocprim17ROCPRIM_400000_NS6detail17trampoline_kernelINS0_14default_configENS1_22reduce_config_selectorIbEEZNS1_11reduce_implILb1ES3_N6hipcub16HIPCUB_304000_NS22TransformInputIteratorIbN2at6native12_GLOBAL__N_19NonZeroOpIN3c107complexIdEEEEPKSG_lEEPiiNS8_6detail34convert_binary_result_type_wrapperINS8_3SumESK_iEEEE10hipError_tPvRmT1_T2_T3_mT4_P12ihipStream_tbEUlT_E1_NS1_11comp_targetILNS1_3genE5ELNS1_11target_archE942ELNS1_3gpuE9ELNS1_3repE0EEENS1_30default_config_static_selectorELNS0_4arch9wavefront6targetE0EEEvST_.has_indirect_call, 0
	.section	.AMDGPU.csdata,"",@progbits
; Kernel info:
; codeLenInByte = 0
; TotalNumSgprs: 0
; NumVgprs: 0
; ScratchSize: 0
; MemoryBound: 0
; FloatMode: 240
; IeeeMode: 1
; LDSByteSize: 0 bytes/workgroup (compile time only)
; SGPRBlocks: 0
; VGPRBlocks: 0
; NumSGPRsForWavesPerEU: 1
; NumVGPRsForWavesPerEU: 1
; Occupancy: 16
; WaveLimiterHint : 0
; COMPUTE_PGM_RSRC2:SCRATCH_EN: 0
; COMPUTE_PGM_RSRC2:USER_SGPR: 2
; COMPUTE_PGM_RSRC2:TRAP_HANDLER: 0
; COMPUTE_PGM_RSRC2:TGID_X_EN: 1
; COMPUTE_PGM_RSRC2:TGID_Y_EN: 0
; COMPUTE_PGM_RSRC2:TGID_Z_EN: 0
; COMPUTE_PGM_RSRC2:TIDIG_COMP_CNT: 0
	.section	.text._ZN7rocprim17ROCPRIM_400000_NS6detail17trampoline_kernelINS0_14default_configENS1_22reduce_config_selectorIbEEZNS1_11reduce_implILb1ES3_N6hipcub16HIPCUB_304000_NS22TransformInputIteratorIbN2at6native12_GLOBAL__N_19NonZeroOpIN3c107complexIdEEEEPKSG_lEEPiiNS8_6detail34convert_binary_result_type_wrapperINS8_3SumESK_iEEEE10hipError_tPvRmT1_T2_T3_mT4_P12ihipStream_tbEUlT_E1_NS1_11comp_targetILNS1_3genE4ELNS1_11target_archE910ELNS1_3gpuE8ELNS1_3repE0EEENS1_30default_config_static_selectorELNS0_4arch9wavefront6targetE0EEEvST_,"axG",@progbits,_ZN7rocprim17ROCPRIM_400000_NS6detail17trampoline_kernelINS0_14default_configENS1_22reduce_config_selectorIbEEZNS1_11reduce_implILb1ES3_N6hipcub16HIPCUB_304000_NS22TransformInputIteratorIbN2at6native12_GLOBAL__N_19NonZeroOpIN3c107complexIdEEEEPKSG_lEEPiiNS8_6detail34convert_binary_result_type_wrapperINS8_3SumESK_iEEEE10hipError_tPvRmT1_T2_T3_mT4_P12ihipStream_tbEUlT_E1_NS1_11comp_targetILNS1_3genE4ELNS1_11target_archE910ELNS1_3gpuE8ELNS1_3repE0EEENS1_30default_config_static_selectorELNS0_4arch9wavefront6targetE0EEEvST_,comdat
	.globl	_ZN7rocprim17ROCPRIM_400000_NS6detail17trampoline_kernelINS0_14default_configENS1_22reduce_config_selectorIbEEZNS1_11reduce_implILb1ES3_N6hipcub16HIPCUB_304000_NS22TransformInputIteratorIbN2at6native12_GLOBAL__N_19NonZeroOpIN3c107complexIdEEEEPKSG_lEEPiiNS8_6detail34convert_binary_result_type_wrapperINS8_3SumESK_iEEEE10hipError_tPvRmT1_T2_T3_mT4_P12ihipStream_tbEUlT_E1_NS1_11comp_targetILNS1_3genE4ELNS1_11target_archE910ELNS1_3gpuE8ELNS1_3repE0EEENS1_30default_config_static_selectorELNS0_4arch9wavefront6targetE0EEEvST_ ; -- Begin function _ZN7rocprim17ROCPRIM_400000_NS6detail17trampoline_kernelINS0_14default_configENS1_22reduce_config_selectorIbEEZNS1_11reduce_implILb1ES3_N6hipcub16HIPCUB_304000_NS22TransformInputIteratorIbN2at6native12_GLOBAL__N_19NonZeroOpIN3c107complexIdEEEEPKSG_lEEPiiNS8_6detail34convert_binary_result_type_wrapperINS8_3SumESK_iEEEE10hipError_tPvRmT1_T2_T3_mT4_P12ihipStream_tbEUlT_E1_NS1_11comp_targetILNS1_3genE4ELNS1_11target_archE910ELNS1_3gpuE8ELNS1_3repE0EEENS1_30default_config_static_selectorELNS0_4arch9wavefront6targetE0EEEvST_
	.p2align	8
	.type	_ZN7rocprim17ROCPRIM_400000_NS6detail17trampoline_kernelINS0_14default_configENS1_22reduce_config_selectorIbEEZNS1_11reduce_implILb1ES3_N6hipcub16HIPCUB_304000_NS22TransformInputIteratorIbN2at6native12_GLOBAL__N_19NonZeroOpIN3c107complexIdEEEEPKSG_lEEPiiNS8_6detail34convert_binary_result_type_wrapperINS8_3SumESK_iEEEE10hipError_tPvRmT1_T2_T3_mT4_P12ihipStream_tbEUlT_E1_NS1_11comp_targetILNS1_3genE4ELNS1_11target_archE910ELNS1_3gpuE8ELNS1_3repE0EEENS1_30default_config_static_selectorELNS0_4arch9wavefront6targetE0EEEvST_,@function
_ZN7rocprim17ROCPRIM_400000_NS6detail17trampoline_kernelINS0_14default_configENS1_22reduce_config_selectorIbEEZNS1_11reduce_implILb1ES3_N6hipcub16HIPCUB_304000_NS22TransformInputIteratorIbN2at6native12_GLOBAL__N_19NonZeroOpIN3c107complexIdEEEEPKSG_lEEPiiNS8_6detail34convert_binary_result_type_wrapperINS8_3SumESK_iEEEE10hipError_tPvRmT1_T2_T3_mT4_P12ihipStream_tbEUlT_E1_NS1_11comp_targetILNS1_3genE4ELNS1_11target_archE910ELNS1_3gpuE8ELNS1_3repE0EEENS1_30default_config_static_selectorELNS0_4arch9wavefront6targetE0EEEvST_: ; @_ZN7rocprim17ROCPRIM_400000_NS6detail17trampoline_kernelINS0_14default_configENS1_22reduce_config_selectorIbEEZNS1_11reduce_implILb1ES3_N6hipcub16HIPCUB_304000_NS22TransformInputIteratorIbN2at6native12_GLOBAL__N_19NonZeroOpIN3c107complexIdEEEEPKSG_lEEPiiNS8_6detail34convert_binary_result_type_wrapperINS8_3SumESK_iEEEE10hipError_tPvRmT1_T2_T3_mT4_P12ihipStream_tbEUlT_E1_NS1_11comp_targetILNS1_3genE4ELNS1_11target_archE910ELNS1_3gpuE8ELNS1_3repE0EEENS1_30default_config_static_selectorELNS0_4arch9wavefront6targetE0EEEvST_
; %bb.0:
	.section	.rodata,"a",@progbits
	.p2align	6, 0x0
	.amdhsa_kernel _ZN7rocprim17ROCPRIM_400000_NS6detail17trampoline_kernelINS0_14default_configENS1_22reduce_config_selectorIbEEZNS1_11reduce_implILb1ES3_N6hipcub16HIPCUB_304000_NS22TransformInputIteratorIbN2at6native12_GLOBAL__N_19NonZeroOpIN3c107complexIdEEEEPKSG_lEEPiiNS8_6detail34convert_binary_result_type_wrapperINS8_3SumESK_iEEEE10hipError_tPvRmT1_T2_T3_mT4_P12ihipStream_tbEUlT_E1_NS1_11comp_targetILNS1_3genE4ELNS1_11target_archE910ELNS1_3gpuE8ELNS1_3repE0EEENS1_30default_config_static_selectorELNS0_4arch9wavefront6targetE0EEEvST_
		.amdhsa_group_segment_fixed_size 0
		.amdhsa_private_segment_fixed_size 0
		.amdhsa_kernarg_size 48
		.amdhsa_user_sgpr_count 2
		.amdhsa_user_sgpr_dispatch_ptr 0
		.amdhsa_user_sgpr_queue_ptr 0
		.amdhsa_user_sgpr_kernarg_segment_ptr 1
		.amdhsa_user_sgpr_dispatch_id 0
		.amdhsa_user_sgpr_private_segment_size 0
		.amdhsa_wavefront_size32 1
		.amdhsa_uses_dynamic_stack 0
		.amdhsa_enable_private_segment 0
		.amdhsa_system_sgpr_workgroup_id_x 1
		.amdhsa_system_sgpr_workgroup_id_y 0
		.amdhsa_system_sgpr_workgroup_id_z 0
		.amdhsa_system_sgpr_workgroup_info 0
		.amdhsa_system_vgpr_workitem_id 0
		.amdhsa_next_free_vgpr 1
		.amdhsa_next_free_sgpr 1
		.amdhsa_reserve_vcc 0
		.amdhsa_float_round_mode_32 0
		.amdhsa_float_round_mode_16_64 0
		.amdhsa_float_denorm_mode_32 3
		.amdhsa_float_denorm_mode_16_64 3
		.amdhsa_fp16_overflow 0
		.amdhsa_workgroup_processor_mode 1
		.amdhsa_memory_ordered 1
		.amdhsa_forward_progress 1
		.amdhsa_inst_pref_size 0
		.amdhsa_round_robin_scheduling 0
		.amdhsa_exception_fp_ieee_invalid_op 0
		.amdhsa_exception_fp_denorm_src 0
		.amdhsa_exception_fp_ieee_div_zero 0
		.amdhsa_exception_fp_ieee_overflow 0
		.amdhsa_exception_fp_ieee_underflow 0
		.amdhsa_exception_fp_ieee_inexact 0
		.amdhsa_exception_int_div_zero 0
	.end_amdhsa_kernel
	.section	.text._ZN7rocprim17ROCPRIM_400000_NS6detail17trampoline_kernelINS0_14default_configENS1_22reduce_config_selectorIbEEZNS1_11reduce_implILb1ES3_N6hipcub16HIPCUB_304000_NS22TransformInputIteratorIbN2at6native12_GLOBAL__N_19NonZeroOpIN3c107complexIdEEEEPKSG_lEEPiiNS8_6detail34convert_binary_result_type_wrapperINS8_3SumESK_iEEEE10hipError_tPvRmT1_T2_T3_mT4_P12ihipStream_tbEUlT_E1_NS1_11comp_targetILNS1_3genE4ELNS1_11target_archE910ELNS1_3gpuE8ELNS1_3repE0EEENS1_30default_config_static_selectorELNS0_4arch9wavefront6targetE0EEEvST_,"axG",@progbits,_ZN7rocprim17ROCPRIM_400000_NS6detail17trampoline_kernelINS0_14default_configENS1_22reduce_config_selectorIbEEZNS1_11reduce_implILb1ES3_N6hipcub16HIPCUB_304000_NS22TransformInputIteratorIbN2at6native12_GLOBAL__N_19NonZeroOpIN3c107complexIdEEEEPKSG_lEEPiiNS8_6detail34convert_binary_result_type_wrapperINS8_3SumESK_iEEEE10hipError_tPvRmT1_T2_T3_mT4_P12ihipStream_tbEUlT_E1_NS1_11comp_targetILNS1_3genE4ELNS1_11target_archE910ELNS1_3gpuE8ELNS1_3repE0EEENS1_30default_config_static_selectorELNS0_4arch9wavefront6targetE0EEEvST_,comdat
.Lfunc_end519:
	.size	_ZN7rocprim17ROCPRIM_400000_NS6detail17trampoline_kernelINS0_14default_configENS1_22reduce_config_selectorIbEEZNS1_11reduce_implILb1ES3_N6hipcub16HIPCUB_304000_NS22TransformInputIteratorIbN2at6native12_GLOBAL__N_19NonZeroOpIN3c107complexIdEEEEPKSG_lEEPiiNS8_6detail34convert_binary_result_type_wrapperINS8_3SumESK_iEEEE10hipError_tPvRmT1_T2_T3_mT4_P12ihipStream_tbEUlT_E1_NS1_11comp_targetILNS1_3genE4ELNS1_11target_archE910ELNS1_3gpuE8ELNS1_3repE0EEENS1_30default_config_static_selectorELNS0_4arch9wavefront6targetE0EEEvST_, .Lfunc_end519-_ZN7rocprim17ROCPRIM_400000_NS6detail17trampoline_kernelINS0_14default_configENS1_22reduce_config_selectorIbEEZNS1_11reduce_implILb1ES3_N6hipcub16HIPCUB_304000_NS22TransformInputIteratorIbN2at6native12_GLOBAL__N_19NonZeroOpIN3c107complexIdEEEEPKSG_lEEPiiNS8_6detail34convert_binary_result_type_wrapperINS8_3SumESK_iEEEE10hipError_tPvRmT1_T2_T3_mT4_P12ihipStream_tbEUlT_E1_NS1_11comp_targetILNS1_3genE4ELNS1_11target_archE910ELNS1_3gpuE8ELNS1_3repE0EEENS1_30default_config_static_selectorELNS0_4arch9wavefront6targetE0EEEvST_
                                        ; -- End function
	.set _ZN7rocprim17ROCPRIM_400000_NS6detail17trampoline_kernelINS0_14default_configENS1_22reduce_config_selectorIbEEZNS1_11reduce_implILb1ES3_N6hipcub16HIPCUB_304000_NS22TransformInputIteratorIbN2at6native12_GLOBAL__N_19NonZeroOpIN3c107complexIdEEEEPKSG_lEEPiiNS8_6detail34convert_binary_result_type_wrapperINS8_3SumESK_iEEEE10hipError_tPvRmT1_T2_T3_mT4_P12ihipStream_tbEUlT_E1_NS1_11comp_targetILNS1_3genE4ELNS1_11target_archE910ELNS1_3gpuE8ELNS1_3repE0EEENS1_30default_config_static_selectorELNS0_4arch9wavefront6targetE0EEEvST_.num_vgpr, 0
	.set _ZN7rocprim17ROCPRIM_400000_NS6detail17trampoline_kernelINS0_14default_configENS1_22reduce_config_selectorIbEEZNS1_11reduce_implILb1ES3_N6hipcub16HIPCUB_304000_NS22TransformInputIteratorIbN2at6native12_GLOBAL__N_19NonZeroOpIN3c107complexIdEEEEPKSG_lEEPiiNS8_6detail34convert_binary_result_type_wrapperINS8_3SumESK_iEEEE10hipError_tPvRmT1_T2_T3_mT4_P12ihipStream_tbEUlT_E1_NS1_11comp_targetILNS1_3genE4ELNS1_11target_archE910ELNS1_3gpuE8ELNS1_3repE0EEENS1_30default_config_static_selectorELNS0_4arch9wavefront6targetE0EEEvST_.num_agpr, 0
	.set _ZN7rocprim17ROCPRIM_400000_NS6detail17trampoline_kernelINS0_14default_configENS1_22reduce_config_selectorIbEEZNS1_11reduce_implILb1ES3_N6hipcub16HIPCUB_304000_NS22TransformInputIteratorIbN2at6native12_GLOBAL__N_19NonZeroOpIN3c107complexIdEEEEPKSG_lEEPiiNS8_6detail34convert_binary_result_type_wrapperINS8_3SumESK_iEEEE10hipError_tPvRmT1_T2_T3_mT4_P12ihipStream_tbEUlT_E1_NS1_11comp_targetILNS1_3genE4ELNS1_11target_archE910ELNS1_3gpuE8ELNS1_3repE0EEENS1_30default_config_static_selectorELNS0_4arch9wavefront6targetE0EEEvST_.numbered_sgpr, 0
	.set _ZN7rocprim17ROCPRIM_400000_NS6detail17trampoline_kernelINS0_14default_configENS1_22reduce_config_selectorIbEEZNS1_11reduce_implILb1ES3_N6hipcub16HIPCUB_304000_NS22TransformInputIteratorIbN2at6native12_GLOBAL__N_19NonZeroOpIN3c107complexIdEEEEPKSG_lEEPiiNS8_6detail34convert_binary_result_type_wrapperINS8_3SumESK_iEEEE10hipError_tPvRmT1_T2_T3_mT4_P12ihipStream_tbEUlT_E1_NS1_11comp_targetILNS1_3genE4ELNS1_11target_archE910ELNS1_3gpuE8ELNS1_3repE0EEENS1_30default_config_static_selectorELNS0_4arch9wavefront6targetE0EEEvST_.num_named_barrier, 0
	.set _ZN7rocprim17ROCPRIM_400000_NS6detail17trampoline_kernelINS0_14default_configENS1_22reduce_config_selectorIbEEZNS1_11reduce_implILb1ES3_N6hipcub16HIPCUB_304000_NS22TransformInputIteratorIbN2at6native12_GLOBAL__N_19NonZeroOpIN3c107complexIdEEEEPKSG_lEEPiiNS8_6detail34convert_binary_result_type_wrapperINS8_3SumESK_iEEEE10hipError_tPvRmT1_T2_T3_mT4_P12ihipStream_tbEUlT_E1_NS1_11comp_targetILNS1_3genE4ELNS1_11target_archE910ELNS1_3gpuE8ELNS1_3repE0EEENS1_30default_config_static_selectorELNS0_4arch9wavefront6targetE0EEEvST_.private_seg_size, 0
	.set _ZN7rocprim17ROCPRIM_400000_NS6detail17trampoline_kernelINS0_14default_configENS1_22reduce_config_selectorIbEEZNS1_11reduce_implILb1ES3_N6hipcub16HIPCUB_304000_NS22TransformInputIteratorIbN2at6native12_GLOBAL__N_19NonZeroOpIN3c107complexIdEEEEPKSG_lEEPiiNS8_6detail34convert_binary_result_type_wrapperINS8_3SumESK_iEEEE10hipError_tPvRmT1_T2_T3_mT4_P12ihipStream_tbEUlT_E1_NS1_11comp_targetILNS1_3genE4ELNS1_11target_archE910ELNS1_3gpuE8ELNS1_3repE0EEENS1_30default_config_static_selectorELNS0_4arch9wavefront6targetE0EEEvST_.uses_vcc, 0
	.set _ZN7rocprim17ROCPRIM_400000_NS6detail17trampoline_kernelINS0_14default_configENS1_22reduce_config_selectorIbEEZNS1_11reduce_implILb1ES3_N6hipcub16HIPCUB_304000_NS22TransformInputIteratorIbN2at6native12_GLOBAL__N_19NonZeroOpIN3c107complexIdEEEEPKSG_lEEPiiNS8_6detail34convert_binary_result_type_wrapperINS8_3SumESK_iEEEE10hipError_tPvRmT1_T2_T3_mT4_P12ihipStream_tbEUlT_E1_NS1_11comp_targetILNS1_3genE4ELNS1_11target_archE910ELNS1_3gpuE8ELNS1_3repE0EEENS1_30default_config_static_selectorELNS0_4arch9wavefront6targetE0EEEvST_.uses_flat_scratch, 0
	.set _ZN7rocprim17ROCPRIM_400000_NS6detail17trampoline_kernelINS0_14default_configENS1_22reduce_config_selectorIbEEZNS1_11reduce_implILb1ES3_N6hipcub16HIPCUB_304000_NS22TransformInputIteratorIbN2at6native12_GLOBAL__N_19NonZeroOpIN3c107complexIdEEEEPKSG_lEEPiiNS8_6detail34convert_binary_result_type_wrapperINS8_3SumESK_iEEEE10hipError_tPvRmT1_T2_T3_mT4_P12ihipStream_tbEUlT_E1_NS1_11comp_targetILNS1_3genE4ELNS1_11target_archE910ELNS1_3gpuE8ELNS1_3repE0EEENS1_30default_config_static_selectorELNS0_4arch9wavefront6targetE0EEEvST_.has_dyn_sized_stack, 0
	.set _ZN7rocprim17ROCPRIM_400000_NS6detail17trampoline_kernelINS0_14default_configENS1_22reduce_config_selectorIbEEZNS1_11reduce_implILb1ES3_N6hipcub16HIPCUB_304000_NS22TransformInputIteratorIbN2at6native12_GLOBAL__N_19NonZeroOpIN3c107complexIdEEEEPKSG_lEEPiiNS8_6detail34convert_binary_result_type_wrapperINS8_3SumESK_iEEEE10hipError_tPvRmT1_T2_T3_mT4_P12ihipStream_tbEUlT_E1_NS1_11comp_targetILNS1_3genE4ELNS1_11target_archE910ELNS1_3gpuE8ELNS1_3repE0EEENS1_30default_config_static_selectorELNS0_4arch9wavefront6targetE0EEEvST_.has_recursion, 0
	.set _ZN7rocprim17ROCPRIM_400000_NS6detail17trampoline_kernelINS0_14default_configENS1_22reduce_config_selectorIbEEZNS1_11reduce_implILb1ES3_N6hipcub16HIPCUB_304000_NS22TransformInputIteratorIbN2at6native12_GLOBAL__N_19NonZeroOpIN3c107complexIdEEEEPKSG_lEEPiiNS8_6detail34convert_binary_result_type_wrapperINS8_3SumESK_iEEEE10hipError_tPvRmT1_T2_T3_mT4_P12ihipStream_tbEUlT_E1_NS1_11comp_targetILNS1_3genE4ELNS1_11target_archE910ELNS1_3gpuE8ELNS1_3repE0EEENS1_30default_config_static_selectorELNS0_4arch9wavefront6targetE0EEEvST_.has_indirect_call, 0
	.section	.AMDGPU.csdata,"",@progbits
; Kernel info:
; codeLenInByte = 0
; TotalNumSgprs: 0
; NumVgprs: 0
; ScratchSize: 0
; MemoryBound: 0
; FloatMode: 240
; IeeeMode: 1
; LDSByteSize: 0 bytes/workgroup (compile time only)
; SGPRBlocks: 0
; VGPRBlocks: 0
; NumSGPRsForWavesPerEU: 1
; NumVGPRsForWavesPerEU: 1
; Occupancy: 16
; WaveLimiterHint : 0
; COMPUTE_PGM_RSRC2:SCRATCH_EN: 0
; COMPUTE_PGM_RSRC2:USER_SGPR: 2
; COMPUTE_PGM_RSRC2:TRAP_HANDLER: 0
; COMPUTE_PGM_RSRC2:TGID_X_EN: 1
; COMPUTE_PGM_RSRC2:TGID_Y_EN: 0
; COMPUTE_PGM_RSRC2:TGID_Z_EN: 0
; COMPUTE_PGM_RSRC2:TIDIG_COMP_CNT: 0
	.section	.text._ZN7rocprim17ROCPRIM_400000_NS6detail17trampoline_kernelINS0_14default_configENS1_22reduce_config_selectorIbEEZNS1_11reduce_implILb1ES3_N6hipcub16HIPCUB_304000_NS22TransformInputIteratorIbN2at6native12_GLOBAL__N_19NonZeroOpIN3c107complexIdEEEEPKSG_lEEPiiNS8_6detail34convert_binary_result_type_wrapperINS8_3SumESK_iEEEE10hipError_tPvRmT1_T2_T3_mT4_P12ihipStream_tbEUlT_E1_NS1_11comp_targetILNS1_3genE3ELNS1_11target_archE908ELNS1_3gpuE7ELNS1_3repE0EEENS1_30default_config_static_selectorELNS0_4arch9wavefront6targetE0EEEvST_,"axG",@progbits,_ZN7rocprim17ROCPRIM_400000_NS6detail17trampoline_kernelINS0_14default_configENS1_22reduce_config_selectorIbEEZNS1_11reduce_implILb1ES3_N6hipcub16HIPCUB_304000_NS22TransformInputIteratorIbN2at6native12_GLOBAL__N_19NonZeroOpIN3c107complexIdEEEEPKSG_lEEPiiNS8_6detail34convert_binary_result_type_wrapperINS8_3SumESK_iEEEE10hipError_tPvRmT1_T2_T3_mT4_P12ihipStream_tbEUlT_E1_NS1_11comp_targetILNS1_3genE3ELNS1_11target_archE908ELNS1_3gpuE7ELNS1_3repE0EEENS1_30default_config_static_selectorELNS0_4arch9wavefront6targetE0EEEvST_,comdat
	.globl	_ZN7rocprim17ROCPRIM_400000_NS6detail17trampoline_kernelINS0_14default_configENS1_22reduce_config_selectorIbEEZNS1_11reduce_implILb1ES3_N6hipcub16HIPCUB_304000_NS22TransformInputIteratorIbN2at6native12_GLOBAL__N_19NonZeroOpIN3c107complexIdEEEEPKSG_lEEPiiNS8_6detail34convert_binary_result_type_wrapperINS8_3SumESK_iEEEE10hipError_tPvRmT1_T2_T3_mT4_P12ihipStream_tbEUlT_E1_NS1_11comp_targetILNS1_3genE3ELNS1_11target_archE908ELNS1_3gpuE7ELNS1_3repE0EEENS1_30default_config_static_selectorELNS0_4arch9wavefront6targetE0EEEvST_ ; -- Begin function _ZN7rocprim17ROCPRIM_400000_NS6detail17trampoline_kernelINS0_14default_configENS1_22reduce_config_selectorIbEEZNS1_11reduce_implILb1ES3_N6hipcub16HIPCUB_304000_NS22TransformInputIteratorIbN2at6native12_GLOBAL__N_19NonZeroOpIN3c107complexIdEEEEPKSG_lEEPiiNS8_6detail34convert_binary_result_type_wrapperINS8_3SumESK_iEEEE10hipError_tPvRmT1_T2_T3_mT4_P12ihipStream_tbEUlT_E1_NS1_11comp_targetILNS1_3genE3ELNS1_11target_archE908ELNS1_3gpuE7ELNS1_3repE0EEENS1_30default_config_static_selectorELNS0_4arch9wavefront6targetE0EEEvST_
	.p2align	8
	.type	_ZN7rocprim17ROCPRIM_400000_NS6detail17trampoline_kernelINS0_14default_configENS1_22reduce_config_selectorIbEEZNS1_11reduce_implILb1ES3_N6hipcub16HIPCUB_304000_NS22TransformInputIteratorIbN2at6native12_GLOBAL__N_19NonZeroOpIN3c107complexIdEEEEPKSG_lEEPiiNS8_6detail34convert_binary_result_type_wrapperINS8_3SumESK_iEEEE10hipError_tPvRmT1_T2_T3_mT4_P12ihipStream_tbEUlT_E1_NS1_11comp_targetILNS1_3genE3ELNS1_11target_archE908ELNS1_3gpuE7ELNS1_3repE0EEENS1_30default_config_static_selectorELNS0_4arch9wavefront6targetE0EEEvST_,@function
_ZN7rocprim17ROCPRIM_400000_NS6detail17trampoline_kernelINS0_14default_configENS1_22reduce_config_selectorIbEEZNS1_11reduce_implILb1ES3_N6hipcub16HIPCUB_304000_NS22TransformInputIteratorIbN2at6native12_GLOBAL__N_19NonZeroOpIN3c107complexIdEEEEPKSG_lEEPiiNS8_6detail34convert_binary_result_type_wrapperINS8_3SumESK_iEEEE10hipError_tPvRmT1_T2_T3_mT4_P12ihipStream_tbEUlT_E1_NS1_11comp_targetILNS1_3genE3ELNS1_11target_archE908ELNS1_3gpuE7ELNS1_3repE0EEENS1_30default_config_static_selectorELNS0_4arch9wavefront6targetE0EEEvST_: ; @_ZN7rocprim17ROCPRIM_400000_NS6detail17trampoline_kernelINS0_14default_configENS1_22reduce_config_selectorIbEEZNS1_11reduce_implILb1ES3_N6hipcub16HIPCUB_304000_NS22TransformInputIteratorIbN2at6native12_GLOBAL__N_19NonZeroOpIN3c107complexIdEEEEPKSG_lEEPiiNS8_6detail34convert_binary_result_type_wrapperINS8_3SumESK_iEEEE10hipError_tPvRmT1_T2_T3_mT4_P12ihipStream_tbEUlT_E1_NS1_11comp_targetILNS1_3genE3ELNS1_11target_archE908ELNS1_3gpuE7ELNS1_3repE0EEENS1_30default_config_static_selectorELNS0_4arch9wavefront6targetE0EEEvST_
; %bb.0:
	.section	.rodata,"a",@progbits
	.p2align	6, 0x0
	.amdhsa_kernel _ZN7rocprim17ROCPRIM_400000_NS6detail17trampoline_kernelINS0_14default_configENS1_22reduce_config_selectorIbEEZNS1_11reduce_implILb1ES3_N6hipcub16HIPCUB_304000_NS22TransformInputIteratorIbN2at6native12_GLOBAL__N_19NonZeroOpIN3c107complexIdEEEEPKSG_lEEPiiNS8_6detail34convert_binary_result_type_wrapperINS8_3SumESK_iEEEE10hipError_tPvRmT1_T2_T3_mT4_P12ihipStream_tbEUlT_E1_NS1_11comp_targetILNS1_3genE3ELNS1_11target_archE908ELNS1_3gpuE7ELNS1_3repE0EEENS1_30default_config_static_selectorELNS0_4arch9wavefront6targetE0EEEvST_
		.amdhsa_group_segment_fixed_size 0
		.amdhsa_private_segment_fixed_size 0
		.amdhsa_kernarg_size 48
		.amdhsa_user_sgpr_count 2
		.amdhsa_user_sgpr_dispatch_ptr 0
		.amdhsa_user_sgpr_queue_ptr 0
		.amdhsa_user_sgpr_kernarg_segment_ptr 1
		.amdhsa_user_sgpr_dispatch_id 0
		.amdhsa_user_sgpr_private_segment_size 0
		.amdhsa_wavefront_size32 1
		.amdhsa_uses_dynamic_stack 0
		.amdhsa_enable_private_segment 0
		.amdhsa_system_sgpr_workgroup_id_x 1
		.amdhsa_system_sgpr_workgroup_id_y 0
		.amdhsa_system_sgpr_workgroup_id_z 0
		.amdhsa_system_sgpr_workgroup_info 0
		.amdhsa_system_vgpr_workitem_id 0
		.amdhsa_next_free_vgpr 1
		.amdhsa_next_free_sgpr 1
		.amdhsa_reserve_vcc 0
		.amdhsa_float_round_mode_32 0
		.amdhsa_float_round_mode_16_64 0
		.amdhsa_float_denorm_mode_32 3
		.amdhsa_float_denorm_mode_16_64 3
		.amdhsa_fp16_overflow 0
		.amdhsa_workgroup_processor_mode 1
		.amdhsa_memory_ordered 1
		.amdhsa_forward_progress 1
		.amdhsa_inst_pref_size 0
		.amdhsa_round_robin_scheduling 0
		.amdhsa_exception_fp_ieee_invalid_op 0
		.amdhsa_exception_fp_denorm_src 0
		.amdhsa_exception_fp_ieee_div_zero 0
		.amdhsa_exception_fp_ieee_overflow 0
		.amdhsa_exception_fp_ieee_underflow 0
		.amdhsa_exception_fp_ieee_inexact 0
		.amdhsa_exception_int_div_zero 0
	.end_amdhsa_kernel
	.section	.text._ZN7rocprim17ROCPRIM_400000_NS6detail17trampoline_kernelINS0_14default_configENS1_22reduce_config_selectorIbEEZNS1_11reduce_implILb1ES3_N6hipcub16HIPCUB_304000_NS22TransformInputIteratorIbN2at6native12_GLOBAL__N_19NonZeroOpIN3c107complexIdEEEEPKSG_lEEPiiNS8_6detail34convert_binary_result_type_wrapperINS8_3SumESK_iEEEE10hipError_tPvRmT1_T2_T3_mT4_P12ihipStream_tbEUlT_E1_NS1_11comp_targetILNS1_3genE3ELNS1_11target_archE908ELNS1_3gpuE7ELNS1_3repE0EEENS1_30default_config_static_selectorELNS0_4arch9wavefront6targetE0EEEvST_,"axG",@progbits,_ZN7rocprim17ROCPRIM_400000_NS6detail17trampoline_kernelINS0_14default_configENS1_22reduce_config_selectorIbEEZNS1_11reduce_implILb1ES3_N6hipcub16HIPCUB_304000_NS22TransformInputIteratorIbN2at6native12_GLOBAL__N_19NonZeroOpIN3c107complexIdEEEEPKSG_lEEPiiNS8_6detail34convert_binary_result_type_wrapperINS8_3SumESK_iEEEE10hipError_tPvRmT1_T2_T3_mT4_P12ihipStream_tbEUlT_E1_NS1_11comp_targetILNS1_3genE3ELNS1_11target_archE908ELNS1_3gpuE7ELNS1_3repE0EEENS1_30default_config_static_selectorELNS0_4arch9wavefront6targetE0EEEvST_,comdat
.Lfunc_end520:
	.size	_ZN7rocprim17ROCPRIM_400000_NS6detail17trampoline_kernelINS0_14default_configENS1_22reduce_config_selectorIbEEZNS1_11reduce_implILb1ES3_N6hipcub16HIPCUB_304000_NS22TransformInputIteratorIbN2at6native12_GLOBAL__N_19NonZeroOpIN3c107complexIdEEEEPKSG_lEEPiiNS8_6detail34convert_binary_result_type_wrapperINS8_3SumESK_iEEEE10hipError_tPvRmT1_T2_T3_mT4_P12ihipStream_tbEUlT_E1_NS1_11comp_targetILNS1_3genE3ELNS1_11target_archE908ELNS1_3gpuE7ELNS1_3repE0EEENS1_30default_config_static_selectorELNS0_4arch9wavefront6targetE0EEEvST_, .Lfunc_end520-_ZN7rocprim17ROCPRIM_400000_NS6detail17trampoline_kernelINS0_14default_configENS1_22reduce_config_selectorIbEEZNS1_11reduce_implILb1ES3_N6hipcub16HIPCUB_304000_NS22TransformInputIteratorIbN2at6native12_GLOBAL__N_19NonZeroOpIN3c107complexIdEEEEPKSG_lEEPiiNS8_6detail34convert_binary_result_type_wrapperINS8_3SumESK_iEEEE10hipError_tPvRmT1_T2_T3_mT4_P12ihipStream_tbEUlT_E1_NS1_11comp_targetILNS1_3genE3ELNS1_11target_archE908ELNS1_3gpuE7ELNS1_3repE0EEENS1_30default_config_static_selectorELNS0_4arch9wavefront6targetE0EEEvST_
                                        ; -- End function
	.set _ZN7rocprim17ROCPRIM_400000_NS6detail17trampoline_kernelINS0_14default_configENS1_22reduce_config_selectorIbEEZNS1_11reduce_implILb1ES3_N6hipcub16HIPCUB_304000_NS22TransformInputIteratorIbN2at6native12_GLOBAL__N_19NonZeroOpIN3c107complexIdEEEEPKSG_lEEPiiNS8_6detail34convert_binary_result_type_wrapperINS8_3SumESK_iEEEE10hipError_tPvRmT1_T2_T3_mT4_P12ihipStream_tbEUlT_E1_NS1_11comp_targetILNS1_3genE3ELNS1_11target_archE908ELNS1_3gpuE7ELNS1_3repE0EEENS1_30default_config_static_selectorELNS0_4arch9wavefront6targetE0EEEvST_.num_vgpr, 0
	.set _ZN7rocprim17ROCPRIM_400000_NS6detail17trampoline_kernelINS0_14default_configENS1_22reduce_config_selectorIbEEZNS1_11reduce_implILb1ES3_N6hipcub16HIPCUB_304000_NS22TransformInputIteratorIbN2at6native12_GLOBAL__N_19NonZeroOpIN3c107complexIdEEEEPKSG_lEEPiiNS8_6detail34convert_binary_result_type_wrapperINS8_3SumESK_iEEEE10hipError_tPvRmT1_T2_T3_mT4_P12ihipStream_tbEUlT_E1_NS1_11comp_targetILNS1_3genE3ELNS1_11target_archE908ELNS1_3gpuE7ELNS1_3repE0EEENS1_30default_config_static_selectorELNS0_4arch9wavefront6targetE0EEEvST_.num_agpr, 0
	.set _ZN7rocprim17ROCPRIM_400000_NS6detail17trampoline_kernelINS0_14default_configENS1_22reduce_config_selectorIbEEZNS1_11reduce_implILb1ES3_N6hipcub16HIPCUB_304000_NS22TransformInputIteratorIbN2at6native12_GLOBAL__N_19NonZeroOpIN3c107complexIdEEEEPKSG_lEEPiiNS8_6detail34convert_binary_result_type_wrapperINS8_3SumESK_iEEEE10hipError_tPvRmT1_T2_T3_mT4_P12ihipStream_tbEUlT_E1_NS1_11comp_targetILNS1_3genE3ELNS1_11target_archE908ELNS1_3gpuE7ELNS1_3repE0EEENS1_30default_config_static_selectorELNS0_4arch9wavefront6targetE0EEEvST_.numbered_sgpr, 0
	.set _ZN7rocprim17ROCPRIM_400000_NS6detail17trampoline_kernelINS0_14default_configENS1_22reduce_config_selectorIbEEZNS1_11reduce_implILb1ES3_N6hipcub16HIPCUB_304000_NS22TransformInputIteratorIbN2at6native12_GLOBAL__N_19NonZeroOpIN3c107complexIdEEEEPKSG_lEEPiiNS8_6detail34convert_binary_result_type_wrapperINS8_3SumESK_iEEEE10hipError_tPvRmT1_T2_T3_mT4_P12ihipStream_tbEUlT_E1_NS1_11comp_targetILNS1_3genE3ELNS1_11target_archE908ELNS1_3gpuE7ELNS1_3repE0EEENS1_30default_config_static_selectorELNS0_4arch9wavefront6targetE0EEEvST_.num_named_barrier, 0
	.set _ZN7rocprim17ROCPRIM_400000_NS6detail17trampoline_kernelINS0_14default_configENS1_22reduce_config_selectorIbEEZNS1_11reduce_implILb1ES3_N6hipcub16HIPCUB_304000_NS22TransformInputIteratorIbN2at6native12_GLOBAL__N_19NonZeroOpIN3c107complexIdEEEEPKSG_lEEPiiNS8_6detail34convert_binary_result_type_wrapperINS8_3SumESK_iEEEE10hipError_tPvRmT1_T2_T3_mT4_P12ihipStream_tbEUlT_E1_NS1_11comp_targetILNS1_3genE3ELNS1_11target_archE908ELNS1_3gpuE7ELNS1_3repE0EEENS1_30default_config_static_selectorELNS0_4arch9wavefront6targetE0EEEvST_.private_seg_size, 0
	.set _ZN7rocprim17ROCPRIM_400000_NS6detail17trampoline_kernelINS0_14default_configENS1_22reduce_config_selectorIbEEZNS1_11reduce_implILb1ES3_N6hipcub16HIPCUB_304000_NS22TransformInputIteratorIbN2at6native12_GLOBAL__N_19NonZeroOpIN3c107complexIdEEEEPKSG_lEEPiiNS8_6detail34convert_binary_result_type_wrapperINS8_3SumESK_iEEEE10hipError_tPvRmT1_T2_T3_mT4_P12ihipStream_tbEUlT_E1_NS1_11comp_targetILNS1_3genE3ELNS1_11target_archE908ELNS1_3gpuE7ELNS1_3repE0EEENS1_30default_config_static_selectorELNS0_4arch9wavefront6targetE0EEEvST_.uses_vcc, 0
	.set _ZN7rocprim17ROCPRIM_400000_NS6detail17trampoline_kernelINS0_14default_configENS1_22reduce_config_selectorIbEEZNS1_11reduce_implILb1ES3_N6hipcub16HIPCUB_304000_NS22TransformInputIteratorIbN2at6native12_GLOBAL__N_19NonZeroOpIN3c107complexIdEEEEPKSG_lEEPiiNS8_6detail34convert_binary_result_type_wrapperINS8_3SumESK_iEEEE10hipError_tPvRmT1_T2_T3_mT4_P12ihipStream_tbEUlT_E1_NS1_11comp_targetILNS1_3genE3ELNS1_11target_archE908ELNS1_3gpuE7ELNS1_3repE0EEENS1_30default_config_static_selectorELNS0_4arch9wavefront6targetE0EEEvST_.uses_flat_scratch, 0
	.set _ZN7rocprim17ROCPRIM_400000_NS6detail17trampoline_kernelINS0_14default_configENS1_22reduce_config_selectorIbEEZNS1_11reduce_implILb1ES3_N6hipcub16HIPCUB_304000_NS22TransformInputIteratorIbN2at6native12_GLOBAL__N_19NonZeroOpIN3c107complexIdEEEEPKSG_lEEPiiNS8_6detail34convert_binary_result_type_wrapperINS8_3SumESK_iEEEE10hipError_tPvRmT1_T2_T3_mT4_P12ihipStream_tbEUlT_E1_NS1_11comp_targetILNS1_3genE3ELNS1_11target_archE908ELNS1_3gpuE7ELNS1_3repE0EEENS1_30default_config_static_selectorELNS0_4arch9wavefront6targetE0EEEvST_.has_dyn_sized_stack, 0
	.set _ZN7rocprim17ROCPRIM_400000_NS6detail17trampoline_kernelINS0_14default_configENS1_22reduce_config_selectorIbEEZNS1_11reduce_implILb1ES3_N6hipcub16HIPCUB_304000_NS22TransformInputIteratorIbN2at6native12_GLOBAL__N_19NonZeroOpIN3c107complexIdEEEEPKSG_lEEPiiNS8_6detail34convert_binary_result_type_wrapperINS8_3SumESK_iEEEE10hipError_tPvRmT1_T2_T3_mT4_P12ihipStream_tbEUlT_E1_NS1_11comp_targetILNS1_3genE3ELNS1_11target_archE908ELNS1_3gpuE7ELNS1_3repE0EEENS1_30default_config_static_selectorELNS0_4arch9wavefront6targetE0EEEvST_.has_recursion, 0
	.set _ZN7rocprim17ROCPRIM_400000_NS6detail17trampoline_kernelINS0_14default_configENS1_22reduce_config_selectorIbEEZNS1_11reduce_implILb1ES3_N6hipcub16HIPCUB_304000_NS22TransformInputIteratorIbN2at6native12_GLOBAL__N_19NonZeroOpIN3c107complexIdEEEEPKSG_lEEPiiNS8_6detail34convert_binary_result_type_wrapperINS8_3SumESK_iEEEE10hipError_tPvRmT1_T2_T3_mT4_P12ihipStream_tbEUlT_E1_NS1_11comp_targetILNS1_3genE3ELNS1_11target_archE908ELNS1_3gpuE7ELNS1_3repE0EEENS1_30default_config_static_selectorELNS0_4arch9wavefront6targetE0EEEvST_.has_indirect_call, 0
	.section	.AMDGPU.csdata,"",@progbits
; Kernel info:
; codeLenInByte = 0
; TotalNumSgprs: 0
; NumVgprs: 0
; ScratchSize: 0
; MemoryBound: 0
; FloatMode: 240
; IeeeMode: 1
; LDSByteSize: 0 bytes/workgroup (compile time only)
; SGPRBlocks: 0
; VGPRBlocks: 0
; NumSGPRsForWavesPerEU: 1
; NumVGPRsForWavesPerEU: 1
; Occupancy: 16
; WaveLimiterHint : 0
; COMPUTE_PGM_RSRC2:SCRATCH_EN: 0
; COMPUTE_PGM_RSRC2:USER_SGPR: 2
; COMPUTE_PGM_RSRC2:TRAP_HANDLER: 0
; COMPUTE_PGM_RSRC2:TGID_X_EN: 1
; COMPUTE_PGM_RSRC2:TGID_Y_EN: 0
; COMPUTE_PGM_RSRC2:TGID_Z_EN: 0
; COMPUTE_PGM_RSRC2:TIDIG_COMP_CNT: 0
	.section	.text._ZN7rocprim17ROCPRIM_400000_NS6detail17trampoline_kernelINS0_14default_configENS1_22reduce_config_selectorIbEEZNS1_11reduce_implILb1ES3_N6hipcub16HIPCUB_304000_NS22TransformInputIteratorIbN2at6native12_GLOBAL__N_19NonZeroOpIN3c107complexIdEEEEPKSG_lEEPiiNS8_6detail34convert_binary_result_type_wrapperINS8_3SumESK_iEEEE10hipError_tPvRmT1_T2_T3_mT4_P12ihipStream_tbEUlT_E1_NS1_11comp_targetILNS1_3genE2ELNS1_11target_archE906ELNS1_3gpuE6ELNS1_3repE0EEENS1_30default_config_static_selectorELNS0_4arch9wavefront6targetE0EEEvST_,"axG",@progbits,_ZN7rocprim17ROCPRIM_400000_NS6detail17trampoline_kernelINS0_14default_configENS1_22reduce_config_selectorIbEEZNS1_11reduce_implILb1ES3_N6hipcub16HIPCUB_304000_NS22TransformInputIteratorIbN2at6native12_GLOBAL__N_19NonZeroOpIN3c107complexIdEEEEPKSG_lEEPiiNS8_6detail34convert_binary_result_type_wrapperINS8_3SumESK_iEEEE10hipError_tPvRmT1_T2_T3_mT4_P12ihipStream_tbEUlT_E1_NS1_11comp_targetILNS1_3genE2ELNS1_11target_archE906ELNS1_3gpuE6ELNS1_3repE0EEENS1_30default_config_static_selectorELNS0_4arch9wavefront6targetE0EEEvST_,comdat
	.globl	_ZN7rocprim17ROCPRIM_400000_NS6detail17trampoline_kernelINS0_14default_configENS1_22reduce_config_selectorIbEEZNS1_11reduce_implILb1ES3_N6hipcub16HIPCUB_304000_NS22TransformInputIteratorIbN2at6native12_GLOBAL__N_19NonZeroOpIN3c107complexIdEEEEPKSG_lEEPiiNS8_6detail34convert_binary_result_type_wrapperINS8_3SumESK_iEEEE10hipError_tPvRmT1_T2_T3_mT4_P12ihipStream_tbEUlT_E1_NS1_11comp_targetILNS1_3genE2ELNS1_11target_archE906ELNS1_3gpuE6ELNS1_3repE0EEENS1_30default_config_static_selectorELNS0_4arch9wavefront6targetE0EEEvST_ ; -- Begin function _ZN7rocprim17ROCPRIM_400000_NS6detail17trampoline_kernelINS0_14default_configENS1_22reduce_config_selectorIbEEZNS1_11reduce_implILb1ES3_N6hipcub16HIPCUB_304000_NS22TransformInputIteratorIbN2at6native12_GLOBAL__N_19NonZeroOpIN3c107complexIdEEEEPKSG_lEEPiiNS8_6detail34convert_binary_result_type_wrapperINS8_3SumESK_iEEEE10hipError_tPvRmT1_T2_T3_mT4_P12ihipStream_tbEUlT_E1_NS1_11comp_targetILNS1_3genE2ELNS1_11target_archE906ELNS1_3gpuE6ELNS1_3repE0EEENS1_30default_config_static_selectorELNS0_4arch9wavefront6targetE0EEEvST_
	.p2align	8
	.type	_ZN7rocprim17ROCPRIM_400000_NS6detail17trampoline_kernelINS0_14default_configENS1_22reduce_config_selectorIbEEZNS1_11reduce_implILb1ES3_N6hipcub16HIPCUB_304000_NS22TransformInputIteratorIbN2at6native12_GLOBAL__N_19NonZeroOpIN3c107complexIdEEEEPKSG_lEEPiiNS8_6detail34convert_binary_result_type_wrapperINS8_3SumESK_iEEEE10hipError_tPvRmT1_T2_T3_mT4_P12ihipStream_tbEUlT_E1_NS1_11comp_targetILNS1_3genE2ELNS1_11target_archE906ELNS1_3gpuE6ELNS1_3repE0EEENS1_30default_config_static_selectorELNS0_4arch9wavefront6targetE0EEEvST_,@function
_ZN7rocprim17ROCPRIM_400000_NS6detail17trampoline_kernelINS0_14default_configENS1_22reduce_config_selectorIbEEZNS1_11reduce_implILb1ES3_N6hipcub16HIPCUB_304000_NS22TransformInputIteratorIbN2at6native12_GLOBAL__N_19NonZeroOpIN3c107complexIdEEEEPKSG_lEEPiiNS8_6detail34convert_binary_result_type_wrapperINS8_3SumESK_iEEEE10hipError_tPvRmT1_T2_T3_mT4_P12ihipStream_tbEUlT_E1_NS1_11comp_targetILNS1_3genE2ELNS1_11target_archE906ELNS1_3gpuE6ELNS1_3repE0EEENS1_30default_config_static_selectorELNS0_4arch9wavefront6targetE0EEEvST_: ; @_ZN7rocprim17ROCPRIM_400000_NS6detail17trampoline_kernelINS0_14default_configENS1_22reduce_config_selectorIbEEZNS1_11reduce_implILb1ES3_N6hipcub16HIPCUB_304000_NS22TransformInputIteratorIbN2at6native12_GLOBAL__N_19NonZeroOpIN3c107complexIdEEEEPKSG_lEEPiiNS8_6detail34convert_binary_result_type_wrapperINS8_3SumESK_iEEEE10hipError_tPvRmT1_T2_T3_mT4_P12ihipStream_tbEUlT_E1_NS1_11comp_targetILNS1_3genE2ELNS1_11target_archE906ELNS1_3gpuE6ELNS1_3repE0EEENS1_30default_config_static_selectorELNS0_4arch9wavefront6targetE0EEEvST_
; %bb.0:
	.section	.rodata,"a",@progbits
	.p2align	6, 0x0
	.amdhsa_kernel _ZN7rocprim17ROCPRIM_400000_NS6detail17trampoline_kernelINS0_14default_configENS1_22reduce_config_selectorIbEEZNS1_11reduce_implILb1ES3_N6hipcub16HIPCUB_304000_NS22TransformInputIteratorIbN2at6native12_GLOBAL__N_19NonZeroOpIN3c107complexIdEEEEPKSG_lEEPiiNS8_6detail34convert_binary_result_type_wrapperINS8_3SumESK_iEEEE10hipError_tPvRmT1_T2_T3_mT4_P12ihipStream_tbEUlT_E1_NS1_11comp_targetILNS1_3genE2ELNS1_11target_archE906ELNS1_3gpuE6ELNS1_3repE0EEENS1_30default_config_static_selectorELNS0_4arch9wavefront6targetE0EEEvST_
		.amdhsa_group_segment_fixed_size 0
		.amdhsa_private_segment_fixed_size 0
		.amdhsa_kernarg_size 48
		.amdhsa_user_sgpr_count 2
		.amdhsa_user_sgpr_dispatch_ptr 0
		.amdhsa_user_sgpr_queue_ptr 0
		.amdhsa_user_sgpr_kernarg_segment_ptr 1
		.amdhsa_user_sgpr_dispatch_id 0
		.amdhsa_user_sgpr_private_segment_size 0
		.amdhsa_wavefront_size32 1
		.amdhsa_uses_dynamic_stack 0
		.amdhsa_enable_private_segment 0
		.amdhsa_system_sgpr_workgroup_id_x 1
		.amdhsa_system_sgpr_workgroup_id_y 0
		.amdhsa_system_sgpr_workgroup_id_z 0
		.amdhsa_system_sgpr_workgroup_info 0
		.amdhsa_system_vgpr_workitem_id 0
		.amdhsa_next_free_vgpr 1
		.amdhsa_next_free_sgpr 1
		.amdhsa_reserve_vcc 0
		.amdhsa_float_round_mode_32 0
		.amdhsa_float_round_mode_16_64 0
		.amdhsa_float_denorm_mode_32 3
		.amdhsa_float_denorm_mode_16_64 3
		.amdhsa_fp16_overflow 0
		.amdhsa_workgroup_processor_mode 1
		.amdhsa_memory_ordered 1
		.amdhsa_forward_progress 1
		.amdhsa_inst_pref_size 0
		.amdhsa_round_robin_scheduling 0
		.amdhsa_exception_fp_ieee_invalid_op 0
		.amdhsa_exception_fp_denorm_src 0
		.amdhsa_exception_fp_ieee_div_zero 0
		.amdhsa_exception_fp_ieee_overflow 0
		.amdhsa_exception_fp_ieee_underflow 0
		.amdhsa_exception_fp_ieee_inexact 0
		.amdhsa_exception_int_div_zero 0
	.end_amdhsa_kernel
	.section	.text._ZN7rocprim17ROCPRIM_400000_NS6detail17trampoline_kernelINS0_14default_configENS1_22reduce_config_selectorIbEEZNS1_11reduce_implILb1ES3_N6hipcub16HIPCUB_304000_NS22TransformInputIteratorIbN2at6native12_GLOBAL__N_19NonZeroOpIN3c107complexIdEEEEPKSG_lEEPiiNS8_6detail34convert_binary_result_type_wrapperINS8_3SumESK_iEEEE10hipError_tPvRmT1_T2_T3_mT4_P12ihipStream_tbEUlT_E1_NS1_11comp_targetILNS1_3genE2ELNS1_11target_archE906ELNS1_3gpuE6ELNS1_3repE0EEENS1_30default_config_static_selectorELNS0_4arch9wavefront6targetE0EEEvST_,"axG",@progbits,_ZN7rocprim17ROCPRIM_400000_NS6detail17trampoline_kernelINS0_14default_configENS1_22reduce_config_selectorIbEEZNS1_11reduce_implILb1ES3_N6hipcub16HIPCUB_304000_NS22TransformInputIteratorIbN2at6native12_GLOBAL__N_19NonZeroOpIN3c107complexIdEEEEPKSG_lEEPiiNS8_6detail34convert_binary_result_type_wrapperINS8_3SumESK_iEEEE10hipError_tPvRmT1_T2_T3_mT4_P12ihipStream_tbEUlT_E1_NS1_11comp_targetILNS1_3genE2ELNS1_11target_archE906ELNS1_3gpuE6ELNS1_3repE0EEENS1_30default_config_static_selectorELNS0_4arch9wavefront6targetE0EEEvST_,comdat
.Lfunc_end521:
	.size	_ZN7rocprim17ROCPRIM_400000_NS6detail17trampoline_kernelINS0_14default_configENS1_22reduce_config_selectorIbEEZNS1_11reduce_implILb1ES3_N6hipcub16HIPCUB_304000_NS22TransformInputIteratorIbN2at6native12_GLOBAL__N_19NonZeroOpIN3c107complexIdEEEEPKSG_lEEPiiNS8_6detail34convert_binary_result_type_wrapperINS8_3SumESK_iEEEE10hipError_tPvRmT1_T2_T3_mT4_P12ihipStream_tbEUlT_E1_NS1_11comp_targetILNS1_3genE2ELNS1_11target_archE906ELNS1_3gpuE6ELNS1_3repE0EEENS1_30default_config_static_selectorELNS0_4arch9wavefront6targetE0EEEvST_, .Lfunc_end521-_ZN7rocprim17ROCPRIM_400000_NS6detail17trampoline_kernelINS0_14default_configENS1_22reduce_config_selectorIbEEZNS1_11reduce_implILb1ES3_N6hipcub16HIPCUB_304000_NS22TransformInputIteratorIbN2at6native12_GLOBAL__N_19NonZeroOpIN3c107complexIdEEEEPKSG_lEEPiiNS8_6detail34convert_binary_result_type_wrapperINS8_3SumESK_iEEEE10hipError_tPvRmT1_T2_T3_mT4_P12ihipStream_tbEUlT_E1_NS1_11comp_targetILNS1_3genE2ELNS1_11target_archE906ELNS1_3gpuE6ELNS1_3repE0EEENS1_30default_config_static_selectorELNS0_4arch9wavefront6targetE0EEEvST_
                                        ; -- End function
	.set _ZN7rocprim17ROCPRIM_400000_NS6detail17trampoline_kernelINS0_14default_configENS1_22reduce_config_selectorIbEEZNS1_11reduce_implILb1ES3_N6hipcub16HIPCUB_304000_NS22TransformInputIteratorIbN2at6native12_GLOBAL__N_19NonZeroOpIN3c107complexIdEEEEPKSG_lEEPiiNS8_6detail34convert_binary_result_type_wrapperINS8_3SumESK_iEEEE10hipError_tPvRmT1_T2_T3_mT4_P12ihipStream_tbEUlT_E1_NS1_11comp_targetILNS1_3genE2ELNS1_11target_archE906ELNS1_3gpuE6ELNS1_3repE0EEENS1_30default_config_static_selectorELNS0_4arch9wavefront6targetE0EEEvST_.num_vgpr, 0
	.set _ZN7rocprim17ROCPRIM_400000_NS6detail17trampoline_kernelINS0_14default_configENS1_22reduce_config_selectorIbEEZNS1_11reduce_implILb1ES3_N6hipcub16HIPCUB_304000_NS22TransformInputIteratorIbN2at6native12_GLOBAL__N_19NonZeroOpIN3c107complexIdEEEEPKSG_lEEPiiNS8_6detail34convert_binary_result_type_wrapperINS8_3SumESK_iEEEE10hipError_tPvRmT1_T2_T3_mT4_P12ihipStream_tbEUlT_E1_NS1_11comp_targetILNS1_3genE2ELNS1_11target_archE906ELNS1_3gpuE6ELNS1_3repE0EEENS1_30default_config_static_selectorELNS0_4arch9wavefront6targetE0EEEvST_.num_agpr, 0
	.set _ZN7rocprim17ROCPRIM_400000_NS6detail17trampoline_kernelINS0_14default_configENS1_22reduce_config_selectorIbEEZNS1_11reduce_implILb1ES3_N6hipcub16HIPCUB_304000_NS22TransformInputIteratorIbN2at6native12_GLOBAL__N_19NonZeroOpIN3c107complexIdEEEEPKSG_lEEPiiNS8_6detail34convert_binary_result_type_wrapperINS8_3SumESK_iEEEE10hipError_tPvRmT1_T2_T3_mT4_P12ihipStream_tbEUlT_E1_NS1_11comp_targetILNS1_3genE2ELNS1_11target_archE906ELNS1_3gpuE6ELNS1_3repE0EEENS1_30default_config_static_selectorELNS0_4arch9wavefront6targetE0EEEvST_.numbered_sgpr, 0
	.set _ZN7rocprim17ROCPRIM_400000_NS6detail17trampoline_kernelINS0_14default_configENS1_22reduce_config_selectorIbEEZNS1_11reduce_implILb1ES3_N6hipcub16HIPCUB_304000_NS22TransformInputIteratorIbN2at6native12_GLOBAL__N_19NonZeroOpIN3c107complexIdEEEEPKSG_lEEPiiNS8_6detail34convert_binary_result_type_wrapperINS8_3SumESK_iEEEE10hipError_tPvRmT1_T2_T3_mT4_P12ihipStream_tbEUlT_E1_NS1_11comp_targetILNS1_3genE2ELNS1_11target_archE906ELNS1_3gpuE6ELNS1_3repE0EEENS1_30default_config_static_selectorELNS0_4arch9wavefront6targetE0EEEvST_.num_named_barrier, 0
	.set _ZN7rocprim17ROCPRIM_400000_NS6detail17trampoline_kernelINS0_14default_configENS1_22reduce_config_selectorIbEEZNS1_11reduce_implILb1ES3_N6hipcub16HIPCUB_304000_NS22TransformInputIteratorIbN2at6native12_GLOBAL__N_19NonZeroOpIN3c107complexIdEEEEPKSG_lEEPiiNS8_6detail34convert_binary_result_type_wrapperINS8_3SumESK_iEEEE10hipError_tPvRmT1_T2_T3_mT4_P12ihipStream_tbEUlT_E1_NS1_11comp_targetILNS1_3genE2ELNS1_11target_archE906ELNS1_3gpuE6ELNS1_3repE0EEENS1_30default_config_static_selectorELNS0_4arch9wavefront6targetE0EEEvST_.private_seg_size, 0
	.set _ZN7rocprim17ROCPRIM_400000_NS6detail17trampoline_kernelINS0_14default_configENS1_22reduce_config_selectorIbEEZNS1_11reduce_implILb1ES3_N6hipcub16HIPCUB_304000_NS22TransformInputIteratorIbN2at6native12_GLOBAL__N_19NonZeroOpIN3c107complexIdEEEEPKSG_lEEPiiNS8_6detail34convert_binary_result_type_wrapperINS8_3SumESK_iEEEE10hipError_tPvRmT1_T2_T3_mT4_P12ihipStream_tbEUlT_E1_NS1_11comp_targetILNS1_3genE2ELNS1_11target_archE906ELNS1_3gpuE6ELNS1_3repE0EEENS1_30default_config_static_selectorELNS0_4arch9wavefront6targetE0EEEvST_.uses_vcc, 0
	.set _ZN7rocprim17ROCPRIM_400000_NS6detail17trampoline_kernelINS0_14default_configENS1_22reduce_config_selectorIbEEZNS1_11reduce_implILb1ES3_N6hipcub16HIPCUB_304000_NS22TransformInputIteratorIbN2at6native12_GLOBAL__N_19NonZeroOpIN3c107complexIdEEEEPKSG_lEEPiiNS8_6detail34convert_binary_result_type_wrapperINS8_3SumESK_iEEEE10hipError_tPvRmT1_T2_T3_mT4_P12ihipStream_tbEUlT_E1_NS1_11comp_targetILNS1_3genE2ELNS1_11target_archE906ELNS1_3gpuE6ELNS1_3repE0EEENS1_30default_config_static_selectorELNS0_4arch9wavefront6targetE0EEEvST_.uses_flat_scratch, 0
	.set _ZN7rocprim17ROCPRIM_400000_NS6detail17trampoline_kernelINS0_14default_configENS1_22reduce_config_selectorIbEEZNS1_11reduce_implILb1ES3_N6hipcub16HIPCUB_304000_NS22TransformInputIteratorIbN2at6native12_GLOBAL__N_19NonZeroOpIN3c107complexIdEEEEPKSG_lEEPiiNS8_6detail34convert_binary_result_type_wrapperINS8_3SumESK_iEEEE10hipError_tPvRmT1_T2_T3_mT4_P12ihipStream_tbEUlT_E1_NS1_11comp_targetILNS1_3genE2ELNS1_11target_archE906ELNS1_3gpuE6ELNS1_3repE0EEENS1_30default_config_static_selectorELNS0_4arch9wavefront6targetE0EEEvST_.has_dyn_sized_stack, 0
	.set _ZN7rocprim17ROCPRIM_400000_NS6detail17trampoline_kernelINS0_14default_configENS1_22reduce_config_selectorIbEEZNS1_11reduce_implILb1ES3_N6hipcub16HIPCUB_304000_NS22TransformInputIteratorIbN2at6native12_GLOBAL__N_19NonZeroOpIN3c107complexIdEEEEPKSG_lEEPiiNS8_6detail34convert_binary_result_type_wrapperINS8_3SumESK_iEEEE10hipError_tPvRmT1_T2_T3_mT4_P12ihipStream_tbEUlT_E1_NS1_11comp_targetILNS1_3genE2ELNS1_11target_archE906ELNS1_3gpuE6ELNS1_3repE0EEENS1_30default_config_static_selectorELNS0_4arch9wavefront6targetE0EEEvST_.has_recursion, 0
	.set _ZN7rocprim17ROCPRIM_400000_NS6detail17trampoline_kernelINS0_14default_configENS1_22reduce_config_selectorIbEEZNS1_11reduce_implILb1ES3_N6hipcub16HIPCUB_304000_NS22TransformInputIteratorIbN2at6native12_GLOBAL__N_19NonZeroOpIN3c107complexIdEEEEPKSG_lEEPiiNS8_6detail34convert_binary_result_type_wrapperINS8_3SumESK_iEEEE10hipError_tPvRmT1_T2_T3_mT4_P12ihipStream_tbEUlT_E1_NS1_11comp_targetILNS1_3genE2ELNS1_11target_archE906ELNS1_3gpuE6ELNS1_3repE0EEENS1_30default_config_static_selectorELNS0_4arch9wavefront6targetE0EEEvST_.has_indirect_call, 0
	.section	.AMDGPU.csdata,"",@progbits
; Kernel info:
; codeLenInByte = 0
; TotalNumSgprs: 0
; NumVgprs: 0
; ScratchSize: 0
; MemoryBound: 0
; FloatMode: 240
; IeeeMode: 1
; LDSByteSize: 0 bytes/workgroup (compile time only)
; SGPRBlocks: 0
; VGPRBlocks: 0
; NumSGPRsForWavesPerEU: 1
; NumVGPRsForWavesPerEU: 1
; Occupancy: 16
; WaveLimiterHint : 0
; COMPUTE_PGM_RSRC2:SCRATCH_EN: 0
; COMPUTE_PGM_RSRC2:USER_SGPR: 2
; COMPUTE_PGM_RSRC2:TRAP_HANDLER: 0
; COMPUTE_PGM_RSRC2:TGID_X_EN: 1
; COMPUTE_PGM_RSRC2:TGID_Y_EN: 0
; COMPUTE_PGM_RSRC2:TGID_Z_EN: 0
; COMPUTE_PGM_RSRC2:TIDIG_COMP_CNT: 0
	.section	.text._ZN7rocprim17ROCPRIM_400000_NS6detail17trampoline_kernelINS0_14default_configENS1_22reduce_config_selectorIbEEZNS1_11reduce_implILb1ES3_N6hipcub16HIPCUB_304000_NS22TransformInputIteratorIbN2at6native12_GLOBAL__N_19NonZeroOpIN3c107complexIdEEEEPKSG_lEEPiiNS8_6detail34convert_binary_result_type_wrapperINS8_3SumESK_iEEEE10hipError_tPvRmT1_T2_T3_mT4_P12ihipStream_tbEUlT_E1_NS1_11comp_targetILNS1_3genE10ELNS1_11target_archE1201ELNS1_3gpuE5ELNS1_3repE0EEENS1_30default_config_static_selectorELNS0_4arch9wavefront6targetE0EEEvST_,"axG",@progbits,_ZN7rocprim17ROCPRIM_400000_NS6detail17trampoline_kernelINS0_14default_configENS1_22reduce_config_selectorIbEEZNS1_11reduce_implILb1ES3_N6hipcub16HIPCUB_304000_NS22TransformInputIteratorIbN2at6native12_GLOBAL__N_19NonZeroOpIN3c107complexIdEEEEPKSG_lEEPiiNS8_6detail34convert_binary_result_type_wrapperINS8_3SumESK_iEEEE10hipError_tPvRmT1_T2_T3_mT4_P12ihipStream_tbEUlT_E1_NS1_11comp_targetILNS1_3genE10ELNS1_11target_archE1201ELNS1_3gpuE5ELNS1_3repE0EEENS1_30default_config_static_selectorELNS0_4arch9wavefront6targetE0EEEvST_,comdat
	.globl	_ZN7rocprim17ROCPRIM_400000_NS6detail17trampoline_kernelINS0_14default_configENS1_22reduce_config_selectorIbEEZNS1_11reduce_implILb1ES3_N6hipcub16HIPCUB_304000_NS22TransformInputIteratorIbN2at6native12_GLOBAL__N_19NonZeroOpIN3c107complexIdEEEEPKSG_lEEPiiNS8_6detail34convert_binary_result_type_wrapperINS8_3SumESK_iEEEE10hipError_tPvRmT1_T2_T3_mT4_P12ihipStream_tbEUlT_E1_NS1_11comp_targetILNS1_3genE10ELNS1_11target_archE1201ELNS1_3gpuE5ELNS1_3repE0EEENS1_30default_config_static_selectorELNS0_4arch9wavefront6targetE0EEEvST_ ; -- Begin function _ZN7rocprim17ROCPRIM_400000_NS6detail17trampoline_kernelINS0_14default_configENS1_22reduce_config_selectorIbEEZNS1_11reduce_implILb1ES3_N6hipcub16HIPCUB_304000_NS22TransformInputIteratorIbN2at6native12_GLOBAL__N_19NonZeroOpIN3c107complexIdEEEEPKSG_lEEPiiNS8_6detail34convert_binary_result_type_wrapperINS8_3SumESK_iEEEE10hipError_tPvRmT1_T2_T3_mT4_P12ihipStream_tbEUlT_E1_NS1_11comp_targetILNS1_3genE10ELNS1_11target_archE1201ELNS1_3gpuE5ELNS1_3repE0EEENS1_30default_config_static_selectorELNS0_4arch9wavefront6targetE0EEEvST_
	.p2align	8
	.type	_ZN7rocprim17ROCPRIM_400000_NS6detail17trampoline_kernelINS0_14default_configENS1_22reduce_config_selectorIbEEZNS1_11reduce_implILb1ES3_N6hipcub16HIPCUB_304000_NS22TransformInputIteratorIbN2at6native12_GLOBAL__N_19NonZeroOpIN3c107complexIdEEEEPKSG_lEEPiiNS8_6detail34convert_binary_result_type_wrapperINS8_3SumESK_iEEEE10hipError_tPvRmT1_T2_T3_mT4_P12ihipStream_tbEUlT_E1_NS1_11comp_targetILNS1_3genE10ELNS1_11target_archE1201ELNS1_3gpuE5ELNS1_3repE0EEENS1_30default_config_static_selectorELNS0_4arch9wavefront6targetE0EEEvST_,@function
_ZN7rocprim17ROCPRIM_400000_NS6detail17trampoline_kernelINS0_14default_configENS1_22reduce_config_selectorIbEEZNS1_11reduce_implILb1ES3_N6hipcub16HIPCUB_304000_NS22TransformInputIteratorIbN2at6native12_GLOBAL__N_19NonZeroOpIN3c107complexIdEEEEPKSG_lEEPiiNS8_6detail34convert_binary_result_type_wrapperINS8_3SumESK_iEEEE10hipError_tPvRmT1_T2_T3_mT4_P12ihipStream_tbEUlT_E1_NS1_11comp_targetILNS1_3genE10ELNS1_11target_archE1201ELNS1_3gpuE5ELNS1_3repE0EEENS1_30default_config_static_selectorELNS0_4arch9wavefront6targetE0EEEvST_: ; @_ZN7rocprim17ROCPRIM_400000_NS6detail17trampoline_kernelINS0_14default_configENS1_22reduce_config_selectorIbEEZNS1_11reduce_implILb1ES3_N6hipcub16HIPCUB_304000_NS22TransformInputIteratorIbN2at6native12_GLOBAL__N_19NonZeroOpIN3c107complexIdEEEEPKSG_lEEPiiNS8_6detail34convert_binary_result_type_wrapperINS8_3SumESK_iEEEE10hipError_tPvRmT1_T2_T3_mT4_P12ihipStream_tbEUlT_E1_NS1_11comp_targetILNS1_3genE10ELNS1_11target_archE1201ELNS1_3gpuE5ELNS1_3repE0EEENS1_30default_config_static_selectorELNS0_4arch9wavefront6targetE0EEEvST_
; %bb.0:
	s_clause 0x2
	s_load_b32 s79, s[0:1], 0x4
	s_load_b64 s[72:73], s[0:1], 0x8
	s_load_b128 s[84:87], s[0:1], 0x18
	s_mov_b32 s68, ttmp9
	s_mov_b64 s[66:67], s[0:1]
	s_wait_kmcnt 0x0
	s_cmp_lt_i32 s79, 16
	s_cbranch_scc1 .LBB522_12
; %bb.1:
	s_cmp_gt_i32 s79, 63
	s_cbranch_scc0 .LBB522_13
; %bb.2:
	s_cmp_gt_i32 s79, 0x7f
                                        ; implicit-def: $vgpr132 : SGPR spill to VGPR lane
	s_cbranch_scc0 .LBB522_22
; %bb.3:
	s_cmp_eq_u32 s79, 0x80
	s_mov_b32 s4, 0
	s_cbranch_scc0 .LBB522_23
; %bb.4:
	s_mov_b32 s69, 0
	s_lshl_b32 s6, s68, 15
	s_mov_b32 s7, s69
	s_lshr_b64 s[0:1], s[84:85], 15
	s_lshl_b64 s[2:3], s[6:7], 4
	s_cmp_lg_u64 s[0:1], s[68:69]
	s_add_nc_u64 s[88:89], s[72:73], s[2:3]
	s_cbranch_scc0 .LBB522_34
; %bb.5:
	v_lshlrev_b32_e32 v17, 4, v0
	v_writelane_b32 v132, s6, 0
	s_clause 0x3
	global_load_b128 v[1:4], v17, s[88:89]
	global_load_b128 v[5:8], v17, s[88:89] offset:4096
	global_load_b128 v[9:12], v17, s[88:89] offset:8192
	;; [unrolled: 1-line block ×3, first 2 shown]
	v_writelane_b32 v132, s7, 1
	global_load_b128 v[18:21], v17, s[88:89] offset:196608
	s_wait_loadcnt 0x4
	v_cmp_neq_f64_e64 s90, 0, v[1:2]
	v_cmp_neq_f64_e64 s99, 0, v[3:4]
	global_load_b128 v[1:4], v17, s[88:89] offset:16384
	s_wait_loadcnt 0x4
	v_cmp_neq_f64_e32 vcc_lo, 0, v[5:6]
	v_cmp_neq_f64_e64 s2, 0, v[7:8]
	global_load_b128 v[5:8], v17, s[88:89] offset:20480
	s_wait_loadcnt 0x4
	v_cmp_neq_f64_e64 s13, 0, v[9:10]
	v_cmp_neq_f64_e64 s0, 0, v[11:12]
	global_load_b128 v[9:12], v17, s[88:89] offset:24576
	s_wait_loadcnt 0x4
	v_cmp_neq_f64_e64 s76, 0, v[13:14]
	v_cmp_neq_f64_e64 s4, 0, v[15:16]
	global_load_b128 v[13:16], v17, s[88:89] offset:28672
	s_or_b32 s2, vcc_lo, s2
	s_wait_loadcnt 0x3
	v_cmp_neq_f64_e64 s7, 0, v[1:2]
	v_cmp_neq_f64_e64 s100, 0, v[3:4]
	global_load_b128 v[1:4], v17, s[88:89] offset:32768
	s_wait_loadcnt 0x3
	v_cmp_neq_f64_e64 s25, 0, v[5:6]
	v_cmp_neq_f64_e64 s82, 0, v[7:8]
	global_load_b128 v[5:8], v17, s[88:89] offset:36864
	;; [unrolled: 4-line block ×4, first 2 shown]
	s_or_b32 s102, s7, s100
	s_or_b32 s34, s74, s1
	;; [unrolled: 1-line block ×3, first 2 shown]
	v_cndmask_b32_e64 v23, 0, 1, s34
	s_wait_loadcnt 0x3
	v_cmp_neq_f64_e64 s104, 0, v[1:2]
	v_cmp_neq_f64_e64 s35, 0, v[3:4]
	global_load_b128 v[1:4], v17, s[88:89] offset:49152
	s_wait_loadcnt 0x3
	v_cmp_neq_f64_e64 s55, 0, v[5:6]
	v_cmp_neq_f64_e64 s77, 0, v[7:8]
	global_load_b128 v[5:8], v17, s[88:89] offset:53248
	;; [unrolled: 4-line block ×4, first 2 shown]
	s_or_b32 vcc_hi, s104, s35
	s_delay_alu instid0(SALU_CYCLE_1)
	v_cndmask_b32_e64 v26, 0, 1, vcc_hi
	s_or_b32 s6, s9, s6
	s_wait_alu 0xfffe
	v_cndmask_b32_e64 v35, 0, 1, s6
	s_or_b32 s8, s103, s8
	s_wait_loadcnt 0x3
	v_cmp_neq_f64_e64 s16, 0, v[1:2]
	v_cmp_neq_f64_e64 s11, 0, v[3:4]
	global_load_b128 v[1:4], v17, s[88:89] offset:65536
	s_wait_loadcnt 0x3
	v_cmp_neq_f64_e64 s18, 0, v[5:6]
	v_cmp_neq_f64_e64 s73, 0, v[7:8]
	global_load_b128 v[5:8], v17, s[88:89] offset:69632
	;; [unrolled: 4-line block ×3, first 2 shown]
	s_wait_loadcnt 0x3
	v_cmp_neq_f64_e64 s3, 0, v[13:14]
	s_or_b32 s103, s17, s12
	v_writelane_b32 v132, s3, 2
	v_cmp_neq_f64_e64 s3, 0, v[15:16]
	global_load_b128 v[13:16], v17, s[88:89] offset:77824
	s_wait_alu 0xf1ff
	v_writelane_b32 v132, s3, 3
	s_wait_loadcnt 0x3
	v_cmp_neq_f64_e64 s72, 0, v[1:2]
	v_cmp_neq_f64_e64 s40, 0, v[3:4]
	global_load_b128 v[1:4], v17, s[88:89] offset:81920
	s_wait_loadcnt 0x3
	v_cmp_neq_f64_e64 s3, 0, v[5:6]
	s_wait_loadcnt 0x2
	v_cmp_neq_f64_e64 s21, 0, v[9:10]
	v_cmp_neq_f64_e64 s45, 0, v[11:12]
	global_load_b128 v[9:12], v17, s[88:89] offset:90112
	s_or_b32 vcc_hi, s72, s40
	s_wait_alu 0xf1ff
	v_writelane_b32 v132, s3, 4
	v_cmp_neq_f64_e64 s3, 0, v[7:8]
	global_load_b128 v[5:8], v17, s[88:89] offset:86016
	s_or_b32 s45, s21, s45
	s_wait_alu 0xf1ff
	v_writelane_b32 v132, s3, 5
	s_wait_loadcnt 0x3
	v_cmp_neq_f64_e64 s3, 0, v[13:14]
	s_wait_alu 0xf1ff
	s_delay_alu instid0(VALU_DEP_1)
	v_writelane_b32 v132, s3, 6
	v_cmp_neq_f64_e64 s3, 0, v[15:16]
	global_load_b128 v[13:16], v17, s[88:89] offset:94208
	s_wait_alu 0xf1ff
	v_writelane_b32 v132, s3, 7
	s_wait_loadcnt 0x3
	v_cmp_neq_f64_e64 s50, 0, v[1:2]
	v_cmp_neq_f64_e64 s51, 0, v[3:4]
	global_load_b128 v[1:4], v17, s[88:89] offset:98304
	s_wait_loadcnt 0x3
	v_cmp_neq_f64_e64 s54, 0, v[9:10]
	v_cmp_neq_f64_e64 s15, 0, v[11:12]
	global_load_b128 v[9:12], v17, s[88:89] offset:106496
	s_or_b32 s101, s50, s51
	s_wait_loadcnt 0x3
	v_cmp_neq_f64_e64 s3, 0, v[5:6]
	s_or_b32 s72, s54, s15
	s_wait_alu 0xf1ff
	v_writelane_b32 v132, s3, 8
	v_cmp_neq_f64_e64 s3, 0, v[7:8]
	global_load_b128 v[5:8], v17, s[88:89] offset:102400
	s_wait_alu 0xf1ff
	v_writelane_b32 v132, s3, 9
	s_wait_loadcnt 0x3
	v_cmp_neq_f64_e64 s39, 0, v[13:14]
	v_cmp_neq_f64_e64 s41, 0, v[15:16]
	global_load_b128 v[13:16], v17, s[88:89] offset:110592
	s_wait_loadcnt 0x3
	v_cmp_neq_f64_e64 s60, 0, v[1:2]
	v_cmp_neq_f64_e64 s61, 0, v[3:4]
	global_load_b128 v[1:4], v17, s[88:89] offset:114688
	;; [unrolled: 4-line block ×3, first 2 shown]
	s_or_b32 s30, s65, s30
	s_wait_loadcnt 0x3
	v_cmp_neq_f64_e64 s37, 0, v[5:6]
	v_cmp_neq_f64_e64 s43, 0, v[7:8]
	global_load_b128 v[5:8], v17, s[88:89] offset:118784
	s_wait_loadcnt 0x3
	v_cmp_neq_f64_e64 s33, 0, v[13:14]
	v_cmp_neq_f64_e64 s31, 0, v[15:16]
	global_load_b128 v[13:16], v17, s[88:89] offset:126976
	;; [unrolled: 4-line block ×4, first 2 shown]
	s_or_b32 s78, s70, s71
	s_or_b32 s79, s29, s79
	s_wait_loadcnt 0x3
	v_cmp_neq_f64_e64 s48, 0, v[5:6]
	v_cmp_neq_f64_e64 s49, 0, v[7:8]
	global_load_b128 v[5:8], v17, s[88:89] offset:135168
	s_wait_loadcnt 0x3
	v_cmp_neq_f64_e64 s36, 0, v[13:14]
	v_cmp_neq_f64_e64 s53, 0, v[15:16]
	global_load_b128 v[13:16], v17, s[88:89] offset:143360
	s_wait_loadcnt 0x3
	v_cmp_neq_f64_e64 s83, 0, v[1:2]
	v_cmp_neq_f64_e64 s24, 0, v[3:4]
	global_load_b128 v[1:4], v17, s[88:89] offset:147456
	s_wait_loadcnt 0x3
	v_cmp_neq_f64_e64 s80, 0, v[9:10]
	v_cmp_neq_f64_e64 s81, 0, v[11:12]
	global_load_b128 v[9:12], v17, s[88:89] offset:155648
	s_or_b32 s24, s83, s24
	s_wait_loadcnt 0x3
	v_cmp_neq_f64_e64 s42, 0, v[5:6]
	v_cmp_neq_f64_e64 s57, 0, v[7:8]
	global_load_b128 v[5:8], v17, s[88:89] offset:151552
	s_wait_loadcnt 0x3
	v_cmp_neq_f64_e64 s44, 0, v[13:14]
	v_cmp_neq_f64_e64 s47, 0, v[15:16]
	global_load_b128 v[13:16], v17, s[88:89] offset:159744
	s_wait_loadcnt 0x3
	v_cmp_neq_f64_e64 s28, 0, v[1:2]
	v_cmp_neq_f64_e64 s38, 0, v[3:4]
	global_load_b128 v[1:4], v17, s[88:89] offset:163840
	s_wait_loadcnt 0x3
	v_cmp_neq_f64_e64 s19, 0, v[9:10]
	v_cmp_neq_f64_e64 s3, 0, v[11:12]
	global_load_b128 v[9:12], v17, s[88:89] offset:172032
	;; [unrolled: 17-line block ×3, first 2 shown]
	s_or_b32 s14, s14, s23
	s_or_b32 s23, s91, s92
	s_wait_loadcnt 0x3
	v_cmp_neq_f64_e64 s58, 0, v[5:6]
	v_cmp_neq_f64_e64 s59, 0, v[7:8]
	global_load_b128 v[5:8], v17, s[88:89] offset:184320
	s_wait_loadcnt 0x3
	v_cmp_neq_f64_e64 s5, 0, v[13:14]
	v_cmp_neq_f64_e64 s62, 0, v[15:16]
	global_load_b128 v[13:16], v17, s[88:89] offset:192512
	v_writelane_b32 v132, s5, 10
	s_wait_loadcnt 0x3
	v_cmp_neq_f64_e64 s93, 0, v[1:2]
	v_cmp_neq_f64_e64 s94, 0, v[3:4]
	global_load_b128 v[1:4], v17, s[88:89] offset:200704
	v_cmp_neq_f64_e64 s97, 0, v[18:19]
	v_cmp_neq_f64_e64 s98, 0, v[20:21]
	s_wait_loadcnt 0x3
	v_cmp_neq_f64_e64 s95, 0, v[9:10]
	v_cmp_neq_f64_e64 s96, 0, v[11:12]
	global_load_b128 v[9:12], v17, s[88:89] offset:208896
	s_or_b32 s95, s95, s96
	s_or_b32 s96, s97, s98
	s_wait_loadcnt 0x3
	v_cmp_neq_f64_e64 s5, 0, v[5:6]
	v_cmp_neq_f64_e64 s64, 0, v[7:8]
	global_load_b128 v[5:8], v17, s[88:89] offset:204800
	s_wait_alu 0xf1ff
	v_writelane_b32 v132, s5, 11
	s_wait_loadcnt 0x3
	v_cmp_neq_f64_e64 s5, 0, v[13:14]
	s_wait_alu 0xf1ff
	s_delay_alu instid0(VALU_DEP_1)
	v_writelane_b32 v132, s5, 12
	v_cmp_neq_f64_e64 s5, 0, v[15:16]
	global_load_b128 v[13:16], v17, s[88:89] offset:212992
	s_wait_alu 0xf1ff
	v_writelane_b32 v132, s5, 13
	s_or_b32 s5, s90, s99
	s_or_b32 s99, s13, s0
	s_wait_alu 0xfffe
	v_cndmask_b32_e64 v18, 0, 1, s5
	v_cndmask_b32_e64 v19, 0, 1, s99
	s_delay_alu instid0(VALU_DEP_2)
	v_add_co_ci_u32_e64 v18, null, 0, v18, s2
	s_or_b32 s2, s55, s77
	v_add_co_ci_u32_e64 v18, null, v18, v19, s1
	v_cndmask_b32_e64 v19, 0, 1, s102
	s_or_b32 s1, s25, s82
	s_wait_alu 0xfffe
	s_delay_alu instid0(VALU_DEP_1) | instskip(SKIP_3) | instid1(VALU_DEP_1)
	v_add_co_ci_u32_e64 v22, null, v18, v19, s1
	s_or_b32 s1, s10, s75
	s_wait_alu 0xfffe
	v_add_co_ci_u32_e64 v27, null, v22, v23, s1
	v_add_co_ci_u32_e64 v34, null, v27, v26, s2
	s_delay_alu instid0(VALU_DEP_1)
	v_add_co_ci_u32_e64 v38, null, v34, v35, s8
	s_or_b32 s8, s16, s11
	s_wait_loadcnt 0x3
	v_cmp_neq_f64_e64 s90, 0, v[1:2]
	v_cmp_neq_f64_e64 s5, 0, v[3:4]
	global_load_b128 v[1:4], v17, s[88:89] offset:217088
	s_wait_loadcnt 0x3
	v_cmp_neq_f64_e64 s20, 0, v[9:10]
	v_cmp_neq_f64_e64 s13, 0, v[11:12]
	global_load_b128 v[9:12], v17, s[88:89] offset:229376
	;; [unrolled: 4-line block ×3, first 2 shown]
	s_or_b32 s19, s22, s0
	s_wait_loadcnt 0x3
	v_cmp_neq_f64_e64 s74, 0, v[13:14]
	v_cmp_neq_f64_e64 s100, 0, v[15:16]
	global_load_b128 v[13:16], v17, s[88:89] offset:237568
	s_wait_loadcnt 0x3
	v_cmp_neq_f64_e64 s104, 0, v[1:2]
	v_cmp_neq_f64_e64 s7, 0, v[3:4]
	global_load_b128 v[1:4], v17, s[88:89] offset:225280
	;; [unrolled: 4-line block ×3, first 2 shown]
	v_cmp_neq_f64_e64 s82, 0, v[9:10]
	v_cmp_neq_f64_e32 vcc_lo, 0, v[11:12]
	global_load_b128 v[9:12], v17, s[88:89] offset:241664
	s_or_b32 s92, s76, s102
	s_wait_loadcnt 0x3
	v_cmp_neq_f64_e64 s34, 0, v[13:14]
	v_cmp_neq_f64_e64 s35, 0, v[15:16]
	s_clause 0x1
	global_load_b128 v[13:16], v17, s[88:89] offset:245760
	global_load_b128 v[18:21], v17, s[88:89] offset:249856
	s_wait_loadcnt 0x4
	v_cmp_neq_f64_e64 s16, 0, v[1:2]
	s_wait_loadcnt 0x3
	v_cmp_neq_f64_e64 s17, 0, v[5:6]
	v_cmp_neq_f64_e64 s21, 0, v[7:8]
	s_wait_loadcnt 0x2
	v_cmp_neq_f64_e64 s12, 0, v[9:10]
	;; [unrolled: 3-line block ×3, first 2 shown]
	v_cmp_neq_f64_e64 s75, 0, v[15:16]
	s_clause 0x1
	global_load_b128 v[13:16], v17, s[88:89] offset:253952
	global_load_b128 v[22:25], v17, s[88:89] offset:258048
	s_wait_loadcnt 0x2
	v_cmp_neq_f64_e64 s50, 0, v[18:19]
	v_cmp_neq_f64_e64 s51, 0, v[20:21]
	s_wait_loadcnt 0x1
	v_cmp_neq_f64_e64 s27, 0, v[13:14]
	v_cmp_neq_f64_e64 s77, 0, v[15:16]
	s_clause 0x1
	global_load_b128 v[13:16], v17, s[88:89] offset:262144
	global_load_b128 v[26:29], v17, s[88:89] offset:266240
	s_wait_loadcnt 0x1
	v_cmp_neq_f64_e64 s26, 0, v[13:14]
	v_cmp_neq_f64_e64 s25, 0, v[15:16]
	s_clause 0x1
	global_load_b128 v[13:16], v17, s[88:89] offset:270336
	global_load_b128 v[30:33], v17, s[88:89] offset:274432
	s_wait_loadcnt 0x2
	v_cmp_neq_f64_e64 s70, 0, v[26:27]
	v_cmp_neq_f64_e64 s71, 0, v[28:29]
	s_wait_loadcnt 0x1
	v_cmp_neq_f64_e64 s6, 0, v[13:14]
	v_cmp_neq_f64_e64 s9, 0, v[15:16]
	s_clause 0x1
	global_load_b128 v[13:16], v17, s[88:89] offset:278528
	global_load_b128 v[34:37], v17, s[88:89] offset:282624
	s_wait_loadcnt 0x2
	v_cmp_neq_f64_e64 s54, 0, v[30:31]
	v_cmp_neq_f64_e64 s65, 0, v[32:33]
	s_wait_loadcnt 0x1
	v_cmp_neq_f64_e64 s10, 0, v[13:14]
	s_wait_alu 0xfffe
	v_cndmask_b32_e64 v13, 0, 1, s8
	s_or_b32 s8, s18, s73
	v_cmp_neq_f64_e64 s11, 0, v[15:16]
	v_cmp_neq_f64_e64 s18, 0, v[3:4]
	s_or_b32 s73, s60, s61
	s_wait_alu 0xfffe
	v_add_co_ci_u32_e64 v38, null, v38, v13, s8
	s_clause 0x1
	global_load_b128 v[1:4], v17, s[88:89] offset:286720
	global_load_b128 v[13:16], v17, s[88:89] offset:290816
	s_wait_loadcnt 0x2
	v_cmp_neq_f64_e64 s40, 0, v[36:37]
	s_wait_loadcnt 0x1
	v_cmp_neq_f64_e64 s55, 0, v[1:2]
	v_cmp_neq_f64_e64 s8, 0, v[3:4]
	s_clause 0x1
	global_load_b128 v[1:4], v17, s[88:89] offset:294912
	global_load_b128 v[5:8], v17, s[88:89] offset:299008
	s_wait_loadcnt 0x2
	v_cmp_neq_f64_e64 s0, 0, v[13:14]
	s_wait_alu 0xfffd
	v_cndmask_b32_e64 v14, 0, 1, vcc_hi
	v_cmp_neq_f64_e64 s29, 0, v[15:16]
	s_or_b32 s8, s55, s8
	s_wait_loadcnt 0x1
	v_cmp_neq_f64_e64 s61, 0, v[1:2]
	v_cmp_neq_f64_e64 s60, 0, v[3:4]
	s_clause 0x1
	global_load_b128 v[1:4], v17, s[88:89] offset:303104
	global_load_b128 v[9:12], v17, s[88:89] offset:307200
	s_wait_loadcnt 0x2
	v_cmp_neq_f64_e64 s83, 0, v[5:6]
	s_wait_loadcnt 0x1
	v_cmp_neq_f64_e64 s1, 0, v[1:2]
	v_cmp_neq_f64_e64 s2, 0, v[3:4]
	s_clause 0x1
	global_load_b128 v[1:4], v17, s[88:89] offset:311296
	global_load_b128 v[18:21], v17, s[88:89] offset:315392
	s_wait_alu 0xf1ff
	v_writelane_b32 v132, s1, 14
	s_or_b32 s1, s80, s81
	v_cmp_neq_f64_e64 s80, 0, v[22:23]
	v_cndmask_b32_e64 v22, 0, 1, s103
	v_cndmask_b32_e64 v23, 0, 1, s45
	v_writelane_b32 v132, s2, 15
	s_or_b32 s2, s28, s38
	v_cmp_neq_f64_e64 s81, 0, v[24:25]
	v_cmp_neq_f64_e64 s38, 0, v[34:35]
	s_or_b32 s38, s38, s40
	s_wait_loadcnt 0x1
	v_cmp_neq_f64_e64 s4, 0, v[1:2]
	s_wait_alu 0xf1ff
	s_delay_alu instid0(VALU_DEP_1)
	v_writelane_b32 v132, s4, 16
	v_cmp_neq_f64_e64 s4, 0, v[3:4]
	global_load_b128 v[1:4], v17, s[88:89] offset:319488
	s_wait_alu 0xf1ff
	v_writelane_b32 v132, s4, 17
	s_or_b32 s4, s93, s94
	s_or_b32 s94, s74, s100
	v_cmp_neq_f64_e64 s74, 0, v[7:8]
	global_load_b128 v[5:8], v17, s[88:89] offset:323584
	v_readlane_b32 s22, v132, 2
	v_readlane_b32 s28, v132, 3
	s_or_b32 s93, s82, vcc_lo
	s_or_b32 vcc_lo, s22, s28
	v_readlane_b32 s22, v132, 4
	v_readlane_b32 s28, v132, 5
	s_wait_alu 0xfffe
	v_add_co_ci_u32_e64 v13, null, v38, v22, vcc_lo
	s_or_b32 vcc_lo, s22, s28
	v_cmp_neq_f64_e64 s22, 0, v[9:10]
	s_wait_alu 0xfffe
	v_add_co_ci_u32_e64 v22, null, v13, v14, vcc_lo
	global_load_b128 v[13:16], v17, s[88:89] offset:331776
	v_writelane_b32 v132, s22, 2
	v_cmp_neq_f64_e64 s22, 0, v[11:12]
	global_load_b128 v[9:12], v17, s[88:89] offset:327680
	s_wait_alu 0xf1ff
	v_writelane_b32 v132, s22, 4
	s_wait_loadcnt 0x4
	v_cmp_neq_f64_e64 s22, 0, v[18:19]
	v_cndmask_b32_e64 v19, 0, 1, s101
	s_wait_alu 0xf1ff
	s_delay_alu instid0(VALU_DEP_2) | instskip(NEXT) | instid1(VALU_DEP_1)
	v_writelane_b32 v132, s22, 3
	v_readlane_b32 s22, v132, 6
	v_readlane_b32 s28, v132, 7
	s_or_b32 vcc_lo, s22, s28
	v_cmp_neq_f64_e64 s22, 0, v[20:21]
	s_wait_alu 0xfffe
	v_add_co_ci_u32_e64 v18, null, v22, v23, vcc_lo
	v_cndmask_b32_e64 v23, 0, 1, s92
	s_wait_alu 0xf1ff
	s_delay_alu instid0(VALU_DEP_3) | instskip(SKIP_3) | instid1(VALU_DEP_1)
	v_writelane_b32 v132, s22, 5
	s_wait_loadcnt 0x3
	v_cmp_neq_f64_e64 s22, 0, v[1:2]
	s_wait_alu 0xf1ff
	v_writelane_b32 v132, s22, 18
	v_cmp_neq_f64_e64 s22, 0, v[3:4]
	global_load_b128 v[1:4], v17, s[88:89] offset:335872
	s_wait_loadcnt 0x2
	v_cmp_neq_f64_e64 vcc_hi, 0, v[13:14]
	v_cmp_neq_f64_e64 s103, 0, v[15:16]
	global_load_b128 v[13:16], v17, s[88:89] offset:348160
	s_wait_alu 0xf1ff
	v_writelane_b32 v132, s22, 19
	s_delay_alu instid0(VALU_DEP_1)
	v_readlane_b32 s22, v132, 8
	v_readlane_b32 s28, v132, 9
	s_or_b32 vcc_lo, s22, s28
	v_cmp_neq_f64_e64 s22, 0, v[5:6]
	s_wait_alu 0xfffe
	v_add_co_ci_u32_e64 v18, null, v18, v19, vcc_lo
	v_cndmask_b32_e64 v19, 0, 1, s72
	s_or_b32 vcc_lo, s39, s41
	s_wait_loadcnt 0x2
	v_cmp_neq_f64_e64 s76, 0, v[9:10]
	s_wait_alu 0xfffe
	v_add_co_ci_u32_e64 v18, null, v18, v19, vcc_lo
	v_cndmask_b32_e64 v19, 0, 1, s73
	s_or_b32 vcc_lo, s37, s43
	s_wait_alu 0xfffe
	s_delay_alu instid0(VALU_DEP_1) | instskip(SKIP_3) | instid1(VALU_DEP_1)
	v_add_co_ci_u32_e64 v18, null, v18, v19, vcc_lo
	v_cndmask_b32_e64 v19, 0, 1, s30
	s_or_b32 vcc_lo, s33, s31
	s_wait_alu 0xfffe
	v_add_co_ci_u32_e64 v18, null, v18, v19, vcc_lo
	v_cndmask_b32_e64 v19, 0, 1, s78
	s_or_b32 vcc_lo, s48, s49
	s_wait_alu 0xfffe
	s_delay_alu instid0(VALU_DEP_1) | instskip(SKIP_3) | instid1(VALU_DEP_1)
	v_add_co_ci_u32_e64 v18, null, v18, v19, vcc_lo
	s_or_b32 vcc_lo, s36, s53
	v_cndmask_b32_e64 v19, 0, 1, s79
	s_wait_alu 0xfffe
	v_add_co_ci_u32_e64 v18, null, v18, v19, vcc_lo
	v_writelane_b32 v132, s22, 6
	v_cmp_neq_f64_e64 s22, 0, v[7:8]
	global_load_b128 v[5:8], v17, s[88:89] offset:339968
	v_cndmask_b32_e64 v19, 0, 1, s24
	s_or_b32 vcc_lo, s42, s57
	s_wait_alu 0xfffe
	s_delay_alu instid0(VALU_DEP_1) | instskip(SKIP_3) | instid1(VALU_DEP_1)
	v_add_co_ci_u32_e64 v18, null, v18, v19, vcc_lo
	v_cndmask_b32_e64 v19, 0, 1, s1
	s_or_b32 vcc_lo, s44, s47
	s_wait_alu 0xfffe
	v_add_co_ci_u32_e64 v18, null, v18, v19, vcc_lo
	s_or_b32 vcc_lo, s46, s63
	v_cndmask_b32_e64 v19, 0, 1, s2
	s_wait_alu 0xfffe
	s_delay_alu instid0(VALU_DEP_1) | instskip(SKIP_3) | instid1(VALU_DEP_1)
	v_add_co_ci_u32_e64 v18, null, v18, v19, vcc_lo
	v_cndmask_b32_e64 v19, 0, 1, s3
	s_or_b32 vcc_lo, s52, s56
	s_wait_alu 0xfffe
	v_add_co_ci_u32_e64 v18, null, v18, v19, vcc_lo
	v_cndmask_b32_e64 v19, 0, 1, s14
	s_or_b32 vcc_lo, s58, s59
	s_wait_alu 0xfffe
	s_delay_alu instid0(VALU_DEP_1)
	v_add_co_ci_u32_e64 v18, null, v18, v19, vcc_lo
	v_writelane_b32 v132, s22, 7
	v_cmp_neq_f64_e64 s22, 0, v[11:12]
	global_load_b128 v[9:12], v17, s[88:89] offset:344064
	v_cndmask_b32_e64 v19, 0, 1, s23
	v_readlane_b32 s1, v132, 10
	v_readlane_b32 s2, v132, 13
	s_or_b32 vcc_lo, s1, s62
	v_readlane_b32 s1, v132, 11
	s_wait_alu 0xfffe
	v_add_co_ci_u32_e64 v18, null, v18, v19, vcc_lo
	v_cndmask_b32_e64 v19, 0, 1, s4
	s_delay_alu instid0(VALU_DEP_3) | instskip(SKIP_2) | instid1(VALU_DEP_2)
	s_or_b32 vcc_lo, s1, s64
	v_readlane_b32 s1, v132, 12
	s_wait_alu 0xfffe
	v_add_co_ci_u32_e64 v18, null, v18, v19, vcc_lo
	v_cndmask_b32_e64 v19, 0, 1, s95
	s_delay_alu instid0(VALU_DEP_3) | instskip(SKIP_2) | instid1(VALU_DEP_1)
	s_or_b32 vcc_lo, s1, s2
	s_or_b32 s1, s34, s35
	s_wait_alu 0xfffe
	v_add_co_ci_u32_e64 v18, null, v18, v19, vcc_lo
	s_or_b32 vcc_lo, s90, s5
	v_cndmask_b32_e64 v19, 0, 1, s96
	s_wait_alu 0xfffe
	s_delay_alu instid0(VALU_DEP_1) | instskip(SKIP_4) | instid1(VALU_DEP_1)
	v_add_co_ci_u32_e64 v18, null, v18, v19, vcc_lo
	v_cndmask_b32_e64 v19, 0, 1, s19
	s_or_b32 vcc_lo, s20, s13
	s_or_b32 s13, s27, s77
	s_wait_alu 0xfffe
	v_add_co_ci_u32_e64 v18, null, v18, v19, vcc_lo
	v_cndmask_b32_e64 v19, 0, 1, s94
	s_or_b32 vcc_lo, s104, s7
	s_or_b32 s7, s99, s75
	s_wait_alu 0xfffe
	s_delay_alu instid0(VALU_DEP_1)
	v_add_co_ci_u32_e64 v22, null, v18, v19, vcc_lo
	s_or_b32 vcc_lo, s16, s18
	s_wait_loadcnt 0x3
	v_cmp_neq_f64_e64 s100, 0, v[1:2]
	v_cmp_neq_f64_e64 s91, 0, v[3:4]
	global_load_b128 v[1:4], v17, s[88:89] offset:352256
	s_wait_loadcnt 0x3
	v_cmp_neq_f64_e64 s28, 0, v[13:14]
	v_cmp_neq_f64_e64 s31, 0, v[15:16]
	global_load_b128 v[13:16], v17, s[88:89] offset:364544
	s_wait_loadcnt 0x3
	v_cmp_neq_f64_e64 s102, 0, v[5:6]
	v_cmp_neq_f64_e64 s98, 0, v[7:8]
	global_load_b128 v[5:8], v17, s[88:89] offset:356352
	s_wait_loadcnt 0x3
	v_cmp_neq_f64_e64 s30, 0, v[9:10]
	v_cmp_neq_f64_e64 s33, 0, v[11:12]
	global_load_b128 v[9:12], v17, s[88:89] offset:360448
	s_wait_loadcnt 0x3
	v_cmp_neq_f64_e64 s37, 0, v[1:2]
	v_cmp_neq_f64_e64 s41, 0, v[3:4]
	global_load_b128 v[1:4], v17, s[88:89] offset:368640
	s_wait_loadcnt 0x3
	v_cmp_neq_f64_e64 s42, 0, v[13:14]
	v_cmp_neq_f64_e64 s44, 0, v[15:16]
	global_load_b128 v[13:16], v17, s[88:89] offset:380928
	s_wait_loadcnt 0x3
	v_cmp_neq_f64_e64 s36, 0, v[5:6]
	v_cmp_neq_f64_e64 s39, 0, v[7:8]
	global_load_b128 v[5:8], v17, s[88:89] offset:372736
	s_wait_loadcnt 0x3
	v_cmp_neq_f64_e64 s43, 0, v[9:10]
	v_cmp_neq_f64_e64 s45, 0, v[11:12]
	global_load_b128 v[9:12], v17, s[88:89] offset:376832
	s_wait_loadcnt 0x3
	v_cmp_neq_f64_e64 s47, 0, v[1:2]
	v_cmp_neq_f64_e64 s49, 0, v[3:4]
	global_load_b128 v[1:4], v17, s[88:89] offset:385024
	s_wait_loadcnt 0x3
	v_cmp_neq_f64_e64 s52, 0, v[13:14]
	v_cmp_neq_f64_e64 s56, 0, v[15:16]
	global_load_b128 v[13:16], v17, s[88:89] offset:397312
	s_wait_loadcnt 0x3
	v_cmp_neq_f64_e64 s46, 0, v[5:6]
	v_cmp_neq_f64_e64 s48, 0, v[7:8]
	global_load_b128 v[5:8], v17, s[88:89] offset:389120
	s_wait_loadcnt 0x3
	v_cmp_neq_f64_e64 s53, 0, v[9:10]
	v_cmp_neq_f64_e64 s57, 0, v[11:12]
	global_load_b128 v[9:12], v17, s[88:89] offset:393216
	s_wait_loadcnt 0x3
	v_cmp_neq_f64_e64 s59, 0, v[1:2]
	v_cmp_neq_f64_e64 s63, 0, v[3:4]
	global_load_b128 v[1:4], v17, s[88:89] offset:401408
	s_wait_loadcnt 0x3
	v_cmp_neq_f64_e64 s64, 0, v[13:14]
	v_cmp_neq_f64_e64 s23, 0, v[15:16]
	global_load_b128 v[13:16], v17, s[88:89] offset:405504
	s_wait_loadcnt 0x3
	v_cmp_neq_f64_e64 s58, 0, v[5:6]
	v_cmp_neq_f64_e64 s62, 0, v[7:8]
	global_load_b128 v[5:8], v17, s[88:89] offset:409600
	s_wait_loadcnt 0x3
	v_cmp_neq_f64_e64 s82, 0, v[9:10]
	v_cmp_neq_f64_e64 s24, 0, v[11:12]
	global_load_b128 v[9:12], v17, s[88:89] offset:417792
	s_wait_loadcnt 0x3
	v_cmp_neq_f64_e64 s101, 0, v[1:2]
	v_cmp_neq_f64_e64 s72, 0, v[3:4]
	global_load_b128 v[1:4], v17, s[88:89] offset:413696
	s_wait_loadcnt 0x3
	v_cmp_neq_f64_e64 s19, 0, v[13:14]
	v_cmp_neq_f64_e64 s3, 0, v[15:16]
	global_load_b128 v[13:16], v17, s[88:89] offset:430080
	s_wait_loadcnt 0x3
	v_cmp_neq_f64_e64 s73, 0, v[5:6]
	v_cmp_neq_f64_e64 s78, 0, v[7:8]
	global_load_b128 v[5:8], v17, s[88:89] offset:421888
	s_wait_loadcnt 0x3
	v_cmp_neq_f64_e64 s14, 0, v[9:10]
	v_cmp_neq_f64_e64 s5, 0, v[11:12]
	global_load_b128 v[9:12], v17, s[88:89] offset:425984
	s_wait_loadcnt 0x3
	v_cmp_neq_f64_e64 s4, 0, v[1:2]
	v_cmp_neq_f64_e64 s94, 0, v[3:4]
	global_load_b128 v[1:4], v17, s[88:89] offset:438272
	s_wait_loadcnt 0x3
	v_cmp_neq_f64_e64 s97, 0, v[13:14]
	v_cndmask_b32_e64 v14, 0, 1, s7
	s_or_b32 s7, s54, s65
	s_or_b32 s65, s83, s74
	;; [unrolled: 1-line block ×3, first 2 shown]
	s_wait_loadcnt 0x2
	v_cmp_neq_f64_e64 s96, 0, v[7:8]
	s_wait_loadcnt 0x1
	v_cmp_neq_f64_e64 s20, 0, v[9:10]
	v_cmp_neq_f64_e64 s90, 0, v[11:12]
	global_load_b128 v[9:12], v17, s[88:89] offset:434176
	s_wait_loadcnt 0x1
	v_cmp_neq_f64_e64 s2, 0, v[1:2]
	s_wait_loadcnt 0x0
	v_cmp_neq_f64_e64 s92, 0, v[9:10]
	v_cmp_neq_f64_e64 s18, 0, v[11:12]
	s_clause 0x1
	global_load_b128 v[9:12], v17, s[88:89] offset:442368
	global_load_b128 v[18:21], v17, s[88:89] offset:446464
	s_wait_loadcnt 0x1
	v_cmp_neq_f64_e64 s16, 0, v[9:10]
	v_cndmask_b32_e64 v9, 0, 1, s93
	s_wait_alu 0xfffe
	v_add_co_ci_u32_e64 v10, null, v22, v23, vcc_lo
	s_or_b32 vcc_lo, s17, s21
	v_cmp_neq_f64_e64 s93, 0, v[11:12]
	v_cmp_neq_f64_e64 s17, 0, v[5:6]
	s_wait_alu 0xfffe
	v_add_co_ci_u32_e64 v26, null, v10, v9, vcc_lo
	s_clause 0x1
	global_load_b128 v[5:8], v17, s[88:89] offset:450560
	global_load_b128 v[9:12], v17, s[88:89] offset:454656
	s_or_b32 s21, s26, s25
	s_or_b32 s25, s6, s9
	v_cmp_neq_f64_e64 s6, 0, v[3:4]
	s_or_b32 s26, s10, s11
	s_wait_loadcnt 0x2
	v_cmp_neq_f64_e64 s11, 0, v[18:19]
	v_cmp_neq_f64_e64 s9, 0, v[15:16]
	v_cndmask_b32_e64 v19, 0, 1, s13
	v_readlane_b32 s13, v132, 15
	s_or_b32 s2, s2, s6
	s_wait_loadcnt 0x1
	v_cmp_neq_f64_e64 s95, 0, v[5:6]
	v_cmp_neq_f64_e64 s35, 0, v[7:8]
	s_clause 0x2
	global_load_b128 v[5:8], v17, s[88:89] offset:458752
	global_load_b128 v[22:25], v17, s[88:89] offset:462848
	;; [unrolled: 1-line block ×3, first 2 shown]
	s_wait_loadcnt 0x3
	v_cmp_neq_f64_e64 s10, 0, v[9:10]
	s_wait_loadcnt 0x2
	v_cmp_neq_f64_e32 vcc_lo, 0, v[5:6]
	v_cndmask_b32_e64 v5, 0, 1, s1
	s_or_b32 s1, s12, s15
	v_cmp_neq_f64_e64 s34, 0, v[7:8]
	v_cmp_neq_f64_e64 s12, 0, v[20:21]
	s_wait_loadcnt 0x1
	v_cmp_neq_f64_e64 s15, 0, v[22:23]
	s_wait_alu 0xfffe
	v_add_co_ci_u32_e64 v13, null, v26, v5, s1
	global_load_b128 v[5:8], v17, s[88:89] offset:471040
	s_or_b32 s1, s50, s51
	v_cmp_neq_f64_e64 s50, 0, v[11:12]
	global_load_b128 v[9:12], v17, s[88:89] offset:475136
	s_wait_alu 0xfffe
	v_add_co_ci_u32_e64 v18, null, v13, v14, s1
	s_or_b32 s1, s80, s81
	s_wait_loadcnt 0x2
	v_cmp_neq_f64_e64 s80, 0, v[1:2]
	v_cmp_neq_f64_e64 s81, 0, v[3:4]
	s_clause 0x1
	global_load_b128 v[1:4], v17, s[88:89] offset:483328
	global_load_b128 v[13:16], v17, s[88:89] offset:479232
	s_wait_alu 0xfffe
	v_add_co_ci_u32_e64 v18, null, v18, v19, s1
	s_or_b32 s1, s70, s71
	v_cndmask_b32_e64 v19, 0, 1, s21
	v_cmp_neq_f64_e64 s51, 0, v[24:25]
	s_wait_alu 0xfffe
	s_delay_alu instid0(VALU_DEP_2) | instskip(SKIP_2) | instid1(VALU_DEP_2)
	v_add_co_ci_u32_e64 v18, null, v18, v19, s1
	v_cndmask_b32_e64 v19, 0, 1, s25
	v_readlane_b32 s25, v132, 7
	v_add_co_ci_u32_e64 v18, null, v18, v19, s7
	v_cndmask_b32_e64 v19, 0, 1, s26
	s_or_b32 s26, s0, s29
	s_or_b32 s0, s61, s60
	s_delay_alu instid0(VALU_DEP_1) | instskip(SKIP_2) | instid1(VALU_DEP_1)
	v_add_co_ci_u32_e64 v18, null, v18, v19, s38
	v_cndmask_b32_e64 v19, 0, 1, s8
	s_wait_alu 0xfffe
	v_add_co_ci_u32_e64 v18, null, v18, v19, s26
	v_cndmask_b32_e64 v19, 0, 1, s0
	v_readlane_b32 s0, v132, 14
	s_delay_alu instid0(VALU_DEP_2)
	v_add_co_ci_u32_e64 v18, null, v18, v19, s65
	s_or_b32 s0, s0, s13
	v_readlane_b32 s13, v132, 17
	s_wait_alu 0xfffe
	v_cndmask_b32_e64 v19, 0, 1, s0
	v_readlane_b32 s0, v132, 16
	s_or_b32 s0, s0, s13
	v_readlane_b32 s13, v132, 4
	s_wait_loadcnt 0x3
	v_cmp_neq_f64_e64 s70, 0, v[5:6]
	v_cmp_neq_f64_e64 s71, 0, v[7:8]
	global_load_b128 v[5:8], v17, s[88:89] offset:487424
	s_wait_loadcnt 0x3
	v_cmp_neq_f64_e64 s1, 0, v[9:10]
	v_cmp_neq_f64_e64 s21, 0, v[11:12]
	global_load_b128 v[9:12], v17, s[88:89] offset:491520
	;; [unrolled: 4-line block ×4, first 2 shown]
	s_or_b32 s1, s1, s21
	s_wait_loadcnt 0x3
	v_cmp_neq_f64_e64 s8, 0, v[5:6]
	v_cmp_neq_f64_e64 s55, 0, v[7:8]
	global_load_b128 v[5:8], v17, s[88:89] offset:503808
	s_wait_loadcnt 0x3
	v_cmp_neq_f64_e64 s26, 0, v[9:10]
	v_cmp_neq_f64_e64 s29, 0, v[11:12]
	global_load_b128 v[9:12], v17, s[88:89] offset:507904
	;; [unrolled: 4-line block ×5, first 2 shown]
	s_wait_alu 0xfffe
	v_cndmask_b32_e64 v17, 0, 1, s0
	v_readlane_b32 s0, v132, 2
	s_wait_loadcnt 0x3
	v_cmp_neq_f64_e64 s74, 0, v[11:12]
	s_or_b32 s0, s0, s13
	v_readlane_b32 s13, v132, 19
	s_wait_alu 0xfffe
	v_add_co_ci_u32_e64 v18, null, v18, v19, s0
	v_readlane_b32 s0, v132, 18
	s_or_b32 s0, s0, s13
	v_readlane_b32 s13, v132, 5
	s_wait_alu 0xfffe
	v_cndmask_b32_e64 v19, 0, 1, s0
	v_readlane_b32 s0, v132, 3
	s_or_b32 s0, s0, s13
	s_or_b32 s13, s76, s22
	s_wait_alu 0xfffe
	v_add_co_ci_u32_e64 v17, null, v18, v17, s0
	v_cmp_neq_f64_e64 s0, 0, v[9:10]
	v_cndmask_b32_e64 v9, 0, 1, s13
	v_readlane_b32 s13, v132, 6
	s_wait_loadcnt 0x1
	v_cmp_neq_f64_e64 s22, 0, v[13:14]
	v_cmp_neq_f64_e64 s76, 0, v[15:16]
	s_or_b32 s13, s13, s25
	s_wait_alu 0xfffe
	v_add_co_ci_u32_e64 v10, null, v17, v19, s13
	s_or_b32 s13, s100, s91
	s_wait_alu 0xfffe
	v_cndmask_b32_e64 v11, 0, 1, s13
	s_or_b32 s13, vcc_hi, s103
	s_wait_alu 0xfffe
	v_add_co_ci_u32_e64 v9, null, v10, v9, s13
	s_or_b32 s13, s30, s33
	s_wait_alu 0xfffe
	v_cndmask_b32_e64 v10, 0, 1, s13
	s_or_b32 s13, s102, s98
	s_wait_alu 0xfffe
	v_add_co_ci_u32_e64 v9, null, v9, v11, s13
	s_or_b32 s13, s37, s41
	s_wait_alu 0xfffe
	v_cndmask_b32_e64 v11, 0, 1, s13
	s_or_b32 s13, s28, s31
	;; [unrolled: 6-line block ×3, first 2 shown]
	s_wait_alu 0xfffe
	v_add_co_ci_u32_e64 v9, null, v9, v11, s13
	s_or_b32 s13, s47, s49
	s_or_b32 s0, s0, s74
	s_wait_alu 0xfffe
	v_cndmask_b32_e64 v11, 0, 1, s13
	s_or_b32 s13, s42, s44
	s_wait_alu 0xfffe
	v_add_co_ci_u32_e64 v9, null, v9, v10, s13
	s_or_b32 s13, s53, s57
	s_wait_alu 0xfffe
	v_cndmask_b32_e64 v10, 0, 1, s13
	s_or_b32 s13, s46, s48
	s_wait_alu 0xfffe
	v_add_co_ci_u32_e64 v9, null, v9, v11, s13
	;; [unrolled: 6-line block ×5, first 2 shown]
	s_or_b32 s13, s73, s78
	s_wait_alu 0xfffe
	v_cndmask_b32_e64 v10, 0, 1, s13
	s_or_b32 s13, s19, s3
	s_or_b32 s3, s14, s5
	s_wait_alu 0xfffe
	v_add_co_ci_u32_e64 v9, null, v9, v11, s13
	v_cndmask_b32_e64 v11, 0, 1, s3
	s_or_b32 s3, s20, s90
	s_or_b32 s5, s80, s81
	s_delay_alu instid0(VALU_DEP_2)
	v_add_co_ci_u32_e64 v9, null, v9, v10, s4
	s_wait_alu 0xfffe
	v_cndmask_b32_e64 v10, 0, 1, s3
	s_or_b32 s3, s17, s96
	s_or_b32 s4, vcc_lo, s34
	s_wait_alu 0xfffe
	v_add_co_ci_u32_e64 v9, null, v9, v11, s3
	s_or_b32 s3, s92, s18
	s_wait_alu 0xfffe
	v_cndmask_b32_e64 v11, 0, 1, s3
	s_or_b32 s3, s97, s9
	s_wait_alu 0xfffe
	v_add_co_ci_u32_e64 v9, null, v9, v10, s3
	s_or_b32 s3, s16, s93
	s_wait_alu 0xfffe
	v_cndmask_b32_e64 v10, 0, 1, s3
	v_add_co_ci_u32_e64 v9, null, v9, v11, s2
	s_or_b32 s2, s95, s35
	s_or_b32 s3, s11, s12
	s_wait_alu 0xfffe
	v_cndmask_b32_e64 v11, 0, 1, s2
	v_cmp_neq_f64_e64 s2, 0, v[1:2]
	v_add_co_ci_u32_e64 v1, null, v9, v10, s3
	v_cmp_neq_f64_e64 s3, 0, v[3:4]
	v_cndmask_b32_e64 v2, 0, 1, s4
	s_or_b32 s4, s10, s50
	v_cndmask_b32_e64 v3, 0, 1, s5
	s_wait_alu 0xfffe
	v_add_co_ci_u32_e64 v1, null, v1, v11, s4
	s_or_b32 s5, s15, s51
	s_wait_alu 0xfffe
	v_add_co_ci_u32_e64 v1, null, v1, v2, s5
	v_cndmask_b32_e64 v2, 0, 1, s1
	s_or_b32 s1, s70, s71
	s_wait_alu 0xfffe
	s_delay_alu instid0(VALU_DEP_2)
	v_add_co_ci_u32_e64 v1, null, v1, v3, s1
	s_or_b32 s1, s40, s38
	s_wait_alu 0xfffe
	v_cndmask_b32_e64 v3, 0, 1, s1
	s_or_b32 s1, s7, s54
	s_wait_alu 0xfffe
	v_add_co_ci_u32_e64 v1, null, v1, v2, s1
	s_or_b32 s1, s26, s29
	s_wait_alu 0xfffe
	v_cndmask_b32_e64 v2, 0, 1, s1
	s_or_b32 s1, s8, s55
	s_wait_alu 0xfffe
	;; [unrolled: 6-line block ×3, first 2 shown]
	v_add_co_ci_u32_e64 v1, null, v1, v2, s1
	v_cndmask_b32_e64 v2, 0, 1, s0
	s_or_b32 s0, s77, s83
	s_wait_alu 0xfffe
	s_delay_alu instid0(VALU_DEP_2)
	v_add_co_ci_u32_e64 v1, null, v1, v3, s0
	s_or_b32 s0, s2, s3
	s_wait_alu 0xfffe
	v_cndmask_b32_e64 v3, 0, 1, s0
	s_or_b32 s0, s22, s76
	s_wait_alu 0xfffe
	v_add_co_ci_u32_e64 v1, null, v1, v2, s0
	s_mov_b32 s0, exec_lo
	s_wait_loadcnt 0x0
	v_cmp_neq_f64_e32 vcc_lo, 0, v[5:6]
	v_cmp_neq_f64_e64 s4, 0, v[7:8]
	s_or_b32 vcc_lo, vcc_lo, s4
	s_wait_alu 0xfffe
	v_add_co_ci_u32_e64 v1, null, v1, v3, vcc_lo
	s_delay_alu instid0(VALU_DEP_1) | instskip(NEXT) | instid1(VALU_DEP_1)
	v_mov_b32_dpp v2, v1 quad_perm:[1,0,3,2] row_mask:0xf bank_mask:0xf
	v_add_nc_u32_e32 v1, v1, v2
	s_delay_alu instid0(VALU_DEP_1) | instskip(NEXT) | instid1(VALU_DEP_1)
	v_mov_b32_dpp v2, v1 quad_perm:[2,3,0,1] row_mask:0xf bank_mask:0xf
	v_add_nc_u32_e32 v1, v1, v2
	s_delay_alu instid0(VALU_DEP_1) | instskip(NEXT) | instid1(VALU_DEP_1)
	v_mov_b32_dpp v2, v1 row_ror:4 row_mask:0xf bank_mask:0xf
	v_add_nc_u32_e32 v1, v1, v2
	s_delay_alu instid0(VALU_DEP_1) | instskip(NEXT) | instid1(VALU_DEP_1)
	v_mov_b32_dpp v2, v1 row_ror:8 row_mask:0xf bank_mask:0xf
	v_add_nc_u32_e32 v1, v1, v2
	ds_swizzle_b32 v2, v1 offset:swizzle(BROADCAST,32,15)
	s_wait_dscnt 0x0
	v_dual_mov_b32 v2, 0 :: v_dual_add_nc_u32 v1, v1, v2
	ds_bpermute_b32 v1, v2, v1 offset:124
	v_mbcnt_lo_u32_b32 v2, -1, 0
	s_delay_alu instid0(VALU_DEP_1)
	v_cmpx_eq_u32_e32 0, v2
	s_cbranch_execz .LBB522_7
; %bb.6:
	v_lshrrev_b32_e32 v3, 3, v0
	s_delay_alu instid0(VALU_DEP_1)
	v_and_b32_e32 v3, 28, v3
	s_wait_dscnt 0x0
	ds_store_b32 v3, v1
.LBB522_7:
	s_or_b32 exec_lo, exec_lo, s0
	s_delay_alu instid0(SALU_CYCLE_1)
	s_mov_b32 s0, exec_lo
	s_wait_dscnt 0x0
	s_barrier_signal -1
	s_barrier_wait -1
	global_inv scope:SCOPE_SE
	v_cmpx_gt_u32_e32 32, v0
	s_cbranch_execz .LBB522_9
; %bb.8:
	v_and_b32_e32 v1, 7, v2
	s_delay_alu instid0(VALU_DEP_1)
	v_lshlrev_b32_e32 v3, 2, v1
	v_cmp_ne_u32_e32 vcc_lo, 7, v1
	ds_load_b32 v3, v3
	s_wait_alu 0xfffd
	v_add_co_ci_u32_e64 v4, null, 0, v2, vcc_lo
	v_cmp_gt_u32_e32 vcc_lo, 6, v1
	s_delay_alu instid0(VALU_DEP_2) | instskip(SKIP_2) | instid1(VALU_DEP_1)
	v_lshlrev_b32_e32 v4, 2, v4
	s_wait_alu 0xfffd
	v_cndmask_b32_e64 v1, 0, 2, vcc_lo
	v_add_lshl_u32 v1, v1, v2, 2
	v_lshlrev_b32_e32 v2, 2, v2
	s_delay_alu instid0(VALU_DEP_1)
	v_or_b32_e32 v2, 16, v2
	s_wait_dscnt 0x0
	ds_bpermute_b32 v4, v4, v3
	s_wait_dscnt 0x0
	v_add_nc_u32_e32 v3, v4, v3
	ds_bpermute_b32 v1, v1, v3
	s_wait_dscnt 0x0
	v_add_nc_u32_e32 v1, v1, v3
	;; [unrolled: 3-line block ×3, first 2 shown]
.LBB522_9:
	s_wait_alu 0xfffe
	s_or_b32 exec_lo, exec_lo, s0
	s_clause 0x1
	s_load_b64 s[72:73], s[66:67], 0x8
	s_load_b32 s79, s[66:67], 0x4
	v_readlane_b32 s6, v132, 0
	s_mov_b32 s4, 0
	v_readlane_b32 s7, v132, 1
.LBB522_10:
	v_cmp_eq_u32_e64 s0, 0, v0
	s_wait_alu 0xfffe
	s_and_b32 vcc_lo, exec_lo, s4
	s_wait_alu 0xfffe
	s_cbranch_vccnz .LBB522_24
.LBB522_11:
	s_branch .LBB522_512
.LBB522_12:
	s_mov_b32 s0, 0
                                        ; implicit-def: $vgpr1
	s_cbranch_execz .LBB522_623
	s_branch .LBB522_513
.LBB522_13:
	s_mov_b32 s0, 0
                                        ; implicit-def: $vgpr1
	s_cbranch_execz .LBB522_512
; %bb.14:
	s_wait_kmcnt 0x0
	s_cmp_gt_i32 s79, 31
	s_cbranch_scc0 .LBB522_31
; %bb.15:
	s_cmp_eq_u32 s79, 32
	s_cbranch_scc0 .LBB522_32
; %bb.16:
	s_mov_b32 s69, 0
	s_lshl_b32 s70, s68, 13
	s_mov_b32 s71, s69
	s_lshr_b64 s[0:1], s[84:85], 13
	s_lshl_b64 s[2:3], s[70:71], 4
	s_cmp_lg_u64 s[0:1], s[68:69]
	s_add_nc_u64 s[0:1], s[72:73], s[2:3]
	s_cbranch_scc0 .LBB522_296
; %bb.17:
	v_lshlrev_b32_e32 v125, 4, v0
	s_clause 0x1f
	global_load_b128 v[1:4], v125, s[0:1]
	global_load_b128 v[5:8], v125, s[0:1] offset:4096
	global_load_b128 v[9:12], v125, s[0:1] offset:8192
	;; [unrolled: 1-line block ×31, first 2 shown]
	s_wait_loadcnt 0x1f
	v_cmp_neq_f64_e32 vcc_lo, 0, v[1:2]
	v_cmp_neq_f64_e64 s2, 0, v[3:4]
	s_wait_loadcnt 0x1e
	v_cmp_neq_f64_e64 s3, 0, v[5:6]
	v_cmp_neq_f64_e64 s4, 0, v[7:8]
	s_wait_loadcnt 0x1d
	v_cmp_neq_f64_e64 s5, 0, v[9:10]
	;; [unrolled: 3-line block ×19, first 2 shown]
	s_or_b32 s2, vcc_lo, s2
	v_cmp_neq_f64_e64 s41, 0, v[79:80]
	v_cndmask_b32_e64 v1, 0, 1, s2
	s_or_b32 vcc_lo, s3, s4
	s_or_b32 s2, s5, s6
	s_wait_loadcnt 0xb
	v_cmp_neq_f64_e64 s42, 0, v[81:82]
	s_wait_alu 0xfffe
	v_cndmask_b32_e64 v2, 0, 1, s2
	v_add_co_ci_u32_e64 v1, null, 0, v1, vcc_lo
	s_or_b32 s2, s9, s10
	s_or_b32 vcc_lo, s7, s8
	v_cmp_neq_f64_e64 s43, 0, v[83:84]
	s_wait_alu 0xfffe
	v_cndmask_b32_e64 v3, 0, 1, s2
	v_add_co_ci_u32_e64 v1, null, v1, v2, vcc_lo
	s_or_b32 s2, s13, s14
	s_or_b32 vcc_lo, s11, s12
	s_wait_loadcnt 0xa
	v_cmp_neq_f64_e64 s44, 0, v[85:86]
	v_cmp_neq_f64_e64 s45, 0, v[87:88]
	s_wait_loadcnt 0x9
	v_cmp_neq_f64_e64 s46, 0, v[89:90]
	v_cmp_neq_f64_e64 s47, 0, v[91:92]
	s_wait_alu 0xfffe
	v_cndmask_b32_e64 v2, 0, 1, s2
	v_add_co_ci_u32_e64 v1, null, v1, v3, vcc_lo
	s_or_b32 s2, s17, s18
	s_or_b32 vcc_lo, s15, s16
	s_wait_loadcnt 0x8
	v_cmp_neq_f64_e64 s48, 0, v[93:94]
	v_cmp_neq_f64_e64 s49, 0, v[95:96]
	s_wait_loadcnt 0x7
	v_cmp_neq_f64_e64 s50, 0, v[97:98]
	;; [unrolled: 11-line block ×5, first 2 shown]
	v_cmp_neq_f64_e64 s63, 0, v[123:124]
	s_wait_alu 0xfffe
	v_cndmask_b32_e64 v2, 0, 1, s2
	v_add_co_ci_u32_e64 v1, null, v1, v3, vcc_lo
	s_or_b32 s2, s34, s35
	s_or_b32 vcc_lo, s31, s33
	s_wait_loadcnt 0x0
	v_cmp_neq_f64_e64 s64, 0, v[125:126]
	v_cmp_neq_f64_e64 s65, 0, v[127:128]
	s_wait_alu 0xfffe
	v_cndmask_b32_e64 v3, 0, 1, s2
	v_add_co_ci_u32_e64 v1, null, v1, v2, vcc_lo
	s_or_b32 s2, s38, s39
	s_or_b32 vcc_lo, s36, s37
	s_wait_alu 0xfffe
	v_cndmask_b32_e64 v2, 0, 1, s2
	v_add_co_ci_u32_e64 v1, null, v1, v3, vcc_lo
	s_or_b32 s2, s42, s43
	s_or_b32 vcc_lo, s40, s41
	;; [unrolled: 5-line block ×7, first 2 shown]
	s_wait_alu 0xfffe
	v_cndmask_b32_e64 v2, 0, 1, s2
	v_add_co_ci_u32_e64 v1, null, v1, v3, vcc_lo
	s_or_b32 vcc_lo, s64, s65
	s_mov_b32 s2, exec_lo
	s_wait_alu 0xfffe
	v_add_co_ci_u32_e64 v1, null, v1, v2, vcc_lo
	s_delay_alu instid0(VALU_DEP_1) | instskip(NEXT) | instid1(VALU_DEP_1)
	v_mov_b32_dpp v2, v1 quad_perm:[1,0,3,2] row_mask:0xf bank_mask:0xf
	v_add_nc_u32_e32 v1, v1, v2
	s_delay_alu instid0(VALU_DEP_1) | instskip(NEXT) | instid1(VALU_DEP_1)
	v_mov_b32_dpp v2, v1 quad_perm:[2,3,0,1] row_mask:0xf bank_mask:0xf
	v_add_nc_u32_e32 v1, v1, v2
	s_delay_alu instid0(VALU_DEP_1) | instskip(NEXT) | instid1(VALU_DEP_1)
	v_mov_b32_dpp v2, v1 row_ror:4 row_mask:0xf bank_mask:0xf
	v_add_nc_u32_e32 v1, v1, v2
	s_delay_alu instid0(VALU_DEP_1) | instskip(NEXT) | instid1(VALU_DEP_1)
	v_mov_b32_dpp v2, v1 row_ror:8 row_mask:0xf bank_mask:0xf
	v_add_nc_u32_e32 v1, v1, v2
	ds_swizzle_b32 v2, v1 offset:swizzle(BROADCAST,32,15)
	s_wait_dscnt 0x0
	v_dual_mov_b32 v2, 0 :: v_dual_add_nc_u32 v1, v1, v2
	ds_bpermute_b32 v1, v2, v1 offset:124
	v_mbcnt_lo_u32_b32 v2, -1, 0
	s_delay_alu instid0(VALU_DEP_1)
	v_cmpx_eq_u32_e32 0, v2
	s_cbranch_execz .LBB522_19
; %bb.18:
	v_lshrrev_b32_e32 v3, 3, v0
	s_delay_alu instid0(VALU_DEP_1)
	v_and_b32_e32 v3, 28, v3
	s_wait_dscnt 0x0
	ds_store_b32 v3, v1 offset:128
.LBB522_19:
	s_or_b32 exec_lo, exec_lo, s2
	s_delay_alu instid0(SALU_CYCLE_1)
	s_mov_b32 s2, exec_lo
	s_wait_dscnt 0x0
	s_barrier_signal -1
	s_barrier_wait -1
	global_inv scope:SCOPE_SE
	v_cmpx_gt_u32_e32 32, v0
	s_cbranch_execz .LBB522_21
; %bb.20:
	v_and_b32_e32 v1, 7, v2
	s_delay_alu instid0(VALU_DEP_1)
	v_lshlrev_b32_e32 v3, 2, v1
	v_cmp_ne_u32_e32 vcc_lo, 7, v1
	ds_load_b32 v3, v3 offset:128
	s_wait_alu 0xfffd
	v_add_co_ci_u32_e64 v4, null, 0, v2, vcc_lo
	v_cmp_gt_u32_e32 vcc_lo, 6, v1
	s_delay_alu instid0(VALU_DEP_2) | instskip(SKIP_2) | instid1(VALU_DEP_1)
	v_lshlrev_b32_e32 v4, 2, v4
	s_wait_alu 0xfffd
	v_cndmask_b32_e64 v1, 0, 2, vcc_lo
	v_add_lshl_u32 v1, v1, v2, 2
	v_lshlrev_b32_e32 v2, 2, v2
	s_delay_alu instid0(VALU_DEP_1)
	v_or_b32_e32 v2, 16, v2
	s_wait_dscnt 0x0
	ds_bpermute_b32 v4, v4, v3
	s_wait_dscnt 0x0
	v_add_nc_u32_e32 v3, v4, v3
	ds_bpermute_b32 v1, v1, v3
	s_wait_dscnt 0x0
	v_add_nc_u32_e32 v1, v1, v3
	;; [unrolled: 3-line block ×3, first 2 shown]
.LBB522_21:
	s_wait_alu 0xfffe
	s_or_b32 exec_lo, exec_lo, s2
	s_mov_b32 s2, 0
	s_branch .LBB522_297
.LBB522_22:
	s_mov_b32 s4, -1
.LBB522_23:
	s_mov_b32 s0, 0
                                        ; implicit-def: $vgpr1
	s_and_b32 vcc_lo, exec_lo, s4
	s_cbranch_vccz .LBB522_11
.LBB522_24:
	s_wait_kmcnt 0x0
	s_cmp_eq_u32 s79, 64
	s_cbranch_scc0 .LBB522_33
; %bb.25:
	s_mov_b32 s69, 0
	s_lshl_b32 s34, s68, 14
	s_mov_b32 s35, s69
	s_lshr_b64 s[0:1], s[84:85], 14
	s_wait_alu 0xfffe
	s_lshl_b64 s[2:3], s[34:35], 4
	s_cmp_lg_u64 s[0:1], s[68:69]
	s_wait_alu 0xfffe
	s_add_nc_u64 s[26:27], s[72:73], s[2:3]
	s_cbranch_scc0 .LBB522_376
; %bb.26:
	v_lshlrev_b32_e32 v1, 4, v0
	s_clause 0x3
	global_load_b128 v[2:5], v1, s[26:27]
	global_load_b128 v[6:9], v1, s[26:27] offset:4096
	global_load_b128 v[10:13], v1, s[26:27] offset:8192
	global_load_b128 v[14:17], v1, s[26:27] offset:12288
	s_wait_loadcnt 0x3
	v_cmp_neq_f64_e64 s12, 0, v[2:3]
	v_cmp_neq_f64_e64 s14, 0, v[4:5]
	global_load_b128 v[2:5], v1, s[26:27] offset:16384
	s_wait_loadcnt 0x3
	v_cmp_neq_f64_e64 s5, 0, v[6:7]
	v_cmp_neq_f64_e64 s6, 0, v[8:9]
	global_load_b128 v[6:9], v1, s[26:27] offset:20480
	;; [unrolled: 4-line block ×3, first 2 shown]
	s_wait_loadcnt 0x3
	v_cmp_neq_f64_e64 s0, 0, v[14:15]
	v_cmp_neq_f64_e32 vcc_lo, 0, v[16:17]
	global_load_b128 v[14:17], v1, s[26:27] offset:28672
	s_or_b32 s14, s12, s14
	s_wait_alu 0xfffe
	v_cndmask_b32_e64 v18, 0, 1, s14
	s_or_b32 s5, s5, s6
	v_writelane_b32 v132, s0, 0
	s_wait_loadcnt 0x3
	v_cmp_neq_f64_e64 s15, 0, v[2:3]
	v_cmp_neq_f64_e64 s16, 0, v[4:5]
	global_load_b128 v[2:5], v1, s[26:27] offset:32768
	s_wait_loadcnt 0x3
	v_cmp_neq_f64_e64 s0, 0, v[6:7]
	s_wait_loadcnt 0x2
	v_cmp_neq_f64_e64 s19, 0, v[10:11]
	v_cmp_neq_f64_e64 s20, 0, v[12:13]
	global_load_b128 v[10:13], v1, s[26:27] offset:40960
	s_wait_loadcnt 0x2
	v_cmp_neq_f64_e64 s7, 0, v[14:15]
	v_cmp_neq_f64_e64 s8, 0, v[16:17]
	global_load_b128 v[14:17], v1, s[26:27] offset:45056
	s_or_b32 s1, s15, s16
	v_writelane_b32 v132, s0, 2
	v_cmp_neq_f64_e64 s0, 0, v[8:9]
	global_load_b128 v[6:9], v1, s[26:27] offset:36864
	s_wait_alu 0xfffe
	v_cndmask_b32_e64 v20, 0, 1, s1
	s_or_b32 s2, s19, s20
	s_wait_alu 0xfffe
	v_cndmask_b32_e64 v21, 0, 1, s2
	s_or_b32 s7, s7, s8
	v_writelane_b32 v132, s0, 3
	s_wait_loadcnt 0x3
	v_cmp_neq_f64_e64 s23, 0, v[2:3]
	v_cmp_neq_f64_e64 s24, 0, v[4:5]
	global_load_b128 v[2:5], v1, s[26:27] offset:49152
	s_wait_loadcnt 0x3
	v_cmp_neq_f64_e64 s29, 0, v[10:11]
	v_cmp_neq_f64_e64 s30, 0, v[12:13]
	global_load_b128 v[10:13], v1, s[26:27] offset:57344
	;; [unrolled: 4-line block ×3, first 2 shown]
	s_or_b32 s3, s23, s24
	s_wait_loadcnt 0x3
	v_cmp_neq_f64_e64 s11, 0, v[6:7]
	v_cmp_neq_f64_e64 s13, 0, v[8:9]
	global_load_b128 v[6:9], v1, s[26:27] offset:53248
	s_or_b32 s4, s29, s30
	s_or_b32 s17, s17, s18
	;; [unrolled: 1-line block ×3, first 2 shown]
	s_wait_loadcnt 0x3
	v_cmp_neq_f64_e64 s36, 0, v[2:3]
	v_cmp_neq_f64_e64 s37, 0, v[4:5]
	global_load_b128 v[2:5], v1, s[26:27] offset:65536
	s_wait_loadcnt 0x3
	v_cmp_neq_f64_e64 s44, 0, v[10:11]
	v_cmp_neq_f64_e64 s45, 0, v[12:13]
	global_load_b128 v[10:13], v1, s[26:27] offset:73728
	s_wait_loadcnt 0x3
	v_cmp_neq_f64_e64 s0, 0, v[14:15]
	s_or_b32 s104, s36, s37
	s_wait_loadcnt 0x2
	v_cmp_neq_f64_e64 s21, 0, v[6:7]
	v_cmp_neq_f64_e64 s22, 0, v[8:9]
	global_load_b128 v[6:9], v1, s[26:27] offset:69632
	s_or_b32 s45, s44, s45
	v_writelane_b32 v132, s0, 4
	v_cmp_neq_f64_e64 s0, 0, v[16:17]
	global_load_b128 v[14:17], v1, s[26:27] offset:77824
	s_or_b32 s21, s21, s22
	v_writelane_b32 v132, s0, 5
	s_wait_loadcnt 0x3
	v_cmp_neq_f64_e64 s0, 0, v[2:3]
	v_cmp_neq_f64_e64 s25, 0, v[4:5]
	global_load_b128 v[2:5], v1, s[26:27] offset:81920
	s_wait_alu 0xf1ff
	v_writelane_b32 v132, s0, 6
	s_wait_loadcnt 0x2
	v_cmp_neq_f64_e64 s0, 0, v[6:7]
	s_wait_loadcnt 0x1
	v_cmp_neq_f64_e64 s38, 0, v[14:15]
	v_cmp_neq_f64_e64 s39, 0, v[16:17]
	global_load_b128 v[14:17], v1, s[26:27] offset:94208
	s_wait_alu 0xf1ff
	v_writelane_b32 v132, s0, 7
	v_cmp_neq_f64_e64 s0, 0, v[8:9]
	global_load_b128 v[6:9], v1, s[26:27] offset:86016
	s_wait_alu 0xf1ff
	v_writelane_b32 v132, s0, 8
	v_cmp_neq_f64_e64 s0, 0, v[10:11]
	s_wait_alu 0xf1ff
	s_delay_alu instid0(VALU_DEP_1)
	v_writelane_b32 v132, s0, 9
	v_cmp_neq_f64_e64 s0, 0, v[12:13]
	global_load_b128 v[10:13], v1, s[26:27] offset:90112
	s_wait_alu 0xf1ff
	v_writelane_b32 v132, s0, 10
	s_or_b32 s0, s9, s10
	s_wait_alu 0xfffe
	v_cndmask_b32_e64 v19, 0, 1, s0
	s_delay_alu instid0(VALU_DEP_2)
	v_readlane_b32 s0, v132, 0
	v_readlane_b32 s1, v132, 3
	s_or_b32 vcc_lo, s0, vcc_lo
	v_readlane_b32 s0, v132, 2
	s_wait_loadcnt 0x3
	v_cmp_neq_f64_e64 s40, 0, v[2:3]
	v_cmp_neq_f64_e64 s41, 0, v[4:5]
	global_load_b128 v[2:5], v1, s[26:27] offset:98304
	s_wait_loadcnt 0x3
	v_cmp_neq_f64_e64 s48, 0, v[14:15]
	v_cmp_neq_f64_e64 s49, 0, v[16:17]
	global_load_b128 v[14:17], v1, s[26:27] offset:110592
	;; [unrolled: 4-line block ×22, first 2 shown]
	s_wait_loadcnt 0x3
	v_cmp_neq_f64_e64 s100, 0, v[6:7]
	v_cmp_neq_f64_e64 vcc_hi, 0, v[8:9]
	global_load_b128 v[6:9], v1, s[26:27] offset:184320
	s_wait_loadcnt 0x3
	v_cmp_neq_f64_e64 s88, 0, v[10:11]
	v_cmp_neq_f64_e64 s89, 0, v[12:13]
	global_load_b128 v[10:13], v1, s[26:27] offset:188416
	s_wait_loadcnt 0x3
	v_cmp_neq_f64_e64 s90, 0, v[2:3]
	v_cmp_neq_f64_e64 s91, 0, v[4:5]
	;; [unrolled: 4-line block ×10, first 2 shown]
	global_load_b128 v[2:5], v1, s[26:27] offset:229376
	s_wait_loadcnt 0x3
	v_cmp_neq_f64_e64 s36, 0, v[16:17]
	v_add_co_ci_u32_e64 v16, null, 0, v18, s5
	v_cmp_neq_f64_e64 s30, 0, v[14:15]
	v_cndmask_b32_e64 v14, 0, 1, s3
	s_or_b32 s3, s0, s1
	v_cndmask_b32_e64 v18, 0, 1, s45
	v_cndmask_b32_e64 v15, 0, 1, s4
	v_readlane_b32 s0, v132, 6
	v_readlane_b32 s1, v132, 5
	v_cndmask_b32_e64 v17, 0, 1, s104
	s_wait_alu 0xfffd
	v_add_co_ci_u32_e64 v16, null, v16, v19, vcc_lo
	s_or_b32 s0, s0, s25
	s_wait_alu 0xfffe
	v_add_co_ci_u32_e64 v16, null, v16, v20, s3
	s_delay_alu instid0(VALU_DEP_1)
	v_add_co_ci_u32_e64 v16, null, v16, v21, s7
	s_wait_loadcnt 0x2
	v_cmp_neq_f64_e64 s20, 0, v[6:7]
	v_cmp_neq_f64_e64 s23, 0, v[8:9]
	global_load_b128 v[6:9], v1, s[26:27] offset:233472
	s_wait_loadcnt 0x2
	v_cmp_neq_f64_e64 s24, 0, v[10:11]
	v_cmp_neq_f64_e64 s29, 0, v[12:13]
	global_load_b128 v[10:13], v1, s[26:27] offset:237568
	;; [unrolled: 4-line block ×3, first 2 shown]
	s_wait_loadcnt 0x2
	v_cmp_neq_f64_e64 s2, 0, v[6:7]
	v_cmp_neq_f64_e32 vcc_lo, 0, v[8:9]
	global_load_b128 v[6:9], v1, s[26:27] offset:245760
	s_or_b32 vcc_lo, s2, vcc_lo
	s_wait_loadcnt 0x2
	v_cmp_neq_f64_e64 s44, 0, v[10:11]
	v_cmp_neq_f64_e64 s4, 0, v[12:13]
	global_load_b128 v[10:13], v1, s[26:27] offset:249856
	s_wait_loadcnt 0x2
	v_cmp_neq_f64_e64 s3, 0, v[2:3]
	v_cmp_neq_f64_e64 s45, 0, v[4:5]
	global_load_b128 v[2:5], v1, s[26:27] offset:253952
	;; [unrolled: 4-line block ×3, first 2 shown]
	v_add_co_ci_u32_e64 v1, null, v16, v14, s11
	s_delay_alu instid0(VALU_DEP_1) | instskip(NEXT) | instid1(VALU_DEP_1)
	v_add_co_ci_u32_e64 v1, null, v1, v15, s17
	v_add_co_ci_u32_e64 v1, null, v1, v17, s21
	s_wait_loadcnt 0x2
	v_cmp_neq_f64_e64 s13, 0, v[10:11]
	v_cmp_neq_f64_e64 s11, 0, v[12:13]
	s_wait_loadcnt 0x1
	v_cmp_neq_f64_e64 s18, 0, v[2:3]
	v_cndmask_b32_e64 v2, 0, 1, s0
	v_readlane_b32 s0, v132, 4
	v_cmp_neq_f64_e64 s17, 0, v[4:5]
	s_or_b32 s25, s0, s1
	v_readlane_b32 s0, v132, 9
	v_readlane_b32 s1, v132, 10
	s_wait_alu 0xfffe
	v_add_co_ci_u32_e64 v1, null, v1, v18, s25
	s_or_b32 s0, s0, s1
	v_readlane_b32 s1, v132, 8
	s_wait_alu 0xfffe
	v_cndmask_b32_e64 v3, 0, 1, s0
	v_readlane_b32 s0, v132, 7
	s_or_b32 s25, s0, s1
	s_or_b32 s0, s40, s41
	s_wait_alu 0xfffe
	v_add_co_ci_u32_e64 v1, null, v1, v2, s25
	s_or_b32 s25, s38, s39
	v_cndmask_b32_e64 v2, 0, 1, s0
	s_or_b32 s0, s46, s47
	s_wait_alu 0xfffe
	v_add_co_ci_u32_e64 v1, null, v1, v3, s25
	s_or_b32 s25, s42, s43
	v_cndmask_b32_e64 v3, 0, 1, s0
	;; [unrolled: 5-line block ×11, first 2 shown]
	s_or_b32 s0, s88, s89
	s_wait_alu 0xfffe
	v_add_co_ci_u32_e64 v1, null, v1, v3, s25
	s_or_b32 s25, s100, vcc_hi
	v_cndmask_b32_e64 v3, 0, 1, s0
	s_or_b32 s0, s90, s91
	s_wait_alu 0xfffe
	v_add_co_ci_u32_e64 v1, null, v1, v2, s25
	s_or_b32 s25, s102, s103
	v_cndmask_b32_e64 v2, 0, 1, s0
	s_or_b32 s0, s94, s95
	s_wait_alu 0xfffe
	v_add_co_ci_u32_e64 v1, null, v1, v3, s25
	s_or_b32 s25, s92, s93
	;; [unrolled: 5-line block ×3, first 2 shown]
	s_wait_loadcnt 0x0
	v_cmp_neq_f64_e64 s22, 0, v[6:7]
	v_cmp_neq_f64_e64 s21, 0, v[8:9]
	v_cndmask_b32_e64 v2, 0, 1, s0
	s_wait_alu 0xfffe
	v_add_co_ci_u32_e64 v1, null, v1, v3, s25
	s_or_b32 s0, s6, s9
	s_or_b32 s6, s12, s14
	s_wait_alu 0xfffe
	v_cndmask_b32_e64 v3, 0, 1, s0
	v_add_co_ci_u32_e64 v1, null, v1, v2, s6
	s_or_b32 s0, s16, s19
	s_or_b32 s6, s10, s15
	s_wait_alu 0xfffe
	v_cndmask_b32_e64 v2, 0, 1, s0
	;; [unrolled: 5-line block ×4, first 2 shown]
	v_add_co_ci_u32_e64 v1, null, v1, v3, s5
	s_or_b32 s0, s44, s4
	s_wait_alu 0xfffe
	v_cndmask_b32_e64 v3, 0, 1, s0
	v_add_co_ci_u32_e64 v1, null, v1, v2, vcc_lo
	s_or_b32 s0, s8, s7
	s_or_b32 vcc_lo, s3, s45
	s_wait_alu 0xfffe
	v_cndmask_b32_e64 v2, 0, 1, s0
	v_add_co_ci_u32_e64 v1, null, v1, v3, vcc_lo
	s_or_b32 s0, s18, s17
	s_or_b32 vcc_lo, s13, s11
	s_wait_alu 0xfffe
	v_cndmask_b32_e64 v3, 0, 1, s0
	v_add_co_ci_u32_e64 v1, null, v1, v2, vcc_lo
	s_or_b32 vcc_lo, s22, s21
	s_mov_b32 s0, exec_lo
	s_wait_alu 0xfffe
	v_add_co_ci_u32_e64 v1, null, v1, v3, vcc_lo
	s_delay_alu instid0(VALU_DEP_1) | instskip(NEXT) | instid1(VALU_DEP_1)
	v_mov_b32_dpp v2, v1 quad_perm:[1,0,3,2] row_mask:0xf bank_mask:0xf
	v_add_nc_u32_e32 v1, v1, v2
	s_delay_alu instid0(VALU_DEP_1) | instskip(NEXT) | instid1(VALU_DEP_1)
	v_mov_b32_dpp v2, v1 quad_perm:[2,3,0,1] row_mask:0xf bank_mask:0xf
	v_add_nc_u32_e32 v1, v1, v2
	s_delay_alu instid0(VALU_DEP_1) | instskip(NEXT) | instid1(VALU_DEP_1)
	v_mov_b32_dpp v2, v1 row_ror:4 row_mask:0xf bank_mask:0xf
	v_add_nc_u32_e32 v1, v1, v2
	s_delay_alu instid0(VALU_DEP_1) | instskip(NEXT) | instid1(VALU_DEP_1)
	v_mov_b32_dpp v2, v1 row_ror:8 row_mask:0xf bank_mask:0xf
	v_add_nc_u32_e32 v1, v1, v2
	ds_swizzle_b32 v2, v1 offset:swizzle(BROADCAST,32,15)
	s_wait_dscnt 0x0
	v_dual_mov_b32 v2, 0 :: v_dual_add_nc_u32 v1, v1, v2
	ds_bpermute_b32 v1, v2, v1 offset:124
	v_mbcnt_lo_u32_b32 v2, -1, 0
	s_delay_alu instid0(VALU_DEP_1)
	v_cmpx_eq_u32_e32 0, v2
	s_cbranch_execz .LBB522_28
; %bb.27:
	v_lshrrev_b32_e32 v3, 3, v0
	s_delay_alu instid0(VALU_DEP_1)
	v_and_b32_e32 v3, 28, v3
	s_wait_dscnt 0x0
	ds_store_b32 v3, v1 offset:192
.LBB522_28:
	s_or_b32 exec_lo, exec_lo, s0
	s_delay_alu instid0(SALU_CYCLE_1)
	s_mov_b32 s0, exec_lo
	s_wait_dscnt 0x0
	s_barrier_signal -1
	s_barrier_wait -1
	global_inv scope:SCOPE_SE
	v_cmpx_gt_u32_e32 32, v0
	s_cbranch_execz .LBB522_30
; %bb.29:
	v_and_b32_e32 v1, 7, v2
	s_delay_alu instid0(VALU_DEP_1)
	v_lshlrev_b32_e32 v3, 2, v1
	v_cmp_ne_u32_e32 vcc_lo, 7, v1
	ds_load_b32 v3, v3 offset:192
	s_wait_alu 0xfffd
	v_add_co_ci_u32_e64 v4, null, 0, v2, vcc_lo
	v_cmp_gt_u32_e32 vcc_lo, 6, v1
	s_delay_alu instid0(VALU_DEP_2) | instskip(SKIP_2) | instid1(VALU_DEP_1)
	v_lshlrev_b32_e32 v4, 2, v4
	s_wait_alu 0xfffd
	v_cndmask_b32_e64 v1, 0, 2, vcc_lo
	v_add_lshl_u32 v1, v1, v2, 2
	v_lshlrev_b32_e32 v2, 2, v2
	s_delay_alu instid0(VALU_DEP_1)
	v_or_b32_e32 v2, 16, v2
	s_wait_dscnt 0x0
	ds_bpermute_b32 v4, v4, v3
	s_wait_dscnt 0x0
	v_add_nc_u32_e32 v3, v4, v3
	ds_bpermute_b32 v1, v1, v3
	s_wait_dscnt 0x0
	v_add_nc_u32_e32 v1, v1, v3
	ds_bpermute_b32 v2, v2, v1
	s_wait_dscnt 0x0
	v_add_nc_u32_e32 v1, v2, v1
.LBB522_30:
	s_wait_alu 0xfffe
	s_or_b32 exec_lo, exec_lo, s0
	s_load_b64 s[72:73], s[66:67], 0x8
	s_mov_b32 s0, 0
	s_branch .LBB522_377
.LBB522_31:
                                        ; implicit-def: $vgpr1
	s_cbranch_execz .LBB522_512
	s_branch .LBB522_368
.LBB522_32:
                                        ; implicit-def: $vgpr1
	s_branch .LBB522_512
.LBB522_33:
                                        ; implicit-def: $vgpr1
	s_branch .LBB522_512
.LBB522_34:
                                        ; implicit-def: $vgpr1
	s_cbranch_execz .LBB522_10
; %bb.35:
	s_sub_co_i32 s0, s84, s6
	s_mov_b32 s1, exec_lo
                                        ; implicit-def: $vgpr1
	v_cmpx_gt_u32_e64 s0, v0
	s_cbranch_execz .LBB522_37
; %bb.36:
	v_lshlrev_b32_e32 v1, 4, v0
	global_load_b128 v[1:4], v1, s[88:89]
	s_wait_loadcnt 0x0
	v_cmp_neq_f64_e32 vcc_lo, 0, v[1:2]
	v_cmp_neq_f64_e64 s2, 0, v[3:4]
	s_or_b32 s2, vcc_lo, s2
	s_delay_alu instid0(SALU_CYCLE_1)
	v_cndmask_b32_e64 v1, 0, 1, s2
.LBB522_37:
	s_or_b32 exec_lo, exec_lo, s1
	v_or_b32_e32 v3, 0x100, v0
	v_mov_b32_e32 v2, 0
	s_delay_alu instid0(VALU_DEP_2)
	v_cmp_gt_u32_e32 vcc_lo, s0, v3
	v_mov_b32_e32 v3, 0
	s_and_saveexec_b32 s1, vcc_lo
	s_cbranch_execz .LBB522_39
; %bb.38:
	v_lshlrev_b32_e32 v3, 4, v0
	global_load_b128 v[3:6], v3, s[88:89] offset:4096
	s_wait_loadcnt 0x0
	v_cmp_neq_f64_e32 vcc_lo, 0, v[3:4]
	v_cmp_neq_f64_e64 s2, 0, v[5:6]
	s_or_b32 s2, vcc_lo, s2
	s_wait_alu 0xfffe
	v_cndmask_b32_e64 v3, 0, 1, s2
.LBB522_39:
	s_wait_alu 0xfffe
	s_or_b32 exec_lo, exec_lo, s1
	v_or_b32_e32 v4, 0x200, v0
	s_mov_b32 s1, exec_lo
	s_delay_alu instid0(VALU_DEP_1)
	v_cmpx_gt_u32_e64 s0, v4
	s_cbranch_execz .LBB522_41
; %bb.40:
	v_lshlrev_b32_e32 v2, 4, v0
	global_load_b128 v[4:7], v2, s[88:89] offset:8192
	s_wait_loadcnt 0x0
	v_cmp_neq_f64_e32 vcc_lo, 0, v[4:5]
	v_cmp_neq_f64_e64 s2, 0, v[6:7]
	s_or_b32 s2, vcc_lo, s2
	s_wait_alu 0xfffe
	v_cndmask_b32_e64 v2, 0, 1, s2
.LBB522_41:
	s_wait_alu 0xfffe
	s_or_b32 exec_lo, exec_lo, s1
	v_or_b32_e32 v5, 0x300, v0
	v_mov_b32_e32 v4, 0
	s_delay_alu instid0(VALU_DEP_2)
	v_cmp_gt_u32_e32 vcc_lo, s0, v5
	v_mov_b32_e32 v5, 0
	s_and_saveexec_b32 s1, vcc_lo
	s_cbranch_execz .LBB522_43
; %bb.42:
	v_lshlrev_b32_e32 v5, 4, v0
	global_load_b128 v[5:8], v5, s[88:89] offset:12288
	s_wait_loadcnt 0x0
	v_cmp_neq_f64_e32 vcc_lo, 0, v[5:6]
	v_cmp_neq_f64_e64 s2, 0, v[7:8]
	s_or_b32 s2, vcc_lo, s2
	s_wait_alu 0xfffe
	v_cndmask_b32_e64 v5, 0, 1, s2
.LBB522_43:
	s_wait_alu 0xfffe
	s_or_b32 exec_lo, exec_lo, s1
	v_or_b32_e32 v6, 0x400, v0
	s_mov_b32 s1, exec_lo
	s_delay_alu instid0(VALU_DEP_1)
	v_cmpx_gt_u32_e64 s0, v6
	s_cbranch_execz .LBB522_45
; %bb.44:
	v_lshlrev_b32_e32 v4, 4, v0
	global_load_b128 v[6:9], v4, s[88:89] offset:16384
	s_wait_loadcnt 0x0
	v_cmp_neq_f64_e32 vcc_lo, 0, v[6:7]
	v_cmp_neq_f64_e64 s2, 0, v[8:9]
	s_or_b32 s2, vcc_lo, s2
	s_wait_alu 0xfffe
	v_cndmask_b32_e64 v4, 0, 1, s2
.LBB522_45:
	s_wait_alu 0xfffe
	;; [unrolled: 36-line block ×63, first 2 shown]
	s_or_b32 exec_lo, exec_lo, s1
	v_or_b32_e32 v128, 0x7f00, v0
	s_delay_alu instid0(VALU_DEP_1)
	v_cmp_gt_u32_e32 vcc_lo, s0, v128
	v_mov_b32_e32 v128, 0
	s_and_saveexec_b32 s1, vcc_lo
	s_cbranch_execz .LBB522_291
; %bb.290:
	v_lshlrev_b32_e32 v128, 4, v0
	global_load_b128 v[128:131], v128, s[88:89] offset:520192
	s_wait_loadcnt 0x0
	v_cmp_neq_f64_e32 vcc_lo, 0, v[128:129]
	v_cmp_neq_f64_e64 s2, 0, v[130:131]
	s_or_b32 s2, vcc_lo, s2
	s_wait_alu 0xfffe
	v_cndmask_b32_e64 v128, 0, 1, s2
.LBB522_291:
	s_wait_alu 0xfffe
	s_or_b32 exec_lo, exec_lo, s1
	v_add_nc_u32_e32 v1, v3, v1
	s_min_u32 s0, s0, 0x100
	s_mov_b32 s1, exec_lo
	s_delay_alu instid0(VALU_DEP_1) | instskip(SKIP_1) | instid1(VALU_DEP_2)
	v_add3_u32 v1, v1, v2, v5
	v_mbcnt_lo_u32_b32 v2, -1, 0
	v_add3_u32 v1, v1, v4, v7
	s_delay_alu instid0(VALU_DEP_2) | instskip(SKIP_1) | instid1(VALU_DEP_3)
	v_cmp_ne_u32_e32 vcc_lo, 31, v2
	v_add_nc_u32_e32 v5, 1, v2
	v_add3_u32 v1, v1, v6, v9
	v_add_co_ci_u32_e64 v3, null, 0, v2, vcc_lo
	v_cmp_gt_u32_e32 vcc_lo, 30, v2
	s_delay_alu instid0(VALU_DEP_3) | instskip(NEXT) | instid1(VALU_DEP_3)
	v_add3_u32 v1, v1, v8, v11
	v_lshlrev_b32_e32 v3, 2, v3
	s_wait_alu 0xfffd
	v_cndmask_b32_e64 v6, 0, 2, vcc_lo
	s_delay_alu instid0(VALU_DEP_3) | instskip(NEXT) | instid1(VALU_DEP_1)
	v_add3_u32 v1, v1, v10, v13
	v_add3_u32 v1, v1, v12, v15
	s_delay_alu instid0(VALU_DEP_1) | instskip(NEXT) | instid1(VALU_DEP_1)
	v_add3_u32 v1, v1, v14, v17
	v_add3_u32 v1, v1, v16, v19
	s_delay_alu instid0(VALU_DEP_1) | instskip(NEXT) | instid1(VALU_DEP_1)
	;; [unrolled: 3-line block ×28, first 2 shown]
	v_add3_u32 v1, v1, v122, v125
	v_add3_u32 v1, v1, v124, v127
	s_delay_alu instid0(VALU_DEP_1) | instskip(SKIP_3) | instid1(VALU_DEP_1)
	v_add3_u32 v1, v1, v126, v128
	ds_bpermute_b32 v3, v3, v1
	v_and_b32_e32 v4, 0xe0, v0
	s_wait_alu 0xfffe
	v_sub_nc_u32_e64 v4, s0, v4 clamp
	s_delay_alu instid0(VALU_DEP_1)
	v_cmp_lt_u32_e32 vcc_lo, v5, v4
	v_add_lshl_u32 v5, v6, v2, 2
	s_wait_dscnt 0x0
	s_wait_alu 0xfffd
	v_cndmask_b32_e32 v3, 0, v3, vcc_lo
	v_cmp_gt_u32_e32 vcc_lo, 28, v2
	s_delay_alu instid0(VALU_DEP_2) | instskip(SKIP_4) | instid1(VALU_DEP_1)
	v_add_nc_u32_e32 v1, v3, v1
	s_wait_alu 0xfffd
	v_cndmask_b32_e64 v6, 0, 4, vcc_lo
	ds_bpermute_b32 v3, v5, v1
	v_add_nc_u32_e32 v5, 2, v2
	v_cmp_lt_u32_e32 vcc_lo, v5, v4
	v_add_lshl_u32 v5, v6, v2, 2
	s_wait_dscnt 0x0
	s_wait_alu 0xfffd
	v_cndmask_b32_e32 v3, 0, v3, vcc_lo
	v_cmp_gt_u32_e32 vcc_lo, 24, v2
	s_delay_alu instid0(VALU_DEP_2) | instskip(SKIP_4) | instid1(VALU_DEP_1)
	v_add_nc_u32_e32 v1, v1, v3
	s_wait_alu 0xfffd
	v_cndmask_b32_e64 v6, 0, 8, vcc_lo
	ds_bpermute_b32 v3, v5, v1
	v_add_nc_u32_e32 v5, 4, v2
	v_cmp_lt_u32_e32 vcc_lo, v5, v4
	v_add_lshl_u32 v5, v6, v2, 2
	s_wait_dscnt 0x0
	s_wait_alu 0xfffd
	v_dual_cndmask_b32 v3, 0, v3 :: v_dual_add_nc_u32 v6, 8, v2
	s_delay_alu instid0(VALU_DEP_1) | instskip(NEXT) | instid1(VALU_DEP_2)
	v_cmp_lt_u32_e32 vcc_lo, v6, v4
	v_add_nc_u32_e32 v1, v1, v3
	v_lshlrev_b32_e32 v3, 2, v2
	ds_bpermute_b32 v5, v5, v1
	v_or_b32_e32 v6, 64, v3
	s_wait_dscnt 0x0
	s_wait_alu 0xfffd
	v_cndmask_b32_e32 v5, 0, v5, vcc_lo
	s_delay_alu instid0(VALU_DEP_1) | instskip(SKIP_2) | instid1(VALU_DEP_1)
	v_add_nc_u32_e32 v1, v1, v5
	ds_bpermute_b32 v5, v6, v1
	v_add_nc_u32_e32 v6, 16, v2
	v_cmp_lt_u32_e32 vcc_lo, v6, v4
	s_wait_dscnt 0x0
	s_wait_alu 0xfffd
	v_cndmask_b32_e32 v4, 0, v5, vcc_lo
	s_delay_alu instid0(VALU_DEP_1)
	v_add_nc_u32_e32 v1, v1, v4
	v_cmpx_eq_u32_e32 0, v2
; %bb.292:
	v_lshrrev_b32_e32 v4, 3, v0
	s_delay_alu instid0(VALU_DEP_1)
	v_and_b32_e32 v4, 28, v4
	ds_store_b32 v4, v1 offset:256
; %bb.293:
	s_or_b32 exec_lo, exec_lo, s1
	s_delay_alu instid0(SALU_CYCLE_1)
	s_mov_b32 s1, exec_lo
	s_wait_loadcnt_dscnt 0x0
	s_barrier_signal -1
	s_barrier_wait -1
	global_inv scope:SCOPE_SE
	v_cmpx_gt_u32_e32 8, v0
	s_cbranch_execz .LBB522_295
; %bb.294:
	ds_load_b32 v1, v3 offset:256
	v_and_b32_e32 v4, 7, v2
	s_add_co_i32 s0, s0, 31
	s_wait_alu 0xfffe
	s_lshr_b32 s0, s0, 5
	s_delay_alu instid0(VALU_DEP_1) | instskip(SKIP_4) | instid1(VALU_DEP_2)
	v_cmp_ne_u32_e32 vcc_lo, 7, v4
	v_add_nc_u32_e32 v6, 1, v4
	s_wait_alu 0xfffd
	v_add_co_ci_u32_e64 v5, null, 0, v2, vcc_lo
	v_cmp_gt_u32_e32 vcc_lo, 6, v4
	v_lshlrev_b32_e32 v5, 2, v5
	s_wait_alu 0xfffd
	v_cndmask_b32_e64 v7, 0, 2, vcc_lo
	s_wait_alu 0xfffe
	v_cmp_gt_u32_e32 vcc_lo, s0, v6
	s_wait_dscnt 0x0
	ds_bpermute_b32 v5, v5, v1
	v_add_lshl_u32 v2, v7, v2, 2
	s_wait_dscnt 0x0
	s_wait_alu 0xfffd
	v_cndmask_b32_e32 v5, 0, v5, vcc_lo
	s_delay_alu instid0(VALU_DEP_1)
	v_add_nc_u32_e32 v1, v5, v1
	v_add_nc_u32_e32 v5, 2, v4
	ds_bpermute_b32 v2, v2, v1
	v_cmp_gt_u32_e32 vcc_lo, s0, v5
	s_wait_dscnt 0x0
	s_wait_alu 0xfffd
	v_cndmask_b32_e32 v2, 0, v2, vcc_lo
	s_delay_alu instid0(VALU_DEP_1)
	v_add_nc_u32_e32 v1, v1, v2
	v_or_b32_e32 v2, 16, v3
	v_add_nc_u32_e32 v3, 4, v4
	ds_bpermute_b32 v2, v2, v1
	v_cmp_gt_u32_e32 vcc_lo, s0, v3
	s_wait_dscnt 0x0
	s_wait_alu 0xfffd
	v_cndmask_b32_e32 v2, 0, v2, vcc_lo
	s_delay_alu instid0(VALU_DEP_1)
	v_add_nc_u32_e32 v1, v1, v2
.LBB522_295:
	s_wait_alu 0xfffe
	s_or_b32 exec_lo, exec_lo, s1
	v_cmp_eq_u32_e64 s0, 0, v0
	s_and_b32 vcc_lo, exec_lo, s4
	s_wait_alu 0xfffe
	s_cbranch_vccnz .LBB522_24
	s_branch .LBB522_11
.LBB522_296:
	s_mov_b32 s2, -1
                                        ; implicit-def: $vgpr1
.LBB522_297:
	s_wait_alu 0xfffe
	s_and_b32 vcc_lo, exec_lo, s2
	s_wait_alu 0xfffe
	s_cbranch_vccz .LBB522_367
; %bb.298:
	v_mov_b32_e32 v1, 0
	s_sub_co_i32 s35, s84, s70
	s_delay_alu instid0(SALU_CYCLE_1) | instskip(NEXT) | instid1(VALU_DEP_2)
	v_cmp_gt_u32_e32 vcc_lo, s35, v0
	v_dual_mov_b32 v2, v1 :: v_dual_mov_b32 v3, v1
	v_dual_mov_b32 v4, v1 :: v_dual_mov_b32 v5, v1
	;; [unrolled: 1-line block ×15, first 2 shown]
	v_mov_b32_e32 v32, v1
	s_and_saveexec_b32 s3, vcc_lo
	s_cbranch_execz .LBB522_300
; %bb.299:
	v_lshlrev_b32_e32 v2, 4, v0
	v_dual_mov_b32 v32, v1 :: v_dual_mov_b32 v33, v1
	v_dual_mov_b32 v6, v1 :: v_dual_mov_b32 v7, v1
	global_load_b128 v[2:5], v2, s[0:1]
	v_dual_mov_b32 v8, v1 :: v_dual_mov_b32 v9, v1
	v_dual_mov_b32 v10, v1 :: v_dual_mov_b32 v11, v1
	;; [unrolled: 1-line block ×12, first 2 shown]
	s_wait_loadcnt 0x0
	v_cmp_neq_f64_e32 vcc_lo, 0, v[2:3]
	v_cmp_neq_f64_e64 s2, 0, v[4:5]
	v_dual_mov_b32 v3, v1 :: v_dual_mov_b32 v4, v1
	v_mov_b32_e32 v5, v1
	s_or_b32 s2, vcc_lo, s2
	s_wait_alu 0xfffe
	v_cndmask_b32_e64 v2, 0, 1, s2
	s_delay_alu instid0(VALU_DEP_1)
	v_mov_b32_e32 v1, v2
	v_mov_b32_e32 v2, v3
	;; [unrolled: 1-line block ×32, first 2 shown]
.LBB522_300:
	s_wait_alu 0xfffe
	s_or_b32 exec_lo, exec_lo, s3
	v_or_b32_e32 v33, 0x100, v0
	s_delay_alu instid0(VALU_DEP_1)
	v_cmp_gt_u32_e32 vcc_lo, s35, v33
	s_and_saveexec_b32 s4, vcc_lo
	s_cbranch_execz .LBB522_302
; %bb.301:
	v_lshlrev_b32_e32 v2, 4, v0
	global_load_b128 v[33:36], v2, s[0:1] offset:4096
	s_wait_loadcnt 0x0
	v_cmp_neq_f64_e64 s2, 0, v[33:34]
	v_cmp_neq_f64_e64 s3, 0, v[35:36]
	s_or_b32 s2, s2, s3
	s_wait_alu 0xfffe
	v_cndmask_b32_e64 v2, 0, 1, s2
.LBB522_302:
	s_or_b32 exec_lo, exec_lo, s4
	v_or_b32_e32 v33, 0x200, v0
	s_delay_alu instid0(VALU_DEP_1)
	v_cmp_gt_u32_e64 s2, s35, v33
	s_and_saveexec_b32 s5, s2
	s_cbranch_execz .LBB522_304
; %bb.303:
	v_lshlrev_b32_e32 v3, 4, v0
	global_load_b128 v[33:36], v3, s[0:1] offset:8192
	s_wait_loadcnt 0x0
	v_cmp_neq_f64_e64 s3, 0, v[33:34]
	v_cmp_neq_f64_e64 s4, 0, v[35:36]
	s_or_b32 s3, s3, s4
	s_wait_alu 0xfffe
	v_cndmask_b32_e64 v3, 0, 1, s3
.LBB522_304:
	s_or_b32 exec_lo, exec_lo, s5
	v_or_b32_e32 v33, 0x300, v0
	s_delay_alu instid0(VALU_DEP_1)
	v_cmp_gt_u32_e64 s3, s35, v33
	s_and_saveexec_b32 s6, s3
	s_cbranch_execz .LBB522_306
; %bb.305:
	v_lshlrev_b32_e32 v4, 4, v0
	global_load_b128 v[33:36], v4, s[0:1] offset:12288
	s_wait_loadcnt 0x0
	v_cmp_neq_f64_e64 s4, 0, v[33:34]
	v_cmp_neq_f64_e64 s5, 0, v[35:36]
	s_or_b32 s4, s4, s5
	s_delay_alu instid0(SALU_CYCLE_1)
	v_cndmask_b32_e64 v4, 0, 1, s4
.LBB522_306:
	s_or_b32 exec_lo, exec_lo, s6
	v_or_b32_e32 v33, 0x400, v0
	s_delay_alu instid0(VALU_DEP_1)
	v_cmp_gt_u32_e64 s4, s35, v33
	s_and_saveexec_b32 s7, s4
	s_cbranch_execz .LBB522_308
; %bb.307:
	v_lshlrev_b32_e32 v5, 4, v0
	global_load_b128 v[33:36], v5, s[0:1] offset:16384
	s_wait_loadcnt 0x0
	v_cmp_neq_f64_e64 s5, 0, v[33:34]
	v_cmp_neq_f64_e64 s6, 0, v[35:36]
	s_or_b32 s5, s5, s6
	s_wait_alu 0xfffe
	v_cndmask_b32_e64 v5, 0, 1, s5
.LBB522_308:
	s_or_b32 exec_lo, exec_lo, s7
	v_or_b32_e32 v33, 0x500, v0
	s_delay_alu instid0(VALU_DEP_1)
	v_cmp_gt_u32_e64 s5, s35, v33
	s_and_saveexec_b32 s8, s5
	s_cbranch_execz .LBB522_310
; %bb.309:
	v_lshlrev_b32_e32 v6, 4, v0
	global_load_b128 v[33:36], v6, s[0:1] offset:20480
	s_wait_loadcnt 0x0
	v_cmp_neq_f64_e64 s6, 0, v[33:34]
	v_cmp_neq_f64_e64 s7, 0, v[35:36]
	s_or_b32 s6, s6, s7
	s_delay_alu instid0(SALU_CYCLE_1)
	v_cndmask_b32_e64 v6, 0, 1, s6
.LBB522_310:
	;; [unrolled: 32-line block ×14, first 2 shown]
	s_or_b32 exec_lo, exec_lo, s33
	v_or_b32_e32 v33, 0x1e00, v0
	s_delay_alu instid0(VALU_DEP_1)
	v_cmp_gt_u32_e64 s30, s35, v33
	s_and_saveexec_b32 s34, s30
	s_cbranch_execz .LBB522_360
; %bb.359:
	v_lshlrev_b32_e32 v31, 4, v0
	global_load_b128 v[33:36], v31, s[0:1] offset:122880
	s_wait_loadcnt 0x0
	v_cmp_neq_f64_e64 s31, 0, v[33:34]
	v_cmp_neq_f64_e64 s33, 0, v[35:36]
	s_or_b32 s31, s31, s33
	s_wait_alu 0xfffe
	v_cndmask_b32_e64 v31, 0, 1, s31
.LBB522_360:
	s_wait_alu 0xfffe
	s_or_b32 exec_lo, exec_lo, s34
	v_or_b32_e32 v33, 0x1f00, v0
	s_delay_alu instid0(VALU_DEP_1)
	v_cmp_gt_u32_e64 s31, s35, v33
	s_and_saveexec_b32 s36, s31
	s_cbranch_execz .LBB522_362
; %bb.361:
	v_lshlrev_b32_e32 v32, 4, v0
	global_load_b128 v[32:35], v32, s[0:1] offset:126976
	s_wait_loadcnt 0x0
	v_cmp_neq_f64_e64 s33, 0, v[32:33]
	v_cmp_neq_f64_e64 s34, 0, v[34:35]
	s_or_b32 s0, s33, s34
	s_delay_alu instid0(SALU_CYCLE_1)
	v_cndmask_b32_e64 v32, 0, 1, s0
.LBB522_362:
	s_or_b32 exec_lo, exec_lo, s36
	v_cndmask_b32_e32 v2, 0, v2, vcc_lo
	v_cndmask_b32_e64 v3, 0, v3, s2
	v_cndmask_b32_e64 v4, 0, v4, s3
	s_min_u32 s0, s35, 0x100
	s_mov_b32 s1, exec_lo
	v_add_nc_u32_e32 v1, v2, v1
	v_cndmask_b32_e64 v2, 0, v5, s4
	v_cndmask_b32_e64 v5, 0, v6, s5
	;; [unrolled: 1-line block ×3, first 2 shown]
	s_delay_alu instid0(VALU_DEP_4) | instskip(SKIP_3) | instid1(VALU_DEP_4)
	v_add3_u32 v1, v1, v3, v4
	v_cndmask_b32_e64 v3, 0, v7, s6
	v_cndmask_b32_e64 v4, 0, v8, s7
	;; [unrolled: 1-line block ×3, first 2 shown]
	v_add3_u32 v1, v1, v2, v5
	v_cndmask_b32_e64 v2, 0, v9, s8
	v_cndmask_b32_e64 v5, 0, v10, s9
	s_delay_alu instid0(VALU_DEP_3) | instskip(SKIP_2) | instid1(VALU_DEP_3)
	v_add3_u32 v1, v1, v3, v4
	v_cndmask_b32_e64 v3, 0, v11, s10
	v_cndmask_b32_e64 v4, 0, v12, s11
	v_add3_u32 v1, v1, v2, v5
	v_cndmask_b32_e64 v2, 0, v13, s12
	v_cndmask_b32_e64 v5, 0, v14, s13
	s_delay_alu instid0(VALU_DEP_3) | instskip(SKIP_2) | instid1(VALU_DEP_3)
	v_add3_u32 v1, v1, v3, v4
	v_cndmask_b32_e64 v3, 0, v15, s14
	v_cndmask_b32_e64 v4, 0, v16, s15
	;; [unrolled: 7-line block ×5, first 2 shown]
	v_add3_u32 v1, v1, v2, v5
	v_mbcnt_lo_u32_b32 v2, -1, 0
	v_cndmask_b32_e64 v5, 0, v29, s28
	s_delay_alu instid0(VALU_DEP_3) | instskip(NEXT) | instid1(VALU_DEP_3)
	v_add3_u32 v1, v1, v3, v4
	v_cmp_ne_u32_e32 vcc_lo, 31, v2
	v_cndmask_b32_e64 v3, 0, v32, s31
	s_delay_alu instid0(VALU_DEP_3)
	v_add3_u32 v1, v1, v5, v6
	s_wait_alu 0xfffd
	v_add_co_ci_u32_e64 v4, null, 0, v2, vcc_lo
	v_add_nc_u32_e32 v5, 1, v2
	v_cmp_gt_u32_e32 vcc_lo, 30, v2
	v_add3_u32 v1, v1, v7, v3
	s_delay_alu instid0(VALU_DEP_4)
	v_lshlrev_b32_e32 v4, 2, v4
	s_wait_alu 0xfffd
	v_cndmask_b32_e64 v6, 0, 2, vcc_lo
	ds_bpermute_b32 v3, v4, v1
	v_and_b32_e32 v4, 0xe0, v0
	s_wait_alu 0xfffe
	s_delay_alu instid0(VALU_DEP_1) | instskip(NEXT) | instid1(VALU_DEP_1)
	v_sub_nc_u32_e64 v4, s0, v4 clamp
	v_cmp_lt_u32_e32 vcc_lo, v5, v4
	v_add_lshl_u32 v5, v6, v2, 2
	s_wait_dscnt 0x0
	s_wait_alu 0xfffd
	v_cndmask_b32_e32 v3, 0, v3, vcc_lo
	v_cmp_gt_u32_e32 vcc_lo, 28, v2
	s_delay_alu instid0(VALU_DEP_2) | instskip(SKIP_4) | instid1(VALU_DEP_1)
	v_add_nc_u32_e32 v1, v1, v3
	s_wait_alu 0xfffd
	v_cndmask_b32_e64 v6, 0, 4, vcc_lo
	ds_bpermute_b32 v3, v5, v1
	v_add_nc_u32_e32 v5, 2, v2
	v_cmp_lt_u32_e32 vcc_lo, v5, v4
	v_add_lshl_u32 v5, v6, v2, 2
	s_wait_dscnt 0x0
	s_wait_alu 0xfffd
	v_cndmask_b32_e32 v3, 0, v3, vcc_lo
	v_cmp_gt_u32_e32 vcc_lo, 24, v2
	s_delay_alu instid0(VALU_DEP_2) | instskip(SKIP_4) | instid1(VALU_DEP_1)
	v_add_nc_u32_e32 v1, v1, v3
	s_wait_alu 0xfffd
	v_cndmask_b32_e64 v6, 0, 8, vcc_lo
	ds_bpermute_b32 v3, v5, v1
	v_add_nc_u32_e32 v5, 4, v2
	v_cmp_lt_u32_e32 vcc_lo, v5, v4
	v_add_lshl_u32 v5, v6, v2, 2
	s_wait_dscnt 0x0
	s_wait_alu 0xfffd
	v_cndmask_b32_e32 v3, 0, v3, vcc_lo
	s_delay_alu instid0(VALU_DEP_1) | instskip(SKIP_3) | instid1(VALU_DEP_1)
	v_add_nc_u32_e32 v1, v1, v3
	v_lshlrev_b32_e32 v3, 2, v2
	ds_bpermute_b32 v5, v5, v1
	v_add_nc_u32_e32 v6, 8, v2
	v_cmp_lt_u32_e32 vcc_lo, v6, v4
	v_or_b32_e32 v6, 64, v3
	s_wait_dscnt 0x0
	s_wait_alu 0xfffd
	v_cndmask_b32_e32 v5, 0, v5, vcc_lo
	s_delay_alu instid0(VALU_DEP_1) | instskip(SKIP_2) | instid1(VALU_DEP_1)
	v_add_nc_u32_e32 v1, v1, v5
	ds_bpermute_b32 v5, v6, v1
	v_add_nc_u32_e32 v6, 16, v2
	v_cmp_lt_u32_e32 vcc_lo, v6, v4
	s_wait_dscnt 0x0
	s_wait_alu 0xfffd
	v_cndmask_b32_e32 v4, 0, v5, vcc_lo
	s_delay_alu instid0(VALU_DEP_1)
	v_add_nc_u32_e32 v1, v1, v4
	v_cmpx_eq_u32_e32 0, v2
; %bb.363:
	v_lshrrev_b32_e32 v4, 3, v0
	s_delay_alu instid0(VALU_DEP_1)
	v_and_b32_e32 v4, 28, v4
	ds_store_b32 v4, v1 offset:256
; %bb.364:
	s_or_b32 exec_lo, exec_lo, s1
	s_delay_alu instid0(SALU_CYCLE_1)
	s_mov_b32 s1, exec_lo
	s_wait_loadcnt_dscnt 0x0
	s_barrier_signal -1
	s_barrier_wait -1
	global_inv scope:SCOPE_SE
	v_cmpx_gt_u32_e32 8, v0
	s_cbranch_execz .LBB522_366
; %bb.365:
	ds_load_b32 v1, v3 offset:256
	v_and_b32_e32 v4, 7, v2
	s_add_co_i32 s0, s0, 31
	s_wait_alu 0xfffe
	s_lshr_b32 s0, s0, 5
	s_delay_alu instid0(VALU_DEP_1) | instskip(SKIP_4) | instid1(VALU_DEP_2)
	v_cmp_ne_u32_e32 vcc_lo, 7, v4
	v_add_nc_u32_e32 v6, 1, v4
	s_wait_alu 0xfffd
	v_add_co_ci_u32_e64 v5, null, 0, v2, vcc_lo
	v_cmp_gt_u32_e32 vcc_lo, 6, v4
	v_lshlrev_b32_e32 v5, 2, v5
	s_wait_alu 0xfffd
	v_cndmask_b32_e64 v7, 0, 2, vcc_lo
	s_wait_alu 0xfffe
	v_cmp_gt_u32_e32 vcc_lo, s0, v6
	s_wait_dscnt 0x0
	ds_bpermute_b32 v5, v5, v1
	v_add_lshl_u32 v2, v7, v2, 2
	s_wait_dscnt 0x0
	s_wait_alu 0xfffd
	v_cndmask_b32_e32 v5, 0, v5, vcc_lo
	s_delay_alu instid0(VALU_DEP_1)
	v_add_nc_u32_e32 v1, v5, v1
	v_add_nc_u32_e32 v5, 2, v4
	ds_bpermute_b32 v2, v2, v1
	v_cmp_gt_u32_e32 vcc_lo, s0, v5
	s_wait_dscnt 0x0
	s_wait_alu 0xfffd
	v_cndmask_b32_e32 v2, 0, v2, vcc_lo
	s_delay_alu instid0(VALU_DEP_1)
	v_add_nc_u32_e32 v1, v1, v2
	v_or_b32_e32 v2, 16, v3
	v_add_nc_u32_e32 v3, 4, v4
	ds_bpermute_b32 v2, v2, v1
	v_cmp_gt_u32_e32 vcc_lo, s0, v3
	s_wait_dscnt 0x0
	s_wait_alu 0xfffd
	v_cndmask_b32_e32 v2, 0, v2, vcc_lo
	s_delay_alu instid0(VALU_DEP_1)
	v_add_nc_u32_e32 v1, v1, v2
.LBB522_366:
	s_wait_alu 0xfffe
	s_or_b32 exec_lo, exec_lo, s1
.LBB522_367:
	v_cmp_eq_u32_e64 s0, 0, v0
	s_branch .LBB522_512
.LBB522_368:
	s_cmp_eq_u32 s79, 16
	s_cbranch_scc0 .LBB522_375
; %bb.369:
	s_mov_b32 s69, 0
	s_lshl_b32 s34, s68, 12
	s_mov_b32 s35, s69
	s_lshr_b64 s[0:1], s[84:85], 12
	s_lshl_b64 s[2:3], s[34:35], 4
	s_cmp_lg_u64 s[0:1], s[68:69]
	s_add_nc_u64 s[0:1], s[72:73], s[2:3]
	s_cbranch_scc0 .LBB522_533
; %bb.370:
	v_lshlrev_b32_e32 v61, 4, v0
	s_clause 0xf
	global_load_b128 v[1:4], v61, s[0:1]
	global_load_b128 v[5:8], v61, s[0:1] offset:8192
	global_load_b128 v[9:12], v61, s[0:1] offset:4096
	;; [unrolled: 1-line block ×15, first 2 shown]
	s_wait_loadcnt 0xf
	v_cmp_neq_f64_e32 vcc_lo, 0, v[1:2]
	v_cmp_neq_f64_e64 s2, 0, v[3:4]
	s_wait_loadcnt 0xe
	v_cmp_neq_f64_e64 s3, 0, v[5:6]
	v_cmp_neq_f64_e64 s4, 0, v[7:8]
	s_wait_loadcnt 0xd
	v_cmp_neq_f64_e64 s5, 0, v[9:10]
	v_cmp_neq_f64_e64 s6, 0, v[11:12]
	s_wait_loadcnt 0xc
	v_cmp_neq_f64_e64 s7, 0, v[13:14]
	v_cmp_neq_f64_e64 s8, 0, v[15:16]
	s_wait_loadcnt 0xb
	v_cmp_neq_f64_e64 s9, 0, v[17:18]
	v_cmp_neq_f64_e64 s10, 0, v[19:20]
	s_wait_loadcnt 0xa
	v_cmp_neq_f64_e64 s11, 0, v[21:22]
	v_cmp_neq_f64_e64 s12, 0, v[23:24]
	s_wait_loadcnt 0x9
	v_cmp_neq_f64_e64 s13, 0, v[25:26]
	v_cmp_neq_f64_e64 s14, 0, v[27:28]
	s_wait_loadcnt 0x8
	v_cmp_neq_f64_e64 s15, 0, v[29:30]
	v_cmp_neq_f64_e64 s16, 0, v[31:32]
	s_wait_loadcnt 0x7
	v_cmp_neq_f64_e64 s17, 0, v[33:34]
	v_cmp_neq_f64_e64 s18, 0, v[35:36]
	s_wait_loadcnt 0x6
	v_cmp_neq_f64_e64 s19, 0, v[37:38]
	v_cmp_neq_f64_e64 s20, 0, v[39:40]
	s_wait_loadcnt 0x5
	v_cmp_neq_f64_e64 s21, 0, v[41:42]
	v_cmp_neq_f64_e64 s22, 0, v[43:44]
	s_wait_loadcnt 0x4
	v_cmp_neq_f64_e64 s23, 0, v[45:46]
	v_cmp_neq_f64_e64 s24, 0, v[47:48]
	s_wait_loadcnt 0x3
	v_cmp_neq_f64_e64 s25, 0, v[49:50]
	v_cmp_neq_f64_e64 s26, 0, v[51:52]
	s_wait_loadcnt 0x2
	v_cmp_neq_f64_e64 s27, 0, v[53:54]
	v_cmp_neq_f64_e64 s28, 0, v[55:56]
	s_wait_loadcnt 0x1
	v_cmp_neq_f64_e64 s29, 0, v[57:58]
	v_cmp_neq_f64_e64 s30, 0, v[59:60]
	s_wait_loadcnt 0x0
	v_cmp_neq_f64_e64 s31, 0, v[61:62]
	v_cmp_neq_f64_e64 s33, 0, v[63:64]
	s_or_b32 s2, vcc_lo, s2
	s_delay_alu instid0(SALU_CYCLE_1)
	v_cndmask_b32_e64 v1, 0, 1, s2
	s_or_b32 s2, s3, s4
	s_or_b32 vcc_lo, s5, s6
	s_wait_alu 0xfffe
	v_cndmask_b32_e64 v2, 0, 1, s2
	s_or_b32 s2, s7, s8
	v_add_co_ci_u32_e64 v1, null, 0, v1, vcc_lo
	s_or_b32 vcc_lo, s9, s10
	s_wait_alu 0xfffe
	v_cndmask_b32_e64 v3, 0, 1, s2
	s_or_b32 s2, s11, s12
	v_add_co_ci_u32_e64 v1, null, v1, v2, vcc_lo
	;; [unrolled: 5-line block ×6, first 2 shown]
	s_or_b32 vcc_lo, s29, s30
	s_wait_alu 0xfffe
	v_cndmask_b32_e64 v2, 0, 1, s2
	s_mov_b32 s2, exec_lo
	v_add_co_ci_u32_e64 v1, null, v1, v3, vcc_lo
	s_or_b32 vcc_lo, s31, s33
	s_wait_alu 0xfffe
	v_add_co_ci_u32_e64 v1, null, v1, v2, vcc_lo
	s_delay_alu instid0(VALU_DEP_1) | instskip(NEXT) | instid1(VALU_DEP_1)
	v_mov_b32_dpp v2, v1 quad_perm:[1,0,3,2] row_mask:0xf bank_mask:0xf
	v_add_nc_u32_e32 v1, v1, v2
	s_delay_alu instid0(VALU_DEP_1) | instskip(NEXT) | instid1(VALU_DEP_1)
	v_mov_b32_dpp v2, v1 quad_perm:[2,3,0,1] row_mask:0xf bank_mask:0xf
	v_add_nc_u32_e32 v1, v1, v2
	s_delay_alu instid0(VALU_DEP_1) | instskip(NEXT) | instid1(VALU_DEP_1)
	v_mov_b32_dpp v2, v1 row_ror:4 row_mask:0xf bank_mask:0xf
	v_add_nc_u32_e32 v1, v1, v2
	s_delay_alu instid0(VALU_DEP_1) | instskip(NEXT) | instid1(VALU_DEP_1)
	v_mov_b32_dpp v2, v1 row_ror:8 row_mask:0xf bank_mask:0xf
	v_add_nc_u32_e32 v1, v1, v2
	ds_swizzle_b32 v2, v1 offset:swizzle(BROADCAST,32,15)
	s_wait_dscnt 0x0
	v_dual_mov_b32 v2, 0 :: v_dual_add_nc_u32 v1, v1, v2
	ds_bpermute_b32 v1, v2, v1 offset:124
	v_mbcnt_lo_u32_b32 v2, -1, 0
	s_delay_alu instid0(VALU_DEP_1)
	v_cmpx_eq_u32_e32 0, v2
	s_cbranch_execz .LBB522_372
; %bb.371:
	v_lshrrev_b32_e32 v3, 3, v0
	s_delay_alu instid0(VALU_DEP_1)
	v_and_b32_e32 v3, 28, v3
	s_wait_dscnt 0x0
	ds_store_b32 v3, v1 offset:32
.LBB522_372:
	s_or_b32 exec_lo, exec_lo, s2
	s_delay_alu instid0(SALU_CYCLE_1)
	s_mov_b32 s2, exec_lo
	s_wait_dscnt 0x0
	s_barrier_signal -1
	s_barrier_wait -1
	global_inv scope:SCOPE_SE
	v_cmpx_gt_u32_e32 32, v0
	s_cbranch_execz .LBB522_374
; %bb.373:
	v_and_b32_e32 v1, 7, v2
	s_delay_alu instid0(VALU_DEP_1)
	v_lshlrev_b32_e32 v3, 2, v1
	v_cmp_ne_u32_e32 vcc_lo, 7, v1
	ds_load_b32 v3, v3 offset:32
	s_wait_alu 0xfffd
	v_add_co_ci_u32_e64 v4, null, 0, v2, vcc_lo
	v_cmp_gt_u32_e32 vcc_lo, 6, v1
	s_delay_alu instid0(VALU_DEP_2) | instskip(SKIP_2) | instid1(VALU_DEP_1)
	v_lshlrev_b32_e32 v4, 2, v4
	s_wait_alu 0xfffd
	v_cndmask_b32_e64 v1, 0, 2, vcc_lo
	v_add_lshl_u32 v1, v1, v2, 2
	v_lshlrev_b32_e32 v2, 2, v2
	s_delay_alu instid0(VALU_DEP_1)
	v_or_b32_e32 v2, 16, v2
	s_wait_dscnt 0x0
	ds_bpermute_b32 v4, v4, v3
	s_wait_dscnt 0x0
	v_add_nc_u32_e32 v3, v4, v3
	ds_bpermute_b32 v1, v1, v3
	s_wait_dscnt 0x0
	v_add_nc_u32_e32 v1, v1, v3
	;; [unrolled: 3-line block ×3, first 2 shown]
.LBB522_374:
	s_wait_alu 0xfffe
	s_or_b32 exec_lo, exec_lo, s2
	s_mov_b32 s2, 0
	s_branch .LBB522_534
.LBB522_375:
                                        ; implicit-def: $vgpr1
	s_branch .LBB522_623
.LBB522_376:
	s_mov_b32 s0, -1
                                        ; implicit-def: $vgpr1
.LBB522_377:
	s_wait_alu 0xfffe
	s_and_b32 vcc_lo, exec_lo, s0
	s_wait_alu 0xfffe
	s_cbranch_vccz .LBB522_511
; %bb.378:
	s_sub_co_i32 s0, s84, s34
	s_mov_b32 s1, exec_lo
                                        ; implicit-def: $vgpr1
	s_wait_alu 0xfffe
	v_cmpx_gt_u32_e64 s0, v0
	s_cbranch_execz .LBB522_380
; %bb.379:
	v_lshlrev_b32_e32 v1, 4, v0
	global_load_b128 v[1:4], v1, s[26:27]
	s_wait_loadcnt 0x0
	v_cmp_neq_f64_e32 vcc_lo, 0, v[1:2]
	v_cmp_neq_f64_e64 s2, 0, v[3:4]
	s_or_b32 s2, vcc_lo, s2
	s_wait_alu 0xfffe
	v_cndmask_b32_e64 v1, 0, 1, s2
.LBB522_380:
	s_or_b32 exec_lo, exec_lo, s1
	v_or_b32_e32 v3, 0x100, v0
	v_mov_b32_e32 v2, 0
	s_delay_alu instid0(VALU_DEP_2)
	v_cmp_gt_u32_e32 vcc_lo, s0, v3
	v_mov_b32_e32 v3, 0
	s_and_saveexec_b32 s1, vcc_lo
	s_cbranch_execz .LBB522_382
; %bb.381:
	v_lshlrev_b32_e32 v3, 4, v0
	global_load_b128 v[3:6], v3, s[26:27] offset:4096
	s_wait_loadcnt 0x0
	v_cmp_neq_f64_e32 vcc_lo, 0, v[3:4]
	v_cmp_neq_f64_e64 s2, 0, v[5:6]
	s_or_b32 s2, vcc_lo, s2
	s_wait_alu 0xfffe
	v_cndmask_b32_e64 v3, 0, 1, s2
.LBB522_382:
	s_wait_alu 0xfffe
	s_or_b32 exec_lo, exec_lo, s1
	v_or_b32_e32 v4, 0x200, v0
	s_mov_b32 s1, exec_lo
	s_delay_alu instid0(VALU_DEP_1)
	v_cmpx_gt_u32_e64 s0, v4
	s_cbranch_execz .LBB522_384
; %bb.383:
	v_lshlrev_b32_e32 v2, 4, v0
	global_load_b128 v[4:7], v2, s[26:27] offset:8192
	s_wait_loadcnt 0x0
	v_cmp_neq_f64_e32 vcc_lo, 0, v[4:5]
	v_cmp_neq_f64_e64 s2, 0, v[6:7]
	s_or_b32 s2, vcc_lo, s2
	s_wait_alu 0xfffe
	v_cndmask_b32_e64 v2, 0, 1, s2
.LBB522_384:
	s_wait_alu 0xfffe
	s_or_b32 exec_lo, exec_lo, s1
	v_or_b32_e32 v5, 0x300, v0
	v_mov_b32_e32 v4, 0
	s_delay_alu instid0(VALU_DEP_2)
	v_cmp_gt_u32_e32 vcc_lo, s0, v5
	v_mov_b32_e32 v5, 0
	s_and_saveexec_b32 s1, vcc_lo
	s_cbranch_execz .LBB522_386
; %bb.385:
	v_lshlrev_b32_e32 v5, 4, v0
	global_load_b128 v[5:8], v5, s[26:27] offset:12288
	s_wait_loadcnt 0x0
	v_cmp_neq_f64_e32 vcc_lo, 0, v[5:6]
	v_cmp_neq_f64_e64 s2, 0, v[7:8]
	s_or_b32 s2, vcc_lo, s2
	s_wait_alu 0xfffe
	v_cndmask_b32_e64 v5, 0, 1, s2
.LBB522_386:
	s_wait_alu 0xfffe
	s_or_b32 exec_lo, exec_lo, s1
	v_or_b32_e32 v6, 0x400, v0
	s_mov_b32 s1, exec_lo
	s_delay_alu instid0(VALU_DEP_1)
	v_cmpx_gt_u32_e64 s0, v6
	s_cbranch_execz .LBB522_388
; %bb.387:
	v_lshlrev_b32_e32 v4, 4, v0
	global_load_b128 v[6:9], v4, s[26:27] offset:16384
	s_wait_loadcnt 0x0
	v_cmp_neq_f64_e32 vcc_lo, 0, v[6:7]
	v_cmp_neq_f64_e64 s2, 0, v[8:9]
	s_or_b32 s2, vcc_lo, s2
	s_wait_alu 0xfffe
	v_cndmask_b32_e64 v4, 0, 1, s2
.LBB522_388:
	s_wait_alu 0xfffe
	;; [unrolled: 36-line block ×31, first 2 shown]
	s_or_b32 exec_lo, exec_lo, s1
	v_or_b32_e32 v64, 0x3f00, v0
	s_delay_alu instid0(VALU_DEP_1)
	v_cmp_gt_u32_e32 vcc_lo, s0, v64
	v_mov_b32_e32 v64, 0
	s_and_saveexec_b32 s1, vcc_lo
	s_cbranch_execz .LBB522_506
; %bb.505:
	v_lshlrev_b32_e32 v64, 4, v0
	global_load_b128 v[64:67], v64, s[26:27] offset:258048
	s_wait_loadcnt 0x0
	v_cmp_neq_f64_e32 vcc_lo, 0, v[64:65]
	v_cmp_neq_f64_e64 s2, 0, v[66:67]
	s_or_b32 s2, vcc_lo, s2
	s_wait_alu 0xfffe
	v_cndmask_b32_e64 v64, 0, 1, s2
.LBB522_506:
	s_wait_alu 0xfffe
	s_or_b32 exec_lo, exec_lo, s1
	v_add_nc_u32_e32 v1, v3, v1
	s_min_u32 s0, s0, 0x100
	s_mov_b32 s1, exec_lo
	s_delay_alu instid0(VALU_DEP_1) | instskip(SKIP_1) | instid1(VALU_DEP_2)
	v_add3_u32 v1, v1, v2, v5
	v_mbcnt_lo_u32_b32 v2, -1, 0
	v_add3_u32 v1, v1, v4, v7
	s_delay_alu instid0(VALU_DEP_2) | instskip(SKIP_1) | instid1(VALU_DEP_3)
	v_cmp_ne_u32_e32 vcc_lo, 31, v2
	v_add_nc_u32_e32 v5, 1, v2
	v_add3_u32 v1, v1, v6, v9
	s_wait_alu 0xfffd
	v_add_co_ci_u32_e64 v3, null, 0, v2, vcc_lo
	v_cmp_gt_u32_e32 vcc_lo, 30, v2
	s_delay_alu instid0(VALU_DEP_3) | instskip(NEXT) | instid1(VALU_DEP_3)
	v_add3_u32 v1, v1, v8, v11
	v_lshlrev_b32_e32 v3, 2, v3
	s_wait_alu 0xfffd
	v_cndmask_b32_e64 v6, 0, 2, vcc_lo
	s_delay_alu instid0(VALU_DEP_3) | instskip(NEXT) | instid1(VALU_DEP_1)
	v_add3_u32 v1, v1, v10, v13
	v_add3_u32 v1, v1, v12, v15
	s_delay_alu instid0(VALU_DEP_1) | instskip(NEXT) | instid1(VALU_DEP_1)
	v_add3_u32 v1, v1, v14, v17
	v_add3_u32 v1, v1, v16, v19
	s_delay_alu instid0(VALU_DEP_1) | instskip(NEXT) | instid1(VALU_DEP_1)
	;; [unrolled: 3-line block ×12, first 2 shown]
	v_add3_u32 v1, v1, v58, v61
	v_add3_u32 v1, v1, v60, v63
	s_delay_alu instid0(VALU_DEP_1) | instskip(SKIP_3) | instid1(VALU_DEP_1)
	v_add3_u32 v1, v1, v62, v64
	ds_bpermute_b32 v3, v3, v1
	v_and_b32_e32 v4, 0xe0, v0
	s_wait_alu 0xfffe
	v_sub_nc_u32_e64 v4, s0, v4 clamp
	s_delay_alu instid0(VALU_DEP_1)
	v_cmp_lt_u32_e32 vcc_lo, v5, v4
	v_add_lshl_u32 v5, v6, v2, 2
	s_wait_dscnt 0x0
	s_wait_alu 0xfffd
	v_cndmask_b32_e32 v3, 0, v3, vcc_lo
	v_cmp_gt_u32_e32 vcc_lo, 28, v2
	s_delay_alu instid0(VALU_DEP_2) | instskip(SKIP_4) | instid1(VALU_DEP_1)
	v_add_nc_u32_e32 v1, v3, v1
	s_wait_alu 0xfffd
	v_cndmask_b32_e64 v6, 0, 4, vcc_lo
	ds_bpermute_b32 v3, v5, v1
	v_add_nc_u32_e32 v5, 2, v2
	v_cmp_lt_u32_e32 vcc_lo, v5, v4
	v_add_lshl_u32 v5, v6, v2, 2
	s_wait_dscnt 0x0
	s_wait_alu 0xfffd
	v_cndmask_b32_e32 v3, 0, v3, vcc_lo
	v_cmp_gt_u32_e32 vcc_lo, 24, v2
	s_delay_alu instid0(VALU_DEP_2) | instskip(SKIP_4) | instid1(VALU_DEP_1)
	v_add_nc_u32_e32 v1, v1, v3
	s_wait_alu 0xfffd
	v_cndmask_b32_e64 v6, 0, 8, vcc_lo
	ds_bpermute_b32 v3, v5, v1
	v_add_nc_u32_e32 v5, 4, v2
	v_cmp_lt_u32_e32 vcc_lo, v5, v4
	v_add_lshl_u32 v5, v6, v2, 2
	s_wait_dscnt 0x0
	s_wait_alu 0xfffd
	v_dual_cndmask_b32 v3, 0, v3 :: v_dual_add_nc_u32 v6, 8, v2
	s_delay_alu instid0(VALU_DEP_1) | instskip(NEXT) | instid1(VALU_DEP_2)
	v_cmp_lt_u32_e32 vcc_lo, v6, v4
	v_add_nc_u32_e32 v1, v1, v3
	v_lshlrev_b32_e32 v3, 2, v2
	ds_bpermute_b32 v5, v5, v1
	v_or_b32_e32 v6, 64, v3
	s_wait_dscnt 0x0
	s_wait_alu 0xfffd
	v_cndmask_b32_e32 v5, 0, v5, vcc_lo
	s_delay_alu instid0(VALU_DEP_1) | instskip(SKIP_2) | instid1(VALU_DEP_1)
	v_add_nc_u32_e32 v1, v1, v5
	ds_bpermute_b32 v5, v6, v1
	v_add_nc_u32_e32 v6, 16, v2
	v_cmp_lt_u32_e32 vcc_lo, v6, v4
	s_wait_dscnt 0x0
	s_wait_alu 0xfffd
	v_cndmask_b32_e32 v4, 0, v5, vcc_lo
	s_delay_alu instid0(VALU_DEP_1)
	v_add_nc_u32_e32 v1, v1, v4
	v_cmpx_eq_u32_e32 0, v2
; %bb.507:
	v_lshrrev_b32_e32 v4, 3, v0
	s_delay_alu instid0(VALU_DEP_1)
	v_and_b32_e32 v4, 28, v4
	ds_store_b32 v4, v1 offset:256
; %bb.508:
	s_or_b32 exec_lo, exec_lo, s1
	s_delay_alu instid0(SALU_CYCLE_1)
	s_mov_b32 s1, exec_lo
	s_wait_loadcnt_dscnt 0x0
	s_barrier_signal -1
	s_barrier_wait -1
	global_inv scope:SCOPE_SE
	v_cmpx_gt_u32_e32 8, v0
	s_cbranch_execz .LBB522_510
; %bb.509:
	ds_load_b32 v1, v3 offset:256
	v_and_b32_e32 v4, 7, v2
	s_add_co_i32 s0, s0, 31
	s_wait_alu 0xfffe
	s_lshr_b32 s0, s0, 5
	s_delay_alu instid0(VALU_DEP_1) | instskip(SKIP_4) | instid1(VALU_DEP_2)
	v_cmp_ne_u32_e32 vcc_lo, 7, v4
	v_add_nc_u32_e32 v6, 1, v4
	s_wait_alu 0xfffd
	v_add_co_ci_u32_e64 v5, null, 0, v2, vcc_lo
	v_cmp_gt_u32_e32 vcc_lo, 6, v4
	v_lshlrev_b32_e32 v5, 2, v5
	s_wait_alu 0xfffd
	v_cndmask_b32_e64 v7, 0, 2, vcc_lo
	s_wait_alu 0xfffe
	v_cmp_gt_u32_e32 vcc_lo, s0, v6
	s_wait_dscnt 0x0
	ds_bpermute_b32 v5, v5, v1
	v_add_lshl_u32 v2, v7, v2, 2
	s_wait_dscnt 0x0
	s_wait_alu 0xfffd
	v_cndmask_b32_e32 v5, 0, v5, vcc_lo
	s_delay_alu instid0(VALU_DEP_1)
	v_add_nc_u32_e32 v1, v5, v1
	v_add_nc_u32_e32 v5, 2, v4
	ds_bpermute_b32 v2, v2, v1
	v_cmp_gt_u32_e32 vcc_lo, s0, v5
	s_wait_dscnt 0x0
	s_wait_alu 0xfffd
	v_cndmask_b32_e32 v2, 0, v2, vcc_lo
	s_delay_alu instid0(VALU_DEP_1)
	v_add_nc_u32_e32 v1, v1, v2
	v_or_b32_e32 v2, 16, v3
	v_add_nc_u32_e32 v3, 4, v4
	ds_bpermute_b32 v2, v2, v1
	v_cmp_gt_u32_e32 vcc_lo, s0, v3
	s_wait_dscnt 0x0
	s_wait_alu 0xfffd
	v_cndmask_b32_e32 v2, 0, v2, vcc_lo
	s_delay_alu instid0(VALU_DEP_1)
	v_add_nc_u32_e32 v1, v1, v2
.LBB522_510:
	s_wait_alu 0xfffe
	s_or_b32 exec_lo, exec_lo, s1
.LBB522_511:
	v_cmp_eq_u32_e64 s0, 0, v0
.LBB522_512:
	s_branch .LBB522_623
.LBB522_513:
	s_wait_kmcnt 0x0
	s_cmp_gt_i32 s79, 3
	s_cbranch_scc0 .LBB522_522
; %bb.514:
	s_cmp_gt_i32 s79, 7
	s_cbranch_scc0 .LBB522_523
; %bb.515:
	s_cmp_eq_u32 s79, 8
	s_cbranch_scc0 .LBB522_531
; %bb.516:
	s_mov_b32 s69, 0
	s_lshl_b32 s18, s68, 11
	s_mov_b32 s19, s69
	s_lshr_b64 s[0:1], s[84:85], 11
	s_lshl_b64 s[2:3], s[18:19], 4
	s_cmp_lg_u64 s[0:1], s[68:69]
	s_add_nc_u64 s[0:1], s[72:73], s[2:3]
	s_cbranch_scc0 .LBB522_573
; %bb.517:
	v_lshlrev_b32_e32 v29, 4, v0
	s_clause 0x7
	global_load_b128 v[1:4], v29, s[0:1]
	global_load_b128 v[5:8], v29, s[0:1] offset:8192
	global_load_b128 v[9:12], v29, s[0:1] offset:4096
	;; [unrolled: 1-line block ×7, first 2 shown]
	s_wait_loadcnt 0x7
	v_cmp_neq_f64_e32 vcc_lo, 0, v[1:2]
	v_cmp_neq_f64_e64 s2, 0, v[3:4]
	s_wait_loadcnt 0x6
	v_cmp_neq_f64_e64 s3, 0, v[5:6]
	v_cmp_neq_f64_e64 s4, 0, v[7:8]
	s_wait_loadcnt 0x5
	v_cmp_neq_f64_e64 s5, 0, v[9:10]
	;; [unrolled: 3-line block ×7, first 2 shown]
	v_cmp_neq_f64_e64 s16, 0, v[31:32]
	s_or_b32 s2, vcc_lo, s2
	s_delay_alu instid0(SALU_CYCLE_1)
	v_cndmask_b32_e64 v1, 0, 1, s2
	s_or_b32 s2, s3, s4
	s_or_b32 vcc_lo, s5, s6
	s_wait_alu 0xfffe
	v_cndmask_b32_e64 v2, 0, 1, s2
	s_or_b32 s2, s7, s8
	v_add_co_ci_u32_e64 v1, null, 0, v1, vcc_lo
	s_or_b32 vcc_lo, s9, s10
	s_wait_alu 0xfffe
	v_cndmask_b32_e64 v3, 0, 1, s2
	s_or_b32 s2, s11, s12
	v_add_co_ci_u32_e64 v1, null, v1, v2, vcc_lo
	s_or_b32 vcc_lo, s13, s14
	s_wait_alu 0xfffe
	v_cndmask_b32_e64 v2, 0, 1, s2
	s_mov_b32 s2, exec_lo
	v_add_co_ci_u32_e64 v1, null, v1, v3, vcc_lo
	s_or_b32 vcc_lo, s15, s16
	s_wait_alu 0xfffe
	v_add_co_ci_u32_e64 v1, null, v1, v2, vcc_lo
	s_delay_alu instid0(VALU_DEP_1) | instskip(NEXT) | instid1(VALU_DEP_1)
	v_mov_b32_dpp v2, v1 quad_perm:[1,0,3,2] row_mask:0xf bank_mask:0xf
	v_add_nc_u32_e32 v1, v1, v2
	s_delay_alu instid0(VALU_DEP_1) | instskip(NEXT) | instid1(VALU_DEP_1)
	v_mov_b32_dpp v2, v1 quad_perm:[2,3,0,1] row_mask:0xf bank_mask:0xf
	v_add_nc_u32_e32 v1, v1, v2
	s_delay_alu instid0(VALU_DEP_1) | instskip(NEXT) | instid1(VALU_DEP_1)
	v_mov_b32_dpp v2, v1 row_ror:4 row_mask:0xf bank_mask:0xf
	v_add_nc_u32_e32 v1, v1, v2
	s_delay_alu instid0(VALU_DEP_1) | instskip(NEXT) | instid1(VALU_DEP_1)
	v_mov_b32_dpp v2, v1 row_ror:8 row_mask:0xf bank_mask:0xf
	v_add_nc_u32_e32 v1, v1, v2
	ds_swizzle_b32 v2, v1 offset:swizzle(BROADCAST,32,15)
	s_wait_dscnt 0x0
	v_dual_mov_b32 v2, 0 :: v_dual_add_nc_u32 v1, v1, v2
	ds_bpermute_b32 v1, v2, v1 offset:124
	v_mbcnt_lo_u32_b32 v2, -1, 0
	s_delay_alu instid0(VALU_DEP_1)
	v_cmpx_eq_u32_e32 0, v2
	s_cbranch_execz .LBB522_519
; %bb.518:
	v_lshrrev_b32_e32 v3, 3, v0
	s_delay_alu instid0(VALU_DEP_1)
	v_and_b32_e32 v3, 28, v3
	s_wait_dscnt 0x0
	ds_store_b32 v3, v1 offset:224
.LBB522_519:
	s_or_b32 exec_lo, exec_lo, s2
	s_delay_alu instid0(SALU_CYCLE_1)
	s_mov_b32 s2, exec_lo
	s_wait_dscnt 0x0
	s_barrier_signal -1
	s_barrier_wait -1
	global_inv scope:SCOPE_SE
	v_cmpx_gt_u32_e32 32, v0
	s_cbranch_execz .LBB522_521
; %bb.520:
	v_lshl_or_b32 v1, v2, 2, 0xe0
	v_and_b32_e32 v3, 7, v2
	ds_load_b32 v1, v1
	v_cmp_ne_u32_e32 vcc_lo, 7, v3
	s_wait_alu 0xfffd
	v_add_co_ci_u32_e64 v4, null, 0, v2, vcc_lo
	v_cmp_gt_u32_e32 vcc_lo, 6, v3
	s_delay_alu instid0(VALU_DEP_2) | instskip(SKIP_2) | instid1(VALU_DEP_1)
	v_lshlrev_b32_e32 v4, 2, v4
	s_wait_alu 0xfffd
	v_cndmask_b32_e64 v3, 0, 2, vcc_lo
	v_add_lshl_u32 v3, v3, v2, 2
	v_lshlrev_b32_e32 v2, 2, v2
	s_wait_dscnt 0x0
	ds_bpermute_b32 v4, v4, v1
	v_or_b32_e32 v2, 16, v2
	s_wait_dscnt 0x0
	v_add_nc_u32_e32 v1, v4, v1
	ds_bpermute_b32 v3, v3, v1
	s_wait_dscnt 0x0
	v_add_nc_u32_e32 v1, v3, v1
	ds_bpermute_b32 v2, v2, v1
	s_wait_dscnt 0x0
	v_add_nc_u32_e32 v1, v2, v1
.LBB522_521:
	s_wait_alu 0xfffe
	s_or_b32 exec_lo, exec_lo, s2
	s_mov_b32 s2, 0
	s_branch .LBB522_574
.LBB522_522:
                                        ; implicit-def: $vgpr1
	s_cbranch_execnz .LBB522_614
	s_branch .LBB522_623
.LBB522_523:
                                        ; implicit-def: $vgpr1
	s_cbranch_execz .LBB522_597
; %bb.524:
	s_cmp_eq_u32 s79, 4
	s_cbranch_scc0 .LBB522_532
; %bb.525:
	s_mov_b32 s69, 0
	s_lshl_b32 s10, s68, 10
	s_mov_b32 s11, s69
	s_lshr_b64 s[0:1], s[84:85], 10
	s_lshl_b64 s[2:3], s[10:11], 4
	s_cmp_lg_u64 s[0:1], s[68:69]
	s_add_nc_u64 s[0:1], s[72:73], s[2:3]
	s_cbranch_scc0 .LBB522_598
; %bb.526:
	v_lshlrev_b32_e32 v13, 4, v0
	s_clause 0x3
	global_load_b128 v[1:4], v13, s[0:1]
	global_load_b128 v[5:8], v13, s[0:1] offset:8192
	global_load_b128 v[9:12], v13, s[0:1] offset:4096
	;; [unrolled: 1-line block ×3, first 2 shown]
	s_wait_loadcnt 0x3
	v_cmp_neq_f64_e32 vcc_lo, 0, v[1:2]
	v_cmp_neq_f64_e64 s2, 0, v[3:4]
	s_wait_loadcnt 0x2
	v_cmp_neq_f64_e64 s3, 0, v[5:6]
	v_cmp_neq_f64_e64 s4, 0, v[7:8]
	s_wait_loadcnt 0x1
	v_cmp_neq_f64_e64 s5, 0, v[9:10]
	;; [unrolled: 3-line block ×3, first 2 shown]
	v_cmp_neq_f64_e64 s8, 0, v[15:16]
	s_or_b32 s2, vcc_lo, s2
	s_delay_alu instid0(SALU_CYCLE_1)
	v_cndmask_b32_e64 v1, 0, 1, s2
	s_or_b32 s2, s3, s4
	s_or_b32 vcc_lo, s5, s6
	s_wait_alu 0xfffe
	v_cndmask_b32_e64 v2, 0, 1, s2
	s_mov_b32 s2, exec_lo
	v_add_co_ci_u32_e64 v1, null, 0, v1, vcc_lo
	s_or_b32 vcc_lo, s7, s8
	s_wait_alu 0xfffe
	v_add_co_ci_u32_e64 v1, null, v1, v2, vcc_lo
	s_delay_alu instid0(VALU_DEP_1) | instskip(NEXT) | instid1(VALU_DEP_1)
	v_mov_b32_dpp v2, v1 quad_perm:[1,0,3,2] row_mask:0xf bank_mask:0xf
	v_add_nc_u32_e32 v1, v1, v2
	s_delay_alu instid0(VALU_DEP_1) | instskip(NEXT) | instid1(VALU_DEP_1)
	v_mov_b32_dpp v2, v1 quad_perm:[2,3,0,1] row_mask:0xf bank_mask:0xf
	v_add_nc_u32_e32 v1, v1, v2
	s_delay_alu instid0(VALU_DEP_1) | instskip(NEXT) | instid1(VALU_DEP_1)
	v_mov_b32_dpp v2, v1 row_ror:4 row_mask:0xf bank_mask:0xf
	v_add_nc_u32_e32 v1, v1, v2
	s_delay_alu instid0(VALU_DEP_1) | instskip(NEXT) | instid1(VALU_DEP_1)
	v_mov_b32_dpp v2, v1 row_ror:8 row_mask:0xf bank_mask:0xf
	v_add_nc_u32_e32 v1, v1, v2
	ds_swizzle_b32 v2, v1 offset:swizzle(BROADCAST,32,15)
	s_wait_dscnt 0x0
	v_dual_mov_b32 v2, 0 :: v_dual_add_nc_u32 v1, v1, v2
	ds_bpermute_b32 v1, v2, v1 offset:124
	v_mbcnt_lo_u32_b32 v2, -1, 0
	s_delay_alu instid0(VALU_DEP_1)
	v_cmpx_eq_u32_e32 0, v2
	s_cbranch_execz .LBB522_528
; %bb.527:
	v_lshrrev_b32_e32 v3, 3, v0
	s_delay_alu instid0(VALU_DEP_1)
	v_and_b32_e32 v3, 28, v3
	s_wait_dscnt 0x0
	ds_store_b32 v3, v1 offset:160
.LBB522_528:
	s_or_b32 exec_lo, exec_lo, s2
	s_delay_alu instid0(SALU_CYCLE_1)
	s_mov_b32 s2, exec_lo
	s_wait_dscnt 0x0
	s_barrier_signal -1
	s_barrier_wait -1
	global_inv scope:SCOPE_SE
	v_cmpx_gt_u32_e32 32, v0
	s_cbranch_execz .LBB522_530
; %bb.529:
	v_and_b32_e32 v1, 7, v2
	s_delay_alu instid0(VALU_DEP_1)
	v_lshlrev_b32_e32 v3, 2, v1
	v_cmp_ne_u32_e32 vcc_lo, 7, v1
	ds_load_b32 v3, v3 offset:160
	s_wait_alu 0xfffd
	v_add_co_ci_u32_e64 v4, null, 0, v2, vcc_lo
	v_cmp_gt_u32_e32 vcc_lo, 6, v1
	s_delay_alu instid0(VALU_DEP_2) | instskip(SKIP_2) | instid1(VALU_DEP_1)
	v_lshlrev_b32_e32 v4, 2, v4
	s_wait_alu 0xfffd
	v_cndmask_b32_e64 v1, 0, 2, vcc_lo
	v_add_lshl_u32 v1, v1, v2, 2
	v_lshlrev_b32_e32 v2, 2, v2
	s_delay_alu instid0(VALU_DEP_1)
	v_or_b32_e32 v2, 16, v2
	s_wait_dscnt 0x0
	ds_bpermute_b32 v4, v4, v3
	s_wait_dscnt 0x0
	v_add_nc_u32_e32 v3, v4, v3
	ds_bpermute_b32 v1, v1, v3
	s_wait_dscnt 0x0
	v_add_nc_u32_e32 v1, v1, v3
	ds_bpermute_b32 v2, v2, v1
	s_wait_dscnt 0x0
	v_add_nc_u32_e32 v1, v2, v1
.LBB522_530:
	s_wait_alu 0xfffe
	s_or_b32 exec_lo, exec_lo, s2
	s_mov_b32 s2, 0
	s_branch .LBB522_599
.LBB522_531:
                                        ; implicit-def: $vgpr1
	s_branch .LBB522_597
.LBB522_532:
                                        ; implicit-def: $vgpr1
	s_branch .LBB522_623
.LBB522_533:
	s_mov_b32 s2, -1
                                        ; implicit-def: $vgpr1
.LBB522_534:
	s_wait_alu 0xfffe
	s_and_b32 vcc_lo, exec_lo, s2
	s_wait_alu 0xfffe
	s_cbranch_vccz .LBB522_572
; %bb.535:
	v_mov_b32_e32 v1, 0
	s_sub_co_i32 s18, s84, s34
	s_mov_b32 s3, exec_lo
	s_delay_alu instid0(VALU_DEP_1)
	v_dual_mov_b32 v2, v1 :: v_dual_mov_b32 v3, v1
	v_dual_mov_b32 v4, v1 :: v_dual_mov_b32 v5, v1
	v_dual_mov_b32 v6, v1 :: v_dual_mov_b32 v7, v1
	v_dual_mov_b32 v8, v1 :: v_dual_mov_b32 v9, v1
	v_dual_mov_b32 v10, v1 :: v_dual_mov_b32 v11, v1
	v_dual_mov_b32 v12, v1 :: v_dual_mov_b32 v13, v1
	v_dual_mov_b32 v14, v1 :: v_dual_mov_b32 v15, v1
	v_mov_b32_e32 v16, v1
	v_cmpx_gt_u32_e64 s18, v0
	s_cbranch_execz .LBB522_537
; %bb.536:
	v_lshlrev_b32_e32 v2, 4, v0
	v_dual_mov_b32 v16, v1 :: v_dual_mov_b32 v17, v1
	v_dual_mov_b32 v6, v1 :: v_dual_mov_b32 v7, v1
	global_load_b128 v[2:5], v2, s[0:1]
	v_dual_mov_b32 v8, v1 :: v_dual_mov_b32 v9, v1
	v_dual_mov_b32 v10, v1 :: v_dual_mov_b32 v11, v1
	;; [unrolled: 1-line block ×4, first 2 shown]
	s_wait_loadcnt 0x0
	v_cmp_neq_f64_e32 vcc_lo, 0, v[2:3]
	v_cmp_neq_f64_e64 s2, 0, v[4:5]
	v_dual_mov_b32 v3, v1 :: v_dual_mov_b32 v4, v1
	v_mov_b32_e32 v5, v1
	s_or_b32 s2, vcc_lo, s2
	s_wait_alu 0xfffe
	v_cndmask_b32_e64 v2, 0, 1, s2
	s_delay_alu instid0(VALU_DEP_1) | instskip(NEXT) | instid1(VALU_DEP_1)
	v_and_b32_e32 v2, 0xffff, v2
	v_mov_b32_e32 v1, v2
	v_mov_b32_e32 v2, v3
	;; [unrolled: 1-line block ×16, first 2 shown]
.LBB522_537:
	s_wait_alu 0xfffe
	s_or_b32 exec_lo, exec_lo, s3
	v_or_b32_e32 v17, 0x100, v0
	s_delay_alu instid0(VALU_DEP_1)
	v_cmp_gt_u32_e32 vcc_lo, s18, v17
	s_and_saveexec_b32 s4, vcc_lo
	s_cbranch_execz .LBB522_539
; %bb.538:
	v_lshlrev_b32_e32 v2, 4, v0
	global_load_b128 v[17:20], v2, s[0:1] offset:4096
	s_wait_loadcnt 0x0
	v_cmp_neq_f64_e64 s2, 0, v[17:18]
	v_cmp_neq_f64_e64 s3, 0, v[19:20]
	s_or_b32 s2, s2, s3
	s_wait_alu 0xfffe
	v_cndmask_b32_e64 v2, 0, 1, s2
.LBB522_539:
	s_or_b32 exec_lo, exec_lo, s4
	v_or_b32_e32 v17, 0x200, v0
	s_delay_alu instid0(VALU_DEP_1)
	v_cmp_gt_u32_e64 s2, s18, v17
	s_and_saveexec_b32 s5, s2
	s_cbranch_execz .LBB522_541
; %bb.540:
	v_lshlrev_b32_e32 v3, 4, v0
	global_load_b128 v[17:20], v3, s[0:1] offset:8192
	s_wait_loadcnt 0x0
	v_cmp_neq_f64_e64 s3, 0, v[17:18]
	v_cmp_neq_f64_e64 s4, 0, v[19:20]
	s_or_b32 s3, s3, s4
	s_wait_alu 0xfffe
	v_cndmask_b32_e64 v3, 0, 1, s3
.LBB522_541:
	s_or_b32 exec_lo, exec_lo, s5
	v_or_b32_e32 v17, 0x300, v0
	s_delay_alu instid0(VALU_DEP_1)
	v_cmp_gt_u32_e64 s3, s18, v17
	s_and_saveexec_b32 s6, s3
	s_cbranch_execz .LBB522_543
; %bb.542:
	v_lshlrev_b32_e32 v4, 4, v0
	global_load_b128 v[17:20], v4, s[0:1] offset:12288
	s_wait_loadcnt 0x0
	v_cmp_neq_f64_e64 s4, 0, v[17:18]
	v_cmp_neq_f64_e64 s5, 0, v[19:20]
	s_or_b32 s4, s4, s5
	s_delay_alu instid0(SALU_CYCLE_1)
	v_cndmask_b32_e64 v4, 0, 1, s4
.LBB522_543:
	s_or_b32 exec_lo, exec_lo, s6
	v_or_b32_e32 v17, 0x400, v0
	s_delay_alu instid0(VALU_DEP_1)
	v_cmp_gt_u32_e64 s4, s18, v17
	s_and_saveexec_b32 s7, s4
	s_cbranch_execz .LBB522_545
; %bb.544:
	v_lshlrev_b32_e32 v5, 4, v0
	global_load_b128 v[17:20], v5, s[0:1] offset:16384
	s_wait_loadcnt 0x0
	v_cmp_neq_f64_e64 s5, 0, v[17:18]
	v_cmp_neq_f64_e64 s6, 0, v[19:20]
	s_or_b32 s5, s5, s6
	s_wait_alu 0xfffe
	v_cndmask_b32_e64 v5, 0, 1, s5
.LBB522_545:
	s_or_b32 exec_lo, exec_lo, s7
	v_or_b32_e32 v17, 0x500, v0
	s_delay_alu instid0(VALU_DEP_1)
	v_cmp_gt_u32_e64 s5, s18, v17
	s_and_saveexec_b32 s8, s5
	s_cbranch_execz .LBB522_547
; %bb.546:
	v_lshlrev_b32_e32 v6, 4, v0
	global_load_b128 v[17:20], v6, s[0:1] offset:20480
	s_wait_loadcnt 0x0
	v_cmp_neq_f64_e64 s6, 0, v[17:18]
	v_cmp_neq_f64_e64 s7, 0, v[19:20]
	s_or_b32 s6, s6, s7
	s_delay_alu instid0(SALU_CYCLE_1)
	v_cndmask_b32_e64 v6, 0, 1, s6
.LBB522_547:
	;; [unrolled: 32-line block ×7, first 2 shown]
	s_wait_alu 0xfffe
	s_or_b32 exec_lo, exec_lo, s19
	v_cndmask_b32_e32 v2, 0, v2, vcc_lo
	v_cndmask_b32_e64 v3, 0, v3, s2
	v_cndmask_b32_e64 v4, 0, v4, s3
	s_min_u32 s0, s18, 0x100
	s_mov_b32 s1, exec_lo
	v_add_nc_u32_e32 v1, v2, v1
	v_cndmask_b32_e64 v2, 0, v5, s4
	v_cndmask_b32_e64 v5, 0, v6, s5
	;; [unrolled: 1-line block ×3, first 2 shown]
	s_delay_alu instid0(VALU_DEP_4) | instskip(SKIP_3) | instid1(VALU_DEP_4)
	v_add3_u32 v1, v1, v3, v4
	v_cndmask_b32_e64 v3, 0, v7, s6
	v_cndmask_b32_e64 v4, 0, v8, s7
	;; [unrolled: 1-line block ×3, first 2 shown]
	v_add3_u32 v1, v1, v2, v5
	v_cndmask_b32_e64 v2, 0, v9, s8
	v_cndmask_b32_e64 v5, 0, v10, s9
	s_delay_alu instid0(VALU_DEP_3) | instskip(SKIP_2) | instid1(VALU_DEP_3)
	v_add3_u32 v1, v1, v3, v4
	v_cndmask_b32_e64 v3, 0, v11, s10
	v_cndmask_b32_e64 v4, 0, v12, s11
	v_add3_u32 v1, v1, v2, v5
	v_mbcnt_lo_u32_b32 v2, -1, 0
	v_cndmask_b32_e64 v5, 0, v13, s12
	s_delay_alu instid0(VALU_DEP_3) | instskip(NEXT) | instid1(VALU_DEP_3)
	v_add3_u32 v1, v1, v3, v4
	v_cmp_ne_u32_e32 vcc_lo, 31, v2
	v_cndmask_b32_e64 v3, 0, v16, s15
	s_delay_alu instid0(VALU_DEP_3)
	v_add3_u32 v1, v1, v5, v6
	s_wait_alu 0xfffd
	v_add_co_ci_u32_e64 v4, null, 0, v2, vcc_lo
	v_add_nc_u32_e32 v5, 1, v2
	v_cmp_gt_u32_e32 vcc_lo, 30, v2
	v_add3_u32 v1, v1, v7, v3
	s_delay_alu instid0(VALU_DEP_4)
	v_lshlrev_b32_e32 v4, 2, v4
	s_wait_alu 0xfffd
	v_cndmask_b32_e64 v6, 0, 2, vcc_lo
	ds_bpermute_b32 v3, v4, v1
	v_and_b32_e32 v4, 0xe0, v0
	s_wait_alu 0xfffe
	s_delay_alu instid0(VALU_DEP_1) | instskip(NEXT) | instid1(VALU_DEP_1)
	v_sub_nc_u32_e64 v4, s0, v4 clamp
	v_cmp_lt_u32_e32 vcc_lo, v5, v4
	v_add_lshl_u32 v5, v6, v2, 2
	s_wait_dscnt 0x0
	s_wait_alu 0xfffd
	v_cndmask_b32_e32 v3, 0, v3, vcc_lo
	v_cmp_gt_u32_e32 vcc_lo, 28, v2
	s_delay_alu instid0(VALU_DEP_2) | instskip(SKIP_4) | instid1(VALU_DEP_1)
	v_add_nc_u32_e32 v1, v1, v3
	s_wait_alu 0xfffd
	v_cndmask_b32_e64 v6, 0, 4, vcc_lo
	ds_bpermute_b32 v3, v5, v1
	v_add_nc_u32_e32 v5, 2, v2
	v_cmp_lt_u32_e32 vcc_lo, v5, v4
	v_add_lshl_u32 v5, v6, v2, 2
	s_wait_dscnt 0x0
	s_wait_alu 0xfffd
	v_cndmask_b32_e32 v3, 0, v3, vcc_lo
	v_cmp_gt_u32_e32 vcc_lo, 24, v2
	s_delay_alu instid0(VALU_DEP_2) | instskip(SKIP_4) | instid1(VALU_DEP_1)
	v_add_nc_u32_e32 v1, v1, v3
	s_wait_alu 0xfffd
	v_cndmask_b32_e64 v6, 0, 8, vcc_lo
	ds_bpermute_b32 v3, v5, v1
	v_add_nc_u32_e32 v5, 4, v2
	v_cmp_lt_u32_e32 vcc_lo, v5, v4
	v_add_lshl_u32 v5, v6, v2, 2
	s_wait_dscnt 0x0
	s_wait_alu 0xfffd
	v_cndmask_b32_e32 v3, 0, v3, vcc_lo
	s_delay_alu instid0(VALU_DEP_1) | instskip(SKIP_3) | instid1(VALU_DEP_1)
	v_add_nc_u32_e32 v1, v1, v3
	v_lshlrev_b32_e32 v3, 2, v2
	ds_bpermute_b32 v5, v5, v1
	v_add_nc_u32_e32 v6, 8, v2
	v_cmp_lt_u32_e32 vcc_lo, v6, v4
	v_or_b32_e32 v6, 64, v3
	s_wait_dscnt 0x0
	s_wait_alu 0xfffd
	v_cndmask_b32_e32 v5, 0, v5, vcc_lo
	s_delay_alu instid0(VALU_DEP_1) | instskip(SKIP_2) | instid1(VALU_DEP_1)
	v_add_nc_u32_e32 v1, v1, v5
	ds_bpermute_b32 v5, v6, v1
	v_add_nc_u32_e32 v6, 16, v2
	v_cmp_lt_u32_e32 vcc_lo, v6, v4
	s_wait_dscnt 0x0
	s_wait_alu 0xfffd
	v_cndmask_b32_e32 v4, 0, v5, vcc_lo
	s_delay_alu instid0(VALU_DEP_1)
	v_add_nc_u32_e32 v1, v1, v4
	v_cmpx_eq_u32_e32 0, v2
; %bb.568:
	v_lshrrev_b32_e32 v4, 3, v0
	s_delay_alu instid0(VALU_DEP_1)
	v_and_b32_e32 v4, 28, v4
	ds_store_b32 v4, v1 offset:256
; %bb.569:
	s_or_b32 exec_lo, exec_lo, s1
	s_delay_alu instid0(SALU_CYCLE_1)
	s_mov_b32 s1, exec_lo
	s_wait_loadcnt_dscnt 0x0
	s_barrier_signal -1
	s_barrier_wait -1
	global_inv scope:SCOPE_SE
	v_cmpx_gt_u32_e32 8, v0
	s_cbranch_execz .LBB522_571
; %bb.570:
	ds_load_b32 v1, v3 offset:256
	v_and_b32_e32 v4, 7, v2
	s_add_co_i32 s0, s0, 31
	s_wait_alu 0xfffe
	s_lshr_b32 s0, s0, 5
	s_delay_alu instid0(VALU_DEP_1) | instskip(SKIP_4) | instid1(VALU_DEP_2)
	v_cmp_ne_u32_e32 vcc_lo, 7, v4
	v_add_nc_u32_e32 v6, 1, v4
	s_wait_alu 0xfffd
	v_add_co_ci_u32_e64 v5, null, 0, v2, vcc_lo
	v_cmp_gt_u32_e32 vcc_lo, 6, v4
	v_lshlrev_b32_e32 v5, 2, v5
	s_wait_alu 0xfffd
	v_cndmask_b32_e64 v7, 0, 2, vcc_lo
	s_wait_alu 0xfffe
	v_cmp_gt_u32_e32 vcc_lo, s0, v6
	s_wait_dscnt 0x0
	ds_bpermute_b32 v5, v5, v1
	v_add_lshl_u32 v2, v7, v2, 2
	s_wait_dscnt 0x0
	s_wait_alu 0xfffd
	v_cndmask_b32_e32 v5, 0, v5, vcc_lo
	s_delay_alu instid0(VALU_DEP_1)
	v_add_nc_u32_e32 v1, v5, v1
	v_add_nc_u32_e32 v5, 2, v4
	ds_bpermute_b32 v2, v2, v1
	v_cmp_gt_u32_e32 vcc_lo, s0, v5
	s_wait_dscnt 0x0
	s_wait_alu 0xfffd
	v_cndmask_b32_e32 v2, 0, v2, vcc_lo
	s_delay_alu instid0(VALU_DEP_1)
	v_add_nc_u32_e32 v1, v1, v2
	v_or_b32_e32 v2, 16, v3
	v_add_nc_u32_e32 v3, 4, v4
	ds_bpermute_b32 v2, v2, v1
	v_cmp_gt_u32_e32 vcc_lo, s0, v3
	s_wait_dscnt 0x0
	s_wait_alu 0xfffd
	v_cndmask_b32_e32 v2, 0, v2, vcc_lo
	s_delay_alu instid0(VALU_DEP_1)
	v_add_nc_u32_e32 v1, v1, v2
.LBB522_571:
	s_wait_alu 0xfffe
	s_or_b32 exec_lo, exec_lo, s1
.LBB522_572:
	v_cmp_eq_u32_e64 s0, 0, v0
	s_branch .LBB522_623
.LBB522_573:
	s_mov_b32 s2, -1
                                        ; implicit-def: $vgpr1
.LBB522_574:
	s_wait_alu 0xfffe
	s_and_b32 vcc_lo, exec_lo, s2
	s_wait_alu 0xfffe
	s_cbranch_vccz .LBB522_596
; %bb.575:
	v_mov_b32_e32 v1, 0
	s_sub_co_i32 s10, s84, s18
	s_mov_b32 s3, exec_lo
	s_delay_alu instid0(VALU_DEP_1)
	v_dual_mov_b32 v2, v1 :: v_dual_mov_b32 v3, v1
	v_dual_mov_b32 v4, v1 :: v_dual_mov_b32 v5, v1
	;; [unrolled: 1-line block ×3, first 2 shown]
	v_mov_b32_e32 v8, v1
	v_cmpx_gt_u32_e64 s10, v0
	s_cbranch_execz .LBB522_577
; %bb.576:
	v_lshlrev_b32_e32 v2, 4, v0
	v_dual_mov_b32 v8, v1 :: v_dual_mov_b32 v9, v1
	v_dual_mov_b32 v6, v1 :: v_dual_mov_b32 v7, v1
	global_load_b128 v[2:5], v2, s[0:1]
	s_wait_loadcnt 0x0
	v_cmp_neq_f64_e32 vcc_lo, 0, v[2:3]
	v_cmp_neq_f64_e64 s2, 0, v[4:5]
	v_dual_mov_b32 v3, v1 :: v_dual_mov_b32 v4, v1
	v_mov_b32_e32 v5, v1
	s_or_b32 s2, vcc_lo, s2
	s_wait_alu 0xfffe
	v_cndmask_b32_e64 v2, 0, 1, s2
	s_delay_alu instid0(VALU_DEP_1) | instskip(NEXT) | instid1(VALU_DEP_1)
	v_and_b32_e32 v2, 0xffff, v2
	v_mov_b32_e32 v1, v2
	v_mov_b32_e32 v2, v3
	;; [unrolled: 1-line block ×8, first 2 shown]
.LBB522_577:
	s_wait_alu 0xfffe
	s_or_b32 exec_lo, exec_lo, s3
	v_or_b32_e32 v9, 0x100, v0
	s_delay_alu instid0(VALU_DEP_1)
	v_cmp_gt_u32_e32 vcc_lo, s10, v9
	s_and_saveexec_b32 s4, vcc_lo
	s_cbranch_execz .LBB522_579
; %bb.578:
	v_lshlrev_b32_e32 v2, 4, v0
	global_load_b128 v[9:12], v2, s[0:1] offset:4096
	s_wait_loadcnt 0x0
	v_cmp_neq_f64_e64 s2, 0, v[9:10]
	v_cmp_neq_f64_e64 s3, 0, v[11:12]
	s_or_b32 s2, s2, s3
	s_wait_alu 0xfffe
	v_cndmask_b32_e64 v2, 0, 1, s2
.LBB522_579:
	s_or_b32 exec_lo, exec_lo, s4
	v_or_b32_e32 v9, 0x200, v0
	s_delay_alu instid0(VALU_DEP_1)
	v_cmp_gt_u32_e64 s2, s10, v9
	s_and_saveexec_b32 s5, s2
	s_cbranch_execz .LBB522_581
; %bb.580:
	v_lshlrev_b32_e32 v3, 4, v0
	global_load_b128 v[9:12], v3, s[0:1] offset:8192
	s_wait_loadcnt 0x0
	v_cmp_neq_f64_e64 s3, 0, v[9:10]
	v_cmp_neq_f64_e64 s4, 0, v[11:12]
	s_or_b32 s3, s3, s4
	s_wait_alu 0xfffe
	v_cndmask_b32_e64 v3, 0, 1, s3
.LBB522_581:
	s_or_b32 exec_lo, exec_lo, s5
	v_or_b32_e32 v9, 0x300, v0
	s_delay_alu instid0(VALU_DEP_1)
	v_cmp_gt_u32_e64 s3, s10, v9
	s_and_saveexec_b32 s6, s3
	s_cbranch_execz .LBB522_583
; %bb.582:
	v_lshlrev_b32_e32 v4, 4, v0
	global_load_b128 v[9:12], v4, s[0:1] offset:12288
	s_wait_loadcnt 0x0
	v_cmp_neq_f64_e64 s4, 0, v[9:10]
	v_cmp_neq_f64_e64 s5, 0, v[11:12]
	s_or_b32 s4, s4, s5
	s_delay_alu instid0(SALU_CYCLE_1)
	v_cndmask_b32_e64 v4, 0, 1, s4
.LBB522_583:
	s_or_b32 exec_lo, exec_lo, s6
	v_or_b32_e32 v9, 0x400, v0
	s_delay_alu instid0(VALU_DEP_1)
	v_cmp_gt_u32_e64 s4, s10, v9
	s_and_saveexec_b32 s7, s4
	s_cbranch_execz .LBB522_585
; %bb.584:
	v_lshlrev_b32_e32 v5, 4, v0
	global_load_b128 v[9:12], v5, s[0:1] offset:16384
	s_wait_loadcnt 0x0
	v_cmp_neq_f64_e64 s5, 0, v[9:10]
	v_cmp_neq_f64_e64 s6, 0, v[11:12]
	s_or_b32 s5, s5, s6
	s_wait_alu 0xfffe
	v_cndmask_b32_e64 v5, 0, 1, s5
.LBB522_585:
	s_or_b32 exec_lo, exec_lo, s7
	v_or_b32_e32 v9, 0x500, v0
	s_delay_alu instid0(VALU_DEP_1)
	v_cmp_gt_u32_e64 s5, s10, v9
	s_and_saveexec_b32 s8, s5
	s_cbranch_execz .LBB522_587
; %bb.586:
	v_lshlrev_b32_e32 v6, 4, v0
	global_load_b128 v[9:12], v6, s[0:1] offset:20480
	s_wait_loadcnt 0x0
	v_cmp_neq_f64_e64 s6, 0, v[9:10]
	v_cmp_neq_f64_e64 s7, 0, v[11:12]
	s_or_b32 s6, s6, s7
	s_delay_alu instid0(SALU_CYCLE_1)
	v_cndmask_b32_e64 v6, 0, 1, s6
.LBB522_587:
	;; [unrolled: 32-line block ×3, first 2 shown]
	s_wait_alu 0xfffe
	s_or_b32 exec_lo, exec_lo, s11
	v_cndmask_b32_e32 v2, 0, v2, vcc_lo
	v_cndmask_b32_e64 v3, 0, v3, s2
	v_cndmask_b32_e64 v4, 0, v4, s3
	;; [unrolled: 1-line block ×4, first 2 shown]
	v_add_nc_u32_e32 v1, v2, v1
	v_mbcnt_lo_u32_b32 v2, -1, 0
	v_cndmask_b32_e64 v7, 0, v7, s6
	s_min_u32 s0, s10, 0x100
	s_mov_b32 s1, exec_lo
	v_add3_u32 v1, v1, v3, v4
	v_cmp_ne_u32_e32 vcc_lo, 31, v2
	v_cndmask_b32_e64 v3, 0, v8, s7
	s_delay_alu instid0(VALU_DEP_3)
	v_add3_u32 v1, v1, v5, v6
	s_wait_alu 0xfffd
	v_add_co_ci_u32_e64 v4, null, 0, v2, vcc_lo
	v_add_nc_u32_e32 v5, 1, v2
	v_cmp_gt_u32_e32 vcc_lo, 30, v2
	v_add3_u32 v1, v1, v7, v3
	s_delay_alu instid0(VALU_DEP_4)
	v_lshlrev_b32_e32 v4, 2, v4
	s_wait_alu 0xfffd
	v_cndmask_b32_e64 v6, 0, 2, vcc_lo
	ds_bpermute_b32 v3, v4, v1
	v_and_b32_e32 v4, 0xe0, v0
	s_wait_alu 0xfffe
	s_delay_alu instid0(VALU_DEP_1) | instskip(NEXT) | instid1(VALU_DEP_1)
	v_sub_nc_u32_e64 v4, s0, v4 clamp
	v_cmp_lt_u32_e32 vcc_lo, v5, v4
	v_add_lshl_u32 v5, v6, v2, 2
	s_wait_dscnt 0x0
	s_wait_alu 0xfffd
	v_cndmask_b32_e32 v3, 0, v3, vcc_lo
	v_cmp_gt_u32_e32 vcc_lo, 28, v2
	s_delay_alu instid0(VALU_DEP_2) | instskip(SKIP_4) | instid1(VALU_DEP_1)
	v_add_nc_u32_e32 v1, v1, v3
	s_wait_alu 0xfffd
	v_cndmask_b32_e64 v6, 0, 4, vcc_lo
	ds_bpermute_b32 v3, v5, v1
	v_add_nc_u32_e32 v5, 2, v2
	v_cmp_lt_u32_e32 vcc_lo, v5, v4
	v_add_lshl_u32 v5, v6, v2, 2
	s_wait_dscnt 0x0
	s_wait_alu 0xfffd
	v_cndmask_b32_e32 v3, 0, v3, vcc_lo
	v_cmp_gt_u32_e32 vcc_lo, 24, v2
	s_delay_alu instid0(VALU_DEP_2) | instskip(SKIP_4) | instid1(VALU_DEP_1)
	v_add_nc_u32_e32 v1, v1, v3
	s_wait_alu 0xfffd
	v_cndmask_b32_e64 v6, 0, 8, vcc_lo
	ds_bpermute_b32 v3, v5, v1
	v_add_nc_u32_e32 v5, 4, v2
	v_cmp_lt_u32_e32 vcc_lo, v5, v4
	v_add_lshl_u32 v5, v6, v2, 2
	s_wait_dscnt 0x0
	s_wait_alu 0xfffd
	v_cndmask_b32_e32 v3, 0, v3, vcc_lo
	s_delay_alu instid0(VALU_DEP_1) | instskip(SKIP_3) | instid1(VALU_DEP_1)
	v_add_nc_u32_e32 v1, v1, v3
	v_lshlrev_b32_e32 v3, 2, v2
	ds_bpermute_b32 v5, v5, v1
	v_add_nc_u32_e32 v6, 8, v2
	v_cmp_lt_u32_e32 vcc_lo, v6, v4
	v_or_b32_e32 v6, 64, v3
	s_wait_dscnt 0x0
	s_wait_alu 0xfffd
	v_cndmask_b32_e32 v5, 0, v5, vcc_lo
	s_delay_alu instid0(VALU_DEP_1) | instskip(SKIP_2) | instid1(VALU_DEP_1)
	v_add_nc_u32_e32 v1, v1, v5
	ds_bpermute_b32 v5, v6, v1
	v_add_nc_u32_e32 v6, 16, v2
	v_cmp_lt_u32_e32 vcc_lo, v6, v4
	s_wait_dscnt 0x0
	s_wait_alu 0xfffd
	v_cndmask_b32_e32 v4, 0, v5, vcc_lo
	s_delay_alu instid0(VALU_DEP_1)
	v_add_nc_u32_e32 v1, v1, v4
	v_cmpx_eq_u32_e32 0, v2
; %bb.592:
	v_lshrrev_b32_e32 v4, 3, v0
	s_delay_alu instid0(VALU_DEP_1)
	v_and_b32_e32 v4, 28, v4
	ds_store_b32 v4, v1 offset:256
; %bb.593:
	s_or_b32 exec_lo, exec_lo, s1
	s_delay_alu instid0(SALU_CYCLE_1)
	s_mov_b32 s1, exec_lo
	s_wait_loadcnt_dscnt 0x0
	s_barrier_signal -1
	s_barrier_wait -1
	global_inv scope:SCOPE_SE
	v_cmpx_gt_u32_e32 8, v0
	s_cbranch_execz .LBB522_595
; %bb.594:
	ds_load_b32 v1, v3 offset:256
	v_and_b32_e32 v4, 7, v2
	s_add_co_i32 s0, s0, 31
	s_wait_alu 0xfffe
	s_lshr_b32 s0, s0, 5
	s_delay_alu instid0(VALU_DEP_1) | instskip(SKIP_4) | instid1(VALU_DEP_2)
	v_cmp_ne_u32_e32 vcc_lo, 7, v4
	v_add_nc_u32_e32 v6, 1, v4
	s_wait_alu 0xfffd
	v_add_co_ci_u32_e64 v5, null, 0, v2, vcc_lo
	v_cmp_gt_u32_e32 vcc_lo, 6, v4
	v_lshlrev_b32_e32 v5, 2, v5
	s_wait_alu 0xfffd
	v_cndmask_b32_e64 v7, 0, 2, vcc_lo
	s_wait_alu 0xfffe
	v_cmp_gt_u32_e32 vcc_lo, s0, v6
	s_wait_dscnt 0x0
	ds_bpermute_b32 v5, v5, v1
	v_add_lshl_u32 v2, v7, v2, 2
	s_wait_dscnt 0x0
	s_wait_alu 0xfffd
	v_cndmask_b32_e32 v5, 0, v5, vcc_lo
	s_delay_alu instid0(VALU_DEP_1)
	v_add_nc_u32_e32 v1, v5, v1
	v_add_nc_u32_e32 v5, 2, v4
	ds_bpermute_b32 v2, v2, v1
	v_cmp_gt_u32_e32 vcc_lo, s0, v5
	s_wait_dscnt 0x0
	s_wait_alu 0xfffd
	v_cndmask_b32_e32 v2, 0, v2, vcc_lo
	s_delay_alu instid0(VALU_DEP_1)
	v_add_nc_u32_e32 v1, v1, v2
	v_or_b32_e32 v2, 16, v3
	v_add_nc_u32_e32 v3, 4, v4
	ds_bpermute_b32 v2, v2, v1
	v_cmp_gt_u32_e32 vcc_lo, s0, v3
	s_wait_dscnt 0x0
	s_wait_alu 0xfffd
	v_cndmask_b32_e32 v2, 0, v2, vcc_lo
	s_delay_alu instid0(VALU_DEP_1)
	v_add_nc_u32_e32 v1, v1, v2
.LBB522_595:
	s_wait_alu 0xfffe
	s_or_b32 exec_lo, exec_lo, s1
.LBB522_596:
	v_cmp_eq_u32_e64 s0, 0, v0
.LBB522_597:
	s_branch .LBB522_623
.LBB522_598:
	s_mov_b32 s2, -1
                                        ; implicit-def: $vgpr1
.LBB522_599:
	s_wait_alu 0xfffe
	s_and_b32 vcc_lo, exec_lo, s2
	s_wait_alu 0xfffe
	s_cbranch_vccz .LBB522_613
; %bb.600:
	v_mov_b32_e32 v1, 0
	s_sub_co_i32 s6, s84, s10
	s_mov_b32 s3, exec_lo
	s_delay_alu instid0(VALU_DEP_1)
	v_dual_mov_b32 v2, v1 :: v_dual_mov_b32 v3, v1
	v_mov_b32_e32 v4, v1
	v_cmpx_gt_u32_e64 s6, v0
	s_cbranch_execz .LBB522_602
; %bb.601:
	v_lshlrev_b32_e32 v2, 4, v0
	global_load_b128 v[2:5], v2, s[0:1]
	s_wait_loadcnt 0x0
	v_cmp_neq_f64_e32 vcc_lo, 0, v[2:3]
	v_cmp_neq_f64_e64 s2, 0, v[4:5]
	v_dual_mov_b32 v4, v1 :: v_dual_mov_b32 v5, v1
	v_mov_b32_e32 v3, v1
	s_or_b32 s2, vcc_lo, s2
	s_wait_alu 0xfffe
	v_cndmask_b32_e64 v2, 0, 1, s2
	s_delay_alu instid0(VALU_DEP_1) | instskip(NEXT) | instid1(VALU_DEP_1)
	v_and_b32_e32 v2, 0xffff, v2
	v_mov_b32_e32 v1, v2
	v_mov_b32_e32 v2, v3
	v_mov_b32_e32 v3, v4
	v_mov_b32_e32 v4, v5
.LBB522_602:
	s_wait_alu 0xfffe
	s_or_b32 exec_lo, exec_lo, s3
	v_or_b32_e32 v5, 0x100, v0
	s_delay_alu instid0(VALU_DEP_1)
	v_cmp_gt_u32_e32 vcc_lo, s6, v5
	s_and_saveexec_b32 s4, vcc_lo
	s_cbranch_execz .LBB522_604
; %bb.603:
	v_lshlrev_b32_e32 v2, 4, v0
	global_load_b128 v[5:8], v2, s[0:1] offset:4096
	s_wait_loadcnt 0x0
	v_cmp_neq_f64_e64 s2, 0, v[5:6]
	v_cmp_neq_f64_e64 s3, 0, v[7:8]
	s_or_b32 s2, s2, s3
	s_wait_alu 0xfffe
	v_cndmask_b32_e64 v2, 0, 1, s2
.LBB522_604:
	s_or_b32 exec_lo, exec_lo, s4
	v_or_b32_e32 v5, 0x200, v0
	s_delay_alu instid0(VALU_DEP_1)
	v_cmp_gt_u32_e64 s2, s6, v5
	s_and_saveexec_b32 s5, s2
	s_cbranch_execz .LBB522_606
; %bb.605:
	v_lshlrev_b32_e32 v3, 4, v0
	global_load_b128 v[5:8], v3, s[0:1] offset:8192
	s_wait_loadcnt 0x0
	v_cmp_neq_f64_e64 s3, 0, v[5:6]
	v_cmp_neq_f64_e64 s4, 0, v[7:8]
	s_or_b32 s3, s3, s4
	s_wait_alu 0xfffe
	v_cndmask_b32_e64 v3, 0, 1, s3
.LBB522_606:
	s_or_b32 exec_lo, exec_lo, s5
	v_or_b32_e32 v5, 0x300, v0
	s_delay_alu instid0(VALU_DEP_1)
	v_cmp_gt_u32_e64 s3, s6, v5
	s_and_saveexec_b32 s7, s3
	s_cbranch_execz .LBB522_608
; %bb.607:
	v_lshlrev_b32_e32 v4, 4, v0
	global_load_b128 v[4:7], v4, s[0:1] offset:12288
	s_wait_loadcnt 0x0
	v_cmp_neq_f64_e64 s4, 0, v[4:5]
	v_cmp_neq_f64_e64 s5, 0, v[6:7]
	s_or_b32 s0, s4, s5
	s_delay_alu instid0(SALU_CYCLE_1)
	v_cndmask_b32_e64 v4, 0, 1, s0
.LBB522_608:
	s_wait_alu 0xfffe
	s_or_b32 exec_lo, exec_lo, s7
	v_cndmask_b32_e32 v5, 0, v2, vcc_lo
	v_mbcnt_lo_u32_b32 v2, -1, 0
	v_cndmask_b32_e64 v3, 0, v3, s2
	v_cndmask_b32_e64 v4, 0, v4, s3
	s_min_u32 s0, s6, 0x100
	v_add_nc_u32_e32 v1, v5, v1
	v_cmp_ne_u32_e32 vcc_lo, 31, v2
	s_mov_b32 s1, exec_lo
	s_delay_alu instid0(VALU_DEP_2) | instskip(SKIP_4) | instid1(VALU_DEP_3)
	v_add3_u32 v1, v1, v3, v4
	s_wait_alu 0xfffd
	v_add_co_ci_u32_e64 v5, null, 0, v2, vcc_lo
	v_and_b32_e32 v4, 0xe0, v0
	v_cmp_gt_u32_e32 vcc_lo, 30, v2
	v_lshlrev_b32_e32 v3, 2, v5
	v_add_nc_u32_e32 v5, 1, v2
	s_wait_alu 0xfffe
	v_sub_nc_u32_e64 v4, s0, v4 clamp
	s_wait_alu 0xfffd
	v_cndmask_b32_e64 v6, 0, 2, vcc_lo
	ds_bpermute_b32 v3, v3, v1
	v_cmp_lt_u32_e32 vcc_lo, v5, v4
	v_add_lshl_u32 v5, v6, v2, 2
	s_wait_dscnt 0x0
	s_wait_alu 0xfffd
	v_cndmask_b32_e32 v3, 0, v3, vcc_lo
	v_cmp_gt_u32_e32 vcc_lo, 28, v2
	s_delay_alu instid0(VALU_DEP_2) | instskip(SKIP_4) | instid1(VALU_DEP_1)
	v_add_nc_u32_e32 v1, v3, v1
	s_wait_alu 0xfffd
	v_cndmask_b32_e64 v6, 0, 4, vcc_lo
	ds_bpermute_b32 v3, v5, v1
	v_add_nc_u32_e32 v5, 2, v2
	v_cmp_lt_u32_e32 vcc_lo, v5, v4
	v_add_lshl_u32 v5, v6, v2, 2
	s_wait_dscnt 0x0
	s_wait_alu 0xfffd
	v_cndmask_b32_e32 v3, 0, v3, vcc_lo
	v_cmp_gt_u32_e32 vcc_lo, 24, v2
	s_delay_alu instid0(VALU_DEP_2) | instskip(SKIP_4) | instid1(VALU_DEP_1)
	v_add_nc_u32_e32 v1, v1, v3
	s_wait_alu 0xfffd
	v_cndmask_b32_e64 v6, 0, 8, vcc_lo
	ds_bpermute_b32 v3, v5, v1
	v_add_nc_u32_e32 v5, 4, v2
	v_cmp_lt_u32_e32 vcc_lo, v5, v4
	v_add_lshl_u32 v5, v6, v2, 2
	s_wait_dscnt 0x0
	s_wait_alu 0xfffd
	v_dual_cndmask_b32 v3, 0, v3 :: v_dual_add_nc_u32 v6, 8, v2
	s_delay_alu instid0(VALU_DEP_1) | instskip(NEXT) | instid1(VALU_DEP_2)
	v_cmp_lt_u32_e32 vcc_lo, v6, v4
	v_add_nc_u32_e32 v1, v1, v3
	v_lshlrev_b32_e32 v3, 2, v2
	ds_bpermute_b32 v5, v5, v1
	v_or_b32_e32 v6, 64, v3
	s_wait_dscnt 0x0
	s_wait_alu 0xfffd
	v_cndmask_b32_e32 v5, 0, v5, vcc_lo
	s_delay_alu instid0(VALU_DEP_1) | instskip(SKIP_2) | instid1(VALU_DEP_1)
	v_add_nc_u32_e32 v1, v1, v5
	ds_bpermute_b32 v5, v6, v1
	v_add_nc_u32_e32 v6, 16, v2
	v_cmp_lt_u32_e32 vcc_lo, v6, v4
	s_wait_dscnt 0x0
	s_wait_alu 0xfffd
	v_cndmask_b32_e32 v4, 0, v5, vcc_lo
	s_delay_alu instid0(VALU_DEP_1)
	v_add_nc_u32_e32 v1, v1, v4
	v_cmpx_eq_u32_e32 0, v2
; %bb.609:
	v_lshrrev_b32_e32 v4, 3, v0
	s_delay_alu instid0(VALU_DEP_1)
	v_and_b32_e32 v4, 28, v4
	ds_store_b32 v4, v1 offset:256
; %bb.610:
	s_or_b32 exec_lo, exec_lo, s1
	s_delay_alu instid0(SALU_CYCLE_1)
	s_mov_b32 s1, exec_lo
	s_wait_loadcnt_dscnt 0x0
	s_barrier_signal -1
	s_barrier_wait -1
	global_inv scope:SCOPE_SE
	v_cmpx_gt_u32_e32 8, v0
	s_cbranch_execz .LBB522_612
; %bb.611:
	ds_load_b32 v1, v3 offset:256
	v_and_b32_e32 v4, 7, v2
	s_add_co_i32 s0, s0, 31
	s_wait_alu 0xfffe
	s_lshr_b32 s0, s0, 5
	s_delay_alu instid0(VALU_DEP_1) | instskip(SKIP_4) | instid1(VALU_DEP_2)
	v_cmp_ne_u32_e32 vcc_lo, 7, v4
	v_add_nc_u32_e32 v6, 1, v4
	s_wait_alu 0xfffd
	v_add_co_ci_u32_e64 v5, null, 0, v2, vcc_lo
	v_cmp_gt_u32_e32 vcc_lo, 6, v4
	v_lshlrev_b32_e32 v5, 2, v5
	s_wait_alu 0xfffd
	v_cndmask_b32_e64 v7, 0, 2, vcc_lo
	s_wait_alu 0xfffe
	v_cmp_gt_u32_e32 vcc_lo, s0, v6
	s_wait_dscnt 0x0
	ds_bpermute_b32 v5, v5, v1
	v_add_lshl_u32 v2, v7, v2, 2
	s_wait_dscnt 0x0
	s_wait_alu 0xfffd
	v_cndmask_b32_e32 v5, 0, v5, vcc_lo
	s_delay_alu instid0(VALU_DEP_1)
	v_add_nc_u32_e32 v1, v5, v1
	v_add_nc_u32_e32 v5, 2, v4
	ds_bpermute_b32 v2, v2, v1
	v_cmp_gt_u32_e32 vcc_lo, s0, v5
	s_wait_dscnt 0x0
	s_wait_alu 0xfffd
	v_cndmask_b32_e32 v2, 0, v2, vcc_lo
	s_delay_alu instid0(VALU_DEP_1)
	v_add_nc_u32_e32 v1, v1, v2
	v_or_b32_e32 v2, 16, v3
	v_add_nc_u32_e32 v3, 4, v4
	ds_bpermute_b32 v2, v2, v1
	v_cmp_gt_u32_e32 vcc_lo, s0, v3
	s_wait_dscnt 0x0
	s_wait_alu 0xfffd
	v_cndmask_b32_e32 v2, 0, v2, vcc_lo
	s_delay_alu instid0(VALU_DEP_1)
	v_add_nc_u32_e32 v1, v1, v2
.LBB522_612:
	s_wait_alu 0xfffe
	s_or_b32 exec_lo, exec_lo, s1
.LBB522_613:
	v_cmp_eq_u32_e64 s0, 0, v0
	s_branch .LBB522_623
.LBB522_614:
	s_cmp_gt_i32 s79, 1
	s_cbranch_scc0 .LBB522_622
; %bb.615:
	s_cmp_eq_u32 s79, 2
	s_cbranch_scc0 .LBB522_626
; %bb.616:
	s_mov_b32 s69, 0
	s_lshl_b32 s6, s68, 9
	s_mov_b32 s7, s69
	s_lshr_b64 s[0:1], s[84:85], 9
	s_lshl_b64 s[2:3], s[6:7], 4
	s_cmp_lg_u64 s[0:1], s[68:69]
	s_add_nc_u64 s[0:1], s[72:73], s[2:3]
	s_cbranch_scc0 .LBB522_627
; %bb.617:
	v_lshlrev_b32_e32 v5, 4, v0
	s_clause 0x1
	global_load_b128 v[1:4], v5, s[0:1]
	global_load_b128 v[5:8], v5, s[0:1] offset:4096
	s_wait_loadcnt 0x1
	v_cmp_neq_f64_e32 vcc_lo, 0, v[1:2]
	v_cmp_neq_f64_e64 s2, 0, v[3:4]
	s_wait_loadcnt 0x0
	v_cmp_neq_f64_e64 s3, 0, v[5:6]
	v_cmp_neq_f64_e64 s4, 0, v[7:8]
	s_or_b32 s2, vcc_lo, s2
	s_delay_alu instid0(SALU_CYCLE_1) | instskip(SKIP_2) | instid1(VALU_DEP_1)
	v_cndmask_b32_e64 v1, 0, 1, s2
	s_or_b32 vcc_lo, s3, s4
	s_mov_b32 s2, exec_lo
	v_add_co_ci_u32_e64 v2, null, 0, v1, vcc_lo
	s_delay_alu instid0(VALU_DEP_1) | instskip(NEXT) | instid1(VALU_DEP_1)
	v_mov_b32_dpp v2, v2 quad_perm:[1,0,3,2] row_mask:0xf bank_mask:0xf
	v_add_co_ci_u32_e64 v1, null, v2, v1, vcc_lo
	s_delay_alu instid0(VALU_DEP_1) | instskip(NEXT) | instid1(VALU_DEP_1)
	v_mov_b32_dpp v2, v1 quad_perm:[2,3,0,1] row_mask:0xf bank_mask:0xf
	v_add_nc_u32_e32 v1, v1, v2
	s_delay_alu instid0(VALU_DEP_1) | instskip(NEXT) | instid1(VALU_DEP_1)
	v_mov_b32_dpp v2, v1 row_ror:4 row_mask:0xf bank_mask:0xf
	v_add_nc_u32_e32 v1, v1, v2
	s_delay_alu instid0(VALU_DEP_1) | instskip(NEXT) | instid1(VALU_DEP_1)
	v_mov_b32_dpp v2, v1 row_ror:8 row_mask:0xf bank_mask:0xf
	v_add_nc_u32_e32 v1, v1, v2
	ds_swizzle_b32 v2, v1 offset:swizzle(BROADCAST,32,15)
	s_wait_dscnt 0x0
	v_dual_mov_b32 v2, 0 :: v_dual_add_nc_u32 v1, v1, v2
	ds_bpermute_b32 v1, v2, v1 offset:124
	v_mbcnt_lo_u32_b32 v2, -1, 0
	s_delay_alu instid0(VALU_DEP_1)
	v_cmpx_eq_u32_e32 0, v2
	s_cbranch_execz .LBB522_619
; %bb.618:
	v_lshrrev_b32_e32 v3, 3, v0
	s_delay_alu instid0(VALU_DEP_1)
	v_and_b32_e32 v3, 28, v3
	s_wait_dscnt 0x0
	ds_store_b32 v3, v1 offset:96
.LBB522_619:
	s_wait_alu 0xfffe
	s_or_b32 exec_lo, exec_lo, s2
	s_delay_alu instid0(SALU_CYCLE_1)
	s_mov_b32 s2, exec_lo
	s_wait_dscnt 0x0
	s_barrier_signal -1
	s_barrier_wait -1
	global_inv scope:SCOPE_SE
	v_cmpx_gt_u32_e32 32, v0
	s_cbranch_execz .LBB522_621
; %bb.620:
	v_lshl_or_b32 v1, v2, 2, 0x60
	v_and_b32_e32 v3, 7, v2
	ds_load_b32 v1, v1
	v_cmp_ne_u32_e32 vcc_lo, 7, v3
	s_wait_alu 0xfffd
	v_add_co_ci_u32_e64 v4, null, 0, v2, vcc_lo
	v_cmp_gt_u32_e32 vcc_lo, 6, v3
	s_delay_alu instid0(VALU_DEP_2) | instskip(SKIP_2) | instid1(VALU_DEP_1)
	v_lshlrev_b32_e32 v4, 2, v4
	s_wait_alu 0xfffd
	v_cndmask_b32_e64 v3, 0, 2, vcc_lo
	v_add_lshl_u32 v3, v3, v2, 2
	v_lshlrev_b32_e32 v2, 2, v2
	s_wait_dscnt 0x0
	ds_bpermute_b32 v4, v4, v1
	v_or_b32_e32 v2, 16, v2
	s_wait_dscnt 0x0
	v_add_nc_u32_e32 v1, v4, v1
	ds_bpermute_b32 v3, v3, v1
	s_wait_dscnt 0x0
	v_add_nc_u32_e32 v1, v3, v1
	ds_bpermute_b32 v2, v2, v1
	s_wait_dscnt 0x0
	v_add_nc_u32_e32 v1, v2, v1
.LBB522_621:
	s_wait_alu 0xfffe
	s_or_b32 exec_lo, exec_lo, s2
	s_mov_b32 s2, 0
	s_branch .LBB522_628
.LBB522_622:
                                        ; implicit-def: $vgpr1
	s_cbranch_execnz .LBB522_639
.LBB522_623:
	s_delay_alu instid0(VALU_DEP_1)
	s_and_saveexec_b32 s1, s0
	s_cbranch_execz .LBB522_625
.LBB522_624:
	s_load_b32 s2, s[66:67], 0x28
	s_lshl_b64 s[0:1], s[68:69], 2
	s_cmp_lg_u64 s[84:85], 0
	s_wait_alu 0xfffe
	s_add_nc_u64 s[0:1], s[86:87], s[0:1]
	s_cselect_b32 vcc_lo, -1, 0
	s_wait_alu 0xfffe
	v_dual_cndmask_b32 v0, 0, v1 :: v_dual_mov_b32 v1, 0
	s_wait_kmcnt 0x0
	s_delay_alu instid0(VALU_DEP_1)
	v_add_nc_u32_e32 v0, s2, v0
	global_store_b32 v1, v0, s[0:1]
.LBB522_625:
	s_nop 0
	s_sendmsg sendmsg(MSG_DEALLOC_VGPRS)
	s_endpgm
.LBB522_626:
                                        ; implicit-def: $vgpr1
	s_branch .LBB522_623
.LBB522_627:
	s_mov_b32 s2, -1
                                        ; implicit-def: $vgpr1
.LBB522_628:
	s_wait_alu 0xfffe
	s_and_b32 vcc_lo, exec_lo, s2
	s_wait_alu 0xfffe
	s_cbranch_vccz .LBB522_638
; %bb.629:
	v_mov_b32_e32 v1, 0
	s_sub_co_i32 s4, s84, s6
	s_mov_b32 s3, exec_lo
	s_delay_alu instid0(VALU_DEP_1)
	v_mov_b32_e32 v2, v1
	v_cmpx_gt_u32_e64 s4, v0
	s_cbranch_execz .LBB522_631
; %bb.630:
	v_lshlrev_b32_e32 v2, 4, v0
	global_load_b128 v[2:5], v2, s[0:1]
	s_wait_loadcnt 0x0
	v_cmp_neq_f64_e32 vcc_lo, 0, v[2:3]
	v_cmp_neq_f64_e64 s2, 0, v[4:5]
	v_mov_b32_e32 v3, v1
	s_or_b32 s2, vcc_lo, s2
	s_wait_alu 0xfffe
	v_cndmask_b32_e64 v2, 0, 1, s2
	s_delay_alu instid0(VALU_DEP_1) | instskip(NEXT) | instid1(VALU_DEP_1)
	v_and_b32_e32 v2, 0xffff, v2
	v_mov_b32_e32 v1, v2
	v_mov_b32_e32 v2, v3
.LBB522_631:
	s_wait_alu 0xfffe
	s_or_b32 exec_lo, exec_lo, s3
	v_or_b32_e32 v3, 0x100, v0
	s_delay_alu instid0(VALU_DEP_1)
	v_cmp_gt_u32_e32 vcc_lo, s4, v3
	s_and_saveexec_b32 s5, vcc_lo
	s_cbranch_execz .LBB522_633
; %bb.632:
	v_lshlrev_b32_e32 v2, 4, v0
	global_load_b128 v[2:5], v2, s[0:1] offset:4096
	s_wait_loadcnt 0x0
	v_cmp_neq_f64_e64 s2, 0, v[2:3]
	v_cmp_neq_f64_e64 s3, 0, v[4:5]
	s_or_b32 s0, s2, s3
	s_delay_alu instid0(SALU_CYCLE_1)
	v_cndmask_b32_e64 v2, 0, 1, s0
.LBB522_633:
	s_wait_alu 0xfffe
	s_or_b32 exec_lo, exec_lo, s5
	v_mbcnt_lo_u32_b32 v3, -1, 0
	s_delay_alu instid0(VALU_DEP_2) | instskip(SKIP_2) | instid1(VALU_DEP_2)
	v_cndmask_b32_e32 v2, 0, v2, vcc_lo
	s_min_u32 s0, s4, 0x100
	s_mov_b32 s1, exec_lo
	v_cmp_ne_u32_e32 vcc_lo, 31, v3
	v_add_nc_u32_e32 v5, 1, v3
	v_add_nc_u32_e32 v1, v2, v1
	s_wait_alu 0xfffd
	v_add_co_ci_u32_e64 v4, null, 0, v3, vcc_lo
	v_cmp_gt_u32_e32 vcc_lo, 30, v3
	s_delay_alu instid0(VALU_DEP_2)
	v_lshlrev_b32_e32 v2, 2, v4
	v_and_b32_e32 v4, 0xe0, v0
	s_wait_alu 0xfffd
	v_cndmask_b32_e64 v6, 0, 2, vcc_lo
	ds_bpermute_b32 v2, v2, v1
	s_wait_alu 0xfffe
	v_sub_nc_u32_e64 v4, s0, v4 clamp
	s_delay_alu instid0(VALU_DEP_1)
	v_cmp_lt_u32_e32 vcc_lo, v5, v4
	v_add_lshl_u32 v5, v6, v3, 2
	s_wait_dscnt 0x0
	s_wait_alu 0xfffd
	v_cndmask_b32_e32 v2, 0, v2, vcc_lo
	v_cmp_gt_u32_e32 vcc_lo, 28, v3
	s_delay_alu instid0(VALU_DEP_2) | instskip(SKIP_4) | instid1(VALU_DEP_1)
	v_add_nc_u32_e32 v1, v2, v1
	s_wait_alu 0xfffd
	v_cndmask_b32_e64 v6, 0, 4, vcc_lo
	ds_bpermute_b32 v2, v5, v1
	v_add_nc_u32_e32 v5, 2, v3
	v_cmp_lt_u32_e32 vcc_lo, v5, v4
	v_add_lshl_u32 v5, v6, v3, 2
	s_wait_dscnt 0x0
	s_wait_alu 0xfffd
	v_cndmask_b32_e32 v2, 0, v2, vcc_lo
	v_cmp_gt_u32_e32 vcc_lo, 24, v3
	s_delay_alu instid0(VALU_DEP_2) | instskip(SKIP_4) | instid1(VALU_DEP_1)
	v_add_nc_u32_e32 v1, v1, v2
	s_wait_alu 0xfffd
	v_cndmask_b32_e64 v6, 0, 8, vcc_lo
	ds_bpermute_b32 v2, v5, v1
	v_add_nc_u32_e32 v5, 4, v3
	v_cmp_lt_u32_e32 vcc_lo, v5, v4
	v_add_lshl_u32 v5, v6, v3, 2
	v_add_nc_u32_e32 v6, 8, v3
	s_wait_dscnt 0x0
	s_wait_alu 0xfffd
	v_cndmask_b32_e32 v2, 0, v2, vcc_lo
	s_delay_alu instid0(VALU_DEP_2) | instskip(NEXT) | instid1(VALU_DEP_2)
	v_cmp_lt_u32_e32 vcc_lo, v6, v4
	v_add_nc_u32_e32 v1, v1, v2
	v_lshlrev_b32_e32 v2, 2, v3
	ds_bpermute_b32 v5, v5, v1
	v_or_b32_e32 v6, 64, v2
	s_wait_dscnt 0x0
	s_wait_alu 0xfffd
	v_cndmask_b32_e32 v5, 0, v5, vcc_lo
	s_delay_alu instid0(VALU_DEP_1) | instskip(SKIP_2) | instid1(VALU_DEP_1)
	v_add_nc_u32_e32 v1, v1, v5
	ds_bpermute_b32 v5, v6, v1
	v_add_nc_u32_e32 v6, 16, v3
	v_cmp_lt_u32_e32 vcc_lo, v6, v4
	s_wait_dscnt 0x0
	s_wait_alu 0xfffd
	v_cndmask_b32_e32 v4, 0, v5, vcc_lo
	s_delay_alu instid0(VALU_DEP_1)
	v_add_nc_u32_e32 v1, v1, v4
	v_cmpx_eq_u32_e32 0, v3
; %bb.634:
	v_lshrrev_b32_e32 v4, 3, v0
	s_delay_alu instid0(VALU_DEP_1)
	v_and_b32_e32 v4, 28, v4
	ds_store_b32 v4, v1 offset:256
; %bb.635:
	s_or_b32 exec_lo, exec_lo, s1
	s_delay_alu instid0(SALU_CYCLE_1)
	s_mov_b32 s1, exec_lo
	s_wait_loadcnt_dscnt 0x0
	s_barrier_signal -1
	s_barrier_wait -1
	global_inv scope:SCOPE_SE
	v_cmpx_gt_u32_e32 8, v0
	s_cbranch_execz .LBB522_637
; %bb.636:
	ds_load_b32 v1, v2 offset:256
	v_and_b32_e32 v4, 7, v3
	s_add_co_i32 s0, s0, 31
	v_or_b32_e32 v2, 16, v2
	s_wait_alu 0xfffe
	s_lshr_b32 s0, s0, 5
	v_cmp_ne_u32_e32 vcc_lo, 7, v4
	v_add_nc_u32_e32 v6, 1, v4
	s_wait_alu 0xfffd
	v_add_co_ci_u32_e64 v5, null, 0, v3, vcc_lo
	v_cmp_gt_u32_e32 vcc_lo, 6, v4
	s_delay_alu instid0(VALU_DEP_2)
	v_lshlrev_b32_e32 v5, 2, v5
	s_wait_alu 0xfffd
	v_cndmask_b32_e64 v7, 0, 2, vcc_lo
	s_wait_alu 0xfffe
	v_cmp_gt_u32_e32 vcc_lo, s0, v6
	s_wait_dscnt 0x0
	ds_bpermute_b32 v5, v5, v1
	v_add_lshl_u32 v3, v7, v3, 2
	s_wait_dscnt 0x0
	s_wait_alu 0xfffd
	v_cndmask_b32_e32 v5, 0, v5, vcc_lo
	s_delay_alu instid0(VALU_DEP_1)
	v_add_nc_u32_e32 v1, v5, v1
	v_add_nc_u32_e32 v5, 2, v4
	ds_bpermute_b32 v3, v3, v1
	v_cmp_gt_u32_e32 vcc_lo, s0, v5
	s_wait_dscnt 0x0
	s_wait_alu 0xfffd
	v_cndmask_b32_e32 v3, 0, v3, vcc_lo
	s_delay_alu instid0(VALU_DEP_1)
	v_add_nc_u32_e32 v1, v1, v3
	v_add_nc_u32_e32 v3, 4, v4
	ds_bpermute_b32 v2, v2, v1
	v_cmp_gt_u32_e32 vcc_lo, s0, v3
	s_wait_dscnt 0x0
	s_wait_alu 0xfffd
	v_cndmask_b32_e32 v2, 0, v2, vcc_lo
	s_delay_alu instid0(VALU_DEP_1)
	v_add_nc_u32_e32 v1, v1, v2
.LBB522_637:
	s_wait_alu 0xfffe
	s_or_b32 exec_lo, exec_lo, s1
.LBB522_638:
	v_cmp_eq_u32_e64 s0, 0, v0
	s_branch .LBB522_623
.LBB522_639:
	s_cmp_eq_u32 s79, 1
	s_cbranch_scc0 .LBB522_647
; %bb.640:
	s_mov_b32 s1, 0
	v_mbcnt_lo_u32_b32 v2, -1, 0
	s_lshr_b64 s[2:3], s[84:85], 8
	s_mov_b32 s69, s1
	s_lshl_b32 s0, s68, 8
	s_cmp_lg_u64 s[2:3], s[68:69]
	s_cbranch_scc0 .LBB522_648
; %bb.641:
	v_lshlrev_b32_e32 v1, 4, v0
	s_lshl_b64 s[2:3], s[0:1], 4
	s_delay_alu instid0(SALU_CYCLE_1)
	s_add_nc_u64 s[2:3], s[72:73], s[2:3]
	global_load_b128 v[3:6], v1, s[2:3]
	s_wait_loadcnt 0x0
	v_cmp_neq_f64_e32 vcc_lo, 0, v[3:4]
	v_cmp_neq_f64_e64 s2, 0, v[5:6]
	s_or_b32 vcc_lo, vcc_lo, s2
	s_mov_b32 s2, exec_lo
	v_cndmask_b32_e64 v1, 0, 1, vcc_lo
	s_delay_alu instid0(VALU_DEP_1) | instskip(NEXT) | instid1(VALU_DEP_1)
	v_mov_b32_dpp v1, v1 quad_perm:[1,0,3,2] row_mask:0xf bank_mask:0xf
	v_add_co_ci_u32_e64 v3, null, 0, v1, vcc_lo
	s_delay_alu instid0(VALU_DEP_1) | instskip(NEXT) | instid1(VALU_DEP_1)
	v_mov_b32_dpp v3, v3 quad_perm:[2,3,0,1] row_mask:0xf bank_mask:0xf
	v_add_co_ci_u32_e64 v1, null, v3, v1, vcc_lo
	s_delay_alu instid0(VALU_DEP_1) | instskip(NEXT) | instid1(VALU_DEP_1)
	v_mov_b32_dpp v3, v1 row_ror:4 row_mask:0xf bank_mask:0xf
	v_add_nc_u32_e32 v1, v1, v3
	s_delay_alu instid0(VALU_DEP_1) | instskip(NEXT) | instid1(VALU_DEP_1)
	v_mov_b32_dpp v3, v1 row_ror:8 row_mask:0xf bank_mask:0xf
	v_add_nc_u32_e32 v1, v1, v3
	ds_swizzle_b32 v3, v1 offset:swizzle(BROADCAST,32,15)
	s_wait_dscnt 0x0
	v_add_nc_u32_e32 v1, v1, v3
	v_mov_b32_e32 v3, 0
	ds_bpermute_b32 v1, v3, v1 offset:124
	v_cmpx_eq_u32_e32 0, v2
	s_cbranch_execz .LBB522_643
; %bb.642:
	v_lshrrev_b32_e32 v3, 3, v0
	s_delay_alu instid0(VALU_DEP_1)
	v_and_b32_e32 v3, 28, v3
	s_wait_dscnt 0x0
	ds_store_b32 v3, v1 offset:64
.LBB522_643:
	s_or_b32 exec_lo, exec_lo, s2
	s_delay_alu instid0(SALU_CYCLE_1)
	s_mov_b32 s2, exec_lo
	s_wait_dscnt 0x0
	s_barrier_signal -1
	s_barrier_wait -1
	global_inv scope:SCOPE_SE
	v_cmpx_gt_u32_e32 32, v0
	s_cbranch_execz .LBB522_645
; %bb.644:
	v_and_b32_e32 v1, 7, v2
	s_delay_alu instid0(VALU_DEP_1)
	v_lshlrev_b32_e32 v3, 2, v1
	v_cmp_ne_u32_e32 vcc_lo, 7, v1
	ds_load_b32 v3, v3 offset:64
	s_wait_alu 0xfffd
	v_add_co_ci_u32_e64 v4, null, 0, v2, vcc_lo
	v_cmp_gt_u32_e32 vcc_lo, 6, v1
	s_delay_alu instid0(VALU_DEP_2) | instskip(SKIP_2) | instid1(VALU_DEP_1)
	v_lshlrev_b32_e32 v4, 2, v4
	s_wait_alu 0xfffd
	v_cndmask_b32_e64 v1, 0, 2, vcc_lo
	v_add_lshl_u32 v1, v1, v2, 2
	s_wait_dscnt 0x0
	ds_bpermute_b32 v4, v4, v3
	s_wait_dscnt 0x0
	v_add_nc_u32_e32 v3, v4, v3
	v_lshlrev_b32_e32 v4, 2, v2
	ds_bpermute_b32 v1, v1, v3
	s_wait_dscnt 0x0
	v_add_nc_u32_e32 v1, v1, v3
	v_or_b32_e32 v3, 16, v4
	ds_bpermute_b32 v3, v3, v1
	s_wait_dscnt 0x0
	v_add_nc_u32_e32 v1, v3, v1
.LBB522_645:
	s_or_b32 exec_lo, exec_lo, s2
.LBB522_646:
	v_cmp_eq_u32_e64 s0, 0, v0
	s_and_saveexec_b32 s1, s0
	s_cbranch_execnz .LBB522_624
	s_branch .LBB522_625
.LBB522_647:
                                        ; implicit-def: $vgpr1
                                        ; implicit-def: $sgpr68_sgpr69
	s_and_saveexec_b32 s1, s0
	s_cbranch_execz .LBB522_625
	s_branch .LBB522_624
.LBB522_648:
                                        ; implicit-def: $vgpr1
	s_cbranch_execz .LBB522_646
; %bb.649:
	s_sub_co_i32 s3, s84, s0
	s_mov_b32 s4, exec_lo
                                        ; implicit-def: $vgpr1
	v_cmpx_gt_u32_e64 s3, v0
	s_cbranch_execz .LBB522_651
; %bb.650:
	v_lshlrev_b32_e32 v1, 4, v0
	s_lshl_b64 s[0:1], s[0:1], 4
	s_delay_alu instid0(SALU_CYCLE_1)
	s_add_nc_u64 s[0:1], s[72:73], s[0:1]
	global_load_b128 v[3:6], v1, s[0:1]
	s_wait_loadcnt 0x0
	v_cmp_neq_f64_e32 vcc_lo, 0, v[3:4]
	v_cmp_neq_f64_e64 s2, 0, v[5:6]
	s_or_b32 s0, vcc_lo, s2
	s_delay_alu instid0(SALU_CYCLE_1)
	v_cndmask_b32_e64 v1, 0, 1, s0
.LBB522_651:
	s_or_b32 exec_lo, exec_lo, s4
	v_cmp_ne_u32_e32 vcc_lo, 31, v2
	s_min_u32 s0, s3, 0x100
	v_add_nc_u32_e32 v5, 1, v2
	s_mov_b32 s1, exec_lo
	v_add_co_ci_u32_e64 v3, null, 0, v2, vcc_lo
	v_cmp_gt_u32_e32 vcc_lo, 30, v2
	s_delay_alu instid0(VALU_DEP_2)
	v_lshlrev_b32_e32 v3, 2, v3
	s_wait_alu 0xfffd
	v_cndmask_b32_e64 v6, 0, 2, vcc_lo
	ds_bpermute_b32 v3, v3, v1
	v_and_b32_e32 v4, 0xe0, v0
	s_wait_alu 0xfffe
	s_delay_alu instid0(VALU_DEP_1) | instskip(NEXT) | instid1(VALU_DEP_1)
	v_sub_nc_u32_e64 v4, s0, v4 clamp
	v_cmp_lt_u32_e32 vcc_lo, v5, v4
	v_add_lshl_u32 v5, v6, v2, 2
	s_wait_dscnt 0x0
	s_wait_alu 0xfffd
	v_cndmask_b32_e32 v3, 0, v3, vcc_lo
	v_cmp_gt_u32_e32 vcc_lo, 28, v2
	s_delay_alu instid0(VALU_DEP_2) | instskip(SKIP_4) | instid1(VALU_DEP_1)
	v_add_nc_u32_e32 v1, v3, v1
	s_wait_alu 0xfffd
	v_cndmask_b32_e64 v6, 0, 4, vcc_lo
	ds_bpermute_b32 v3, v5, v1
	v_add_nc_u32_e32 v5, 2, v2
	v_cmp_lt_u32_e32 vcc_lo, v5, v4
	v_add_lshl_u32 v5, v6, v2, 2
	s_wait_dscnt 0x0
	s_wait_alu 0xfffd
	v_cndmask_b32_e32 v3, 0, v3, vcc_lo
	v_cmp_gt_u32_e32 vcc_lo, 24, v2
	s_delay_alu instid0(VALU_DEP_2) | instskip(SKIP_4) | instid1(VALU_DEP_1)
	v_add_nc_u32_e32 v1, v1, v3
	s_wait_alu 0xfffd
	v_cndmask_b32_e64 v6, 0, 8, vcc_lo
	ds_bpermute_b32 v3, v5, v1
	v_add_nc_u32_e32 v5, 4, v2
	v_cmp_lt_u32_e32 vcc_lo, v5, v4
	v_add_lshl_u32 v5, v6, v2, 2
	s_wait_dscnt 0x0
	s_wait_alu 0xfffd
	v_dual_cndmask_b32 v3, 0, v3 :: v_dual_add_nc_u32 v6, 8, v2
	s_delay_alu instid0(VALU_DEP_1) | instskip(NEXT) | instid1(VALU_DEP_2)
	v_cmp_lt_u32_e32 vcc_lo, v6, v4
	v_add_nc_u32_e32 v1, v1, v3
	v_lshlrev_b32_e32 v3, 2, v2
	ds_bpermute_b32 v5, v5, v1
	v_or_b32_e32 v6, 64, v3
	s_wait_dscnt 0x0
	s_wait_alu 0xfffd
	v_cndmask_b32_e32 v5, 0, v5, vcc_lo
	s_delay_alu instid0(VALU_DEP_1) | instskip(SKIP_2) | instid1(VALU_DEP_1)
	v_add_nc_u32_e32 v1, v1, v5
	ds_bpermute_b32 v5, v6, v1
	v_add_nc_u32_e32 v6, 16, v2
	v_cmp_lt_u32_e32 vcc_lo, v6, v4
	s_wait_dscnt 0x0
	s_wait_alu 0xfffd
	v_cndmask_b32_e32 v4, 0, v5, vcc_lo
	s_delay_alu instid0(VALU_DEP_1)
	v_add_nc_u32_e32 v1, v1, v4
	v_cmpx_eq_u32_e32 0, v2
; %bb.652:
	v_lshrrev_b32_e32 v4, 3, v0
	s_delay_alu instid0(VALU_DEP_1)
	v_and_b32_e32 v4, 28, v4
	ds_store_b32 v4, v1 offset:256
; %bb.653:
	s_or_b32 exec_lo, exec_lo, s1
	s_delay_alu instid0(SALU_CYCLE_1)
	s_mov_b32 s1, exec_lo
	s_wait_loadcnt_dscnt 0x0
	s_barrier_signal -1
	s_barrier_wait -1
	global_inv scope:SCOPE_SE
	v_cmpx_gt_u32_e32 8, v0
	s_cbranch_execz .LBB522_655
; %bb.654:
	ds_load_b32 v1, v3 offset:256
	v_and_b32_e32 v4, 7, v2
	s_add_co_i32 s0, s0, 31
	s_wait_alu 0xfffe
	s_lshr_b32 s0, s0, 5
	s_delay_alu instid0(VALU_DEP_1) | instskip(SKIP_4) | instid1(VALU_DEP_2)
	v_cmp_ne_u32_e32 vcc_lo, 7, v4
	v_add_nc_u32_e32 v6, 1, v4
	s_wait_alu 0xfffd
	v_add_co_ci_u32_e64 v5, null, 0, v2, vcc_lo
	v_cmp_gt_u32_e32 vcc_lo, 6, v4
	v_lshlrev_b32_e32 v5, 2, v5
	s_wait_alu 0xfffd
	v_cndmask_b32_e64 v7, 0, 2, vcc_lo
	s_wait_alu 0xfffe
	v_cmp_gt_u32_e32 vcc_lo, s0, v6
	s_wait_dscnt 0x0
	ds_bpermute_b32 v5, v5, v1
	v_add_lshl_u32 v2, v7, v2, 2
	s_wait_dscnt 0x0
	s_wait_alu 0xfffd
	v_cndmask_b32_e32 v5, 0, v5, vcc_lo
	s_delay_alu instid0(VALU_DEP_1)
	v_add_nc_u32_e32 v1, v5, v1
	v_add_nc_u32_e32 v5, 2, v4
	ds_bpermute_b32 v2, v2, v1
	v_cmp_gt_u32_e32 vcc_lo, s0, v5
	s_wait_dscnt 0x0
	s_wait_alu 0xfffd
	v_cndmask_b32_e32 v2, 0, v2, vcc_lo
	s_delay_alu instid0(VALU_DEP_1)
	v_add_nc_u32_e32 v1, v1, v2
	v_or_b32_e32 v2, 16, v3
	v_add_nc_u32_e32 v3, 4, v4
	ds_bpermute_b32 v2, v2, v1
	v_cmp_gt_u32_e32 vcc_lo, s0, v3
	s_wait_dscnt 0x0
	s_wait_alu 0xfffd
	v_cndmask_b32_e32 v2, 0, v2, vcc_lo
	s_delay_alu instid0(VALU_DEP_1)
	v_add_nc_u32_e32 v1, v1, v2
.LBB522_655:
	s_wait_alu 0xfffe
	s_or_b32 exec_lo, exec_lo, s1
	v_cmp_eq_u32_e64 s0, 0, v0
	s_and_saveexec_b32 s1, s0
	s_cbranch_execnz .LBB522_624
	s_branch .LBB522_625
	.section	.rodata,"a",@progbits
	.p2align	6, 0x0
	.amdhsa_kernel _ZN7rocprim17ROCPRIM_400000_NS6detail17trampoline_kernelINS0_14default_configENS1_22reduce_config_selectorIbEEZNS1_11reduce_implILb1ES3_N6hipcub16HIPCUB_304000_NS22TransformInputIteratorIbN2at6native12_GLOBAL__N_19NonZeroOpIN3c107complexIdEEEEPKSG_lEEPiiNS8_6detail34convert_binary_result_type_wrapperINS8_3SumESK_iEEEE10hipError_tPvRmT1_T2_T3_mT4_P12ihipStream_tbEUlT_E1_NS1_11comp_targetILNS1_3genE10ELNS1_11target_archE1201ELNS1_3gpuE5ELNS1_3repE0EEENS1_30default_config_static_selectorELNS0_4arch9wavefront6targetE0EEEvST_
		.amdhsa_group_segment_fixed_size 288
		.amdhsa_private_segment_fixed_size 0
		.amdhsa_kernarg_size 48
		.amdhsa_user_sgpr_count 2
		.amdhsa_user_sgpr_dispatch_ptr 0
		.amdhsa_user_sgpr_queue_ptr 0
		.amdhsa_user_sgpr_kernarg_segment_ptr 1
		.amdhsa_user_sgpr_dispatch_id 0
		.amdhsa_user_sgpr_private_segment_size 0
		.amdhsa_wavefront_size32 1
		.amdhsa_uses_dynamic_stack 0
		.amdhsa_enable_private_segment 0
		.amdhsa_system_sgpr_workgroup_id_x 1
		.amdhsa_system_sgpr_workgroup_id_y 0
		.amdhsa_system_sgpr_workgroup_id_z 0
		.amdhsa_system_sgpr_workgroup_info 0
		.amdhsa_system_vgpr_workitem_id 0
		.amdhsa_next_free_vgpr 133
		.amdhsa_next_free_sgpr 105
		.amdhsa_reserve_vcc 1
		.amdhsa_float_round_mode_32 0
		.amdhsa_float_round_mode_16_64 0
		.amdhsa_float_denorm_mode_32 3
		.amdhsa_float_denorm_mode_16_64 3
		.amdhsa_fp16_overflow 0
		.amdhsa_workgroup_processor_mode 1
		.amdhsa_memory_ordered 1
		.amdhsa_forward_progress 1
		.amdhsa_inst_pref_size 255
		.amdhsa_round_robin_scheduling 0
		.amdhsa_exception_fp_ieee_invalid_op 0
		.amdhsa_exception_fp_denorm_src 0
		.amdhsa_exception_fp_ieee_div_zero 0
		.amdhsa_exception_fp_ieee_overflow 0
		.amdhsa_exception_fp_ieee_underflow 0
		.amdhsa_exception_fp_ieee_inexact 0
		.amdhsa_exception_int_div_zero 0
	.end_amdhsa_kernel
	.section	.text._ZN7rocprim17ROCPRIM_400000_NS6detail17trampoline_kernelINS0_14default_configENS1_22reduce_config_selectorIbEEZNS1_11reduce_implILb1ES3_N6hipcub16HIPCUB_304000_NS22TransformInputIteratorIbN2at6native12_GLOBAL__N_19NonZeroOpIN3c107complexIdEEEEPKSG_lEEPiiNS8_6detail34convert_binary_result_type_wrapperINS8_3SumESK_iEEEE10hipError_tPvRmT1_T2_T3_mT4_P12ihipStream_tbEUlT_E1_NS1_11comp_targetILNS1_3genE10ELNS1_11target_archE1201ELNS1_3gpuE5ELNS1_3repE0EEENS1_30default_config_static_selectorELNS0_4arch9wavefront6targetE0EEEvST_,"axG",@progbits,_ZN7rocprim17ROCPRIM_400000_NS6detail17trampoline_kernelINS0_14default_configENS1_22reduce_config_selectorIbEEZNS1_11reduce_implILb1ES3_N6hipcub16HIPCUB_304000_NS22TransformInputIteratorIbN2at6native12_GLOBAL__N_19NonZeroOpIN3c107complexIdEEEEPKSG_lEEPiiNS8_6detail34convert_binary_result_type_wrapperINS8_3SumESK_iEEEE10hipError_tPvRmT1_T2_T3_mT4_P12ihipStream_tbEUlT_E1_NS1_11comp_targetILNS1_3genE10ELNS1_11target_archE1201ELNS1_3gpuE5ELNS1_3repE0EEENS1_30default_config_static_selectorELNS0_4arch9wavefront6targetE0EEEvST_,comdat
.Lfunc_end522:
	.size	_ZN7rocprim17ROCPRIM_400000_NS6detail17trampoline_kernelINS0_14default_configENS1_22reduce_config_selectorIbEEZNS1_11reduce_implILb1ES3_N6hipcub16HIPCUB_304000_NS22TransformInputIteratorIbN2at6native12_GLOBAL__N_19NonZeroOpIN3c107complexIdEEEEPKSG_lEEPiiNS8_6detail34convert_binary_result_type_wrapperINS8_3SumESK_iEEEE10hipError_tPvRmT1_T2_T3_mT4_P12ihipStream_tbEUlT_E1_NS1_11comp_targetILNS1_3genE10ELNS1_11target_archE1201ELNS1_3gpuE5ELNS1_3repE0EEENS1_30default_config_static_selectorELNS0_4arch9wavefront6targetE0EEEvST_, .Lfunc_end522-_ZN7rocprim17ROCPRIM_400000_NS6detail17trampoline_kernelINS0_14default_configENS1_22reduce_config_selectorIbEEZNS1_11reduce_implILb1ES3_N6hipcub16HIPCUB_304000_NS22TransformInputIteratorIbN2at6native12_GLOBAL__N_19NonZeroOpIN3c107complexIdEEEEPKSG_lEEPiiNS8_6detail34convert_binary_result_type_wrapperINS8_3SumESK_iEEEE10hipError_tPvRmT1_T2_T3_mT4_P12ihipStream_tbEUlT_E1_NS1_11comp_targetILNS1_3genE10ELNS1_11target_archE1201ELNS1_3gpuE5ELNS1_3repE0EEENS1_30default_config_static_selectorELNS0_4arch9wavefront6targetE0EEEvST_
                                        ; -- End function
	.set _ZN7rocprim17ROCPRIM_400000_NS6detail17trampoline_kernelINS0_14default_configENS1_22reduce_config_selectorIbEEZNS1_11reduce_implILb1ES3_N6hipcub16HIPCUB_304000_NS22TransformInputIteratorIbN2at6native12_GLOBAL__N_19NonZeroOpIN3c107complexIdEEEEPKSG_lEEPiiNS8_6detail34convert_binary_result_type_wrapperINS8_3SumESK_iEEEE10hipError_tPvRmT1_T2_T3_mT4_P12ihipStream_tbEUlT_E1_NS1_11comp_targetILNS1_3genE10ELNS1_11target_archE1201ELNS1_3gpuE5ELNS1_3repE0EEENS1_30default_config_static_selectorELNS0_4arch9wavefront6targetE0EEEvST_.num_vgpr, 133
	.set _ZN7rocprim17ROCPRIM_400000_NS6detail17trampoline_kernelINS0_14default_configENS1_22reduce_config_selectorIbEEZNS1_11reduce_implILb1ES3_N6hipcub16HIPCUB_304000_NS22TransformInputIteratorIbN2at6native12_GLOBAL__N_19NonZeroOpIN3c107complexIdEEEEPKSG_lEEPiiNS8_6detail34convert_binary_result_type_wrapperINS8_3SumESK_iEEEE10hipError_tPvRmT1_T2_T3_mT4_P12ihipStream_tbEUlT_E1_NS1_11comp_targetILNS1_3genE10ELNS1_11target_archE1201ELNS1_3gpuE5ELNS1_3repE0EEENS1_30default_config_static_selectorELNS0_4arch9wavefront6targetE0EEEvST_.num_agpr, 0
	.set _ZN7rocprim17ROCPRIM_400000_NS6detail17trampoline_kernelINS0_14default_configENS1_22reduce_config_selectorIbEEZNS1_11reduce_implILb1ES3_N6hipcub16HIPCUB_304000_NS22TransformInputIteratorIbN2at6native12_GLOBAL__N_19NonZeroOpIN3c107complexIdEEEEPKSG_lEEPiiNS8_6detail34convert_binary_result_type_wrapperINS8_3SumESK_iEEEE10hipError_tPvRmT1_T2_T3_mT4_P12ihipStream_tbEUlT_E1_NS1_11comp_targetILNS1_3genE10ELNS1_11target_archE1201ELNS1_3gpuE5ELNS1_3repE0EEENS1_30default_config_static_selectorELNS0_4arch9wavefront6targetE0EEEvST_.numbered_sgpr, 105
	.set _ZN7rocprim17ROCPRIM_400000_NS6detail17trampoline_kernelINS0_14default_configENS1_22reduce_config_selectorIbEEZNS1_11reduce_implILb1ES3_N6hipcub16HIPCUB_304000_NS22TransformInputIteratorIbN2at6native12_GLOBAL__N_19NonZeroOpIN3c107complexIdEEEEPKSG_lEEPiiNS8_6detail34convert_binary_result_type_wrapperINS8_3SumESK_iEEEE10hipError_tPvRmT1_T2_T3_mT4_P12ihipStream_tbEUlT_E1_NS1_11comp_targetILNS1_3genE10ELNS1_11target_archE1201ELNS1_3gpuE5ELNS1_3repE0EEENS1_30default_config_static_selectorELNS0_4arch9wavefront6targetE0EEEvST_.num_named_barrier, 0
	.set _ZN7rocprim17ROCPRIM_400000_NS6detail17trampoline_kernelINS0_14default_configENS1_22reduce_config_selectorIbEEZNS1_11reduce_implILb1ES3_N6hipcub16HIPCUB_304000_NS22TransformInputIteratorIbN2at6native12_GLOBAL__N_19NonZeroOpIN3c107complexIdEEEEPKSG_lEEPiiNS8_6detail34convert_binary_result_type_wrapperINS8_3SumESK_iEEEE10hipError_tPvRmT1_T2_T3_mT4_P12ihipStream_tbEUlT_E1_NS1_11comp_targetILNS1_3genE10ELNS1_11target_archE1201ELNS1_3gpuE5ELNS1_3repE0EEENS1_30default_config_static_selectorELNS0_4arch9wavefront6targetE0EEEvST_.private_seg_size, 0
	.set _ZN7rocprim17ROCPRIM_400000_NS6detail17trampoline_kernelINS0_14default_configENS1_22reduce_config_selectorIbEEZNS1_11reduce_implILb1ES3_N6hipcub16HIPCUB_304000_NS22TransformInputIteratorIbN2at6native12_GLOBAL__N_19NonZeroOpIN3c107complexIdEEEEPKSG_lEEPiiNS8_6detail34convert_binary_result_type_wrapperINS8_3SumESK_iEEEE10hipError_tPvRmT1_T2_T3_mT4_P12ihipStream_tbEUlT_E1_NS1_11comp_targetILNS1_3genE10ELNS1_11target_archE1201ELNS1_3gpuE5ELNS1_3repE0EEENS1_30default_config_static_selectorELNS0_4arch9wavefront6targetE0EEEvST_.uses_vcc, 1
	.set _ZN7rocprim17ROCPRIM_400000_NS6detail17trampoline_kernelINS0_14default_configENS1_22reduce_config_selectorIbEEZNS1_11reduce_implILb1ES3_N6hipcub16HIPCUB_304000_NS22TransformInputIteratorIbN2at6native12_GLOBAL__N_19NonZeroOpIN3c107complexIdEEEEPKSG_lEEPiiNS8_6detail34convert_binary_result_type_wrapperINS8_3SumESK_iEEEE10hipError_tPvRmT1_T2_T3_mT4_P12ihipStream_tbEUlT_E1_NS1_11comp_targetILNS1_3genE10ELNS1_11target_archE1201ELNS1_3gpuE5ELNS1_3repE0EEENS1_30default_config_static_selectorELNS0_4arch9wavefront6targetE0EEEvST_.uses_flat_scratch, 0
	.set _ZN7rocprim17ROCPRIM_400000_NS6detail17trampoline_kernelINS0_14default_configENS1_22reduce_config_selectorIbEEZNS1_11reduce_implILb1ES3_N6hipcub16HIPCUB_304000_NS22TransformInputIteratorIbN2at6native12_GLOBAL__N_19NonZeroOpIN3c107complexIdEEEEPKSG_lEEPiiNS8_6detail34convert_binary_result_type_wrapperINS8_3SumESK_iEEEE10hipError_tPvRmT1_T2_T3_mT4_P12ihipStream_tbEUlT_E1_NS1_11comp_targetILNS1_3genE10ELNS1_11target_archE1201ELNS1_3gpuE5ELNS1_3repE0EEENS1_30default_config_static_selectorELNS0_4arch9wavefront6targetE0EEEvST_.has_dyn_sized_stack, 0
	.set _ZN7rocprim17ROCPRIM_400000_NS6detail17trampoline_kernelINS0_14default_configENS1_22reduce_config_selectorIbEEZNS1_11reduce_implILb1ES3_N6hipcub16HIPCUB_304000_NS22TransformInputIteratorIbN2at6native12_GLOBAL__N_19NonZeroOpIN3c107complexIdEEEEPKSG_lEEPiiNS8_6detail34convert_binary_result_type_wrapperINS8_3SumESK_iEEEE10hipError_tPvRmT1_T2_T3_mT4_P12ihipStream_tbEUlT_E1_NS1_11comp_targetILNS1_3genE10ELNS1_11target_archE1201ELNS1_3gpuE5ELNS1_3repE0EEENS1_30default_config_static_selectorELNS0_4arch9wavefront6targetE0EEEvST_.has_recursion, 0
	.set _ZN7rocprim17ROCPRIM_400000_NS6detail17trampoline_kernelINS0_14default_configENS1_22reduce_config_selectorIbEEZNS1_11reduce_implILb1ES3_N6hipcub16HIPCUB_304000_NS22TransformInputIteratorIbN2at6native12_GLOBAL__N_19NonZeroOpIN3c107complexIdEEEEPKSG_lEEPiiNS8_6detail34convert_binary_result_type_wrapperINS8_3SumESK_iEEEE10hipError_tPvRmT1_T2_T3_mT4_P12ihipStream_tbEUlT_E1_NS1_11comp_targetILNS1_3genE10ELNS1_11target_archE1201ELNS1_3gpuE5ELNS1_3repE0EEENS1_30default_config_static_selectorELNS0_4arch9wavefront6targetE0EEEvST_.has_indirect_call, 0
	.section	.AMDGPU.csdata,"",@progbits
; Kernel info:
; codeLenInByte = 45172
; TotalNumSgprs: 107
; NumVgprs: 133
; ScratchSize: 0
; MemoryBound: 0
; FloatMode: 240
; IeeeMode: 1
; LDSByteSize: 288 bytes/workgroup (compile time only)
; SGPRBlocks: 0
; VGPRBlocks: 16
; NumSGPRsForWavesPerEU: 107
; NumVGPRsForWavesPerEU: 133
; Occupancy: 10
; WaveLimiterHint : 1
; COMPUTE_PGM_RSRC2:SCRATCH_EN: 0
; COMPUTE_PGM_RSRC2:USER_SGPR: 2
; COMPUTE_PGM_RSRC2:TRAP_HANDLER: 0
; COMPUTE_PGM_RSRC2:TGID_X_EN: 1
; COMPUTE_PGM_RSRC2:TGID_Y_EN: 0
; COMPUTE_PGM_RSRC2:TGID_Z_EN: 0
; COMPUTE_PGM_RSRC2:TIDIG_COMP_CNT: 0
	.section	.text._ZN7rocprim17ROCPRIM_400000_NS6detail17trampoline_kernelINS0_14default_configENS1_22reduce_config_selectorIbEEZNS1_11reduce_implILb1ES3_N6hipcub16HIPCUB_304000_NS22TransformInputIteratorIbN2at6native12_GLOBAL__N_19NonZeroOpIN3c107complexIdEEEEPKSG_lEEPiiNS8_6detail34convert_binary_result_type_wrapperINS8_3SumESK_iEEEE10hipError_tPvRmT1_T2_T3_mT4_P12ihipStream_tbEUlT_E1_NS1_11comp_targetILNS1_3genE10ELNS1_11target_archE1200ELNS1_3gpuE4ELNS1_3repE0EEENS1_30default_config_static_selectorELNS0_4arch9wavefront6targetE0EEEvST_,"axG",@progbits,_ZN7rocprim17ROCPRIM_400000_NS6detail17trampoline_kernelINS0_14default_configENS1_22reduce_config_selectorIbEEZNS1_11reduce_implILb1ES3_N6hipcub16HIPCUB_304000_NS22TransformInputIteratorIbN2at6native12_GLOBAL__N_19NonZeroOpIN3c107complexIdEEEEPKSG_lEEPiiNS8_6detail34convert_binary_result_type_wrapperINS8_3SumESK_iEEEE10hipError_tPvRmT1_T2_T3_mT4_P12ihipStream_tbEUlT_E1_NS1_11comp_targetILNS1_3genE10ELNS1_11target_archE1200ELNS1_3gpuE4ELNS1_3repE0EEENS1_30default_config_static_selectorELNS0_4arch9wavefront6targetE0EEEvST_,comdat
	.globl	_ZN7rocprim17ROCPRIM_400000_NS6detail17trampoline_kernelINS0_14default_configENS1_22reduce_config_selectorIbEEZNS1_11reduce_implILb1ES3_N6hipcub16HIPCUB_304000_NS22TransformInputIteratorIbN2at6native12_GLOBAL__N_19NonZeroOpIN3c107complexIdEEEEPKSG_lEEPiiNS8_6detail34convert_binary_result_type_wrapperINS8_3SumESK_iEEEE10hipError_tPvRmT1_T2_T3_mT4_P12ihipStream_tbEUlT_E1_NS1_11comp_targetILNS1_3genE10ELNS1_11target_archE1200ELNS1_3gpuE4ELNS1_3repE0EEENS1_30default_config_static_selectorELNS0_4arch9wavefront6targetE0EEEvST_ ; -- Begin function _ZN7rocprim17ROCPRIM_400000_NS6detail17trampoline_kernelINS0_14default_configENS1_22reduce_config_selectorIbEEZNS1_11reduce_implILb1ES3_N6hipcub16HIPCUB_304000_NS22TransformInputIteratorIbN2at6native12_GLOBAL__N_19NonZeroOpIN3c107complexIdEEEEPKSG_lEEPiiNS8_6detail34convert_binary_result_type_wrapperINS8_3SumESK_iEEEE10hipError_tPvRmT1_T2_T3_mT4_P12ihipStream_tbEUlT_E1_NS1_11comp_targetILNS1_3genE10ELNS1_11target_archE1200ELNS1_3gpuE4ELNS1_3repE0EEENS1_30default_config_static_selectorELNS0_4arch9wavefront6targetE0EEEvST_
	.p2align	8
	.type	_ZN7rocprim17ROCPRIM_400000_NS6detail17trampoline_kernelINS0_14default_configENS1_22reduce_config_selectorIbEEZNS1_11reduce_implILb1ES3_N6hipcub16HIPCUB_304000_NS22TransformInputIteratorIbN2at6native12_GLOBAL__N_19NonZeroOpIN3c107complexIdEEEEPKSG_lEEPiiNS8_6detail34convert_binary_result_type_wrapperINS8_3SumESK_iEEEE10hipError_tPvRmT1_T2_T3_mT4_P12ihipStream_tbEUlT_E1_NS1_11comp_targetILNS1_3genE10ELNS1_11target_archE1200ELNS1_3gpuE4ELNS1_3repE0EEENS1_30default_config_static_selectorELNS0_4arch9wavefront6targetE0EEEvST_,@function
_ZN7rocprim17ROCPRIM_400000_NS6detail17trampoline_kernelINS0_14default_configENS1_22reduce_config_selectorIbEEZNS1_11reduce_implILb1ES3_N6hipcub16HIPCUB_304000_NS22TransformInputIteratorIbN2at6native12_GLOBAL__N_19NonZeroOpIN3c107complexIdEEEEPKSG_lEEPiiNS8_6detail34convert_binary_result_type_wrapperINS8_3SumESK_iEEEE10hipError_tPvRmT1_T2_T3_mT4_P12ihipStream_tbEUlT_E1_NS1_11comp_targetILNS1_3genE10ELNS1_11target_archE1200ELNS1_3gpuE4ELNS1_3repE0EEENS1_30default_config_static_selectorELNS0_4arch9wavefront6targetE0EEEvST_: ; @_ZN7rocprim17ROCPRIM_400000_NS6detail17trampoline_kernelINS0_14default_configENS1_22reduce_config_selectorIbEEZNS1_11reduce_implILb1ES3_N6hipcub16HIPCUB_304000_NS22TransformInputIteratorIbN2at6native12_GLOBAL__N_19NonZeroOpIN3c107complexIdEEEEPKSG_lEEPiiNS8_6detail34convert_binary_result_type_wrapperINS8_3SumESK_iEEEE10hipError_tPvRmT1_T2_T3_mT4_P12ihipStream_tbEUlT_E1_NS1_11comp_targetILNS1_3genE10ELNS1_11target_archE1200ELNS1_3gpuE4ELNS1_3repE0EEENS1_30default_config_static_selectorELNS0_4arch9wavefront6targetE0EEEvST_
; %bb.0:
	.section	.rodata,"a",@progbits
	.p2align	6, 0x0
	.amdhsa_kernel _ZN7rocprim17ROCPRIM_400000_NS6detail17trampoline_kernelINS0_14default_configENS1_22reduce_config_selectorIbEEZNS1_11reduce_implILb1ES3_N6hipcub16HIPCUB_304000_NS22TransformInputIteratorIbN2at6native12_GLOBAL__N_19NonZeroOpIN3c107complexIdEEEEPKSG_lEEPiiNS8_6detail34convert_binary_result_type_wrapperINS8_3SumESK_iEEEE10hipError_tPvRmT1_T2_T3_mT4_P12ihipStream_tbEUlT_E1_NS1_11comp_targetILNS1_3genE10ELNS1_11target_archE1200ELNS1_3gpuE4ELNS1_3repE0EEENS1_30default_config_static_selectorELNS0_4arch9wavefront6targetE0EEEvST_
		.amdhsa_group_segment_fixed_size 0
		.amdhsa_private_segment_fixed_size 0
		.amdhsa_kernarg_size 48
		.amdhsa_user_sgpr_count 2
		.amdhsa_user_sgpr_dispatch_ptr 0
		.amdhsa_user_sgpr_queue_ptr 0
		.amdhsa_user_sgpr_kernarg_segment_ptr 1
		.amdhsa_user_sgpr_dispatch_id 0
		.amdhsa_user_sgpr_private_segment_size 0
		.amdhsa_wavefront_size32 1
		.amdhsa_uses_dynamic_stack 0
		.amdhsa_enable_private_segment 0
		.amdhsa_system_sgpr_workgroup_id_x 1
		.amdhsa_system_sgpr_workgroup_id_y 0
		.amdhsa_system_sgpr_workgroup_id_z 0
		.amdhsa_system_sgpr_workgroup_info 0
		.amdhsa_system_vgpr_workitem_id 0
		.amdhsa_next_free_vgpr 1
		.amdhsa_next_free_sgpr 1
		.amdhsa_reserve_vcc 0
		.amdhsa_float_round_mode_32 0
		.amdhsa_float_round_mode_16_64 0
		.amdhsa_float_denorm_mode_32 3
		.amdhsa_float_denorm_mode_16_64 3
		.amdhsa_fp16_overflow 0
		.amdhsa_workgroup_processor_mode 1
		.amdhsa_memory_ordered 1
		.amdhsa_forward_progress 1
		.amdhsa_inst_pref_size 0
		.amdhsa_round_robin_scheduling 0
		.amdhsa_exception_fp_ieee_invalid_op 0
		.amdhsa_exception_fp_denorm_src 0
		.amdhsa_exception_fp_ieee_div_zero 0
		.amdhsa_exception_fp_ieee_overflow 0
		.amdhsa_exception_fp_ieee_underflow 0
		.amdhsa_exception_fp_ieee_inexact 0
		.amdhsa_exception_int_div_zero 0
	.end_amdhsa_kernel
	.section	.text._ZN7rocprim17ROCPRIM_400000_NS6detail17trampoline_kernelINS0_14default_configENS1_22reduce_config_selectorIbEEZNS1_11reduce_implILb1ES3_N6hipcub16HIPCUB_304000_NS22TransformInputIteratorIbN2at6native12_GLOBAL__N_19NonZeroOpIN3c107complexIdEEEEPKSG_lEEPiiNS8_6detail34convert_binary_result_type_wrapperINS8_3SumESK_iEEEE10hipError_tPvRmT1_T2_T3_mT4_P12ihipStream_tbEUlT_E1_NS1_11comp_targetILNS1_3genE10ELNS1_11target_archE1200ELNS1_3gpuE4ELNS1_3repE0EEENS1_30default_config_static_selectorELNS0_4arch9wavefront6targetE0EEEvST_,"axG",@progbits,_ZN7rocprim17ROCPRIM_400000_NS6detail17trampoline_kernelINS0_14default_configENS1_22reduce_config_selectorIbEEZNS1_11reduce_implILb1ES3_N6hipcub16HIPCUB_304000_NS22TransformInputIteratorIbN2at6native12_GLOBAL__N_19NonZeroOpIN3c107complexIdEEEEPKSG_lEEPiiNS8_6detail34convert_binary_result_type_wrapperINS8_3SumESK_iEEEE10hipError_tPvRmT1_T2_T3_mT4_P12ihipStream_tbEUlT_E1_NS1_11comp_targetILNS1_3genE10ELNS1_11target_archE1200ELNS1_3gpuE4ELNS1_3repE0EEENS1_30default_config_static_selectorELNS0_4arch9wavefront6targetE0EEEvST_,comdat
.Lfunc_end523:
	.size	_ZN7rocprim17ROCPRIM_400000_NS6detail17trampoline_kernelINS0_14default_configENS1_22reduce_config_selectorIbEEZNS1_11reduce_implILb1ES3_N6hipcub16HIPCUB_304000_NS22TransformInputIteratorIbN2at6native12_GLOBAL__N_19NonZeroOpIN3c107complexIdEEEEPKSG_lEEPiiNS8_6detail34convert_binary_result_type_wrapperINS8_3SumESK_iEEEE10hipError_tPvRmT1_T2_T3_mT4_P12ihipStream_tbEUlT_E1_NS1_11comp_targetILNS1_3genE10ELNS1_11target_archE1200ELNS1_3gpuE4ELNS1_3repE0EEENS1_30default_config_static_selectorELNS0_4arch9wavefront6targetE0EEEvST_, .Lfunc_end523-_ZN7rocprim17ROCPRIM_400000_NS6detail17trampoline_kernelINS0_14default_configENS1_22reduce_config_selectorIbEEZNS1_11reduce_implILb1ES3_N6hipcub16HIPCUB_304000_NS22TransformInputIteratorIbN2at6native12_GLOBAL__N_19NonZeroOpIN3c107complexIdEEEEPKSG_lEEPiiNS8_6detail34convert_binary_result_type_wrapperINS8_3SumESK_iEEEE10hipError_tPvRmT1_T2_T3_mT4_P12ihipStream_tbEUlT_E1_NS1_11comp_targetILNS1_3genE10ELNS1_11target_archE1200ELNS1_3gpuE4ELNS1_3repE0EEENS1_30default_config_static_selectorELNS0_4arch9wavefront6targetE0EEEvST_
                                        ; -- End function
	.set _ZN7rocprim17ROCPRIM_400000_NS6detail17trampoline_kernelINS0_14default_configENS1_22reduce_config_selectorIbEEZNS1_11reduce_implILb1ES3_N6hipcub16HIPCUB_304000_NS22TransformInputIteratorIbN2at6native12_GLOBAL__N_19NonZeroOpIN3c107complexIdEEEEPKSG_lEEPiiNS8_6detail34convert_binary_result_type_wrapperINS8_3SumESK_iEEEE10hipError_tPvRmT1_T2_T3_mT4_P12ihipStream_tbEUlT_E1_NS1_11comp_targetILNS1_3genE10ELNS1_11target_archE1200ELNS1_3gpuE4ELNS1_3repE0EEENS1_30default_config_static_selectorELNS0_4arch9wavefront6targetE0EEEvST_.num_vgpr, 0
	.set _ZN7rocprim17ROCPRIM_400000_NS6detail17trampoline_kernelINS0_14default_configENS1_22reduce_config_selectorIbEEZNS1_11reduce_implILb1ES3_N6hipcub16HIPCUB_304000_NS22TransformInputIteratorIbN2at6native12_GLOBAL__N_19NonZeroOpIN3c107complexIdEEEEPKSG_lEEPiiNS8_6detail34convert_binary_result_type_wrapperINS8_3SumESK_iEEEE10hipError_tPvRmT1_T2_T3_mT4_P12ihipStream_tbEUlT_E1_NS1_11comp_targetILNS1_3genE10ELNS1_11target_archE1200ELNS1_3gpuE4ELNS1_3repE0EEENS1_30default_config_static_selectorELNS0_4arch9wavefront6targetE0EEEvST_.num_agpr, 0
	.set _ZN7rocprim17ROCPRIM_400000_NS6detail17trampoline_kernelINS0_14default_configENS1_22reduce_config_selectorIbEEZNS1_11reduce_implILb1ES3_N6hipcub16HIPCUB_304000_NS22TransformInputIteratorIbN2at6native12_GLOBAL__N_19NonZeroOpIN3c107complexIdEEEEPKSG_lEEPiiNS8_6detail34convert_binary_result_type_wrapperINS8_3SumESK_iEEEE10hipError_tPvRmT1_T2_T3_mT4_P12ihipStream_tbEUlT_E1_NS1_11comp_targetILNS1_3genE10ELNS1_11target_archE1200ELNS1_3gpuE4ELNS1_3repE0EEENS1_30default_config_static_selectorELNS0_4arch9wavefront6targetE0EEEvST_.numbered_sgpr, 0
	.set _ZN7rocprim17ROCPRIM_400000_NS6detail17trampoline_kernelINS0_14default_configENS1_22reduce_config_selectorIbEEZNS1_11reduce_implILb1ES3_N6hipcub16HIPCUB_304000_NS22TransformInputIteratorIbN2at6native12_GLOBAL__N_19NonZeroOpIN3c107complexIdEEEEPKSG_lEEPiiNS8_6detail34convert_binary_result_type_wrapperINS8_3SumESK_iEEEE10hipError_tPvRmT1_T2_T3_mT4_P12ihipStream_tbEUlT_E1_NS1_11comp_targetILNS1_3genE10ELNS1_11target_archE1200ELNS1_3gpuE4ELNS1_3repE0EEENS1_30default_config_static_selectorELNS0_4arch9wavefront6targetE0EEEvST_.num_named_barrier, 0
	.set _ZN7rocprim17ROCPRIM_400000_NS6detail17trampoline_kernelINS0_14default_configENS1_22reduce_config_selectorIbEEZNS1_11reduce_implILb1ES3_N6hipcub16HIPCUB_304000_NS22TransformInputIteratorIbN2at6native12_GLOBAL__N_19NonZeroOpIN3c107complexIdEEEEPKSG_lEEPiiNS8_6detail34convert_binary_result_type_wrapperINS8_3SumESK_iEEEE10hipError_tPvRmT1_T2_T3_mT4_P12ihipStream_tbEUlT_E1_NS1_11comp_targetILNS1_3genE10ELNS1_11target_archE1200ELNS1_3gpuE4ELNS1_3repE0EEENS1_30default_config_static_selectorELNS0_4arch9wavefront6targetE0EEEvST_.private_seg_size, 0
	.set _ZN7rocprim17ROCPRIM_400000_NS6detail17trampoline_kernelINS0_14default_configENS1_22reduce_config_selectorIbEEZNS1_11reduce_implILb1ES3_N6hipcub16HIPCUB_304000_NS22TransformInputIteratorIbN2at6native12_GLOBAL__N_19NonZeroOpIN3c107complexIdEEEEPKSG_lEEPiiNS8_6detail34convert_binary_result_type_wrapperINS8_3SumESK_iEEEE10hipError_tPvRmT1_T2_T3_mT4_P12ihipStream_tbEUlT_E1_NS1_11comp_targetILNS1_3genE10ELNS1_11target_archE1200ELNS1_3gpuE4ELNS1_3repE0EEENS1_30default_config_static_selectorELNS0_4arch9wavefront6targetE0EEEvST_.uses_vcc, 0
	.set _ZN7rocprim17ROCPRIM_400000_NS6detail17trampoline_kernelINS0_14default_configENS1_22reduce_config_selectorIbEEZNS1_11reduce_implILb1ES3_N6hipcub16HIPCUB_304000_NS22TransformInputIteratorIbN2at6native12_GLOBAL__N_19NonZeroOpIN3c107complexIdEEEEPKSG_lEEPiiNS8_6detail34convert_binary_result_type_wrapperINS8_3SumESK_iEEEE10hipError_tPvRmT1_T2_T3_mT4_P12ihipStream_tbEUlT_E1_NS1_11comp_targetILNS1_3genE10ELNS1_11target_archE1200ELNS1_3gpuE4ELNS1_3repE0EEENS1_30default_config_static_selectorELNS0_4arch9wavefront6targetE0EEEvST_.uses_flat_scratch, 0
	.set _ZN7rocprim17ROCPRIM_400000_NS6detail17trampoline_kernelINS0_14default_configENS1_22reduce_config_selectorIbEEZNS1_11reduce_implILb1ES3_N6hipcub16HIPCUB_304000_NS22TransformInputIteratorIbN2at6native12_GLOBAL__N_19NonZeroOpIN3c107complexIdEEEEPKSG_lEEPiiNS8_6detail34convert_binary_result_type_wrapperINS8_3SumESK_iEEEE10hipError_tPvRmT1_T2_T3_mT4_P12ihipStream_tbEUlT_E1_NS1_11comp_targetILNS1_3genE10ELNS1_11target_archE1200ELNS1_3gpuE4ELNS1_3repE0EEENS1_30default_config_static_selectorELNS0_4arch9wavefront6targetE0EEEvST_.has_dyn_sized_stack, 0
	.set _ZN7rocprim17ROCPRIM_400000_NS6detail17trampoline_kernelINS0_14default_configENS1_22reduce_config_selectorIbEEZNS1_11reduce_implILb1ES3_N6hipcub16HIPCUB_304000_NS22TransformInputIteratorIbN2at6native12_GLOBAL__N_19NonZeroOpIN3c107complexIdEEEEPKSG_lEEPiiNS8_6detail34convert_binary_result_type_wrapperINS8_3SumESK_iEEEE10hipError_tPvRmT1_T2_T3_mT4_P12ihipStream_tbEUlT_E1_NS1_11comp_targetILNS1_3genE10ELNS1_11target_archE1200ELNS1_3gpuE4ELNS1_3repE0EEENS1_30default_config_static_selectorELNS0_4arch9wavefront6targetE0EEEvST_.has_recursion, 0
	.set _ZN7rocprim17ROCPRIM_400000_NS6detail17trampoline_kernelINS0_14default_configENS1_22reduce_config_selectorIbEEZNS1_11reduce_implILb1ES3_N6hipcub16HIPCUB_304000_NS22TransformInputIteratorIbN2at6native12_GLOBAL__N_19NonZeroOpIN3c107complexIdEEEEPKSG_lEEPiiNS8_6detail34convert_binary_result_type_wrapperINS8_3SumESK_iEEEE10hipError_tPvRmT1_T2_T3_mT4_P12ihipStream_tbEUlT_E1_NS1_11comp_targetILNS1_3genE10ELNS1_11target_archE1200ELNS1_3gpuE4ELNS1_3repE0EEENS1_30default_config_static_selectorELNS0_4arch9wavefront6targetE0EEEvST_.has_indirect_call, 0
	.section	.AMDGPU.csdata,"",@progbits
; Kernel info:
; codeLenInByte = 0
; TotalNumSgprs: 0
; NumVgprs: 0
; ScratchSize: 0
; MemoryBound: 0
; FloatMode: 240
; IeeeMode: 1
; LDSByteSize: 0 bytes/workgroup (compile time only)
; SGPRBlocks: 0
; VGPRBlocks: 0
; NumSGPRsForWavesPerEU: 1
; NumVGPRsForWavesPerEU: 1
; Occupancy: 16
; WaveLimiterHint : 0
; COMPUTE_PGM_RSRC2:SCRATCH_EN: 0
; COMPUTE_PGM_RSRC2:USER_SGPR: 2
; COMPUTE_PGM_RSRC2:TRAP_HANDLER: 0
; COMPUTE_PGM_RSRC2:TGID_X_EN: 1
; COMPUTE_PGM_RSRC2:TGID_Y_EN: 0
; COMPUTE_PGM_RSRC2:TGID_Z_EN: 0
; COMPUTE_PGM_RSRC2:TIDIG_COMP_CNT: 0
	.section	.text._ZN7rocprim17ROCPRIM_400000_NS6detail17trampoline_kernelINS0_14default_configENS1_22reduce_config_selectorIbEEZNS1_11reduce_implILb1ES3_N6hipcub16HIPCUB_304000_NS22TransformInputIteratorIbN2at6native12_GLOBAL__N_19NonZeroOpIN3c107complexIdEEEEPKSG_lEEPiiNS8_6detail34convert_binary_result_type_wrapperINS8_3SumESK_iEEEE10hipError_tPvRmT1_T2_T3_mT4_P12ihipStream_tbEUlT_E1_NS1_11comp_targetILNS1_3genE9ELNS1_11target_archE1100ELNS1_3gpuE3ELNS1_3repE0EEENS1_30default_config_static_selectorELNS0_4arch9wavefront6targetE0EEEvST_,"axG",@progbits,_ZN7rocprim17ROCPRIM_400000_NS6detail17trampoline_kernelINS0_14default_configENS1_22reduce_config_selectorIbEEZNS1_11reduce_implILb1ES3_N6hipcub16HIPCUB_304000_NS22TransformInputIteratorIbN2at6native12_GLOBAL__N_19NonZeroOpIN3c107complexIdEEEEPKSG_lEEPiiNS8_6detail34convert_binary_result_type_wrapperINS8_3SumESK_iEEEE10hipError_tPvRmT1_T2_T3_mT4_P12ihipStream_tbEUlT_E1_NS1_11comp_targetILNS1_3genE9ELNS1_11target_archE1100ELNS1_3gpuE3ELNS1_3repE0EEENS1_30default_config_static_selectorELNS0_4arch9wavefront6targetE0EEEvST_,comdat
	.globl	_ZN7rocprim17ROCPRIM_400000_NS6detail17trampoline_kernelINS0_14default_configENS1_22reduce_config_selectorIbEEZNS1_11reduce_implILb1ES3_N6hipcub16HIPCUB_304000_NS22TransformInputIteratorIbN2at6native12_GLOBAL__N_19NonZeroOpIN3c107complexIdEEEEPKSG_lEEPiiNS8_6detail34convert_binary_result_type_wrapperINS8_3SumESK_iEEEE10hipError_tPvRmT1_T2_T3_mT4_P12ihipStream_tbEUlT_E1_NS1_11comp_targetILNS1_3genE9ELNS1_11target_archE1100ELNS1_3gpuE3ELNS1_3repE0EEENS1_30default_config_static_selectorELNS0_4arch9wavefront6targetE0EEEvST_ ; -- Begin function _ZN7rocprim17ROCPRIM_400000_NS6detail17trampoline_kernelINS0_14default_configENS1_22reduce_config_selectorIbEEZNS1_11reduce_implILb1ES3_N6hipcub16HIPCUB_304000_NS22TransformInputIteratorIbN2at6native12_GLOBAL__N_19NonZeroOpIN3c107complexIdEEEEPKSG_lEEPiiNS8_6detail34convert_binary_result_type_wrapperINS8_3SumESK_iEEEE10hipError_tPvRmT1_T2_T3_mT4_P12ihipStream_tbEUlT_E1_NS1_11comp_targetILNS1_3genE9ELNS1_11target_archE1100ELNS1_3gpuE3ELNS1_3repE0EEENS1_30default_config_static_selectorELNS0_4arch9wavefront6targetE0EEEvST_
	.p2align	8
	.type	_ZN7rocprim17ROCPRIM_400000_NS6detail17trampoline_kernelINS0_14default_configENS1_22reduce_config_selectorIbEEZNS1_11reduce_implILb1ES3_N6hipcub16HIPCUB_304000_NS22TransformInputIteratorIbN2at6native12_GLOBAL__N_19NonZeroOpIN3c107complexIdEEEEPKSG_lEEPiiNS8_6detail34convert_binary_result_type_wrapperINS8_3SumESK_iEEEE10hipError_tPvRmT1_T2_T3_mT4_P12ihipStream_tbEUlT_E1_NS1_11comp_targetILNS1_3genE9ELNS1_11target_archE1100ELNS1_3gpuE3ELNS1_3repE0EEENS1_30default_config_static_selectorELNS0_4arch9wavefront6targetE0EEEvST_,@function
_ZN7rocprim17ROCPRIM_400000_NS6detail17trampoline_kernelINS0_14default_configENS1_22reduce_config_selectorIbEEZNS1_11reduce_implILb1ES3_N6hipcub16HIPCUB_304000_NS22TransformInputIteratorIbN2at6native12_GLOBAL__N_19NonZeroOpIN3c107complexIdEEEEPKSG_lEEPiiNS8_6detail34convert_binary_result_type_wrapperINS8_3SumESK_iEEEE10hipError_tPvRmT1_T2_T3_mT4_P12ihipStream_tbEUlT_E1_NS1_11comp_targetILNS1_3genE9ELNS1_11target_archE1100ELNS1_3gpuE3ELNS1_3repE0EEENS1_30default_config_static_selectorELNS0_4arch9wavefront6targetE0EEEvST_: ; @_ZN7rocprim17ROCPRIM_400000_NS6detail17trampoline_kernelINS0_14default_configENS1_22reduce_config_selectorIbEEZNS1_11reduce_implILb1ES3_N6hipcub16HIPCUB_304000_NS22TransformInputIteratorIbN2at6native12_GLOBAL__N_19NonZeroOpIN3c107complexIdEEEEPKSG_lEEPiiNS8_6detail34convert_binary_result_type_wrapperINS8_3SumESK_iEEEE10hipError_tPvRmT1_T2_T3_mT4_P12ihipStream_tbEUlT_E1_NS1_11comp_targetILNS1_3genE9ELNS1_11target_archE1100ELNS1_3gpuE3ELNS1_3repE0EEENS1_30default_config_static_selectorELNS0_4arch9wavefront6targetE0EEEvST_
; %bb.0:
	.section	.rodata,"a",@progbits
	.p2align	6, 0x0
	.amdhsa_kernel _ZN7rocprim17ROCPRIM_400000_NS6detail17trampoline_kernelINS0_14default_configENS1_22reduce_config_selectorIbEEZNS1_11reduce_implILb1ES3_N6hipcub16HIPCUB_304000_NS22TransformInputIteratorIbN2at6native12_GLOBAL__N_19NonZeroOpIN3c107complexIdEEEEPKSG_lEEPiiNS8_6detail34convert_binary_result_type_wrapperINS8_3SumESK_iEEEE10hipError_tPvRmT1_T2_T3_mT4_P12ihipStream_tbEUlT_E1_NS1_11comp_targetILNS1_3genE9ELNS1_11target_archE1100ELNS1_3gpuE3ELNS1_3repE0EEENS1_30default_config_static_selectorELNS0_4arch9wavefront6targetE0EEEvST_
		.amdhsa_group_segment_fixed_size 0
		.amdhsa_private_segment_fixed_size 0
		.amdhsa_kernarg_size 48
		.amdhsa_user_sgpr_count 2
		.amdhsa_user_sgpr_dispatch_ptr 0
		.amdhsa_user_sgpr_queue_ptr 0
		.amdhsa_user_sgpr_kernarg_segment_ptr 1
		.amdhsa_user_sgpr_dispatch_id 0
		.amdhsa_user_sgpr_private_segment_size 0
		.amdhsa_wavefront_size32 1
		.amdhsa_uses_dynamic_stack 0
		.amdhsa_enable_private_segment 0
		.amdhsa_system_sgpr_workgroup_id_x 1
		.amdhsa_system_sgpr_workgroup_id_y 0
		.amdhsa_system_sgpr_workgroup_id_z 0
		.amdhsa_system_sgpr_workgroup_info 0
		.amdhsa_system_vgpr_workitem_id 0
		.amdhsa_next_free_vgpr 1
		.amdhsa_next_free_sgpr 1
		.amdhsa_reserve_vcc 0
		.amdhsa_float_round_mode_32 0
		.amdhsa_float_round_mode_16_64 0
		.amdhsa_float_denorm_mode_32 3
		.amdhsa_float_denorm_mode_16_64 3
		.amdhsa_fp16_overflow 0
		.amdhsa_workgroup_processor_mode 1
		.amdhsa_memory_ordered 1
		.amdhsa_forward_progress 1
		.amdhsa_inst_pref_size 0
		.amdhsa_round_robin_scheduling 0
		.amdhsa_exception_fp_ieee_invalid_op 0
		.amdhsa_exception_fp_denorm_src 0
		.amdhsa_exception_fp_ieee_div_zero 0
		.amdhsa_exception_fp_ieee_overflow 0
		.amdhsa_exception_fp_ieee_underflow 0
		.amdhsa_exception_fp_ieee_inexact 0
		.amdhsa_exception_int_div_zero 0
	.end_amdhsa_kernel
	.section	.text._ZN7rocprim17ROCPRIM_400000_NS6detail17trampoline_kernelINS0_14default_configENS1_22reduce_config_selectorIbEEZNS1_11reduce_implILb1ES3_N6hipcub16HIPCUB_304000_NS22TransformInputIteratorIbN2at6native12_GLOBAL__N_19NonZeroOpIN3c107complexIdEEEEPKSG_lEEPiiNS8_6detail34convert_binary_result_type_wrapperINS8_3SumESK_iEEEE10hipError_tPvRmT1_T2_T3_mT4_P12ihipStream_tbEUlT_E1_NS1_11comp_targetILNS1_3genE9ELNS1_11target_archE1100ELNS1_3gpuE3ELNS1_3repE0EEENS1_30default_config_static_selectorELNS0_4arch9wavefront6targetE0EEEvST_,"axG",@progbits,_ZN7rocprim17ROCPRIM_400000_NS6detail17trampoline_kernelINS0_14default_configENS1_22reduce_config_selectorIbEEZNS1_11reduce_implILb1ES3_N6hipcub16HIPCUB_304000_NS22TransformInputIteratorIbN2at6native12_GLOBAL__N_19NonZeroOpIN3c107complexIdEEEEPKSG_lEEPiiNS8_6detail34convert_binary_result_type_wrapperINS8_3SumESK_iEEEE10hipError_tPvRmT1_T2_T3_mT4_P12ihipStream_tbEUlT_E1_NS1_11comp_targetILNS1_3genE9ELNS1_11target_archE1100ELNS1_3gpuE3ELNS1_3repE0EEENS1_30default_config_static_selectorELNS0_4arch9wavefront6targetE0EEEvST_,comdat
.Lfunc_end524:
	.size	_ZN7rocprim17ROCPRIM_400000_NS6detail17trampoline_kernelINS0_14default_configENS1_22reduce_config_selectorIbEEZNS1_11reduce_implILb1ES3_N6hipcub16HIPCUB_304000_NS22TransformInputIteratorIbN2at6native12_GLOBAL__N_19NonZeroOpIN3c107complexIdEEEEPKSG_lEEPiiNS8_6detail34convert_binary_result_type_wrapperINS8_3SumESK_iEEEE10hipError_tPvRmT1_T2_T3_mT4_P12ihipStream_tbEUlT_E1_NS1_11comp_targetILNS1_3genE9ELNS1_11target_archE1100ELNS1_3gpuE3ELNS1_3repE0EEENS1_30default_config_static_selectorELNS0_4arch9wavefront6targetE0EEEvST_, .Lfunc_end524-_ZN7rocprim17ROCPRIM_400000_NS6detail17trampoline_kernelINS0_14default_configENS1_22reduce_config_selectorIbEEZNS1_11reduce_implILb1ES3_N6hipcub16HIPCUB_304000_NS22TransformInputIteratorIbN2at6native12_GLOBAL__N_19NonZeroOpIN3c107complexIdEEEEPKSG_lEEPiiNS8_6detail34convert_binary_result_type_wrapperINS8_3SumESK_iEEEE10hipError_tPvRmT1_T2_T3_mT4_P12ihipStream_tbEUlT_E1_NS1_11comp_targetILNS1_3genE9ELNS1_11target_archE1100ELNS1_3gpuE3ELNS1_3repE0EEENS1_30default_config_static_selectorELNS0_4arch9wavefront6targetE0EEEvST_
                                        ; -- End function
	.set _ZN7rocprim17ROCPRIM_400000_NS6detail17trampoline_kernelINS0_14default_configENS1_22reduce_config_selectorIbEEZNS1_11reduce_implILb1ES3_N6hipcub16HIPCUB_304000_NS22TransformInputIteratorIbN2at6native12_GLOBAL__N_19NonZeroOpIN3c107complexIdEEEEPKSG_lEEPiiNS8_6detail34convert_binary_result_type_wrapperINS8_3SumESK_iEEEE10hipError_tPvRmT1_T2_T3_mT4_P12ihipStream_tbEUlT_E1_NS1_11comp_targetILNS1_3genE9ELNS1_11target_archE1100ELNS1_3gpuE3ELNS1_3repE0EEENS1_30default_config_static_selectorELNS0_4arch9wavefront6targetE0EEEvST_.num_vgpr, 0
	.set _ZN7rocprim17ROCPRIM_400000_NS6detail17trampoline_kernelINS0_14default_configENS1_22reduce_config_selectorIbEEZNS1_11reduce_implILb1ES3_N6hipcub16HIPCUB_304000_NS22TransformInputIteratorIbN2at6native12_GLOBAL__N_19NonZeroOpIN3c107complexIdEEEEPKSG_lEEPiiNS8_6detail34convert_binary_result_type_wrapperINS8_3SumESK_iEEEE10hipError_tPvRmT1_T2_T3_mT4_P12ihipStream_tbEUlT_E1_NS1_11comp_targetILNS1_3genE9ELNS1_11target_archE1100ELNS1_3gpuE3ELNS1_3repE0EEENS1_30default_config_static_selectorELNS0_4arch9wavefront6targetE0EEEvST_.num_agpr, 0
	.set _ZN7rocprim17ROCPRIM_400000_NS6detail17trampoline_kernelINS0_14default_configENS1_22reduce_config_selectorIbEEZNS1_11reduce_implILb1ES3_N6hipcub16HIPCUB_304000_NS22TransformInputIteratorIbN2at6native12_GLOBAL__N_19NonZeroOpIN3c107complexIdEEEEPKSG_lEEPiiNS8_6detail34convert_binary_result_type_wrapperINS8_3SumESK_iEEEE10hipError_tPvRmT1_T2_T3_mT4_P12ihipStream_tbEUlT_E1_NS1_11comp_targetILNS1_3genE9ELNS1_11target_archE1100ELNS1_3gpuE3ELNS1_3repE0EEENS1_30default_config_static_selectorELNS0_4arch9wavefront6targetE0EEEvST_.numbered_sgpr, 0
	.set _ZN7rocprim17ROCPRIM_400000_NS6detail17trampoline_kernelINS0_14default_configENS1_22reduce_config_selectorIbEEZNS1_11reduce_implILb1ES3_N6hipcub16HIPCUB_304000_NS22TransformInputIteratorIbN2at6native12_GLOBAL__N_19NonZeroOpIN3c107complexIdEEEEPKSG_lEEPiiNS8_6detail34convert_binary_result_type_wrapperINS8_3SumESK_iEEEE10hipError_tPvRmT1_T2_T3_mT4_P12ihipStream_tbEUlT_E1_NS1_11comp_targetILNS1_3genE9ELNS1_11target_archE1100ELNS1_3gpuE3ELNS1_3repE0EEENS1_30default_config_static_selectorELNS0_4arch9wavefront6targetE0EEEvST_.num_named_barrier, 0
	.set _ZN7rocprim17ROCPRIM_400000_NS6detail17trampoline_kernelINS0_14default_configENS1_22reduce_config_selectorIbEEZNS1_11reduce_implILb1ES3_N6hipcub16HIPCUB_304000_NS22TransformInputIteratorIbN2at6native12_GLOBAL__N_19NonZeroOpIN3c107complexIdEEEEPKSG_lEEPiiNS8_6detail34convert_binary_result_type_wrapperINS8_3SumESK_iEEEE10hipError_tPvRmT1_T2_T3_mT4_P12ihipStream_tbEUlT_E1_NS1_11comp_targetILNS1_3genE9ELNS1_11target_archE1100ELNS1_3gpuE3ELNS1_3repE0EEENS1_30default_config_static_selectorELNS0_4arch9wavefront6targetE0EEEvST_.private_seg_size, 0
	.set _ZN7rocprim17ROCPRIM_400000_NS6detail17trampoline_kernelINS0_14default_configENS1_22reduce_config_selectorIbEEZNS1_11reduce_implILb1ES3_N6hipcub16HIPCUB_304000_NS22TransformInputIteratorIbN2at6native12_GLOBAL__N_19NonZeroOpIN3c107complexIdEEEEPKSG_lEEPiiNS8_6detail34convert_binary_result_type_wrapperINS8_3SumESK_iEEEE10hipError_tPvRmT1_T2_T3_mT4_P12ihipStream_tbEUlT_E1_NS1_11comp_targetILNS1_3genE9ELNS1_11target_archE1100ELNS1_3gpuE3ELNS1_3repE0EEENS1_30default_config_static_selectorELNS0_4arch9wavefront6targetE0EEEvST_.uses_vcc, 0
	.set _ZN7rocprim17ROCPRIM_400000_NS6detail17trampoline_kernelINS0_14default_configENS1_22reduce_config_selectorIbEEZNS1_11reduce_implILb1ES3_N6hipcub16HIPCUB_304000_NS22TransformInputIteratorIbN2at6native12_GLOBAL__N_19NonZeroOpIN3c107complexIdEEEEPKSG_lEEPiiNS8_6detail34convert_binary_result_type_wrapperINS8_3SumESK_iEEEE10hipError_tPvRmT1_T2_T3_mT4_P12ihipStream_tbEUlT_E1_NS1_11comp_targetILNS1_3genE9ELNS1_11target_archE1100ELNS1_3gpuE3ELNS1_3repE0EEENS1_30default_config_static_selectorELNS0_4arch9wavefront6targetE0EEEvST_.uses_flat_scratch, 0
	.set _ZN7rocprim17ROCPRIM_400000_NS6detail17trampoline_kernelINS0_14default_configENS1_22reduce_config_selectorIbEEZNS1_11reduce_implILb1ES3_N6hipcub16HIPCUB_304000_NS22TransformInputIteratorIbN2at6native12_GLOBAL__N_19NonZeroOpIN3c107complexIdEEEEPKSG_lEEPiiNS8_6detail34convert_binary_result_type_wrapperINS8_3SumESK_iEEEE10hipError_tPvRmT1_T2_T3_mT4_P12ihipStream_tbEUlT_E1_NS1_11comp_targetILNS1_3genE9ELNS1_11target_archE1100ELNS1_3gpuE3ELNS1_3repE0EEENS1_30default_config_static_selectorELNS0_4arch9wavefront6targetE0EEEvST_.has_dyn_sized_stack, 0
	.set _ZN7rocprim17ROCPRIM_400000_NS6detail17trampoline_kernelINS0_14default_configENS1_22reduce_config_selectorIbEEZNS1_11reduce_implILb1ES3_N6hipcub16HIPCUB_304000_NS22TransformInputIteratorIbN2at6native12_GLOBAL__N_19NonZeroOpIN3c107complexIdEEEEPKSG_lEEPiiNS8_6detail34convert_binary_result_type_wrapperINS8_3SumESK_iEEEE10hipError_tPvRmT1_T2_T3_mT4_P12ihipStream_tbEUlT_E1_NS1_11comp_targetILNS1_3genE9ELNS1_11target_archE1100ELNS1_3gpuE3ELNS1_3repE0EEENS1_30default_config_static_selectorELNS0_4arch9wavefront6targetE0EEEvST_.has_recursion, 0
	.set _ZN7rocprim17ROCPRIM_400000_NS6detail17trampoline_kernelINS0_14default_configENS1_22reduce_config_selectorIbEEZNS1_11reduce_implILb1ES3_N6hipcub16HIPCUB_304000_NS22TransformInputIteratorIbN2at6native12_GLOBAL__N_19NonZeroOpIN3c107complexIdEEEEPKSG_lEEPiiNS8_6detail34convert_binary_result_type_wrapperINS8_3SumESK_iEEEE10hipError_tPvRmT1_T2_T3_mT4_P12ihipStream_tbEUlT_E1_NS1_11comp_targetILNS1_3genE9ELNS1_11target_archE1100ELNS1_3gpuE3ELNS1_3repE0EEENS1_30default_config_static_selectorELNS0_4arch9wavefront6targetE0EEEvST_.has_indirect_call, 0
	.section	.AMDGPU.csdata,"",@progbits
; Kernel info:
; codeLenInByte = 0
; TotalNumSgprs: 0
; NumVgprs: 0
; ScratchSize: 0
; MemoryBound: 0
; FloatMode: 240
; IeeeMode: 1
; LDSByteSize: 0 bytes/workgroup (compile time only)
; SGPRBlocks: 0
; VGPRBlocks: 0
; NumSGPRsForWavesPerEU: 1
; NumVGPRsForWavesPerEU: 1
; Occupancy: 16
; WaveLimiterHint : 0
; COMPUTE_PGM_RSRC2:SCRATCH_EN: 0
; COMPUTE_PGM_RSRC2:USER_SGPR: 2
; COMPUTE_PGM_RSRC2:TRAP_HANDLER: 0
; COMPUTE_PGM_RSRC2:TGID_X_EN: 1
; COMPUTE_PGM_RSRC2:TGID_Y_EN: 0
; COMPUTE_PGM_RSRC2:TGID_Z_EN: 0
; COMPUTE_PGM_RSRC2:TIDIG_COMP_CNT: 0
	.section	.text._ZN7rocprim17ROCPRIM_400000_NS6detail17trampoline_kernelINS0_14default_configENS1_22reduce_config_selectorIbEEZNS1_11reduce_implILb1ES3_N6hipcub16HIPCUB_304000_NS22TransformInputIteratorIbN2at6native12_GLOBAL__N_19NonZeroOpIN3c107complexIdEEEEPKSG_lEEPiiNS8_6detail34convert_binary_result_type_wrapperINS8_3SumESK_iEEEE10hipError_tPvRmT1_T2_T3_mT4_P12ihipStream_tbEUlT_E1_NS1_11comp_targetILNS1_3genE8ELNS1_11target_archE1030ELNS1_3gpuE2ELNS1_3repE0EEENS1_30default_config_static_selectorELNS0_4arch9wavefront6targetE0EEEvST_,"axG",@progbits,_ZN7rocprim17ROCPRIM_400000_NS6detail17trampoline_kernelINS0_14default_configENS1_22reduce_config_selectorIbEEZNS1_11reduce_implILb1ES3_N6hipcub16HIPCUB_304000_NS22TransformInputIteratorIbN2at6native12_GLOBAL__N_19NonZeroOpIN3c107complexIdEEEEPKSG_lEEPiiNS8_6detail34convert_binary_result_type_wrapperINS8_3SumESK_iEEEE10hipError_tPvRmT1_T2_T3_mT4_P12ihipStream_tbEUlT_E1_NS1_11comp_targetILNS1_3genE8ELNS1_11target_archE1030ELNS1_3gpuE2ELNS1_3repE0EEENS1_30default_config_static_selectorELNS0_4arch9wavefront6targetE0EEEvST_,comdat
	.globl	_ZN7rocprim17ROCPRIM_400000_NS6detail17trampoline_kernelINS0_14default_configENS1_22reduce_config_selectorIbEEZNS1_11reduce_implILb1ES3_N6hipcub16HIPCUB_304000_NS22TransformInputIteratorIbN2at6native12_GLOBAL__N_19NonZeroOpIN3c107complexIdEEEEPKSG_lEEPiiNS8_6detail34convert_binary_result_type_wrapperINS8_3SumESK_iEEEE10hipError_tPvRmT1_T2_T3_mT4_P12ihipStream_tbEUlT_E1_NS1_11comp_targetILNS1_3genE8ELNS1_11target_archE1030ELNS1_3gpuE2ELNS1_3repE0EEENS1_30default_config_static_selectorELNS0_4arch9wavefront6targetE0EEEvST_ ; -- Begin function _ZN7rocprim17ROCPRIM_400000_NS6detail17trampoline_kernelINS0_14default_configENS1_22reduce_config_selectorIbEEZNS1_11reduce_implILb1ES3_N6hipcub16HIPCUB_304000_NS22TransformInputIteratorIbN2at6native12_GLOBAL__N_19NonZeroOpIN3c107complexIdEEEEPKSG_lEEPiiNS8_6detail34convert_binary_result_type_wrapperINS8_3SumESK_iEEEE10hipError_tPvRmT1_T2_T3_mT4_P12ihipStream_tbEUlT_E1_NS1_11comp_targetILNS1_3genE8ELNS1_11target_archE1030ELNS1_3gpuE2ELNS1_3repE0EEENS1_30default_config_static_selectorELNS0_4arch9wavefront6targetE0EEEvST_
	.p2align	8
	.type	_ZN7rocprim17ROCPRIM_400000_NS6detail17trampoline_kernelINS0_14default_configENS1_22reduce_config_selectorIbEEZNS1_11reduce_implILb1ES3_N6hipcub16HIPCUB_304000_NS22TransformInputIteratorIbN2at6native12_GLOBAL__N_19NonZeroOpIN3c107complexIdEEEEPKSG_lEEPiiNS8_6detail34convert_binary_result_type_wrapperINS8_3SumESK_iEEEE10hipError_tPvRmT1_T2_T3_mT4_P12ihipStream_tbEUlT_E1_NS1_11comp_targetILNS1_3genE8ELNS1_11target_archE1030ELNS1_3gpuE2ELNS1_3repE0EEENS1_30default_config_static_selectorELNS0_4arch9wavefront6targetE0EEEvST_,@function
_ZN7rocprim17ROCPRIM_400000_NS6detail17trampoline_kernelINS0_14default_configENS1_22reduce_config_selectorIbEEZNS1_11reduce_implILb1ES3_N6hipcub16HIPCUB_304000_NS22TransformInputIteratorIbN2at6native12_GLOBAL__N_19NonZeroOpIN3c107complexIdEEEEPKSG_lEEPiiNS8_6detail34convert_binary_result_type_wrapperINS8_3SumESK_iEEEE10hipError_tPvRmT1_T2_T3_mT4_P12ihipStream_tbEUlT_E1_NS1_11comp_targetILNS1_3genE8ELNS1_11target_archE1030ELNS1_3gpuE2ELNS1_3repE0EEENS1_30default_config_static_selectorELNS0_4arch9wavefront6targetE0EEEvST_: ; @_ZN7rocprim17ROCPRIM_400000_NS6detail17trampoline_kernelINS0_14default_configENS1_22reduce_config_selectorIbEEZNS1_11reduce_implILb1ES3_N6hipcub16HIPCUB_304000_NS22TransformInputIteratorIbN2at6native12_GLOBAL__N_19NonZeroOpIN3c107complexIdEEEEPKSG_lEEPiiNS8_6detail34convert_binary_result_type_wrapperINS8_3SumESK_iEEEE10hipError_tPvRmT1_T2_T3_mT4_P12ihipStream_tbEUlT_E1_NS1_11comp_targetILNS1_3genE8ELNS1_11target_archE1030ELNS1_3gpuE2ELNS1_3repE0EEENS1_30default_config_static_selectorELNS0_4arch9wavefront6targetE0EEEvST_
; %bb.0:
	.section	.rodata,"a",@progbits
	.p2align	6, 0x0
	.amdhsa_kernel _ZN7rocprim17ROCPRIM_400000_NS6detail17trampoline_kernelINS0_14default_configENS1_22reduce_config_selectorIbEEZNS1_11reduce_implILb1ES3_N6hipcub16HIPCUB_304000_NS22TransformInputIteratorIbN2at6native12_GLOBAL__N_19NonZeroOpIN3c107complexIdEEEEPKSG_lEEPiiNS8_6detail34convert_binary_result_type_wrapperINS8_3SumESK_iEEEE10hipError_tPvRmT1_T2_T3_mT4_P12ihipStream_tbEUlT_E1_NS1_11comp_targetILNS1_3genE8ELNS1_11target_archE1030ELNS1_3gpuE2ELNS1_3repE0EEENS1_30default_config_static_selectorELNS0_4arch9wavefront6targetE0EEEvST_
		.amdhsa_group_segment_fixed_size 0
		.amdhsa_private_segment_fixed_size 0
		.amdhsa_kernarg_size 48
		.amdhsa_user_sgpr_count 2
		.amdhsa_user_sgpr_dispatch_ptr 0
		.amdhsa_user_sgpr_queue_ptr 0
		.amdhsa_user_sgpr_kernarg_segment_ptr 1
		.amdhsa_user_sgpr_dispatch_id 0
		.amdhsa_user_sgpr_private_segment_size 0
		.amdhsa_wavefront_size32 1
		.amdhsa_uses_dynamic_stack 0
		.amdhsa_enable_private_segment 0
		.amdhsa_system_sgpr_workgroup_id_x 1
		.amdhsa_system_sgpr_workgroup_id_y 0
		.amdhsa_system_sgpr_workgroup_id_z 0
		.amdhsa_system_sgpr_workgroup_info 0
		.amdhsa_system_vgpr_workitem_id 0
		.amdhsa_next_free_vgpr 1
		.amdhsa_next_free_sgpr 1
		.amdhsa_reserve_vcc 0
		.amdhsa_float_round_mode_32 0
		.amdhsa_float_round_mode_16_64 0
		.amdhsa_float_denorm_mode_32 3
		.amdhsa_float_denorm_mode_16_64 3
		.amdhsa_fp16_overflow 0
		.amdhsa_workgroup_processor_mode 1
		.amdhsa_memory_ordered 1
		.amdhsa_forward_progress 1
		.amdhsa_inst_pref_size 0
		.amdhsa_round_robin_scheduling 0
		.amdhsa_exception_fp_ieee_invalid_op 0
		.amdhsa_exception_fp_denorm_src 0
		.amdhsa_exception_fp_ieee_div_zero 0
		.amdhsa_exception_fp_ieee_overflow 0
		.amdhsa_exception_fp_ieee_underflow 0
		.amdhsa_exception_fp_ieee_inexact 0
		.amdhsa_exception_int_div_zero 0
	.end_amdhsa_kernel
	.section	.text._ZN7rocprim17ROCPRIM_400000_NS6detail17trampoline_kernelINS0_14default_configENS1_22reduce_config_selectorIbEEZNS1_11reduce_implILb1ES3_N6hipcub16HIPCUB_304000_NS22TransformInputIteratorIbN2at6native12_GLOBAL__N_19NonZeroOpIN3c107complexIdEEEEPKSG_lEEPiiNS8_6detail34convert_binary_result_type_wrapperINS8_3SumESK_iEEEE10hipError_tPvRmT1_T2_T3_mT4_P12ihipStream_tbEUlT_E1_NS1_11comp_targetILNS1_3genE8ELNS1_11target_archE1030ELNS1_3gpuE2ELNS1_3repE0EEENS1_30default_config_static_selectorELNS0_4arch9wavefront6targetE0EEEvST_,"axG",@progbits,_ZN7rocprim17ROCPRIM_400000_NS6detail17trampoline_kernelINS0_14default_configENS1_22reduce_config_selectorIbEEZNS1_11reduce_implILb1ES3_N6hipcub16HIPCUB_304000_NS22TransformInputIteratorIbN2at6native12_GLOBAL__N_19NonZeroOpIN3c107complexIdEEEEPKSG_lEEPiiNS8_6detail34convert_binary_result_type_wrapperINS8_3SumESK_iEEEE10hipError_tPvRmT1_T2_T3_mT4_P12ihipStream_tbEUlT_E1_NS1_11comp_targetILNS1_3genE8ELNS1_11target_archE1030ELNS1_3gpuE2ELNS1_3repE0EEENS1_30default_config_static_selectorELNS0_4arch9wavefront6targetE0EEEvST_,comdat
.Lfunc_end525:
	.size	_ZN7rocprim17ROCPRIM_400000_NS6detail17trampoline_kernelINS0_14default_configENS1_22reduce_config_selectorIbEEZNS1_11reduce_implILb1ES3_N6hipcub16HIPCUB_304000_NS22TransformInputIteratorIbN2at6native12_GLOBAL__N_19NonZeroOpIN3c107complexIdEEEEPKSG_lEEPiiNS8_6detail34convert_binary_result_type_wrapperINS8_3SumESK_iEEEE10hipError_tPvRmT1_T2_T3_mT4_P12ihipStream_tbEUlT_E1_NS1_11comp_targetILNS1_3genE8ELNS1_11target_archE1030ELNS1_3gpuE2ELNS1_3repE0EEENS1_30default_config_static_selectorELNS0_4arch9wavefront6targetE0EEEvST_, .Lfunc_end525-_ZN7rocprim17ROCPRIM_400000_NS6detail17trampoline_kernelINS0_14default_configENS1_22reduce_config_selectorIbEEZNS1_11reduce_implILb1ES3_N6hipcub16HIPCUB_304000_NS22TransformInputIteratorIbN2at6native12_GLOBAL__N_19NonZeroOpIN3c107complexIdEEEEPKSG_lEEPiiNS8_6detail34convert_binary_result_type_wrapperINS8_3SumESK_iEEEE10hipError_tPvRmT1_T2_T3_mT4_P12ihipStream_tbEUlT_E1_NS1_11comp_targetILNS1_3genE8ELNS1_11target_archE1030ELNS1_3gpuE2ELNS1_3repE0EEENS1_30default_config_static_selectorELNS0_4arch9wavefront6targetE0EEEvST_
                                        ; -- End function
	.set _ZN7rocprim17ROCPRIM_400000_NS6detail17trampoline_kernelINS0_14default_configENS1_22reduce_config_selectorIbEEZNS1_11reduce_implILb1ES3_N6hipcub16HIPCUB_304000_NS22TransformInputIteratorIbN2at6native12_GLOBAL__N_19NonZeroOpIN3c107complexIdEEEEPKSG_lEEPiiNS8_6detail34convert_binary_result_type_wrapperINS8_3SumESK_iEEEE10hipError_tPvRmT1_T2_T3_mT4_P12ihipStream_tbEUlT_E1_NS1_11comp_targetILNS1_3genE8ELNS1_11target_archE1030ELNS1_3gpuE2ELNS1_3repE0EEENS1_30default_config_static_selectorELNS0_4arch9wavefront6targetE0EEEvST_.num_vgpr, 0
	.set _ZN7rocprim17ROCPRIM_400000_NS6detail17trampoline_kernelINS0_14default_configENS1_22reduce_config_selectorIbEEZNS1_11reduce_implILb1ES3_N6hipcub16HIPCUB_304000_NS22TransformInputIteratorIbN2at6native12_GLOBAL__N_19NonZeroOpIN3c107complexIdEEEEPKSG_lEEPiiNS8_6detail34convert_binary_result_type_wrapperINS8_3SumESK_iEEEE10hipError_tPvRmT1_T2_T3_mT4_P12ihipStream_tbEUlT_E1_NS1_11comp_targetILNS1_3genE8ELNS1_11target_archE1030ELNS1_3gpuE2ELNS1_3repE0EEENS1_30default_config_static_selectorELNS0_4arch9wavefront6targetE0EEEvST_.num_agpr, 0
	.set _ZN7rocprim17ROCPRIM_400000_NS6detail17trampoline_kernelINS0_14default_configENS1_22reduce_config_selectorIbEEZNS1_11reduce_implILb1ES3_N6hipcub16HIPCUB_304000_NS22TransformInputIteratorIbN2at6native12_GLOBAL__N_19NonZeroOpIN3c107complexIdEEEEPKSG_lEEPiiNS8_6detail34convert_binary_result_type_wrapperINS8_3SumESK_iEEEE10hipError_tPvRmT1_T2_T3_mT4_P12ihipStream_tbEUlT_E1_NS1_11comp_targetILNS1_3genE8ELNS1_11target_archE1030ELNS1_3gpuE2ELNS1_3repE0EEENS1_30default_config_static_selectorELNS0_4arch9wavefront6targetE0EEEvST_.numbered_sgpr, 0
	.set _ZN7rocprim17ROCPRIM_400000_NS6detail17trampoline_kernelINS0_14default_configENS1_22reduce_config_selectorIbEEZNS1_11reduce_implILb1ES3_N6hipcub16HIPCUB_304000_NS22TransformInputIteratorIbN2at6native12_GLOBAL__N_19NonZeroOpIN3c107complexIdEEEEPKSG_lEEPiiNS8_6detail34convert_binary_result_type_wrapperINS8_3SumESK_iEEEE10hipError_tPvRmT1_T2_T3_mT4_P12ihipStream_tbEUlT_E1_NS1_11comp_targetILNS1_3genE8ELNS1_11target_archE1030ELNS1_3gpuE2ELNS1_3repE0EEENS1_30default_config_static_selectorELNS0_4arch9wavefront6targetE0EEEvST_.num_named_barrier, 0
	.set _ZN7rocprim17ROCPRIM_400000_NS6detail17trampoline_kernelINS0_14default_configENS1_22reduce_config_selectorIbEEZNS1_11reduce_implILb1ES3_N6hipcub16HIPCUB_304000_NS22TransformInputIteratorIbN2at6native12_GLOBAL__N_19NonZeroOpIN3c107complexIdEEEEPKSG_lEEPiiNS8_6detail34convert_binary_result_type_wrapperINS8_3SumESK_iEEEE10hipError_tPvRmT1_T2_T3_mT4_P12ihipStream_tbEUlT_E1_NS1_11comp_targetILNS1_3genE8ELNS1_11target_archE1030ELNS1_3gpuE2ELNS1_3repE0EEENS1_30default_config_static_selectorELNS0_4arch9wavefront6targetE0EEEvST_.private_seg_size, 0
	.set _ZN7rocprim17ROCPRIM_400000_NS6detail17trampoline_kernelINS0_14default_configENS1_22reduce_config_selectorIbEEZNS1_11reduce_implILb1ES3_N6hipcub16HIPCUB_304000_NS22TransformInputIteratorIbN2at6native12_GLOBAL__N_19NonZeroOpIN3c107complexIdEEEEPKSG_lEEPiiNS8_6detail34convert_binary_result_type_wrapperINS8_3SumESK_iEEEE10hipError_tPvRmT1_T2_T3_mT4_P12ihipStream_tbEUlT_E1_NS1_11comp_targetILNS1_3genE8ELNS1_11target_archE1030ELNS1_3gpuE2ELNS1_3repE0EEENS1_30default_config_static_selectorELNS0_4arch9wavefront6targetE0EEEvST_.uses_vcc, 0
	.set _ZN7rocprim17ROCPRIM_400000_NS6detail17trampoline_kernelINS0_14default_configENS1_22reduce_config_selectorIbEEZNS1_11reduce_implILb1ES3_N6hipcub16HIPCUB_304000_NS22TransformInputIteratorIbN2at6native12_GLOBAL__N_19NonZeroOpIN3c107complexIdEEEEPKSG_lEEPiiNS8_6detail34convert_binary_result_type_wrapperINS8_3SumESK_iEEEE10hipError_tPvRmT1_T2_T3_mT4_P12ihipStream_tbEUlT_E1_NS1_11comp_targetILNS1_3genE8ELNS1_11target_archE1030ELNS1_3gpuE2ELNS1_3repE0EEENS1_30default_config_static_selectorELNS0_4arch9wavefront6targetE0EEEvST_.uses_flat_scratch, 0
	.set _ZN7rocprim17ROCPRIM_400000_NS6detail17trampoline_kernelINS0_14default_configENS1_22reduce_config_selectorIbEEZNS1_11reduce_implILb1ES3_N6hipcub16HIPCUB_304000_NS22TransformInputIteratorIbN2at6native12_GLOBAL__N_19NonZeroOpIN3c107complexIdEEEEPKSG_lEEPiiNS8_6detail34convert_binary_result_type_wrapperINS8_3SumESK_iEEEE10hipError_tPvRmT1_T2_T3_mT4_P12ihipStream_tbEUlT_E1_NS1_11comp_targetILNS1_3genE8ELNS1_11target_archE1030ELNS1_3gpuE2ELNS1_3repE0EEENS1_30default_config_static_selectorELNS0_4arch9wavefront6targetE0EEEvST_.has_dyn_sized_stack, 0
	.set _ZN7rocprim17ROCPRIM_400000_NS6detail17trampoline_kernelINS0_14default_configENS1_22reduce_config_selectorIbEEZNS1_11reduce_implILb1ES3_N6hipcub16HIPCUB_304000_NS22TransformInputIteratorIbN2at6native12_GLOBAL__N_19NonZeroOpIN3c107complexIdEEEEPKSG_lEEPiiNS8_6detail34convert_binary_result_type_wrapperINS8_3SumESK_iEEEE10hipError_tPvRmT1_T2_T3_mT4_P12ihipStream_tbEUlT_E1_NS1_11comp_targetILNS1_3genE8ELNS1_11target_archE1030ELNS1_3gpuE2ELNS1_3repE0EEENS1_30default_config_static_selectorELNS0_4arch9wavefront6targetE0EEEvST_.has_recursion, 0
	.set _ZN7rocprim17ROCPRIM_400000_NS6detail17trampoline_kernelINS0_14default_configENS1_22reduce_config_selectorIbEEZNS1_11reduce_implILb1ES3_N6hipcub16HIPCUB_304000_NS22TransformInputIteratorIbN2at6native12_GLOBAL__N_19NonZeroOpIN3c107complexIdEEEEPKSG_lEEPiiNS8_6detail34convert_binary_result_type_wrapperINS8_3SumESK_iEEEE10hipError_tPvRmT1_T2_T3_mT4_P12ihipStream_tbEUlT_E1_NS1_11comp_targetILNS1_3genE8ELNS1_11target_archE1030ELNS1_3gpuE2ELNS1_3repE0EEENS1_30default_config_static_selectorELNS0_4arch9wavefront6targetE0EEEvST_.has_indirect_call, 0
	.section	.AMDGPU.csdata,"",@progbits
; Kernel info:
; codeLenInByte = 0
; TotalNumSgprs: 0
; NumVgprs: 0
; ScratchSize: 0
; MemoryBound: 0
; FloatMode: 240
; IeeeMode: 1
; LDSByteSize: 0 bytes/workgroup (compile time only)
; SGPRBlocks: 0
; VGPRBlocks: 0
; NumSGPRsForWavesPerEU: 1
; NumVGPRsForWavesPerEU: 1
; Occupancy: 16
; WaveLimiterHint : 0
; COMPUTE_PGM_RSRC2:SCRATCH_EN: 0
; COMPUTE_PGM_RSRC2:USER_SGPR: 2
; COMPUTE_PGM_RSRC2:TRAP_HANDLER: 0
; COMPUTE_PGM_RSRC2:TGID_X_EN: 1
; COMPUTE_PGM_RSRC2:TGID_Y_EN: 0
; COMPUTE_PGM_RSRC2:TGID_Z_EN: 0
; COMPUTE_PGM_RSRC2:TIDIG_COMP_CNT: 0
	.section	.text._ZN7rocprim17ROCPRIM_400000_NS6detail17trampoline_kernelINS0_14default_configENS1_25partition_config_selectorILNS1_17partition_subalgoE5ElNS0_10empty_typeEbEEZZNS1_14partition_implILS5_5ELb0ES3_mN6hipcub16HIPCUB_304000_NS21CountingInputIteratorIllEEPS6_NSA_22TransformInputIteratorIbN2at6native12_GLOBAL__N_19NonZeroOpIN3c107complexIdEEEEPKSL_lEENS0_5tupleIJPlS6_EEENSQ_IJSD_SD_EEES6_PiJS6_EEE10hipError_tPvRmT3_T4_T5_T6_T7_T9_mT8_P12ihipStream_tbDpT10_ENKUlT_T0_E_clISt17integral_constantIbLb0EES1E_EEDaS19_S1A_EUlS19_E_NS1_11comp_targetILNS1_3genE0ELNS1_11target_archE4294967295ELNS1_3gpuE0ELNS1_3repE0EEENS1_30default_config_static_selectorELNS0_4arch9wavefront6targetE0EEEvT1_,"axG",@progbits,_ZN7rocprim17ROCPRIM_400000_NS6detail17trampoline_kernelINS0_14default_configENS1_25partition_config_selectorILNS1_17partition_subalgoE5ElNS0_10empty_typeEbEEZZNS1_14partition_implILS5_5ELb0ES3_mN6hipcub16HIPCUB_304000_NS21CountingInputIteratorIllEEPS6_NSA_22TransformInputIteratorIbN2at6native12_GLOBAL__N_19NonZeroOpIN3c107complexIdEEEEPKSL_lEENS0_5tupleIJPlS6_EEENSQ_IJSD_SD_EEES6_PiJS6_EEE10hipError_tPvRmT3_T4_T5_T6_T7_T9_mT8_P12ihipStream_tbDpT10_ENKUlT_T0_E_clISt17integral_constantIbLb0EES1E_EEDaS19_S1A_EUlS19_E_NS1_11comp_targetILNS1_3genE0ELNS1_11target_archE4294967295ELNS1_3gpuE0ELNS1_3repE0EEENS1_30default_config_static_selectorELNS0_4arch9wavefront6targetE0EEEvT1_,comdat
	.globl	_ZN7rocprim17ROCPRIM_400000_NS6detail17trampoline_kernelINS0_14default_configENS1_25partition_config_selectorILNS1_17partition_subalgoE5ElNS0_10empty_typeEbEEZZNS1_14partition_implILS5_5ELb0ES3_mN6hipcub16HIPCUB_304000_NS21CountingInputIteratorIllEEPS6_NSA_22TransformInputIteratorIbN2at6native12_GLOBAL__N_19NonZeroOpIN3c107complexIdEEEEPKSL_lEENS0_5tupleIJPlS6_EEENSQ_IJSD_SD_EEES6_PiJS6_EEE10hipError_tPvRmT3_T4_T5_T6_T7_T9_mT8_P12ihipStream_tbDpT10_ENKUlT_T0_E_clISt17integral_constantIbLb0EES1E_EEDaS19_S1A_EUlS19_E_NS1_11comp_targetILNS1_3genE0ELNS1_11target_archE4294967295ELNS1_3gpuE0ELNS1_3repE0EEENS1_30default_config_static_selectorELNS0_4arch9wavefront6targetE0EEEvT1_ ; -- Begin function _ZN7rocprim17ROCPRIM_400000_NS6detail17trampoline_kernelINS0_14default_configENS1_25partition_config_selectorILNS1_17partition_subalgoE5ElNS0_10empty_typeEbEEZZNS1_14partition_implILS5_5ELb0ES3_mN6hipcub16HIPCUB_304000_NS21CountingInputIteratorIllEEPS6_NSA_22TransformInputIteratorIbN2at6native12_GLOBAL__N_19NonZeroOpIN3c107complexIdEEEEPKSL_lEENS0_5tupleIJPlS6_EEENSQ_IJSD_SD_EEES6_PiJS6_EEE10hipError_tPvRmT3_T4_T5_T6_T7_T9_mT8_P12ihipStream_tbDpT10_ENKUlT_T0_E_clISt17integral_constantIbLb0EES1E_EEDaS19_S1A_EUlS19_E_NS1_11comp_targetILNS1_3genE0ELNS1_11target_archE4294967295ELNS1_3gpuE0ELNS1_3repE0EEENS1_30default_config_static_selectorELNS0_4arch9wavefront6targetE0EEEvT1_
	.p2align	8
	.type	_ZN7rocprim17ROCPRIM_400000_NS6detail17trampoline_kernelINS0_14default_configENS1_25partition_config_selectorILNS1_17partition_subalgoE5ElNS0_10empty_typeEbEEZZNS1_14partition_implILS5_5ELb0ES3_mN6hipcub16HIPCUB_304000_NS21CountingInputIteratorIllEEPS6_NSA_22TransformInputIteratorIbN2at6native12_GLOBAL__N_19NonZeroOpIN3c107complexIdEEEEPKSL_lEENS0_5tupleIJPlS6_EEENSQ_IJSD_SD_EEES6_PiJS6_EEE10hipError_tPvRmT3_T4_T5_T6_T7_T9_mT8_P12ihipStream_tbDpT10_ENKUlT_T0_E_clISt17integral_constantIbLb0EES1E_EEDaS19_S1A_EUlS19_E_NS1_11comp_targetILNS1_3genE0ELNS1_11target_archE4294967295ELNS1_3gpuE0ELNS1_3repE0EEENS1_30default_config_static_selectorELNS0_4arch9wavefront6targetE0EEEvT1_,@function
_ZN7rocprim17ROCPRIM_400000_NS6detail17trampoline_kernelINS0_14default_configENS1_25partition_config_selectorILNS1_17partition_subalgoE5ElNS0_10empty_typeEbEEZZNS1_14partition_implILS5_5ELb0ES3_mN6hipcub16HIPCUB_304000_NS21CountingInputIteratorIllEEPS6_NSA_22TransformInputIteratorIbN2at6native12_GLOBAL__N_19NonZeroOpIN3c107complexIdEEEEPKSL_lEENS0_5tupleIJPlS6_EEENSQ_IJSD_SD_EEES6_PiJS6_EEE10hipError_tPvRmT3_T4_T5_T6_T7_T9_mT8_P12ihipStream_tbDpT10_ENKUlT_T0_E_clISt17integral_constantIbLb0EES1E_EEDaS19_S1A_EUlS19_E_NS1_11comp_targetILNS1_3genE0ELNS1_11target_archE4294967295ELNS1_3gpuE0ELNS1_3repE0EEENS1_30default_config_static_selectorELNS0_4arch9wavefront6targetE0EEEvT1_: ; @_ZN7rocprim17ROCPRIM_400000_NS6detail17trampoline_kernelINS0_14default_configENS1_25partition_config_selectorILNS1_17partition_subalgoE5ElNS0_10empty_typeEbEEZZNS1_14partition_implILS5_5ELb0ES3_mN6hipcub16HIPCUB_304000_NS21CountingInputIteratorIllEEPS6_NSA_22TransformInputIteratorIbN2at6native12_GLOBAL__N_19NonZeroOpIN3c107complexIdEEEEPKSL_lEENS0_5tupleIJPlS6_EEENSQ_IJSD_SD_EEES6_PiJS6_EEE10hipError_tPvRmT3_T4_T5_T6_T7_T9_mT8_P12ihipStream_tbDpT10_ENKUlT_T0_E_clISt17integral_constantIbLb0EES1E_EEDaS19_S1A_EUlS19_E_NS1_11comp_targetILNS1_3genE0ELNS1_11target_archE4294967295ELNS1_3gpuE0ELNS1_3repE0EEENS1_30default_config_static_selectorELNS0_4arch9wavefront6targetE0EEEvT1_
; %bb.0:
	.section	.rodata,"a",@progbits
	.p2align	6, 0x0
	.amdhsa_kernel _ZN7rocprim17ROCPRIM_400000_NS6detail17trampoline_kernelINS0_14default_configENS1_25partition_config_selectorILNS1_17partition_subalgoE5ElNS0_10empty_typeEbEEZZNS1_14partition_implILS5_5ELb0ES3_mN6hipcub16HIPCUB_304000_NS21CountingInputIteratorIllEEPS6_NSA_22TransformInputIteratorIbN2at6native12_GLOBAL__N_19NonZeroOpIN3c107complexIdEEEEPKSL_lEENS0_5tupleIJPlS6_EEENSQ_IJSD_SD_EEES6_PiJS6_EEE10hipError_tPvRmT3_T4_T5_T6_T7_T9_mT8_P12ihipStream_tbDpT10_ENKUlT_T0_E_clISt17integral_constantIbLb0EES1E_EEDaS19_S1A_EUlS19_E_NS1_11comp_targetILNS1_3genE0ELNS1_11target_archE4294967295ELNS1_3gpuE0ELNS1_3repE0EEENS1_30default_config_static_selectorELNS0_4arch9wavefront6targetE0EEEvT1_
		.amdhsa_group_segment_fixed_size 0
		.amdhsa_private_segment_fixed_size 0
		.amdhsa_kernarg_size 120
		.amdhsa_user_sgpr_count 2
		.amdhsa_user_sgpr_dispatch_ptr 0
		.amdhsa_user_sgpr_queue_ptr 0
		.amdhsa_user_sgpr_kernarg_segment_ptr 1
		.amdhsa_user_sgpr_dispatch_id 0
		.amdhsa_user_sgpr_private_segment_size 0
		.amdhsa_wavefront_size32 1
		.amdhsa_uses_dynamic_stack 0
		.amdhsa_enable_private_segment 0
		.amdhsa_system_sgpr_workgroup_id_x 1
		.amdhsa_system_sgpr_workgroup_id_y 0
		.amdhsa_system_sgpr_workgroup_id_z 0
		.amdhsa_system_sgpr_workgroup_info 0
		.amdhsa_system_vgpr_workitem_id 0
		.amdhsa_next_free_vgpr 1
		.amdhsa_next_free_sgpr 1
		.amdhsa_reserve_vcc 0
		.amdhsa_float_round_mode_32 0
		.amdhsa_float_round_mode_16_64 0
		.amdhsa_float_denorm_mode_32 3
		.amdhsa_float_denorm_mode_16_64 3
		.amdhsa_fp16_overflow 0
		.amdhsa_workgroup_processor_mode 1
		.amdhsa_memory_ordered 1
		.amdhsa_forward_progress 1
		.amdhsa_inst_pref_size 0
		.amdhsa_round_robin_scheduling 0
		.amdhsa_exception_fp_ieee_invalid_op 0
		.amdhsa_exception_fp_denorm_src 0
		.amdhsa_exception_fp_ieee_div_zero 0
		.amdhsa_exception_fp_ieee_overflow 0
		.amdhsa_exception_fp_ieee_underflow 0
		.amdhsa_exception_fp_ieee_inexact 0
		.amdhsa_exception_int_div_zero 0
	.end_amdhsa_kernel
	.section	.text._ZN7rocprim17ROCPRIM_400000_NS6detail17trampoline_kernelINS0_14default_configENS1_25partition_config_selectorILNS1_17partition_subalgoE5ElNS0_10empty_typeEbEEZZNS1_14partition_implILS5_5ELb0ES3_mN6hipcub16HIPCUB_304000_NS21CountingInputIteratorIllEEPS6_NSA_22TransformInputIteratorIbN2at6native12_GLOBAL__N_19NonZeroOpIN3c107complexIdEEEEPKSL_lEENS0_5tupleIJPlS6_EEENSQ_IJSD_SD_EEES6_PiJS6_EEE10hipError_tPvRmT3_T4_T5_T6_T7_T9_mT8_P12ihipStream_tbDpT10_ENKUlT_T0_E_clISt17integral_constantIbLb0EES1E_EEDaS19_S1A_EUlS19_E_NS1_11comp_targetILNS1_3genE0ELNS1_11target_archE4294967295ELNS1_3gpuE0ELNS1_3repE0EEENS1_30default_config_static_selectorELNS0_4arch9wavefront6targetE0EEEvT1_,"axG",@progbits,_ZN7rocprim17ROCPRIM_400000_NS6detail17trampoline_kernelINS0_14default_configENS1_25partition_config_selectorILNS1_17partition_subalgoE5ElNS0_10empty_typeEbEEZZNS1_14partition_implILS5_5ELb0ES3_mN6hipcub16HIPCUB_304000_NS21CountingInputIteratorIllEEPS6_NSA_22TransformInputIteratorIbN2at6native12_GLOBAL__N_19NonZeroOpIN3c107complexIdEEEEPKSL_lEENS0_5tupleIJPlS6_EEENSQ_IJSD_SD_EEES6_PiJS6_EEE10hipError_tPvRmT3_T4_T5_T6_T7_T9_mT8_P12ihipStream_tbDpT10_ENKUlT_T0_E_clISt17integral_constantIbLb0EES1E_EEDaS19_S1A_EUlS19_E_NS1_11comp_targetILNS1_3genE0ELNS1_11target_archE4294967295ELNS1_3gpuE0ELNS1_3repE0EEENS1_30default_config_static_selectorELNS0_4arch9wavefront6targetE0EEEvT1_,comdat
.Lfunc_end526:
	.size	_ZN7rocprim17ROCPRIM_400000_NS6detail17trampoline_kernelINS0_14default_configENS1_25partition_config_selectorILNS1_17partition_subalgoE5ElNS0_10empty_typeEbEEZZNS1_14partition_implILS5_5ELb0ES3_mN6hipcub16HIPCUB_304000_NS21CountingInputIteratorIllEEPS6_NSA_22TransformInputIteratorIbN2at6native12_GLOBAL__N_19NonZeroOpIN3c107complexIdEEEEPKSL_lEENS0_5tupleIJPlS6_EEENSQ_IJSD_SD_EEES6_PiJS6_EEE10hipError_tPvRmT3_T4_T5_T6_T7_T9_mT8_P12ihipStream_tbDpT10_ENKUlT_T0_E_clISt17integral_constantIbLb0EES1E_EEDaS19_S1A_EUlS19_E_NS1_11comp_targetILNS1_3genE0ELNS1_11target_archE4294967295ELNS1_3gpuE0ELNS1_3repE0EEENS1_30default_config_static_selectorELNS0_4arch9wavefront6targetE0EEEvT1_, .Lfunc_end526-_ZN7rocprim17ROCPRIM_400000_NS6detail17trampoline_kernelINS0_14default_configENS1_25partition_config_selectorILNS1_17partition_subalgoE5ElNS0_10empty_typeEbEEZZNS1_14partition_implILS5_5ELb0ES3_mN6hipcub16HIPCUB_304000_NS21CountingInputIteratorIllEEPS6_NSA_22TransformInputIteratorIbN2at6native12_GLOBAL__N_19NonZeroOpIN3c107complexIdEEEEPKSL_lEENS0_5tupleIJPlS6_EEENSQ_IJSD_SD_EEES6_PiJS6_EEE10hipError_tPvRmT3_T4_T5_T6_T7_T9_mT8_P12ihipStream_tbDpT10_ENKUlT_T0_E_clISt17integral_constantIbLb0EES1E_EEDaS19_S1A_EUlS19_E_NS1_11comp_targetILNS1_3genE0ELNS1_11target_archE4294967295ELNS1_3gpuE0ELNS1_3repE0EEENS1_30default_config_static_selectorELNS0_4arch9wavefront6targetE0EEEvT1_
                                        ; -- End function
	.set _ZN7rocprim17ROCPRIM_400000_NS6detail17trampoline_kernelINS0_14default_configENS1_25partition_config_selectorILNS1_17partition_subalgoE5ElNS0_10empty_typeEbEEZZNS1_14partition_implILS5_5ELb0ES3_mN6hipcub16HIPCUB_304000_NS21CountingInputIteratorIllEEPS6_NSA_22TransformInputIteratorIbN2at6native12_GLOBAL__N_19NonZeroOpIN3c107complexIdEEEEPKSL_lEENS0_5tupleIJPlS6_EEENSQ_IJSD_SD_EEES6_PiJS6_EEE10hipError_tPvRmT3_T4_T5_T6_T7_T9_mT8_P12ihipStream_tbDpT10_ENKUlT_T0_E_clISt17integral_constantIbLb0EES1E_EEDaS19_S1A_EUlS19_E_NS1_11comp_targetILNS1_3genE0ELNS1_11target_archE4294967295ELNS1_3gpuE0ELNS1_3repE0EEENS1_30default_config_static_selectorELNS0_4arch9wavefront6targetE0EEEvT1_.num_vgpr, 0
	.set _ZN7rocprim17ROCPRIM_400000_NS6detail17trampoline_kernelINS0_14default_configENS1_25partition_config_selectorILNS1_17partition_subalgoE5ElNS0_10empty_typeEbEEZZNS1_14partition_implILS5_5ELb0ES3_mN6hipcub16HIPCUB_304000_NS21CountingInputIteratorIllEEPS6_NSA_22TransformInputIteratorIbN2at6native12_GLOBAL__N_19NonZeroOpIN3c107complexIdEEEEPKSL_lEENS0_5tupleIJPlS6_EEENSQ_IJSD_SD_EEES6_PiJS6_EEE10hipError_tPvRmT3_T4_T5_T6_T7_T9_mT8_P12ihipStream_tbDpT10_ENKUlT_T0_E_clISt17integral_constantIbLb0EES1E_EEDaS19_S1A_EUlS19_E_NS1_11comp_targetILNS1_3genE0ELNS1_11target_archE4294967295ELNS1_3gpuE0ELNS1_3repE0EEENS1_30default_config_static_selectorELNS0_4arch9wavefront6targetE0EEEvT1_.num_agpr, 0
	.set _ZN7rocprim17ROCPRIM_400000_NS6detail17trampoline_kernelINS0_14default_configENS1_25partition_config_selectorILNS1_17partition_subalgoE5ElNS0_10empty_typeEbEEZZNS1_14partition_implILS5_5ELb0ES3_mN6hipcub16HIPCUB_304000_NS21CountingInputIteratorIllEEPS6_NSA_22TransformInputIteratorIbN2at6native12_GLOBAL__N_19NonZeroOpIN3c107complexIdEEEEPKSL_lEENS0_5tupleIJPlS6_EEENSQ_IJSD_SD_EEES6_PiJS6_EEE10hipError_tPvRmT3_T4_T5_T6_T7_T9_mT8_P12ihipStream_tbDpT10_ENKUlT_T0_E_clISt17integral_constantIbLb0EES1E_EEDaS19_S1A_EUlS19_E_NS1_11comp_targetILNS1_3genE0ELNS1_11target_archE4294967295ELNS1_3gpuE0ELNS1_3repE0EEENS1_30default_config_static_selectorELNS0_4arch9wavefront6targetE0EEEvT1_.numbered_sgpr, 0
	.set _ZN7rocprim17ROCPRIM_400000_NS6detail17trampoline_kernelINS0_14default_configENS1_25partition_config_selectorILNS1_17partition_subalgoE5ElNS0_10empty_typeEbEEZZNS1_14partition_implILS5_5ELb0ES3_mN6hipcub16HIPCUB_304000_NS21CountingInputIteratorIllEEPS6_NSA_22TransformInputIteratorIbN2at6native12_GLOBAL__N_19NonZeroOpIN3c107complexIdEEEEPKSL_lEENS0_5tupleIJPlS6_EEENSQ_IJSD_SD_EEES6_PiJS6_EEE10hipError_tPvRmT3_T4_T5_T6_T7_T9_mT8_P12ihipStream_tbDpT10_ENKUlT_T0_E_clISt17integral_constantIbLb0EES1E_EEDaS19_S1A_EUlS19_E_NS1_11comp_targetILNS1_3genE0ELNS1_11target_archE4294967295ELNS1_3gpuE0ELNS1_3repE0EEENS1_30default_config_static_selectorELNS0_4arch9wavefront6targetE0EEEvT1_.num_named_barrier, 0
	.set _ZN7rocprim17ROCPRIM_400000_NS6detail17trampoline_kernelINS0_14default_configENS1_25partition_config_selectorILNS1_17partition_subalgoE5ElNS0_10empty_typeEbEEZZNS1_14partition_implILS5_5ELb0ES3_mN6hipcub16HIPCUB_304000_NS21CountingInputIteratorIllEEPS6_NSA_22TransformInputIteratorIbN2at6native12_GLOBAL__N_19NonZeroOpIN3c107complexIdEEEEPKSL_lEENS0_5tupleIJPlS6_EEENSQ_IJSD_SD_EEES6_PiJS6_EEE10hipError_tPvRmT3_T4_T5_T6_T7_T9_mT8_P12ihipStream_tbDpT10_ENKUlT_T0_E_clISt17integral_constantIbLb0EES1E_EEDaS19_S1A_EUlS19_E_NS1_11comp_targetILNS1_3genE0ELNS1_11target_archE4294967295ELNS1_3gpuE0ELNS1_3repE0EEENS1_30default_config_static_selectorELNS0_4arch9wavefront6targetE0EEEvT1_.private_seg_size, 0
	.set _ZN7rocprim17ROCPRIM_400000_NS6detail17trampoline_kernelINS0_14default_configENS1_25partition_config_selectorILNS1_17partition_subalgoE5ElNS0_10empty_typeEbEEZZNS1_14partition_implILS5_5ELb0ES3_mN6hipcub16HIPCUB_304000_NS21CountingInputIteratorIllEEPS6_NSA_22TransformInputIteratorIbN2at6native12_GLOBAL__N_19NonZeroOpIN3c107complexIdEEEEPKSL_lEENS0_5tupleIJPlS6_EEENSQ_IJSD_SD_EEES6_PiJS6_EEE10hipError_tPvRmT3_T4_T5_T6_T7_T9_mT8_P12ihipStream_tbDpT10_ENKUlT_T0_E_clISt17integral_constantIbLb0EES1E_EEDaS19_S1A_EUlS19_E_NS1_11comp_targetILNS1_3genE0ELNS1_11target_archE4294967295ELNS1_3gpuE0ELNS1_3repE0EEENS1_30default_config_static_selectorELNS0_4arch9wavefront6targetE0EEEvT1_.uses_vcc, 0
	.set _ZN7rocprim17ROCPRIM_400000_NS6detail17trampoline_kernelINS0_14default_configENS1_25partition_config_selectorILNS1_17partition_subalgoE5ElNS0_10empty_typeEbEEZZNS1_14partition_implILS5_5ELb0ES3_mN6hipcub16HIPCUB_304000_NS21CountingInputIteratorIllEEPS6_NSA_22TransformInputIteratorIbN2at6native12_GLOBAL__N_19NonZeroOpIN3c107complexIdEEEEPKSL_lEENS0_5tupleIJPlS6_EEENSQ_IJSD_SD_EEES6_PiJS6_EEE10hipError_tPvRmT3_T4_T5_T6_T7_T9_mT8_P12ihipStream_tbDpT10_ENKUlT_T0_E_clISt17integral_constantIbLb0EES1E_EEDaS19_S1A_EUlS19_E_NS1_11comp_targetILNS1_3genE0ELNS1_11target_archE4294967295ELNS1_3gpuE0ELNS1_3repE0EEENS1_30default_config_static_selectorELNS0_4arch9wavefront6targetE0EEEvT1_.uses_flat_scratch, 0
	.set _ZN7rocprim17ROCPRIM_400000_NS6detail17trampoline_kernelINS0_14default_configENS1_25partition_config_selectorILNS1_17partition_subalgoE5ElNS0_10empty_typeEbEEZZNS1_14partition_implILS5_5ELb0ES3_mN6hipcub16HIPCUB_304000_NS21CountingInputIteratorIllEEPS6_NSA_22TransformInputIteratorIbN2at6native12_GLOBAL__N_19NonZeroOpIN3c107complexIdEEEEPKSL_lEENS0_5tupleIJPlS6_EEENSQ_IJSD_SD_EEES6_PiJS6_EEE10hipError_tPvRmT3_T4_T5_T6_T7_T9_mT8_P12ihipStream_tbDpT10_ENKUlT_T0_E_clISt17integral_constantIbLb0EES1E_EEDaS19_S1A_EUlS19_E_NS1_11comp_targetILNS1_3genE0ELNS1_11target_archE4294967295ELNS1_3gpuE0ELNS1_3repE0EEENS1_30default_config_static_selectorELNS0_4arch9wavefront6targetE0EEEvT1_.has_dyn_sized_stack, 0
	.set _ZN7rocprim17ROCPRIM_400000_NS6detail17trampoline_kernelINS0_14default_configENS1_25partition_config_selectorILNS1_17partition_subalgoE5ElNS0_10empty_typeEbEEZZNS1_14partition_implILS5_5ELb0ES3_mN6hipcub16HIPCUB_304000_NS21CountingInputIteratorIllEEPS6_NSA_22TransformInputIteratorIbN2at6native12_GLOBAL__N_19NonZeroOpIN3c107complexIdEEEEPKSL_lEENS0_5tupleIJPlS6_EEENSQ_IJSD_SD_EEES6_PiJS6_EEE10hipError_tPvRmT3_T4_T5_T6_T7_T9_mT8_P12ihipStream_tbDpT10_ENKUlT_T0_E_clISt17integral_constantIbLb0EES1E_EEDaS19_S1A_EUlS19_E_NS1_11comp_targetILNS1_3genE0ELNS1_11target_archE4294967295ELNS1_3gpuE0ELNS1_3repE0EEENS1_30default_config_static_selectorELNS0_4arch9wavefront6targetE0EEEvT1_.has_recursion, 0
	.set _ZN7rocprim17ROCPRIM_400000_NS6detail17trampoline_kernelINS0_14default_configENS1_25partition_config_selectorILNS1_17partition_subalgoE5ElNS0_10empty_typeEbEEZZNS1_14partition_implILS5_5ELb0ES3_mN6hipcub16HIPCUB_304000_NS21CountingInputIteratorIllEEPS6_NSA_22TransformInputIteratorIbN2at6native12_GLOBAL__N_19NonZeroOpIN3c107complexIdEEEEPKSL_lEENS0_5tupleIJPlS6_EEENSQ_IJSD_SD_EEES6_PiJS6_EEE10hipError_tPvRmT3_T4_T5_T6_T7_T9_mT8_P12ihipStream_tbDpT10_ENKUlT_T0_E_clISt17integral_constantIbLb0EES1E_EEDaS19_S1A_EUlS19_E_NS1_11comp_targetILNS1_3genE0ELNS1_11target_archE4294967295ELNS1_3gpuE0ELNS1_3repE0EEENS1_30default_config_static_selectorELNS0_4arch9wavefront6targetE0EEEvT1_.has_indirect_call, 0
	.section	.AMDGPU.csdata,"",@progbits
; Kernel info:
; codeLenInByte = 0
; TotalNumSgprs: 0
; NumVgprs: 0
; ScratchSize: 0
; MemoryBound: 0
; FloatMode: 240
; IeeeMode: 1
; LDSByteSize: 0 bytes/workgroup (compile time only)
; SGPRBlocks: 0
; VGPRBlocks: 0
; NumSGPRsForWavesPerEU: 1
; NumVGPRsForWavesPerEU: 1
; Occupancy: 16
; WaveLimiterHint : 0
; COMPUTE_PGM_RSRC2:SCRATCH_EN: 0
; COMPUTE_PGM_RSRC2:USER_SGPR: 2
; COMPUTE_PGM_RSRC2:TRAP_HANDLER: 0
; COMPUTE_PGM_RSRC2:TGID_X_EN: 1
; COMPUTE_PGM_RSRC2:TGID_Y_EN: 0
; COMPUTE_PGM_RSRC2:TGID_Z_EN: 0
; COMPUTE_PGM_RSRC2:TIDIG_COMP_CNT: 0
	.section	.text._ZN7rocprim17ROCPRIM_400000_NS6detail17trampoline_kernelINS0_14default_configENS1_25partition_config_selectorILNS1_17partition_subalgoE5ElNS0_10empty_typeEbEEZZNS1_14partition_implILS5_5ELb0ES3_mN6hipcub16HIPCUB_304000_NS21CountingInputIteratorIllEEPS6_NSA_22TransformInputIteratorIbN2at6native12_GLOBAL__N_19NonZeroOpIN3c107complexIdEEEEPKSL_lEENS0_5tupleIJPlS6_EEENSQ_IJSD_SD_EEES6_PiJS6_EEE10hipError_tPvRmT3_T4_T5_T6_T7_T9_mT8_P12ihipStream_tbDpT10_ENKUlT_T0_E_clISt17integral_constantIbLb0EES1E_EEDaS19_S1A_EUlS19_E_NS1_11comp_targetILNS1_3genE5ELNS1_11target_archE942ELNS1_3gpuE9ELNS1_3repE0EEENS1_30default_config_static_selectorELNS0_4arch9wavefront6targetE0EEEvT1_,"axG",@progbits,_ZN7rocprim17ROCPRIM_400000_NS6detail17trampoline_kernelINS0_14default_configENS1_25partition_config_selectorILNS1_17partition_subalgoE5ElNS0_10empty_typeEbEEZZNS1_14partition_implILS5_5ELb0ES3_mN6hipcub16HIPCUB_304000_NS21CountingInputIteratorIllEEPS6_NSA_22TransformInputIteratorIbN2at6native12_GLOBAL__N_19NonZeroOpIN3c107complexIdEEEEPKSL_lEENS0_5tupleIJPlS6_EEENSQ_IJSD_SD_EEES6_PiJS6_EEE10hipError_tPvRmT3_T4_T5_T6_T7_T9_mT8_P12ihipStream_tbDpT10_ENKUlT_T0_E_clISt17integral_constantIbLb0EES1E_EEDaS19_S1A_EUlS19_E_NS1_11comp_targetILNS1_3genE5ELNS1_11target_archE942ELNS1_3gpuE9ELNS1_3repE0EEENS1_30default_config_static_selectorELNS0_4arch9wavefront6targetE0EEEvT1_,comdat
	.globl	_ZN7rocprim17ROCPRIM_400000_NS6detail17trampoline_kernelINS0_14default_configENS1_25partition_config_selectorILNS1_17partition_subalgoE5ElNS0_10empty_typeEbEEZZNS1_14partition_implILS5_5ELb0ES3_mN6hipcub16HIPCUB_304000_NS21CountingInputIteratorIllEEPS6_NSA_22TransformInputIteratorIbN2at6native12_GLOBAL__N_19NonZeroOpIN3c107complexIdEEEEPKSL_lEENS0_5tupleIJPlS6_EEENSQ_IJSD_SD_EEES6_PiJS6_EEE10hipError_tPvRmT3_T4_T5_T6_T7_T9_mT8_P12ihipStream_tbDpT10_ENKUlT_T0_E_clISt17integral_constantIbLb0EES1E_EEDaS19_S1A_EUlS19_E_NS1_11comp_targetILNS1_3genE5ELNS1_11target_archE942ELNS1_3gpuE9ELNS1_3repE0EEENS1_30default_config_static_selectorELNS0_4arch9wavefront6targetE0EEEvT1_ ; -- Begin function _ZN7rocprim17ROCPRIM_400000_NS6detail17trampoline_kernelINS0_14default_configENS1_25partition_config_selectorILNS1_17partition_subalgoE5ElNS0_10empty_typeEbEEZZNS1_14partition_implILS5_5ELb0ES3_mN6hipcub16HIPCUB_304000_NS21CountingInputIteratorIllEEPS6_NSA_22TransformInputIteratorIbN2at6native12_GLOBAL__N_19NonZeroOpIN3c107complexIdEEEEPKSL_lEENS0_5tupleIJPlS6_EEENSQ_IJSD_SD_EEES6_PiJS6_EEE10hipError_tPvRmT3_T4_T5_T6_T7_T9_mT8_P12ihipStream_tbDpT10_ENKUlT_T0_E_clISt17integral_constantIbLb0EES1E_EEDaS19_S1A_EUlS19_E_NS1_11comp_targetILNS1_3genE5ELNS1_11target_archE942ELNS1_3gpuE9ELNS1_3repE0EEENS1_30default_config_static_selectorELNS0_4arch9wavefront6targetE0EEEvT1_
	.p2align	8
	.type	_ZN7rocprim17ROCPRIM_400000_NS6detail17trampoline_kernelINS0_14default_configENS1_25partition_config_selectorILNS1_17partition_subalgoE5ElNS0_10empty_typeEbEEZZNS1_14partition_implILS5_5ELb0ES3_mN6hipcub16HIPCUB_304000_NS21CountingInputIteratorIllEEPS6_NSA_22TransformInputIteratorIbN2at6native12_GLOBAL__N_19NonZeroOpIN3c107complexIdEEEEPKSL_lEENS0_5tupleIJPlS6_EEENSQ_IJSD_SD_EEES6_PiJS6_EEE10hipError_tPvRmT3_T4_T5_T6_T7_T9_mT8_P12ihipStream_tbDpT10_ENKUlT_T0_E_clISt17integral_constantIbLb0EES1E_EEDaS19_S1A_EUlS19_E_NS1_11comp_targetILNS1_3genE5ELNS1_11target_archE942ELNS1_3gpuE9ELNS1_3repE0EEENS1_30default_config_static_selectorELNS0_4arch9wavefront6targetE0EEEvT1_,@function
_ZN7rocprim17ROCPRIM_400000_NS6detail17trampoline_kernelINS0_14default_configENS1_25partition_config_selectorILNS1_17partition_subalgoE5ElNS0_10empty_typeEbEEZZNS1_14partition_implILS5_5ELb0ES3_mN6hipcub16HIPCUB_304000_NS21CountingInputIteratorIllEEPS6_NSA_22TransformInputIteratorIbN2at6native12_GLOBAL__N_19NonZeroOpIN3c107complexIdEEEEPKSL_lEENS0_5tupleIJPlS6_EEENSQ_IJSD_SD_EEES6_PiJS6_EEE10hipError_tPvRmT3_T4_T5_T6_T7_T9_mT8_P12ihipStream_tbDpT10_ENKUlT_T0_E_clISt17integral_constantIbLb0EES1E_EEDaS19_S1A_EUlS19_E_NS1_11comp_targetILNS1_3genE5ELNS1_11target_archE942ELNS1_3gpuE9ELNS1_3repE0EEENS1_30default_config_static_selectorELNS0_4arch9wavefront6targetE0EEEvT1_: ; @_ZN7rocprim17ROCPRIM_400000_NS6detail17trampoline_kernelINS0_14default_configENS1_25partition_config_selectorILNS1_17partition_subalgoE5ElNS0_10empty_typeEbEEZZNS1_14partition_implILS5_5ELb0ES3_mN6hipcub16HIPCUB_304000_NS21CountingInputIteratorIllEEPS6_NSA_22TransformInputIteratorIbN2at6native12_GLOBAL__N_19NonZeroOpIN3c107complexIdEEEEPKSL_lEENS0_5tupleIJPlS6_EEENSQ_IJSD_SD_EEES6_PiJS6_EEE10hipError_tPvRmT3_T4_T5_T6_T7_T9_mT8_P12ihipStream_tbDpT10_ENKUlT_T0_E_clISt17integral_constantIbLb0EES1E_EEDaS19_S1A_EUlS19_E_NS1_11comp_targetILNS1_3genE5ELNS1_11target_archE942ELNS1_3gpuE9ELNS1_3repE0EEENS1_30default_config_static_selectorELNS0_4arch9wavefront6targetE0EEEvT1_
; %bb.0:
	.section	.rodata,"a",@progbits
	.p2align	6, 0x0
	.amdhsa_kernel _ZN7rocprim17ROCPRIM_400000_NS6detail17trampoline_kernelINS0_14default_configENS1_25partition_config_selectorILNS1_17partition_subalgoE5ElNS0_10empty_typeEbEEZZNS1_14partition_implILS5_5ELb0ES3_mN6hipcub16HIPCUB_304000_NS21CountingInputIteratorIllEEPS6_NSA_22TransformInputIteratorIbN2at6native12_GLOBAL__N_19NonZeroOpIN3c107complexIdEEEEPKSL_lEENS0_5tupleIJPlS6_EEENSQ_IJSD_SD_EEES6_PiJS6_EEE10hipError_tPvRmT3_T4_T5_T6_T7_T9_mT8_P12ihipStream_tbDpT10_ENKUlT_T0_E_clISt17integral_constantIbLb0EES1E_EEDaS19_S1A_EUlS19_E_NS1_11comp_targetILNS1_3genE5ELNS1_11target_archE942ELNS1_3gpuE9ELNS1_3repE0EEENS1_30default_config_static_selectorELNS0_4arch9wavefront6targetE0EEEvT1_
		.amdhsa_group_segment_fixed_size 0
		.amdhsa_private_segment_fixed_size 0
		.amdhsa_kernarg_size 120
		.amdhsa_user_sgpr_count 2
		.amdhsa_user_sgpr_dispatch_ptr 0
		.amdhsa_user_sgpr_queue_ptr 0
		.amdhsa_user_sgpr_kernarg_segment_ptr 1
		.amdhsa_user_sgpr_dispatch_id 0
		.amdhsa_user_sgpr_private_segment_size 0
		.amdhsa_wavefront_size32 1
		.amdhsa_uses_dynamic_stack 0
		.amdhsa_enable_private_segment 0
		.amdhsa_system_sgpr_workgroup_id_x 1
		.amdhsa_system_sgpr_workgroup_id_y 0
		.amdhsa_system_sgpr_workgroup_id_z 0
		.amdhsa_system_sgpr_workgroup_info 0
		.amdhsa_system_vgpr_workitem_id 0
		.amdhsa_next_free_vgpr 1
		.amdhsa_next_free_sgpr 1
		.amdhsa_reserve_vcc 0
		.amdhsa_float_round_mode_32 0
		.amdhsa_float_round_mode_16_64 0
		.amdhsa_float_denorm_mode_32 3
		.amdhsa_float_denorm_mode_16_64 3
		.amdhsa_fp16_overflow 0
		.amdhsa_workgroup_processor_mode 1
		.amdhsa_memory_ordered 1
		.amdhsa_forward_progress 1
		.amdhsa_inst_pref_size 0
		.amdhsa_round_robin_scheduling 0
		.amdhsa_exception_fp_ieee_invalid_op 0
		.amdhsa_exception_fp_denorm_src 0
		.amdhsa_exception_fp_ieee_div_zero 0
		.amdhsa_exception_fp_ieee_overflow 0
		.amdhsa_exception_fp_ieee_underflow 0
		.amdhsa_exception_fp_ieee_inexact 0
		.amdhsa_exception_int_div_zero 0
	.end_amdhsa_kernel
	.section	.text._ZN7rocprim17ROCPRIM_400000_NS6detail17trampoline_kernelINS0_14default_configENS1_25partition_config_selectorILNS1_17partition_subalgoE5ElNS0_10empty_typeEbEEZZNS1_14partition_implILS5_5ELb0ES3_mN6hipcub16HIPCUB_304000_NS21CountingInputIteratorIllEEPS6_NSA_22TransformInputIteratorIbN2at6native12_GLOBAL__N_19NonZeroOpIN3c107complexIdEEEEPKSL_lEENS0_5tupleIJPlS6_EEENSQ_IJSD_SD_EEES6_PiJS6_EEE10hipError_tPvRmT3_T4_T5_T6_T7_T9_mT8_P12ihipStream_tbDpT10_ENKUlT_T0_E_clISt17integral_constantIbLb0EES1E_EEDaS19_S1A_EUlS19_E_NS1_11comp_targetILNS1_3genE5ELNS1_11target_archE942ELNS1_3gpuE9ELNS1_3repE0EEENS1_30default_config_static_selectorELNS0_4arch9wavefront6targetE0EEEvT1_,"axG",@progbits,_ZN7rocprim17ROCPRIM_400000_NS6detail17trampoline_kernelINS0_14default_configENS1_25partition_config_selectorILNS1_17partition_subalgoE5ElNS0_10empty_typeEbEEZZNS1_14partition_implILS5_5ELb0ES3_mN6hipcub16HIPCUB_304000_NS21CountingInputIteratorIllEEPS6_NSA_22TransformInputIteratorIbN2at6native12_GLOBAL__N_19NonZeroOpIN3c107complexIdEEEEPKSL_lEENS0_5tupleIJPlS6_EEENSQ_IJSD_SD_EEES6_PiJS6_EEE10hipError_tPvRmT3_T4_T5_T6_T7_T9_mT8_P12ihipStream_tbDpT10_ENKUlT_T0_E_clISt17integral_constantIbLb0EES1E_EEDaS19_S1A_EUlS19_E_NS1_11comp_targetILNS1_3genE5ELNS1_11target_archE942ELNS1_3gpuE9ELNS1_3repE0EEENS1_30default_config_static_selectorELNS0_4arch9wavefront6targetE0EEEvT1_,comdat
.Lfunc_end527:
	.size	_ZN7rocprim17ROCPRIM_400000_NS6detail17trampoline_kernelINS0_14default_configENS1_25partition_config_selectorILNS1_17partition_subalgoE5ElNS0_10empty_typeEbEEZZNS1_14partition_implILS5_5ELb0ES3_mN6hipcub16HIPCUB_304000_NS21CountingInputIteratorIllEEPS6_NSA_22TransformInputIteratorIbN2at6native12_GLOBAL__N_19NonZeroOpIN3c107complexIdEEEEPKSL_lEENS0_5tupleIJPlS6_EEENSQ_IJSD_SD_EEES6_PiJS6_EEE10hipError_tPvRmT3_T4_T5_T6_T7_T9_mT8_P12ihipStream_tbDpT10_ENKUlT_T0_E_clISt17integral_constantIbLb0EES1E_EEDaS19_S1A_EUlS19_E_NS1_11comp_targetILNS1_3genE5ELNS1_11target_archE942ELNS1_3gpuE9ELNS1_3repE0EEENS1_30default_config_static_selectorELNS0_4arch9wavefront6targetE0EEEvT1_, .Lfunc_end527-_ZN7rocprim17ROCPRIM_400000_NS6detail17trampoline_kernelINS0_14default_configENS1_25partition_config_selectorILNS1_17partition_subalgoE5ElNS0_10empty_typeEbEEZZNS1_14partition_implILS5_5ELb0ES3_mN6hipcub16HIPCUB_304000_NS21CountingInputIteratorIllEEPS6_NSA_22TransformInputIteratorIbN2at6native12_GLOBAL__N_19NonZeroOpIN3c107complexIdEEEEPKSL_lEENS0_5tupleIJPlS6_EEENSQ_IJSD_SD_EEES6_PiJS6_EEE10hipError_tPvRmT3_T4_T5_T6_T7_T9_mT8_P12ihipStream_tbDpT10_ENKUlT_T0_E_clISt17integral_constantIbLb0EES1E_EEDaS19_S1A_EUlS19_E_NS1_11comp_targetILNS1_3genE5ELNS1_11target_archE942ELNS1_3gpuE9ELNS1_3repE0EEENS1_30default_config_static_selectorELNS0_4arch9wavefront6targetE0EEEvT1_
                                        ; -- End function
	.set _ZN7rocprim17ROCPRIM_400000_NS6detail17trampoline_kernelINS0_14default_configENS1_25partition_config_selectorILNS1_17partition_subalgoE5ElNS0_10empty_typeEbEEZZNS1_14partition_implILS5_5ELb0ES3_mN6hipcub16HIPCUB_304000_NS21CountingInputIteratorIllEEPS6_NSA_22TransformInputIteratorIbN2at6native12_GLOBAL__N_19NonZeroOpIN3c107complexIdEEEEPKSL_lEENS0_5tupleIJPlS6_EEENSQ_IJSD_SD_EEES6_PiJS6_EEE10hipError_tPvRmT3_T4_T5_T6_T7_T9_mT8_P12ihipStream_tbDpT10_ENKUlT_T0_E_clISt17integral_constantIbLb0EES1E_EEDaS19_S1A_EUlS19_E_NS1_11comp_targetILNS1_3genE5ELNS1_11target_archE942ELNS1_3gpuE9ELNS1_3repE0EEENS1_30default_config_static_selectorELNS0_4arch9wavefront6targetE0EEEvT1_.num_vgpr, 0
	.set _ZN7rocprim17ROCPRIM_400000_NS6detail17trampoline_kernelINS0_14default_configENS1_25partition_config_selectorILNS1_17partition_subalgoE5ElNS0_10empty_typeEbEEZZNS1_14partition_implILS5_5ELb0ES3_mN6hipcub16HIPCUB_304000_NS21CountingInputIteratorIllEEPS6_NSA_22TransformInputIteratorIbN2at6native12_GLOBAL__N_19NonZeroOpIN3c107complexIdEEEEPKSL_lEENS0_5tupleIJPlS6_EEENSQ_IJSD_SD_EEES6_PiJS6_EEE10hipError_tPvRmT3_T4_T5_T6_T7_T9_mT8_P12ihipStream_tbDpT10_ENKUlT_T0_E_clISt17integral_constantIbLb0EES1E_EEDaS19_S1A_EUlS19_E_NS1_11comp_targetILNS1_3genE5ELNS1_11target_archE942ELNS1_3gpuE9ELNS1_3repE0EEENS1_30default_config_static_selectorELNS0_4arch9wavefront6targetE0EEEvT1_.num_agpr, 0
	.set _ZN7rocprim17ROCPRIM_400000_NS6detail17trampoline_kernelINS0_14default_configENS1_25partition_config_selectorILNS1_17partition_subalgoE5ElNS0_10empty_typeEbEEZZNS1_14partition_implILS5_5ELb0ES3_mN6hipcub16HIPCUB_304000_NS21CountingInputIteratorIllEEPS6_NSA_22TransformInputIteratorIbN2at6native12_GLOBAL__N_19NonZeroOpIN3c107complexIdEEEEPKSL_lEENS0_5tupleIJPlS6_EEENSQ_IJSD_SD_EEES6_PiJS6_EEE10hipError_tPvRmT3_T4_T5_T6_T7_T9_mT8_P12ihipStream_tbDpT10_ENKUlT_T0_E_clISt17integral_constantIbLb0EES1E_EEDaS19_S1A_EUlS19_E_NS1_11comp_targetILNS1_3genE5ELNS1_11target_archE942ELNS1_3gpuE9ELNS1_3repE0EEENS1_30default_config_static_selectorELNS0_4arch9wavefront6targetE0EEEvT1_.numbered_sgpr, 0
	.set _ZN7rocprim17ROCPRIM_400000_NS6detail17trampoline_kernelINS0_14default_configENS1_25partition_config_selectorILNS1_17partition_subalgoE5ElNS0_10empty_typeEbEEZZNS1_14partition_implILS5_5ELb0ES3_mN6hipcub16HIPCUB_304000_NS21CountingInputIteratorIllEEPS6_NSA_22TransformInputIteratorIbN2at6native12_GLOBAL__N_19NonZeroOpIN3c107complexIdEEEEPKSL_lEENS0_5tupleIJPlS6_EEENSQ_IJSD_SD_EEES6_PiJS6_EEE10hipError_tPvRmT3_T4_T5_T6_T7_T9_mT8_P12ihipStream_tbDpT10_ENKUlT_T0_E_clISt17integral_constantIbLb0EES1E_EEDaS19_S1A_EUlS19_E_NS1_11comp_targetILNS1_3genE5ELNS1_11target_archE942ELNS1_3gpuE9ELNS1_3repE0EEENS1_30default_config_static_selectorELNS0_4arch9wavefront6targetE0EEEvT1_.num_named_barrier, 0
	.set _ZN7rocprim17ROCPRIM_400000_NS6detail17trampoline_kernelINS0_14default_configENS1_25partition_config_selectorILNS1_17partition_subalgoE5ElNS0_10empty_typeEbEEZZNS1_14partition_implILS5_5ELb0ES3_mN6hipcub16HIPCUB_304000_NS21CountingInputIteratorIllEEPS6_NSA_22TransformInputIteratorIbN2at6native12_GLOBAL__N_19NonZeroOpIN3c107complexIdEEEEPKSL_lEENS0_5tupleIJPlS6_EEENSQ_IJSD_SD_EEES6_PiJS6_EEE10hipError_tPvRmT3_T4_T5_T6_T7_T9_mT8_P12ihipStream_tbDpT10_ENKUlT_T0_E_clISt17integral_constantIbLb0EES1E_EEDaS19_S1A_EUlS19_E_NS1_11comp_targetILNS1_3genE5ELNS1_11target_archE942ELNS1_3gpuE9ELNS1_3repE0EEENS1_30default_config_static_selectorELNS0_4arch9wavefront6targetE0EEEvT1_.private_seg_size, 0
	.set _ZN7rocprim17ROCPRIM_400000_NS6detail17trampoline_kernelINS0_14default_configENS1_25partition_config_selectorILNS1_17partition_subalgoE5ElNS0_10empty_typeEbEEZZNS1_14partition_implILS5_5ELb0ES3_mN6hipcub16HIPCUB_304000_NS21CountingInputIteratorIllEEPS6_NSA_22TransformInputIteratorIbN2at6native12_GLOBAL__N_19NonZeroOpIN3c107complexIdEEEEPKSL_lEENS0_5tupleIJPlS6_EEENSQ_IJSD_SD_EEES6_PiJS6_EEE10hipError_tPvRmT3_T4_T5_T6_T7_T9_mT8_P12ihipStream_tbDpT10_ENKUlT_T0_E_clISt17integral_constantIbLb0EES1E_EEDaS19_S1A_EUlS19_E_NS1_11comp_targetILNS1_3genE5ELNS1_11target_archE942ELNS1_3gpuE9ELNS1_3repE0EEENS1_30default_config_static_selectorELNS0_4arch9wavefront6targetE0EEEvT1_.uses_vcc, 0
	.set _ZN7rocprim17ROCPRIM_400000_NS6detail17trampoline_kernelINS0_14default_configENS1_25partition_config_selectorILNS1_17partition_subalgoE5ElNS0_10empty_typeEbEEZZNS1_14partition_implILS5_5ELb0ES3_mN6hipcub16HIPCUB_304000_NS21CountingInputIteratorIllEEPS6_NSA_22TransformInputIteratorIbN2at6native12_GLOBAL__N_19NonZeroOpIN3c107complexIdEEEEPKSL_lEENS0_5tupleIJPlS6_EEENSQ_IJSD_SD_EEES6_PiJS6_EEE10hipError_tPvRmT3_T4_T5_T6_T7_T9_mT8_P12ihipStream_tbDpT10_ENKUlT_T0_E_clISt17integral_constantIbLb0EES1E_EEDaS19_S1A_EUlS19_E_NS1_11comp_targetILNS1_3genE5ELNS1_11target_archE942ELNS1_3gpuE9ELNS1_3repE0EEENS1_30default_config_static_selectorELNS0_4arch9wavefront6targetE0EEEvT1_.uses_flat_scratch, 0
	.set _ZN7rocprim17ROCPRIM_400000_NS6detail17trampoline_kernelINS0_14default_configENS1_25partition_config_selectorILNS1_17partition_subalgoE5ElNS0_10empty_typeEbEEZZNS1_14partition_implILS5_5ELb0ES3_mN6hipcub16HIPCUB_304000_NS21CountingInputIteratorIllEEPS6_NSA_22TransformInputIteratorIbN2at6native12_GLOBAL__N_19NonZeroOpIN3c107complexIdEEEEPKSL_lEENS0_5tupleIJPlS6_EEENSQ_IJSD_SD_EEES6_PiJS6_EEE10hipError_tPvRmT3_T4_T5_T6_T7_T9_mT8_P12ihipStream_tbDpT10_ENKUlT_T0_E_clISt17integral_constantIbLb0EES1E_EEDaS19_S1A_EUlS19_E_NS1_11comp_targetILNS1_3genE5ELNS1_11target_archE942ELNS1_3gpuE9ELNS1_3repE0EEENS1_30default_config_static_selectorELNS0_4arch9wavefront6targetE0EEEvT1_.has_dyn_sized_stack, 0
	.set _ZN7rocprim17ROCPRIM_400000_NS6detail17trampoline_kernelINS0_14default_configENS1_25partition_config_selectorILNS1_17partition_subalgoE5ElNS0_10empty_typeEbEEZZNS1_14partition_implILS5_5ELb0ES3_mN6hipcub16HIPCUB_304000_NS21CountingInputIteratorIllEEPS6_NSA_22TransformInputIteratorIbN2at6native12_GLOBAL__N_19NonZeroOpIN3c107complexIdEEEEPKSL_lEENS0_5tupleIJPlS6_EEENSQ_IJSD_SD_EEES6_PiJS6_EEE10hipError_tPvRmT3_T4_T5_T6_T7_T9_mT8_P12ihipStream_tbDpT10_ENKUlT_T0_E_clISt17integral_constantIbLb0EES1E_EEDaS19_S1A_EUlS19_E_NS1_11comp_targetILNS1_3genE5ELNS1_11target_archE942ELNS1_3gpuE9ELNS1_3repE0EEENS1_30default_config_static_selectorELNS0_4arch9wavefront6targetE0EEEvT1_.has_recursion, 0
	.set _ZN7rocprim17ROCPRIM_400000_NS6detail17trampoline_kernelINS0_14default_configENS1_25partition_config_selectorILNS1_17partition_subalgoE5ElNS0_10empty_typeEbEEZZNS1_14partition_implILS5_5ELb0ES3_mN6hipcub16HIPCUB_304000_NS21CountingInputIteratorIllEEPS6_NSA_22TransformInputIteratorIbN2at6native12_GLOBAL__N_19NonZeroOpIN3c107complexIdEEEEPKSL_lEENS0_5tupleIJPlS6_EEENSQ_IJSD_SD_EEES6_PiJS6_EEE10hipError_tPvRmT3_T4_T5_T6_T7_T9_mT8_P12ihipStream_tbDpT10_ENKUlT_T0_E_clISt17integral_constantIbLb0EES1E_EEDaS19_S1A_EUlS19_E_NS1_11comp_targetILNS1_3genE5ELNS1_11target_archE942ELNS1_3gpuE9ELNS1_3repE0EEENS1_30default_config_static_selectorELNS0_4arch9wavefront6targetE0EEEvT1_.has_indirect_call, 0
	.section	.AMDGPU.csdata,"",@progbits
; Kernel info:
; codeLenInByte = 0
; TotalNumSgprs: 0
; NumVgprs: 0
; ScratchSize: 0
; MemoryBound: 0
; FloatMode: 240
; IeeeMode: 1
; LDSByteSize: 0 bytes/workgroup (compile time only)
; SGPRBlocks: 0
; VGPRBlocks: 0
; NumSGPRsForWavesPerEU: 1
; NumVGPRsForWavesPerEU: 1
; Occupancy: 16
; WaveLimiterHint : 0
; COMPUTE_PGM_RSRC2:SCRATCH_EN: 0
; COMPUTE_PGM_RSRC2:USER_SGPR: 2
; COMPUTE_PGM_RSRC2:TRAP_HANDLER: 0
; COMPUTE_PGM_RSRC2:TGID_X_EN: 1
; COMPUTE_PGM_RSRC2:TGID_Y_EN: 0
; COMPUTE_PGM_RSRC2:TGID_Z_EN: 0
; COMPUTE_PGM_RSRC2:TIDIG_COMP_CNT: 0
	.section	.text._ZN7rocprim17ROCPRIM_400000_NS6detail17trampoline_kernelINS0_14default_configENS1_25partition_config_selectorILNS1_17partition_subalgoE5ElNS0_10empty_typeEbEEZZNS1_14partition_implILS5_5ELb0ES3_mN6hipcub16HIPCUB_304000_NS21CountingInputIteratorIllEEPS6_NSA_22TransformInputIteratorIbN2at6native12_GLOBAL__N_19NonZeroOpIN3c107complexIdEEEEPKSL_lEENS0_5tupleIJPlS6_EEENSQ_IJSD_SD_EEES6_PiJS6_EEE10hipError_tPvRmT3_T4_T5_T6_T7_T9_mT8_P12ihipStream_tbDpT10_ENKUlT_T0_E_clISt17integral_constantIbLb0EES1E_EEDaS19_S1A_EUlS19_E_NS1_11comp_targetILNS1_3genE4ELNS1_11target_archE910ELNS1_3gpuE8ELNS1_3repE0EEENS1_30default_config_static_selectorELNS0_4arch9wavefront6targetE0EEEvT1_,"axG",@progbits,_ZN7rocprim17ROCPRIM_400000_NS6detail17trampoline_kernelINS0_14default_configENS1_25partition_config_selectorILNS1_17partition_subalgoE5ElNS0_10empty_typeEbEEZZNS1_14partition_implILS5_5ELb0ES3_mN6hipcub16HIPCUB_304000_NS21CountingInputIteratorIllEEPS6_NSA_22TransformInputIteratorIbN2at6native12_GLOBAL__N_19NonZeroOpIN3c107complexIdEEEEPKSL_lEENS0_5tupleIJPlS6_EEENSQ_IJSD_SD_EEES6_PiJS6_EEE10hipError_tPvRmT3_T4_T5_T6_T7_T9_mT8_P12ihipStream_tbDpT10_ENKUlT_T0_E_clISt17integral_constantIbLb0EES1E_EEDaS19_S1A_EUlS19_E_NS1_11comp_targetILNS1_3genE4ELNS1_11target_archE910ELNS1_3gpuE8ELNS1_3repE0EEENS1_30default_config_static_selectorELNS0_4arch9wavefront6targetE0EEEvT1_,comdat
	.globl	_ZN7rocprim17ROCPRIM_400000_NS6detail17trampoline_kernelINS0_14default_configENS1_25partition_config_selectorILNS1_17partition_subalgoE5ElNS0_10empty_typeEbEEZZNS1_14partition_implILS5_5ELb0ES3_mN6hipcub16HIPCUB_304000_NS21CountingInputIteratorIllEEPS6_NSA_22TransformInputIteratorIbN2at6native12_GLOBAL__N_19NonZeroOpIN3c107complexIdEEEEPKSL_lEENS0_5tupleIJPlS6_EEENSQ_IJSD_SD_EEES6_PiJS6_EEE10hipError_tPvRmT3_T4_T5_T6_T7_T9_mT8_P12ihipStream_tbDpT10_ENKUlT_T0_E_clISt17integral_constantIbLb0EES1E_EEDaS19_S1A_EUlS19_E_NS1_11comp_targetILNS1_3genE4ELNS1_11target_archE910ELNS1_3gpuE8ELNS1_3repE0EEENS1_30default_config_static_selectorELNS0_4arch9wavefront6targetE0EEEvT1_ ; -- Begin function _ZN7rocprim17ROCPRIM_400000_NS6detail17trampoline_kernelINS0_14default_configENS1_25partition_config_selectorILNS1_17partition_subalgoE5ElNS0_10empty_typeEbEEZZNS1_14partition_implILS5_5ELb0ES3_mN6hipcub16HIPCUB_304000_NS21CountingInputIteratorIllEEPS6_NSA_22TransformInputIteratorIbN2at6native12_GLOBAL__N_19NonZeroOpIN3c107complexIdEEEEPKSL_lEENS0_5tupleIJPlS6_EEENSQ_IJSD_SD_EEES6_PiJS6_EEE10hipError_tPvRmT3_T4_T5_T6_T7_T9_mT8_P12ihipStream_tbDpT10_ENKUlT_T0_E_clISt17integral_constantIbLb0EES1E_EEDaS19_S1A_EUlS19_E_NS1_11comp_targetILNS1_3genE4ELNS1_11target_archE910ELNS1_3gpuE8ELNS1_3repE0EEENS1_30default_config_static_selectorELNS0_4arch9wavefront6targetE0EEEvT1_
	.p2align	8
	.type	_ZN7rocprim17ROCPRIM_400000_NS6detail17trampoline_kernelINS0_14default_configENS1_25partition_config_selectorILNS1_17partition_subalgoE5ElNS0_10empty_typeEbEEZZNS1_14partition_implILS5_5ELb0ES3_mN6hipcub16HIPCUB_304000_NS21CountingInputIteratorIllEEPS6_NSA_22TransformInputIteratorIbN2at6native12_GLOBAL__N_19NonZeroOpIN3c107complexIdEEEEPKSL_lEENS0_5tupleIJPlS6_EEENSQ_IJSD_SD_EEES6_PiJS6_EEE10hipError_tPvRmT3_T4_T5_T6_T7_T9_mT8_P12ihipStream_tbDpT10_ENKUlT_T0_E_clISt17integral_constantIbLb0EES1E_EEDaS19_S1A_EUlS19_E_NS1_11comp_targetILNS1_3genE4ELNS1_11target_archE910ELNS1_3gpuE8ELNS1_3repE0EEENS1_30default_config_static_selectorELNS0_4arch9wavefront6targetE0EEEvT1_,@function
_ZN7rocprim17ROCPRIM_400000_NS6detail17trampoline_kernelINS0_14default_configENS1_25partition_config_selectorILNS1_17partition_subalgoE5ElNS0_10empty_typeEbEEZZNS1_14partition_implILS5_5ELb0ES3_mN6hipcub16HIPCUB_304000_NS21CountingInputIteratorIllEEPS6_NSA_22TransformInputIteratorIbN2at6native12_GLOBAL__N_19NonZeroOpIN3c107complexIdEEEEPKSL_lEENS0_5tupleIJPlS6_EEENSQ_IJSD_SD_EEES6_PiJS6_EEE10hipError_tPvRmT3_T4_T5_T6_T7_T9_mT8_P12ihipStream_tbDpT10_ENKUlT_T0_E_clISt17integral_constantIbLb0EES1E_EEDaS19_S1A_EUlS19_E_NS1_11comp_targetILNS1_3genE4ELNS1_11target_archE910ELNS1_3gpuE8ELNS1_3repE0EEENS1_30default_config_static_selectorELNS0_4arch9wavefront6targetE0EEEvT1_: ; @_ZN7rocprim17ROCPRIM_400000_NS6detail17trampoline_kernelINS0_14default_configENS1_25partition_config_selectorILNS1_17partition_subalgoE5ElNS0_10empty_typeEbEEZZNS1_14partition_implILS5_5ELb0ES3_mN6hipcub16HIPCUB_304000_NS21CountingInputIteratorIllEEPS6_NSA_22TransformInputIteratorIbN2at6native12_GLOBAL__N_19NonZeroOpIN3c107complexIdEEEEPKSL_lEENS0_5tupleIJPlS6_EEENSQ_IJSD_SD_EEES6_PiJS6_EEE10hipError_tPvRmT3_T4_T5_T6_T7_T9_mT8_P12ihipStream_tbDpT10_ENKUlT_T0_E_clISt17integral_constantIbLb0EES1E_EEDaS19_S1A_EUlS19_E_NS1_11comp_targetILNS1_3genE4ELNS1_11target_archE910ELNS1_3gpuE8ELNS1_3repE0EEENS1_30default_config_static_selectorELNS0_4arch9wavefront6targetE0EEEvT1_
; %bb.0:
	.section	.rodata,"a",@progbits
	.p2align	6, 0x0
	.amdhsa_kernel _ZN7rocprim17ROCPRIM_400000_NS6detail17trampoline_kernelINS0_14default_configENS1_25partition_config_selectorILNS1_17partition_subalgoE5ElNS0_10empty_typeEbEEZZNS1_14partition_implILS5_5ELb0ES3_mN6hipcub16HIPCUB_304000_NS21CountingInputIteratorIllEEPS6_NSA_22TransformInputIteratorIbN2at6native12_GLOBAL__N_19NonZeroOpIN3c107complexIdEEEEPKSL_lEENS0_5tupleIJPlS6_EEENSQ_IJSD_SD_EEES6_PiJS6_EEE10hipError_tPvRmT3_T4_T5_T6_T7_T9_mT8_P12ihipStream_tbDpT10_ENKUlT_T0_E_clISt17integral_constantIbLb0EES1E_EEDaS19_S1A_EUlS19_E_NS1_11comp_targetILNS1_3genE4ELNS1_11target_archE910ELNS1_3gpuE8ELNS1_3repE0EEENS1_30default_config_static_selectorELNS0_4arch9wavefront6targetE0EEEvT1_
		.amdhsa_group_segment_fixed_size 0
		.amdhsa_private_segment_fixed_size 0
		.amdhsa_kernarg_size 120
		.amdhsa_user_sgpr_count 2
		.amdhsa_user_sgpr_dispatch_ptr 0
		.amdhsa_user_sgpr_queue_ptr 0
		.amdhsa_user_sgpr_kernarg_segment_ptr 1
		.amdhsa_user_sgpr_dispatch_id 0
		.amdhsa_user_sgpr_private_segment_size 0
		.amdhsa_wavefront_size32 1
		.amdhsa_uses_dynamic_stack 0
		.amdhsa_enable_private_segment 0
		.amdhsa_system_sgpr_workgroup_id_x 1
		.amdhsa_system_sgpr_workgroup_id_y 0
		.amdhsa_system_sgpr_workgroup_id_z 0
		.amdhsa_system_sgpr_workgroup_info 0
		.amdhsa_system_vgpr_workitem_id 0
		.amdhsa_next_free_vgpr 1
		.amdhsa_next_free_sgpr 1
		.amdhsa_reserve_vcc 0
		.amdhsa_float_round_mode_32 0
		.amdhsa_float_round_mode_16_64 0
		.amdhsa_float_denorm_mode_32 3
		.amdhsa_float_denorm_mode_16_64 3
		.amdhsa_fp16_overflow 0
		.amdhsa_workgroup_processor_mode 1
		.amdhsa_memory_ordered 1
		.amdhsa_forward_progress 1
		.amdhsa_inst_pref_size 0
		.amdhsa_round_robin_scheduling 0
		.amdhsa_exception_fp_ieee_invalid_op 0
		.amdhsa_exception_fp_denorm_src 0
		.amdhsa_exception_fp_ieee_div_zero 0
		.amdhsa_exception_fp_ieee_overflow 0
		.amdhsa_exception_fp_ieee_underflow 0
		.amdhsa_exception_fp_ieee_inexact 0
		.amdhsa_exception_int_div_zero 0
	.end_amdhsa_kernel
	.section	.text._ZN7rocprim17ROCPRIM_400000_NS6detail17trampoline_kernelINS0_14default_configENS1_25partition_config_selectorILNS1_17partition_subalgoE5ElNS0_10empty_typeEbEEZZNS1_14partition_implILS5_5ELb0ES3_mN6hipcub16HIPCUB_304000_NS21CountingInputIteratorIllEEPS6_NSA_22TransformInputIteratorIbN2at6native12_GLOBAL__N_19NonZeroOpIN3c107complexIdEEEEPKSL_lEENS0_5tupleIJPlS6_EEENSQ_IJSD_SD_EEES6_PiJS6_EEE10hipError_tPvRmT3_T4_T5_T6_T7_T9_mT8_P12ihipStream_tbDpT10_ENKUlT_T0_E_clISt17integral_constantIbLb0EES1E_EEDaS19_S1A_EUlS19_E_NS1_11comp_targetILNS1_3genE4ELNS1_11target_archE910ELNS1_3gpuE8ELNS1_3repE0EEENS1_30default_config_static_selectorELNS0_4arch9wavefront6targetE0EEEvT1_,"axG",@progbits,_ZN7rocprim17ROCPRIM_400000_NS6detail17trampoline_kernelINS0_14default_configENS1_25partition_config_selectorILNS1_17partition_subalgoE5ElNS0_10empty_typeEbEEZZNS1_14partition_implILS5_5ELb0ES3_mN6hipcub16HIPCUB_304000_NS21CountingInputIteratorIllEEPS6_NSA_22TransformInputIteratorIbN2at6native12_GLOBAL__N_19NonZeroOpIN3c107complexIdEEEEPKSL_lEENS0_5tupleIJPlS6_EEENSQ_IJSD_SD_EEES6_PiJS6_EEE10hipError_tPvRmT3_T4_T5_T6_T7_T9_mT8_P12ihipStream_tbDpT10_ENKUlT_T0_E_clISt17integral_constantIbLb0EES1E_EEDaS19_S1A_EUlS19_E_NS1_11comp_targetILNS1_3genE4ELNS1_11target_archE910ELNS1_3gpuE8ELNS1_3repE0EEENS1_30default_config_static_selectorELNS0_4arch9wavefront6targetE0EEEvT1_,comdat
.Lfunc_end528:
	.size	_ZN7rocprim17ROCPRIM_400000_NS6detail17trampoline_kernelINS0_14default_configENS1_25partition_config_selectorILNS1_17partition_subalgoE5ElNS0_10empty_typeEbEEZZNS1_14partition_implILS5_5ELb0ES3_mN6hipcub16HIPCUB_304000_NS21CountingInputIteratorIllEEPS6_NSA_22TransformInputIteratorIbN2at6native12_GLOBAL__N_19NonZeroOpIN3c107complexIdEEEEPKSL_lEENS0_5tupleIJPlS6_EEENSQ_IJSD_SD_EEES6_PiJS6_EEE10hipError_tPvRmT3_T4_T5_T6_T7_T9_mT8_P12ihipStream_tbDpT10_ENKUlT_T0_E_clISt17integral_constantIbLb0EES1E_EEDaS19_S1A_EUlS19_E_NS1_11comp_targetILNS1_3genE4ELNS1_11target_archE910ELNS1_3gpuE8ELNS1_3repE0EEENS1_30default_config_static_selectorELNS0_4arch9wavefront6targetE0EEEvT1_, .Lfunc_end528-_ZN7rocprim17ROCPRIM_400000_NS6detail17trampoline_kernelINS0_14default_configENS1_25partition_config_selectorILNS1_17partition_subalgoE5ElNS0_10empty_typeEbEEZZNS1_14partition_implILS5_5ELb0ES3_mN6hipcub16HIPCUB_304000_NS21CountingInputIteratorIllEEPS6_NSA_22TransformInputIteratorIbN2at6native12_GLOBAL__N_19NonZeroOpIN3c107complexIdEEEEPKSL_lEENS0_5tupleIJPlS6_EEENSQ_IJSD_SD_EEES6_PiJS6_EEE10hipError_tPvRmT3_T4_T5_T6_T7_T9_mT8_P12ihipStream_tbDpT10_ENKUlT_T0_E_clISt17integral_constantIbLb0EES1E_EEDaS19_S1A_EUlS19_E_NS1_11comp_targetILNS1_3genE4ELNS1_11target_archE910ELNS1_3gpuE8ELNS1_3repE0EEENS1_30default_config_static_selectorELNS0_4arch9wavefront6targetE0EEEvT1_
                                        ; -- End function
	.set _ZN7rocprim17ROCPRIM_400000_NS6detail17trampoline_kernelINS0_14default_configENS1_25partition_config_selectorILNS1_17partition_subalgoE5ElNS0_10empty_typeEbEEZZNS1_14partition_implILS5_5ELb0ES3_mN6hipcub16HIPCUB_304000_NS21CountingInputIteratorIllEEPS6_NSA_22TransformInputIteratorIbN2at6native12_GLOBAL__N_19NonZeroOpIN3c107complexIdEEEEPKSL_lEENS0_5tupleIJPlS6_EEENSQ_IJSD_SD_EEES6_PiJS6_EEE10hipError_tPvRmT3_T4_T5_T6_T7_T9_mT8_P12ihipStream_tbDpT10_ENKUlT_T0_E_clISt17integral_constantIbLb0EES1E_EEDaS19_S1A_EUlS19_E_NS1_11comp_targetILNS1_3genE4ELNS1_11target_archE910ELNS1_3gpuE8ELNS1_3repE0EEENS1_30default_config_static_selectorELNS0_4arch9wavefront6targetE0EEEvT1_.num_vgpr, 0
	.set _ZN7rocprim17ROCPRIM_400000_NS6detail17trampoline_kernelINS0_14default_configENS1_25partition_config_selectorILNS1_17partition_subalgoE5ElNS0_10empty_typeEbEEZZNS1_14partition_implILS5_5ELb0ES3_mN6hipcub16HIPCUB_304000_NS21CountingInputIteratorIllEEPS6_NSA_22TransformInputIteratorIbN2at6native12_GLOBAL__N_19NonZeroOpIN3c107complexIdEEEEPKSL_lEENS0_5tupleIJPlS6_EEENSQ_IJSD_SD_EEES6_PiJS6_EEE10hipError_tPvRmT3_T4_T5_T6_T7_T9_mT8_P12ihipStream_tbDpT10_ENKUlT_T0_E_clISt17integral_constantIbLb0EES1E_EEDaS19_S1A_EUlS19_E_NS1_11comp_targetILNS1_3genE4ELNS1_11target_archE910ELNS1_3gpuE8ELNS1_3repE0EEENS1_30default_config_static_selectorELNS0_4arch9wavefront6targetE0EEEvT1_.num_agpr, 0
	.set _ZN7rocprim17ROCPRIM_400000_NS6detail17trampoline_kernelINS0_14default_configENS1_25partition_config_selectorILNS1_17partition_subalgoE5ElNS0_10empty_typeEbEEZZNS1_14partition_implILS5_5ELb0ES3_mN6hipcub16HIPCUB_304000_NS21CountingInputIteratorIllEEPS6_NSA_22TransformInputIteratorIbN2at6native12_GLOBAL__N_19NonZeroOpIN3c107complexIdEEEEPKSL_lEENS0_5tupleIJPlS6_EEENSQ_IJSD_SD_EEES6_PiJS6_EEE10hipError_tPvRmT3_T4_T5_T6_T7_T9_mT8_P12ihipStream_tbDpT10_ENKUlT_T0_E_clISt17integral_constantIbLb0EES1E_EEDaS19_S1A_EUlS19_E_NS1_11comp_targetILNS1_3genE4ELNS1_11target_archE910ELNS1_3gpuE8ELNS1_3repE0EEENS1_30default_config_static_selectorELNS0_4arch9wavefront6targetE0EEEvT1_.numbered_sgpr, 0
	.set _ZN7rocprim17ROCPRIM_400000_NS6detail17trampoline_kernelINS0_14default_configENS1_25partition_config_selectorILNS1_17partition_subalgoE5ElNS0_10empty_typeEbEEZZNS1_14partition_implILS5_5ELb0ES3_mN6hipcub16HIPCUB_304000_NS21CountingInputIteratorIllEEPS6_NSA_22TransformInputIteratorIbN2at6native12_GLOBAL__N_19NonZeroOpIN3c107complexIdEEEEPKSL_lEENS0_5tupleIJPlS6_EEENSQ_IJSD_SD_EEES6_PiJS6_EEE10hipError_tPvRmT3_T4_T5_T6_T7_T9_mT8_P12ihipStream_tbDpT10_ENKUlT_T0_E_clISt17integral_constantIbLb0EES1E_EEDaS19_S1A_EUlS19_E_NS1_11comp_targetILNS1_3genE4ELNS1_11target_archE910ELNS1_3gpuE8ELNS1_3repE0EEENS1_30default_config_static_selectorELNS0_4arch9wavefront6targetE0EEEvT1_.num_named_barrier, 0
	.set _ZN7rocprim17ROCPRIM_400000_NS6detail17trampoline_kernelINS0_14default_configENS1_25partition_config_selectorILNS1_17partition_subalgoE5ElNS0_10empty_typeEbEEZZNS1_14partition_implILS5_5ELb0ES3_mN6hipcub16HIPCUB_304000_NS21CountingInputIteratorIllEEPS6_NSA_22TransformInputIteratorIbN2at6native12_GLOBAL__N_19NonZeroOpIN3c107complexIdEEEEPKSL_lEENS0_5tupleIJPlS6_EEENSQ_IJSD_SD_EEES6_PiJS6_EEE10hipError_tPvRmT3_T4_T5_T6_T7_T9_mT8_P12ihipStream_tbDpT10_ENKUlT_T0_E_clISt17integral_constantIbLb0EES1E_EEDaS19_S1A_EUlS19_E_NS1_11comp_targetILNS1_3genE4ELNS1_11target_archE910ELNS1_3gpuE8ELNS1_3repE0EEENS1_30default_config_static_selectorELNS0_4arch9wavefront6targetE0EEEvT1_.private_seg_size, 0
	.set _ZN7rocprim17ROCPRIM_400000_NS6detail17trampoline_kernelINS0_14default_configENS1_25partition_config_selectorILNS1_17partition_subalgoE5ElNS0_10empty_typeEbEEZZNS1_14partition_implILS5_5ELb0ES3_mN6hipcub16HIPCUB_304000_NS21CountingInputIteratorIllEEPS6_NSA_22TransformInputIteratorIbN2at6native12_GLOBAL__N_19NonZeroOpIN3c107complexIdEEEEPKSL_lEENS0_5tupleIJPlS6_EEENSQ_IJSD_SD_EEES6_PiJS6_EEE10hipError_tPvRmT3_T4_T5_T6_T7_T9_mT8_P12ihipStream_tbDpT10_ENKUlT_T0_E_clISt17integral_constantIbLb0EES1E_EEDaS19_S1A_EUlS19_E_NS1_11comp_targetILNS1_3genE4ELNS1_11target_archE910ELNS1_3gpuE8ELNS1_3repE0EEENS1_30default_config_static_selectorELNS0_4arch9wavefront6targetE0EEEvT1_.uses_vcc, 0
	.set _ZN7rocprim17ROCPRIM_400000_NS6detail17trampoline_kernelINS0_14default_configENS1_25partition_config_selectorILNS1_17partition_subalgoE5ElNS0_10empty_typeEbEEZZNS1_14partition_implILS5_5ELb0ES3_mN6hipcub16HIPCUB_304000_NS21CountingInputIteratorIllEEPS6_NSA_22TransformInputIteratorIbN2at6native12_GLOBAL__N_19NonZeroOpIN3c107complexIdEEEEPKSL_lEENS0_5tupleIJPlS6_EEENSQ_IJSD_SD_EEES6_PiJS6_EEE10hipError_tPvRmT3_T4_T5_T6_T7_T9_mT8_P12ihipStream_tbDpT10_ENKUlT_T0_E_clISt17integral_constantIbLb0EES1E_EEDaS19_S1A_EUlS19_E_NS1_11comp_targetILNS1_3genE4ELNS1_11target_archE910ELNS1_3gpuE8ELNS1_3repE0EEENS1_30default_config_static_selectorELNS0_4arch9wavefront6targetE0EEEvT1_.uses_flat_scratch, 0
	.set _ZN7rocprim17ROCPRIM_400000_NS6detail17trampoline_kernelINS0_14default_configENS1_25partition_config_selectorILNS1_17partition_subalgoE5ElNS0_10empty_typeEbEEZZNS1_14partition_implILS5_5ELb0ES3_mN6hipcub16HIPCUB_304000_NS21CountingInputIteratorIllEEPS6_NSA_22TransformInputIteratorIbN2at6native12_GLOBAL__N_19NonZeroOpIN3c107complexIdEEEEPKSL_lEENS0_5tupleIJPlS6_EEENSQ_IJSD_SD_EEES6_PiJS6_EEE10hipError_tPvRmT3_T4_T5_T6_T7_T9_mT8_P12ihipStream_tbDpT10_ENKUlT_T0_E_clISt17integral_constantIbLb0EES1E_EEDaS19_S1A_EUlS19_E_NS1_11comp_targetILNS1_3genE4ELNS1_11target_archE910ELNS1_3gpuE8ELNS1_3repE0EEENS1_30default_config_static_selectorELNS0_4arch9wavefront6targetE0EEEvT1_.has_dyn_sized_stack, 0
	.set _ZN7rocprim17ROCPRIM_400000_NS6detail17trampoline_kernelINS0_14default_configENS1_25partition_config_selectorILNS1_17partition_subalgoE5ElNS0_10empty_typeEbEEZZNS1_14partition_implILS5_5ELb0ES3_mN6hipcub16HIPCUB_304000_NS21CountingInputIteratorIllEEPS6_NSA_22TransformInputIteratorIbN2at6native12_GLOBAL__N_19NonZeroOpIN3c107complexIdEEEEPKSL_lEENS0_5tupleIJPlS6_EEENSQ_IJSD_SD_EEES6_PiJS6_EEE10hipError_tPvRmT3_T4_T5_T6_T7_T9_mT8_P12ihipStream_tbDpT10_ENKUlT_T0_E_clISt17integral_constantIbLb0EES1E_EEDaS19_S1A_EUlS19_E_NS1_11comp_targetILNS1_3genE4ELNS1_11target_archE910ELNS1_3gpuE8ELNS1_3repE0EEENS1_30default_config_static_selectorELNS0_4arch9wavefront6targetE0EEEvT1_.has_recursion, 0
	.set _ZN7rocprim17ROCPRIM_400000_NS6detail17trampoline_kernelINS0_14default_configENS1_25partition_config_selectorILNS1_17partition_subalgoE5ElNS0_10empty_typeEbEEZZNS1_14partition_implILS5_5ELb0ES3_mN6hipcub16HIPCUB_304000_NS21CountingInputIteratorIllEEPS6_NSA_22TransformInputIteratorIbN2at6native12_GLOBAL__N_19NonZeroOpIN3c107complexIdEEEEPKSL_lEENS0_5tupleIJPlS6_EEENSQ_IJSD_SD_EEES6_PiJS6_EEE10hipError_tPvRmT3_T4_T5_T6_T7_T9_mT8_P12ihipStream_tbDpT10_ENKUlT_T0_E_clISt17integral_constantIbLb0EES1E_EEDaS19_S1A_EUlS19_E_NS1_11comp_targetILNS1_3genE4ELNS1_11target_archE910ELNS1_3gpuE8ELNS1_3repE0EEENS1_30default_config_static_selectorELNS0_4arch9wavefront6targetE0EEEvT1_.has_indirect_call, 0
	.section	.AMDGPU.csdata,"",@progbits
; Kernel info:
; codeLenInByte = 0
; TotalNumSgprs: 0
; NumVgprs: 0
; ScratchSize: 0
; MemoryBound: 0
; FloatMode: 240
; IeeeMode: 1
; LDSByteSize: 0 bytes/workgroup (compile time only)
; SGPRBlocks: 0
; VGPRBlocks: 0
; NumSGPRsForWavesPerEU: 1
; NumVGPRsForWavesPerEU: 1
; Occupancy: 16
; WaveLimiterHint : 0
; COMPUTE_PGM_RSRC2:SCRATCH_EN: 0
; COMPUTE_PGM_RSRC2:USER_SGPR: 2
; COMPUTE_PGM_RSRC2:TRAP_HANDLER: 0
; COMPUTE_PGM_RSRC2:TGID_X_EN: 1
; COMPUTE_PGM_RSRC2:TGID_Y_EN: 0
; COMPUTE_PGM_RSRC2:TGID_Z_EN: 0
; COMPUTE_PGM_RSRC2:TIDIG_COMP_CNT: 0
	.section	.text._ZN7rocprim17ROCPRIM_400000_NS6detail17trampoline_kernelINS0_14default_configENS1_25partition_config_selectorILNS1_17partition_subalgoE5ElNS0_10empty_typeEbEEZZNS1_14partition_implILS5_5ELb0ES3_mN6hipcub16HIPCUB_304000_NS21CountingInputIteratorIllEEPS6_NSA_22TransformInputIteratorIbN2at6native12_GLOBAL__N_19NonZeroOpIN3c107complexIdEEEEPKSL_lEENS0_5tupleIJPlS6_EEENSQ_IJSD_SD_EEES6_PiJS6_EEE10hipError_tPvRmT3_T4_T5_T6_T7_T9_mT8_P12ihipStream_tbDpT10_ENKUlT_T0_E_clISt17integral_constantIbLb0EES1E_EEDaS19_S1A_EUlS19_E_NS1_11comp_targetILNS1_3genE3ELNS1_11target_archE908ELNS1_3gpuE7ELNS1_3repE0EEENS1_30default_config_static_selectorELNS0_4arch9wavefront6targetE0EEEvT1_,"axG",@progbits,_ZN7rocprim17ROCPRIM_400000_NS6detail17trampoline_kernelINS0_14default_configENS1_25partition_config_selectorILNS1_17partition_subalgoE5ElNS0_10empty_typeEbEEZZNS1_14partition_implILS5_5ELb0ES3_mN6hipcub16HIPCUB_304000_NS21CountingInputIteratorIllEEPS6_NSA_22TransformInputIteratorIbN2at6native12_GLOBAL__N_19NonZeroOpIN3c107complexIdEEEEPKSL_lEENS0_5tupleIJPlS6_EEENSQ_IJSD_SD_EEES6_PiJS6_EEE10hipError_tPvRmT3_T4_T5_T6_T7_T9_mT8_P12ihipStream_tbDpT10_ENKUlT_T0_E_clISt17integral_constantIbLb0EES1E_EEDaS19_S1A_EUlS19_E_NS1_11comp_targetILNS1_3genE3ELNS1_11target_archE908ELNS1_3gpuE7ELNS1_3repE0EEENS1_30default_config_static_selectorELNS0_4arch9wavefront6targetE0EEEvT1_,comdat
	.globl	_ZN7rocprim17ROCPRIM_400000_NS6detail17trampoline_kernelINS0_14default_configENS1_25partition_config_selectorILNS1_17partition_subalgoE5ElNS0_10empty_typeEbEEZZNS1_14partition_implILS5_5ELb0ES3_mN6hipcub16HIPCUB_304000_NS21CountingInputIteratorIllEEPS6_NSA_22TransformInputIteratorIbN2at6native12_GLOBAL__N_19NonZeroOpIN3c107complexIdEEEEPKSL_lEENS0_5tupleIJPlS6_EEENSQ_IJSD_SD_EEES6_PiJS6_EEE10hipError_tPvRmT3_T4_T5_T6_T7_T9_mT8_P12ihipStream_tbDpT10_ENKUlT_T0_E_clISt17integral_constantIbLb0EES1E_EEDaS19_S1A_EUlS19_E_NS1_11comp_targetILNS1_3genE3ELNS1_11target_archE908ELNS1_3gpuE7ELNS1_3repE0EEENS1_30default_config_static_selectorELNS0_4arch9wavefront6targetE0EEEvT1_ ; -- Begin function _ZN7rocprim17ROCPRIM_400000_NS6detail17trampoline_kernelINS0_14default_configENS1_25partition_config_selectorILNS1_17partition_subalgoE5ElNS0_10empty_typeEbEEZZNS1_14partition_implILS5_5ELb0ES3_mN6hipcub16HIPCUB_304000_NS21CountingInputIteratorIllEEPS6_NSA_22TransformInputIteratorIbN2at6native12_GLOBAL__N_19NonZeroOpIN3c107complexIdEEEEPKSL_lEENS0_5tupleIJPlS6_EEENSQ_IJSD_SD_EEES6_PiJS6_EEE10hipError_tPvRmT3_T4_T5_T6_T7_T9_mT8_P12ihipStream_tbDpT10_ENKUlT_T0_E_clISt17integral_constantIbLb0EES1E_EEDaS19_S1A_EUlS19_E_NS1_11comp_targetILNS1_3genE3ELNS1_11target_archE908ELNS1_3gpuE7ELNS1_3repE0EEENS1_30default_config_static_selectorELNS0_4arch9wavefront6targetE0EEEvT1_
	.p2align	8
	.type	_ZN7rocprim17ROCPRIM_400000_NS6detail17trampoline_kernelINS0_14default_configENS1_25partition_config_selectorILNS1_17partition_subalgoE5ElNS0_10empty_typeEbEEZZNS1_14partition_implILS5_5ELb0ES3_mN6hipcub16HIPCUB_304000_NS21CountingInputIteratorIllEEPS6_NSA_22TransformInputIteratorIbN2at6native12_GLOBAL__N_19NonZeroOpIN3c107complexIdEEEEPKSL_lEENS0_5tupleIJPlS6_EEENSQ_IJSD_SD_EEES6_PiJS6_EEE10hipError_tPvRmT3_T4_T5_T6_T7_T9_mT8_P12ihipStream_tbDpT10_ENKUlT_T0_E_clISt17integral_constantIbLb0EES1E_EEDaS19_S1A_EUlS19_E_NS1_11comp_targetILNS1_3genE3ELNS1_11target_archE908ELNS1_3gpuE7ELNS1_3repE0EEENS1_30default_config_static_selectorELNS0_4arch9wavefront6targetE0EEEvT1_,@function
_ZN7rocprim17ROCPRIM_400000_NS6detail17trampoline_kernelINS0_14default_configENS1_25partition_config_selectorILNS1_17partition_subalgoE5ElNS0_10empty_typeEbEEZZNS1_14partition_implILS5_5ELb0ES3_mN6hipcub16HIPCUB_304000_NS21CountingInputIteratorIllEEPS6_NSA_22TransformInputIteratorIbN2at6native12_GLOBAL__N_19NonZeroOpIN3c107complexIdEEEEPKSL_lEENS0_5tupleIJPlS6_EEENSQ_IJSD_SD_EEES6_PiJS6_EEE10hipError_tPvRmT3_T4_T5_T6_T7_T9_mT8_P12ihipStream_tbDpT10_ENKUlT_T0_E_clISt17integral_constantIbLb0EES1E_EEDaS19_S1A_EUlS19_E_NS1_11comp_targetILNS1_3genE3ELNS1_11target_archE908ELNS1_3gpuE7ELNS1_3repE0EEENS1_30default_config_static_selectorELNS0_4arch9wavefront6targetE0EEEvT1_: ; @_ZN7rocprim17ROCPRIM_400000_NS6detail17trampoline_kernelINS0_14default_configENS1_25partition_config_selectorILNS1_17partition_subalgoE5ElNS0_10empty_typeEbEEZZNS1_14partition_implILS5_5ELb0ES3_mN6hipcub16HIPCUB_304000_NS21CountingInputIteratorIllEEPS6_NSA_22TransformInputIteratorIbN2at6native12_GLOBAL__N_19NonZeroOpIN3c107complexIdEEEEPKSL_lEENS0_5tupleIJPlS6_EEENSQ_IJSD_SD_EEES6_PiJS6_EEE10hipError_tPvRmT3_T4_T5_T6_T7_T9_mT8_P12ihipStream_tbDpT10_ENKUlT_T0_E_clISt17integral_constantIbLb0EES1E_EEDaS19_S1A_EUlS19_E_NS1_11comp_targetILNS1_3genE3ELNS1_11target_archE908ELNS1_3gpuE7ELNS1_3repE0EEENS1_30default_config_static_selectorELNS0_4arch9wavefront6targetE0EEEvT1_
; %bb.0:
	.section	.rodata,"a",@progbits
	.p2align	6, 0x0
	.amdhsa_kernel _ZN7rocprim17ROCPRIM_400000_NS6detail17trampoline_kernelINS0_14default_configENS1_25partition_config_selectorILNS1_17partition_subalgoE5ElNS0_10empty_typeEbEEZZNS1_14partition_implILS5_5ELb0ES3_mN6hipcub16HIPCUB_304000_NS21CountingInputIteratorIllEEPS6_NSA_22TransformInputIteratorIbN2at6native12_GLOBAL__N_19NonZeroOpIN3c107complexIdEEEEPKSL_lEENS0_5tupleIJPlS6_EEENSQ_IJSD_SD_EEES6_PiJS6_EEE10hipError_tPvRmT3_T4_T5_T6_T7_T9_mT8_P12ihipStream_tbDpT10_ENKUlT_T0_E_clISt17integral_constantIbLb0EES1E_EEDaS19_S1A_EUlS19_E_NS1_11comp_targetILNS1_3genE3ELNS1_11target_archE908ELNS1_3gpuE7ELNS1_3repE0EEENS1_30default_config_static_selectorELNS0_4arch9wavefront6targetE0EEEvT1_
		.amdhsa_group_segment_fixed_size 0
		.amdhsa_private_segment_fixed_size 0
		.amdhsa_kernarg_size 120
		.amdhsa_user_sgpr_count 2
		.amdhsa_user_sgpr_dispatch_ptr 0
		.amdhsa_user_sgpr_queue_ptr 0
		.amdhsa_user_sgpr_kernarg_segment_ptr 1
		.amdhsa_user_sgpr_dispatch_id 0
		.amdhsa_user_sgpr_private_segment_size 0
		.amdhsa_wavefront_size32 1
		.amdhsa_uses_dynamic_stack 0
		.amdhsa_enable_private_segment 0
		.amdhsa_system_sgpr_workgroup_id_x 1
		.amdhsa_system_sgpr_workgroup_id_y 0
		.amdhsa_system_sgpr_workgroup_id_z 0
		.amdhsa_system_sgpr_workgroup_info 0
		.amdhsa_system_vgpr_workitem_id 0
		.amdhsa_next_free_vgpr 1
		.amdhsa_next_free_sgpr 1
		.amdhsa_reserve_vcc 0
		.amdhsa_float_round_mode_32 0
		.amdhsa_float_round_mode_16_64 0
		.amdhsa_float_denorm_mode_32 3
		.amdhsa_float_denorm_mode_16_64 3
		.amdhsa_fp16_overflow 0
		.amdhsa_workgroup_processor_mode 1
		.amdhsa_memory_ordered 1
		.amdhsa_forward_progress 1
		.amdhsa_inst_pref_size 0
		.amdhsa_round_robin_scheduling 0
		.amdhsa_exception_fp_ieee_invalid_op 0
		.amdhsa_exception_fp_denorm_src 0
		.amdhsa_exception_fp_ieee_div_zero 0
		.amdhsa_exception_fp_ieee_overflow 0
		.amdhsa_exception_fp_ieee_underflow 0
		.amdhsa_exception_fp_ieee_inexact 0
		.amdhsa_exception_int_div_zero 0
	.end_amdhsa_kernel
	.section	.text._ZN7rocprim17ROCPRIM_400000_NS6detail17trampoline_kernelINS0_14default_configENS1_25partition_config_selectorILNS1_17partition_subalgoE5ElNS0_10empty_typeEbEEZZNS1_14partition_implILS5_5ELb0ES3_mN6hipcub16HIPCUB_304000_NS21CountingInputIteratorIllEEPS6_NSA_22TransformInputIteratorIbN2at6native12_GLOBAL__N_19NonZeroOpIN3c107complexIdEEEEPKSL_lEENS0_5tupleIJPlS6_EEENSQ_IJSD_SD_EEES6_PiJS6_EEE10hipError_tPvRmT3_T4_T5_T6_T7_T9_mT8_P12ihipStream_tbDpT10_ENKUlT_T0_E_clISt17integral_constantIbLb0EES1E_EEDaS19_S1A_EUlS19_E_NS1_11comp_targetILNS1_3genE3ELNS1_11target_archE908ELNS1_3gpuE7ELNS1_3repE0EEENS1_30default_config_static_selectorELNS0_4arch9wavefront6targetE0EEEvT1_,"axG",@progbits,_ZN7rocprim17ROCPRIM_400000_NS6detail17trampoline_kernelINS0_14default_configENS1_25partition_config_selectorILNS1_17partition_subalgoE5ElNS0_10empty_typeEbEEZZNS1_14partition_implILS5_5ELb0ES3_mN6hipcub16HIPCUB_304000_NS21CountingInputIteratorIllEEPS6_NSA_22TransformInputIteratorIbN2at6native12_GLOBAL__N_19NonZeroOpIN3c107complexIdEEEEPKSL_lEENS0_5tupleIJPlS6_EEENSQ_IJSD_SD_EEES6_PiJS6_EEE10hipError_tPvRmT3_T4_T5_T6_T7_T9_mT8_P12ihipStream_tbDpT10_ENKUlT_T0_E_clISt17integral_constantIbLb0EES1E_EEDaS19_S1A_EUlS19_E_NS1_11comp_targetILNS1_3genE3ELNS1_11target_archE908ELNS1_3gpuE7ELNS1_3repE0EEENS1_30default_config_static_selectorELNS0_4arch9wavefront6targetE0EEEvT1_,comdat
.Lfunc_end529:
	.size	_ZN7rocprim17ROCPRIM_400000_NS6detail17trampoline_kernelINS0_14default_configENS1_25partition_config_selectorILNS1_17partition_subalgoE5ElNS0_10empty_typeEbEEZZNS1_14partition_implILS5_5ELb0ES3_mN6hipcub16HIPCUB_304000_NS21CountingInputIteratorIllEEPS6_NSA_22TransformInputIteratorIbN2at6native12_GLOBAL__N_19NonZeroOpIN3c107complexIdEEEEPKSL_lEENS0_5tupleIJPlS6_EEENSQ_IJSD_SD_EEES6_PiJS6_EEE10hipError_tPvRmT3_T4_T5_T6_T7_T9_mT8_P12ihipStream_tbDpT10_ENKUlT_T0_E_clISt17integral_constantIbLb0EES1E_EEDaS19_S1A_EUlS19_E_NS1_11comp_targetILNS1_3genE3ELNS1_11target_archE908ELNS1_3gpuE7ELNS1_3repE0EEENS1_30default_config_static_selectorELNS0_4arch9wavefront6targetE0EEEvT1_, .Lfunc_end529-_ZN7rocprim17ROCPRIM_400000_NS6detail17trampoline_kernelINS0_14default_configENS1_25partition_config_selectorILNS1_17partition_subalgoE5ElNS0_10empty_typeEbEEZZNS1_14partition_implILS5_5ELb0ES3_mN6hipcub16HIPCUB_304000_NS21CountingInputIteratorIllEEPS6_NSA_22TransformInputIteratorIbN2at6native12_GLOBAL__N_19NonZeroOpIN3c107complexIdEEEEPKSL_lEENS0_5tupleIJPlS6_EEENSQ_IJSD_SD_EEES6_PiJS6_EEE10hipError_tPvRmT3_T4_T5_T6_T7_T9_mT8_P12ihipStream_tbDpT10_ENKUlT_T0_E_clISt17integral_constantIbLb0EES1E_EEDaS19_S1A_EUlS19_E_NS1_11comp_targetILNS1_3genE3ELNS1_11target_archE908ELNS1_3gpuE7ELNS1_3repE0EEENS1_30default_config_static_selectorELNS0_4arch9wavefront6targetE0EEEvT1_
                                        ; -- End function
	.set _ZN7rocprim17ROCPRIM_400000_NS6detail17trampoline_kernelINS0_14default_configENS1_25partition_config_selectorILNS1_17partition_subalgoE5ElNS0_10empty_typeEbEEZZNS1_14partition_implILS5_5ELb0ES3_mN6hipcub16HIPCUB_304000_NS21CountingInputIteratorIllEEPS6_NSA_22TransformInputIteratorIbN2at6native12_GLOBAL__N_19NonZeroOpIN3c107complexIdEEEEPKSL_lEENS0_5tupleIJPlS6_EEENSQ_IJSD_SD_EEES6_PiJS6_EEE10hipError_tPvRmT3_T4_T5_T6_T7_T9_mT8_P12ihipStream_tbDpT10_ENKUlT_T0_E_clISt17integral_constantIbLb0EES1E_EEDaS19_S1A_EUlS19_E_NS1_11comp_targetILNS1_3genE3ELNS1_11target_archE908ELNS1_3gpuE7ELNS1_3repE0EEENS1_30default_config_static_selectorELNS0_4arch9wavefront6targetE0EEEvT1_.num_vgpr, 0
	.set _ZN7rocprim17ROCPRIM_400000_NS6detail17trampoline_kernelINS0_14default_configENS1_25partition_config_selectorILNS1_17partition_subalgoE5ElNS0_10empty_typeEbEEZZNS1_14partition_implILS5_5ELb0ES3_mN6hipcub16HIPCUB_304000_NS21CountingInputIteratorIllEEPS6_NSA_22TransformInputIteratorIbN2at6native12_GLOBAL__N_19NonZeroOpIN3c107complexIdEEEEPKSL_lEENS0_5tupleIJPlS6_EEENSQ_IJSD_SD_EEES6_PiJS6_EEE10hipError_tPvRmT3_T4_T5_T6_T7_T9_mT8_P12ihipStream_tbDpT10_ENKUlT_T0_E_clISt17integral_constantIbLb0EES1E_EEDaS19_S1A_EUlS19_E_NS1_11comp_targetILNS1_3genE3ELNS1_11target_archE908ELNS1_3gpuE7ELNS1_3repE0EEENS1_30default_config_static_selectorELNS0_4arch9wavefront6targetE0EEEvT1_.num_agpr, 0
	.set _ZN7rocprim17ROCPRIM_400000_NS6detail17trampoline_kernelINS0_14default_configENS1_25partition_config_selectorILNS1_17partition_subalgoE5ElNS0_10empty_typeEbEEZZNS1_14partition_implILS5_5ELb0ES3_mN6hipcub16HIPCUB_304000_NS21CountingInputIteratorIllEEPS6_NSA_22TransformInputIteratorIbN2at6native12_GLOBAL__N_19NonZeroOpIN3c107complexIdEEEEPKSL_lEENS0_5tupleIJPlS6_EEENSQ_IJSD_SD_EEES6_PiJS6_EEE10hipError_tPvRmT3_T4_T5_T6_T7_T9_mT8_P12ihipStream_tbDpT10_ENKUlT_T0_E_clISt17integral_constantIbLb0EES1E_EEDaS19_S1A_EUlS19_E_NS1_11comp_targetILNS1_3genE3ELNS1_11target_archE908ELNS1_3gpuE7ELNS1_3repE0EEENS1_30default_config_static_selectorELNS0_4arch9wavefront6targetE0EEEvT1_.numbered_sgpr, 0
	.set _ZN7rocprim17ROCPRIM_400000_NS6detail17trampoline_kernelINS0_14default_configENS1_25partition_config_selectorILNS1_17partition_subalgoE5ElNS0_10empty_typeEbEEZZNS1_14partition_implILS5_5ELb0ES3_mN6hipcub16HIPCUB_304000_NS21CountingInputIteratorIllEEPS6_NSA_22TransformInputIteratorIbN2at6native12_GLOBAL__N_19NonZeroOpIN3c107complexIdEEEEPKSL_lEENS0_5tupleIJPlS6_EEENSQ_IJSD_SD_EEES6_PiJS6_EEE10hipError_tPvRmT3_T4_T5_T6_T7_T9_mT8_P12ihipStream_tbDpT10_ENKUlT_T0_E_clISt17integral_constantIbLb0EES1E_EEDaS19_S1A_EUlS19_E_NS1_11comp_targetILNS1_3genE3ELNS1_11target_archE908ELNS1_3gpuE7ELNS1_3repE0EEENS1_30default_config_static_selectorELNS0_4arch9wavefront6targetE0EEEvT1_.num_named_barrier, 0
	.set _ZN7rocprim17ROCPRIM_400000_NS6detail17trampoline_kernelINS0_14default_configENS1_25partition_config_selectorILNS1_17partition_subalgoE5ElNS0_10empty_typeEbEEZZNS1_14partition_implILS5_5ELb0ES3_mN6hipcub16HIPCUB_304000_NS21CountingInputIteratorIllEEPS6_NSA_22TransformInputIteratorIbN2at6native12_GLOBAL__N_19NonZeroOpIN3c107complexIdEEEEPKSL_lEENS0_5tupleIJPlS6_EEENSQ_IJSD_SD_EEES6_PiJS6_EEE10hipError_tPvRmT3_T4_T5_T6_T7_T9_mT8_P12ihipStream_tbDpT10_ENKUlT_T0_E_clISt17integral_constantIbLb0EES1E_EEDaS19_S1A_EUlS19_E_NS1_11comp_targetILNS1_3genE3ELNS1_11target_archE908ELNS1_3gpuE7ELNS1_3repE0EEENS1_30default_config_static_selectorELNS0_4arch9wavefront6targetE0EEEvT1_.private_seg_size, 0
	.set _ZN7rocprim17ROCPRIM_400000_NS6detail17trampoline_kernelINS0_14default_configENS1_25partition_config_selectorILNS1_17partition_subalgoE5ElNS0_10empty_typeEbEEZZNS1_14partition_implILS5_5ELb0ES3_mN6hipcub16HIPCUB_304000_NS21CountingInputIteratorIllEEPS6_NSA_22TransformInputIteratorIbN2at6native12_GLOBAL__N_19NonZeroOpIN3c107complexIdEEEEPKSL_lEENS0_5tupleIJPlS6_EEENSQ_IJSD_SD_EEES6_PiJS6_EEE10hipError_tPvRmT3_T4_T5_T6_T7_T9_mT8_P12ihipStream_tbDpT10_ENKUlT_T0_E_clISt17integral_constantIbLb0EES1E_EEDaS19_S1A_EUlS19_E_NS1_11comp_targetILNS1_3genE3ELNS1_11target_archE908ELNS1_3gpuE7ELNS1_3repE0EEENS1_30default_config_static_selectorELNS0_4arch9wavefront6targetE0EEEvT1_.uses_vcc, 0
	.set _ZN7rocprim17ROCPRIM_400000_NS6detail17trampoline_kernelINS0_14default_configENS1_25partition_config_selectorILNS1_17partition_subalgoE5ElNS0_10empty_typeEbEEZZNS1_14partition_implILS5_5ELb0ES3_mN6hipcub16HIPCUB_304000_NS21CountingInputIteratorIllEEPS6_NSA_22TransformInputIteratorIbN2at6native12_GLOBAL__N_19NonZeroOpIN3c107complexIdEEEEPKSL_lEENS0_5tupleIJPlS6_EEENSQ_IJSD_SD_EEES6_PiJS6_EEE10hipError_tPvRmT3_T4_T5_T6_T7_T9_mT8_P12ihipStream_tbDpT10_ENKUlT_T0_E_clISt17integral_constantIbLb0EES1E_EEDaS19_S1A_EUlS19_E_NS1_11comp_targetILNS1_3genE3ELNS1_11target_archE908ELNS1_3gpuE7ELNS1_3repE0EEENS1_30default_config_static_selectorELNS0_4arch9wavefront6targetE0EEEvT1_.uses_flat_scratch, 0
	.set _ZN7rocprim17ROCPRIM_400000_NS6detail17trampoline_kernelINS0_14default_configENS1_25partition_config_selectorILNS1_17partition_subalgoE5ElNS0_10empty_typeEbEEZZNS1_14partition_implILS5_5ELb0ES3_mN6hipcub16HIPCUB_304000_NS21CountingInputIteratorIllEEPS6_NSA_22TransformInputIteratorIbN2at6native12_GLOBAL__N_19NonZeroOpIN3c107complexIdEEEEPKSL_lEENS0_5tupleIJPlS6_EEENSQ_IJSD_SD_EEES6_PiJS6_EEE10hipError_tPvRmT3_T4_T5_T6_T7_T9_mT8_P12ihipStream_tbDpT10_ENKUlT_T0_E_clISt17integral_constantIbLb0EES1E_EEDaS19_S1A_EUlS19_E_NS1_11comp_targetILNS1_3genE3ELNS1_11target_archE908ELNS1_3gpuE7ELNS1_3repE0EEENS1_30default_config_static_selectorELNS0_4arch9wavefront6targetE0EEEvT1_.has_dyn_sized_stack, 0
	.set _ZN7rocprim17ROCPRIM_400000_NS6detail17trampoline_kernelINS0_14default_configENS1_25partition_config_selectorILNS1_17partition_subalgoE5ElNS0_10empty_typeEbEEZZNS1_14partition_implILS5_5ELb0ES3_mN6hipcub16HIPCUB_304000_NS21CountingInputIteratorIllEEPS6_NSA_22TransformInputIteratorIbN2at6native12_GLOBAL__N_19NonZeroOpIN3c107complexIdEEEEPKSL_lEENS0_5tupleIJPlS6_EEENSQ_IJSD_SD_EEES6_PiJS6_EEE10hipError_tPvRmT3_T4_T5_T6_T7_T9_mT8_P12ihipStream_tbDpT10_ENKUlT_T0_E_clISt17integral_constantIbLb0EES1E_EEDaS19_S1A_EUlS19_E_NS1_11comp_targetILNS1_3genE3ELNS1_11target_archE908ELNS1_3gpuE7ELNS1_3repE0EEENS1_30default_config_static_selectorELNS0_4arch9wavefront6targetE0EEEvT1_.has_recursion, 0
	.set _ZN7rocprim17ROCPRIM_400000_NS6detail17trampoline_kernelINS0_14default_configENS1_25partition_config_selectorILNS1_17partition_subalgoE5ElNS0_10empty_typeEbEEZZNS1_14partition_implILS5_5ELb0ES3_mN6hipcub16HIPCUB_304000_NS21CountingInputIteratorIllEEPS6_NSA_22TransformInputIteratorIbN2at6native12_GLOBAL__N_19NonZeroOpIN3c107complexIdEEEEPKSL_lEENS0_5tupleIJPlS6_EEENSQ_IJSD_SD_EEES6_PiJS6_EEE10hipError_tPvRmT3_T4_T5_T6_T7_T9_mT8_P12ihipStream_tbDpT10_ENKUlT_T0_E_clISt17integral_constantIbLb0EES1E_EEDaS19_S1A_EUlS19_E_NS1_11comp_targetILNS1_3genE3ELNS1_11target_archE908ELNS1_3gpuE7ELNS1_3repE0EEENS1_30default_config_static_selectorELNS0_4arch9wavefront6targetE0EEEvT1_.has_indirect_call, 0
	.section	.AMDGPU.csdata,"",@progbits
; Kernel info:
; codeLenInByte = 0
; TotalNumSgprs: 0
; NumVgprs: 0
; ScratchSize: 0
; MemoryBound: 0
; FloatMode: 240
; IeeeMode: 1
; LDSByteSize: 0 bytes/workgroup (compile time only)
; SGPRBlocks: 0
; VGPRBlocks: 0
; NumSGPRsForWavesPerEU: 1
; NumVGPRsForWavesPerEU: 1
; Occupancy: 16
; WaveLimiterHint : 0
; COMPUTE_PGM_RSRC2:SCRATCH_EN: 0
; COMPUTE_PGM_RSRC2:USER_SGPR: 2
; COMPUTE_PGM_RSRC2:TRAP_HANDLER: 0
; COMPUTE_PGM_RSRC2:TGID_X_EN: 1
; COMPUTE_PGM_RSRC2:TGID_Y_EN: 0
; COMPUTE_PGM_RSRC2:TGID_Z_EN: 0
; COMPUTE_PGM_RSRC2:TIDIG_COMP_CNT: 0
	.section	.text._ZN7rocprim17ROCPRIM_400000_NS6detail17trampoline_kernelINS0_14default_configENS1_25partition_config_selectorILNS1_17partition_subalgoE5ElNS0_10empty_typeEbEEZZNS1_14partition_implILS5_5ELb0ES3_mN6hipcub16HIPCUB_304000_NS21CountingInputIteratorIllEEPS6_NSA_22TransformInputIteratorIbN2at6native12_GLOBAL__N_19NonZeroOpIN3c107complexIdEEEEPKSL_lEENS0_5tupleIJPlS6_EEENSQ_IJSD_SD_EEES6_PiJS6_EEE10hipError_tPvRmT3_T4_T5_T6_T7_T9_mT8_P12ihipStream_tbDpT10_ENKUlT_T0_E_clISt17integral_constantIbLb0EES1E_EEDaS19_S1A_EUlS19_E_NS1_11comp_targetILNS1_3genE2ELNS1_11target_archE906ELNS1_3gpuE6ELNS1_3repE0EEENS1_30default_config_static_selectorELNS0_4arch9wavefront6targetE0EEEvT1_,"axG",@progbits,_ZN7rocprim17ROCPRIM_400000_NS6detail17trampoline_kernelINS0_14default_configENS1_25partition_config_selectorILNS1_17partition_subalgoE5ElNS0_10empty_typeEbEEZZNS1_14partition_implILS5_5ELb0ES3_mN6hipcub16HIPCUB_304000_NS21CountingInputIteratorIllEEPS6_NSA_22TransformInputIteratorIbN2at6native12_GLOBAL__N_19NonZeroOpIN3c107complexIdEEEEPKSL_lEENS0_5tupleIJPlS6_EEENSQ_IJSD_SD_EEES6_PiJS6_EEE10hipError_tPvRmT3_T4_T5_T6_T7_T9_mT8_P12ihipStream_tbDpT10_ENKUlT_T0_E_clISt17integral_constantIbLb0EES1E_EEDaS19_S1A_EUlS19_E_NS1_11comp_targetILNS1_3genE2ELNS1_11target_archE906ELNS1_3gpuE6ELNS1_3repE0EEENS1_30default_config_static_selectorELNS0_4arch9wavefront6targetE0EEEvT1_,comdat
	.globl	_ZN7rocprim17ROCPRIM_400000_NS6detail17trampoline_kernelINS0_14default_configENS1_25partition_config_selectorILNS1_17partition_subalgoE5ElNS0_10empty_typeEbEEZZNS1_14partition_implILS5_5ELb0ES3_mN6hipcub16HIPCUB_304000_NS21CountingInputIteratorIllEEPS6_NSA_22TransformInputIteratorIbN2at6native12_GLOBAL__N_19NonZeroOpIN3c107complexIdEEEEPKSL_lEENS0_5tupleIJPlS6_EEENSQ_IJSD_SD_EEES6_PiJS6_EEE10hipError_tPvRmT3_T4_T5_T6_T7_T9_mT8_P12ihipStream_tbDpT10_ENKUlT_T0_E_clISt17integral_constantIbLb0EES1E_EEDaS19_S1A_EUlS19_E_NS1_11comp_targetILNS1_3genE2ELNS1_11target_archE906ELNS1_3gpuE6ELNS1_3repE0EEENS1_30default_config_static_selectorELNS0_4arch9wavefront6targetE0EEEvT1_ ; -- Begin function _ZN7rocprim17ROCPRIM_400000_NS6detail17trampoline_kernelINS0_14default_configENS1_25partition_config_selectorILNS1_17partition_subalgoE5ElNS0_10empty_typeEbEEZZNS1_14partition_implILS5_5ELb0ES3_mN6hipcub16HIPCUB_304000_NS21CountingInputIteratorIllEEPS6_NSA_22TransformInputIteratorIbN2at6native12_GLOBAL__N_19NonZeroOpIN3c107complexIdEEEEPKSL_lEENS0_5tupleIJPlS6_EEENSQ_IJSD_SD_EEES6_PiJS6_EEE10hipError_tPvRmT3_T4_T5_T6_T7_T9_mT8_P12ihipStream_tbDpT10_ENKUlT_T0_E_clISt17integral_constantIbLb0EES1E_EEDaS19_S1A_EUlS19_E_NS1_11comp_targetILNS1_3genE2ELNS1_11target_archE906ELNS1_3gpuE6ELNS1_3repE0EEENS1_30default_config_static_selectorELNS0_4arch9wavefront6targetE0EEEvT1_
	.p2align	8
	.type	_ZN7rocprim17ROCPRIM_400000_NS6detail17trampoline_kernelINS0_14default_configENS1_25partition_config_selectorILNS1_17partition_subalgoE5ElNS0_10empty_typeEbEEZZNS1_14partition_implILS5_5ELb0ES3_mN6hipcub16HIPCUB_304000_NS21CountingInputIteratorIllEEPS6_NSA_22TransformInputIteratorIbN2at6native12_GLOBAL__N_19NonZeroOpIN3c107complexIdEEEEPKSL_lEENS0_5tupleIJPlS6_EEENSQ_IJSD_SD_EEES6_PiJS6_EEE10hipError_tPvRmT3_T4_T5_T6_T7_T9_mT8_P12ihipStream_tbDpT10_ENKUlT_T0_E_clISt17integral_constantIbLb0EES1E_EEDaS19_S1A_EUlS19_E_NS1_11comp_targetILNS1_3genE2ELNS1_11target_archE906ELNS1_3gpuE6ELNS1_3repE0EEENS1_30default_config_static_selectorELNS0_4arch9wavefront6targetE0EEEvT1_,@function
_ZN7rocprim17ROCPRIM_400000_NS6detail17trampoline_kernelINS0_14default_configENS1_25partition_config_selectorILNS1_17partition_subalgoE5ElNS0_10empty_typeEbEEZZNS1_14partition_implILS5_5ELb0ES3_mN6hipcub16HIPCUB_304000_NS21CountingInputIteratorIllEEPS6_NSA_22TransformInputIteratorIbN2at6native12_GLOBAL__N_19NonZeroOpIN3c107complexIdEEEEPKSL_lEENS0_5tupleIJPlS6_EEENSQ_IJSD_SD_EEES6_PiJS6_EEE10hipError_tPvRmT3_T4_T5_T6_T7_T9_mT8_P12ihipStream_tbDpT10_ENKUlT_T0_E_clISt17integral_constantIbLb0EES1E_EEDaS19_S1A_EUlS19_E_NS1_11comp_targetILNS1_3genE2ELNS1_11target_archE906ELNS1_3gpuE6ELNS1_3repE0EEENS1_30default_config_static_selectorELNS0_4arch9wavefront6targetE0EEEvT1_: ; @_ZN7rocprim17ROCPRIM_400000_NS6detail17trampoline_kernelINS0_14default_configENS1_25partition_config_selectorILNS1_17partition_subalgoE5ElNS0_10empty_typeEbEEZZNS1_14partition_implILS5_5ELb0ES3_mN6hipcub16HIPCUB_304000_NS21CountingInputIteratorIllEEPS6_NSA_22TransformInputIteratorIbN2at6native12_GLOBAL__N_19NonZeroOpIN3c107complexIdEEEEPKSL_lEENS0_5tupleIJPlS6_EEENSQ_IJSD_SD_EEES6_PiJS6_EEE10hipError_tPvRmT3_T4_T5_T6_T7_T9_mT8_P12ihipStream_tbDpT10_ENKUlT_T0_E_clISt17integral_constantIbLb0EES1E_EEDaS19_S1A_EUlS19_E_NS1_11comp_targetILNS1_3genE2ELNS1_11target_archE906ELNS1_3gpuE6ELNS1_3repE0EEENS1_30default_config_static_selectorELNS0_4arch9wavefront6targetE0EEEvT1_
; %bb.0:
	.section	.rodata,"a",@progbits
	.p2align	6, 0x0
	.amdhsa_kernel _ZN7rocprim17ROCPRIM_400000_NS6detail17trampoline_kernelINS0_14default_configENS1_25partition_config_selectorILNS1_17partition_subalgoE5ElNS0_10empty_typeEbEEZZNS1_14partition_implILS5_5ELb0ES3_mN6hipcub16HIPCUB_304000_NS21CountingInputIteratorIllEEPS6_NSA_22TransformInputIteratorIbN2at6native12_GLOBAL__N_19NonZeroOpIN3c107complexIdEEEEPKSL_lEENS0_5tupleIJPlS6_EEENSQ_IJSD_SD_EEES6_PiJS6_EEE10hipError_tPvRmT3_T4_T5_T6_T7_T9_mT8_P12ihipStream_tbDpT10_ENKUlT_T0_E_clISt17integral_constantIbLb0EES1E_EEDaS19_S1A_EUlS19_E_NS1_11comp_targetILNS1_3genE2ELNS1_11target_archE906ELNS1_3gpuE6ELNS1_3repE0EEENS1_30default_config_static_selectorELNS0_4arch9wavefront6targetE0EEEvT1_
		.amdhsa_group_segment_fixed_size 0
		.amdhsa_private_segment_fixed_size 0
		.amdhsa_kernarg_size 120
		.amdhsa_user_sgpr_count 2
		.amdhsa_user_sgpr_dispatch_ptr 0
		.amdhsa_user_sgpr_queue_ptr 0
		.amdhsa_user_sgpr_kernarg_segment_ptr 1
		.amdhsa_user_sgpr_dispatch_id 0
		.amdhsa_user_sgpr_private_segment_size 0
		.amdhsa_wavefront_size32 1
		.amdhsa_uses_dynamic_stack 0
		.amdhsa_enable_private_segment 0
		.amdhsa_system_sgpr_workgroup_id_x 1
		.amdhsa_system_sgpr_workgroup_id_y 0
		.amdhsa_system_sgpr_workgroup_id_z 0
		.amdhsa_system_sgpr_workgroup_info 0
		.amdhsa_system_vgpr_workitem_id 0
		.amdhsa_next_free_vgpr 1
		.amdhsa_next_free_sgpr 1
		.amdhsa_reserve_vcc 0
		.amdhsa_float_round_mode_32 0
		.amdhsa_float_round_mode_16_64 0
		.amdhsa_float_denorm_mode_32 3
		.amdhsa_float_denorm_mode_16_64 3
		.amdhsa_fp16_overflow 0
		.amdhsa_workgroup_processor_mode 1
		.amdhsa_memory_ordered 1
		.amdhsa_forward_progress 1
		.amdhsa_inst_pref_size 0
		.amdhsa_round_robin_scheduling 0
		.amdhsa_exception_fp_ieee_invalid_op 0
		.amdhsa_exception_fp_denorm_src 0
		.amdhsa_exception_fp_ieee_div_zero 0
		.amdhsa_exception_fp_ieee_overflow 0
		.amdhsa_exception_fp_ieee_underflow 0
		.amdhsa_exception_fp_ieee_inexact 0
		.amdhsa_exception_int_div_zero 0
	.end_amdhsa_kernel
	.section	.text._ZN7rocprim17ROCPRIM_400000_NS6detail17trampoline_kernelINS0_14default_configENS1_25partition_config_selectorILNS1_17partition_subalgoE5ElNS0_10empty_typeEbEEZZNS1_14partition_implILS5_5ELb0ES3_mN6hipcub16HIPCUB_304000_NS21CountingInputIteratorIllEEPS6_NSA_22TransformInputIteratorIbN2at6native12_GLOBAL__N_19NonZeroOpIN3c107complexIdEEEEPKSL_lEENS0_5tupleIJPlS6_EEENSQ_IJSD_SD_EEES6_PiJS6_EEE10hipError_tPvRmT3_T4_T5_T6_T7_T9_mT8_P12ihipStream_tbDpT10_ENKUlT_T0_E_clISt17integral_constantIbLb0EES1E_EEDaS19_S1A_EUlS19_E_NS1_11comp_targetILNS1_3genE2ELNS1_11target_archE906ELNS1_3gpuE6ELNS1_3repE0EEENS1_30default_config_static_selectorELNS0_4arch9wavefront6targetE0EEEvT1_,"axG",@progbits,_ZN7rocprim17ROCPRIM_400000_NS6detail17trampoline_kernelINS0_14default_configENS1_25partition_config_selectorILNS1_17partition_subalgoE5ElNS0_10empty_typeEbEEZZNS1_14partition_implILS5_5ELb0ES3_mN6hipcub16HIPCUB_304000_NS21CountingInputIteratorIllEEPS6_NSA_22TransformInputIteratorIbN2at6native12_GLOBAL__N_19NonZeroOpIN3c107complexIdEEEEPKSL_lEENS0_5tupleIJPlS6_EEENSQ_IJSD_SD_EEES6_PiJS6_EEE10hipError_tPvRmT3_T4_T5_T6_T7_T9_mT8_P12ihipStream_tbDpT10_ENKUlT_T0_E_clISt17integral_constantIbLb0EES1E_EEDaS19_S1A_EUlS19_E_NS1_11comp_targetILNS1_3genE2ELNS1_11target_archE906ELNS1_3gpuE6ELNS1_3repE0EEENS1_30default_config_static_selectorELNS0_4arch9wavefront6targetE0EEEvT1_,comdat
.Lfunc_end530:
	.size	_ZN7rocprim17ROCPRIM_400000_NS6detail17trampoline_kernelINS0_14default_configENS1_25partition_config_selectorILNS1_17partition_subalgoE5ElNS0_10empty_typeEbEEZZNS1_14partition_implILS5_5ELb0ES3_mN6hipcub16HIPCUB_304000_NS21CountingInputIteratorIllEEPS6_NSA_22TransformInputIteratorIbN2at6native12_GLOBAL__N_19NonZeroOpIN3c107complexIdEEEEPKSL_lEENS0_5tupleIJPlS6_EEENSQ_IJSD_SD_EEES6_PiJS6_EEE10hipError_tPvRmT3_T4_T5_T6_T7_T9_mT8_P12ihipStream_tbDpT10_ENKUlT_T0_E_clISt17integral_constantIbLb0EES1E_EEDaS19_S1A_EUlS19_E_NS1_11comp_targetILNS1_3genE2ELNS1_11target_archE906ELNS1_3gpuE6ELNS1_3repE0EEENS1_30default_config_static_selectorELNS0_4arch9wavefront6targetE0EEEvT1_, .Lfunc_end530-_ZN7rocprim17ROCPRIM_400000_NS6detail17trampoline_kernelINS0_14default_configENS1_25partition_config_selectorILNS1_17partition_subalgoE5ElNS0_10empty_typeEbEEZZNS1_14partition_implILS5_5ELb0ES3_mN6hipcub16HIPCUB_304000_NS21CountingInputIteratorIllEEPS6_NSA_22TransformInputIteratorIbN2at6native12_GLOBAL__N_19NonZeroOpIN3c107complexIdEEEEPKSL_lEENS0_5tupleIJPlS6_EEENSQ_IJSD_SD_EEES6_PiJS6_EEE10hipError_tPvRmT3_T4_T5_T6_T7_T9_mT8_P12ihipStream_tbDpT10_ENKUlT_T0_E_clISt17integral_constantIbLb0EES1E_EEDaS19_S1A_EUlS19_E_NS1_11comp_targetILNS1_3genE2ELNS1_11target_archE906ELNS1_3gpuE6ELNS1_3repE0EEENS1_30default_config_static_selectorELNS0_4arch9wavefront6targetE0EEEvT1_
                                        ; -- End function
	.set _ZN7rocprim17ROCPRIM_400000_NS6detail17trampoline_kernelINS0_14default_configENS1_25partition_config_selectorILNS1_17partition_subalgoE5ElNS0_10empty_typeEbEEZZNS1_14partition_implILS5_5ELb0ES3_mN6hipcub16HIPCUB_304000_NS21CountingInputIteratorIllEEPS6_NSA_22TransformInputIteratorIbN2at6native12_GLOBAL__N_19NonZeroOpIN3c107complexIdEEEEPKSL_lEENS0_5tupleIJPlS6_EEENSQ_IJSD_SD_EEES6_PiJS6_EEE10hipError_tPvRmT3_T4_T5_T6_T7_T9_mT8_P12ihipStream_tbDpT10_ENKUlT_T0_E_clISt17integral_constantIbLb0EES1E_EEDaS19_S1A_EUlS19_E_NS1_11comp_targetILNS1_3genE2ELNS1_11target_archE906ELNS1_3gpuE6ELNS1_3repE0EEENS1_30default_config_static_selectorELNS0_4arch9wavefront6targetE0EEEvT1_.num_vgpr, 0
	.set _ZN7rocprim17ROCPRIM_400000_NS6detail17trampoline_kernelINS0_14default_configENS1_25partition_config_selectorILNS1_17partition_subalgoE5ElNS0_10empty_typeEbEEZZNS1_14partition_implILS5_5ELb0ES3_mN6hipcub16HIPCUB_304000_NS21CountingInputIteratorIllEEPS6_NSA_22TransformInputIteratorIbN2at6native12_GLOBAL__N_19NonZeroOpIN3c107complexIdEEEEPKSL_lEENS0_5tupleIJPlS6_EEENSQ_IJSD_SD_EEES6_PiJS6_EEE10hipError_tPvRmT3_T4_T5_T6_T7_T9_mT8_P12ihipStream_tbDpT10_ENKUlT_T0_E_clISt17integral_constantIbLb0EES1E_EEDaS19_S1A_EUlS19_E_NS1_11comp_targetILNS1_3genE2ELNS1_11target_archE906ELNS1_3gpuE6ELNS1_3repE0EEENS1_30default_config_static_selectorELNS0_4arch9wavefront6targetE0EEEvT1_.num_agpr, 0
	.set _ZN7rocprim17ROCPRIM_400000_NS6detail17trampoline_kernelINS0_14default_configENS1_25partition_config_selectorILNS1_17partition_subalgoE5ElNS0_10empty_typeEbEEZZNS1_14partition_implILS5_5ELb0ES3_mN6hipcub16HIPCUB_304000_NS21CountingInputIteratorIllEEPS6_NSA_22TransformInputIteratorIbN2at6native12_GLOBAL__N_19NonZeroOpIN3c107complexIdEEEEPKSL_lEENS0_5tupleIJPlS6_EEENSQ_IJSD_SD_EEES6_PiJS6_EEE10hipError_tPvRmT3_T4_T5_T6_T7_T9_mT8_P12ihipStream_tbDpT10_ENKUlT_T0_E_clISt17integral_constantIbLb0EES1E_EEDaS19_S1A_EUlS19_E_NS1_11comp_targetILNS1_3genE2ELNS1_11target_archE906ELNS1_3gpuE6ELNS1_3repE0EEENS1_30default_config_static_selectorELNS0_4arch9wavefront6targetE0EEEvT1_.numbered_sgpr, 0
	.set _ZN7rocprim17ROCPRIM_400000_NS6detail17trampoline_kernelINS0_14default_configENS1_25partition_config_selectorILNS1_17partition_subalgoE5ElNS0_10empty_typeEbEEZZNS1_14partition_implILS5_5ELb0ES3_mN6hipcub16HIPCUB_304000_NS21CountingInputIteratorIllEEPS6_NSA_22TransformInputIteratorIbN2at6native12_GLOBAL__N_19NonZeroOpIN3c107complexIdEEEEPKSL_lEENS0_5tupleIJPlS6_EEENSQ_IJSD_SD_EEES6_PiJS6_EEE10hipError_tPvRmT3_T4_T5_T6_T7_T9_mT8_P12ihipStream_tbDpT10_ENKUlT_T0_E_clISt17integral_constantIbLb0EES1E_EEDaS19_S1A_EUlS19_E_NS1_11comp_targetILNS1_3genE2ELNS1_11target_archE906ELNS1_3gpuE6ELNS1_3repE0EEENS1_30default_config_static_selectorELNS0_4arch9wavefront6targetE0EEEvT1_.num_named_barrier, 0
	.set _ZN7rocprim17ROCPRIM_400000_NS6detail17trampoline_kernelINS0_14default_configENS1_25partition_config_selectorILNS1_17partition_subalgoE5ElNS0_10empty_typeEbEEZZNS1_14partition_implILS5_5ELb0ES3_mN6hipcub16HIPCUB_304000_NS21CountingInputIteratorIllEEPS6_NSA_22TransformInputIteratorIbN2at6native12_GLOBAL__N_19NonZeroOpIN3c107complexIdEEEEPKSL_lEENS0_5tupleIJPlS6_EEENSQ_IJSD_SD_EEES6_PiJS6_EEE10hipError_tPvRmT3_T4_T5_T6_T7_T9_mT8_P12ihipStream_tbDpT10_ENKUlT_T0_E_clISt17integral_constantIbLb0EES1E_EEDaS19_S1A_EUlS19_E_NS1_11comp_targetILNS1_3genE2ELNS1_11target_archE906ELNS1_3gpuE6ELNS1_3repE0EEENS1_30default_config_static_selectorELNS0_4arch9wavefront6targetE0EEEvT1_.private_seg_size, 0
	.set _ZN7rocprim17ROCPRIM_400000_NS6detail17trampoline_kernelINS0_14default_configENS1_25partition_config_selectorILNS1_17partition_subalgoE5ElNS0_10empty_typeEbEEZZNS1_14partition_implILS5_5ELb0ES3_mN6hipcub16HIPCUB_304000_NS21CountingInputIteratorIllEEPS6_NSA_22TransformInputIteratorIbN2at6native12_GLOBAL__N_19NonZeroOpIN3c107complexIdEEEEPKSL_lEENS0_5tupleIJPlS6_EEENSQ_IJSD_SD_EEES6_PiJS6_EEE10hipError_tPvRmT3_T4_T5_T6_T7_T9_mT8_P12ihipStream_tbDpT10_ENKUlT_T0_E_clISt17integral_constantIbLb0EES1E_EEDaS19_S1A_EUlS19_E_NS1_11comp_targetILNS1_3genE2ELNS1_11target_archE906ELNS1_3gpuE6ELNS1_3repE0EEENS1_30default_config_static_selectorELNS0_4arch9wavefront6targetE0EEEvT1_.uses_vcc, 0
	.set _ZN7rocprim17ROCPRIM_400000_NS6detail17trampoline_kernelINS0_14default_configENS1_25partition_config_selectorILNS1_17partition_subalgoE5ElNS0_10empty_typeEbEEZZNS1_14partition_implILS5_5ELb0ES3_mN6hipcub16HIPCUB_304000_NS21CountingInputIteratorIllEEPS6_NSA_22TransformInputIteratorIbN2at6native12_GLOBAL__N_19NonZeroOpIN3c107complexIdEEEEPKSL_lEENS0_5tupleIJPlS6_EEENSQ_IJSD_SD_EEES6_PiJS6_EEE10hipError_tPvRmT3_T4_T5_T6_T7_T9_mT8_P12ihipStream_tbDpT10_ENKUlT_T0_E_clISt17integral_constantIbLb0EES1E_EEDaS19_S1A_EUlS19_E_NS1_11comp_targetILNS1_3genE2ELNS1_11target_archE906ELNS1_3gpuE6ELNS1_3repE0EEENS1_30default_config_static_selectorELNS0_4arch9wavefront6targetE0EEEvT1_.uses_flat_scratch, 0
	.set _ZN7rocprim17ROCPRIM_400000_NS6detail17trampoline_kernelINS0_14default_configENS1_25partition_config_selectorILNS1_17partition_subalgoE5ElNS0_10empty_typeEbEEZZNS1_14partition_implILS5_5ELb0ES3_mN6hipcub16HIPCUB_304000_NS21CountingInputIteratorIllEEPS6_NSA_22TransformInputIteratorIbN2at6native12_GLOBAL__N_19NonZeroOpIN3c107complexIdEEEEPKSL_lEENS0_5tupleIJPlS6_EEENSQ_IJSD_SD_EEES6_PiJS6_EEE10hipError_tPvRmT3_T4_T5_T6_T7_T9_mT8_P12ihipStream_tbDpT10_ENKUlT_T0_E_clISt17integral_constantIbLb0EES1E_EEDaS19_S1A_EUlS19_E_NS1_11comp_targetILNS1_3genE2ELNS1_11target_archE906ELNS1_3gpuE6ELNS1_3repE0EEENS1_30default_config_static_selectorELNS0_4arch9wavefront6targetE0EEEvT1_.has_dyn_sized_stack, 0
	.set _ZN7rocprim17ROCPRIM_400000_NS6detail17trampoline_kernelINS0_14default_configENS1_25partition_config_selectorILNS1_17partition_subalgoE5ElNS0_10empty_typeEbEEZZNS1_14partition_implILS5_5ELb0ES3_mN6hipcub16HIPCUB_304000_NS21CountingInputIteratorIllEEPS6_NSA_22TransformInputIteratorIbN2at6native12_GLOBAL__N_19NonZeroOpIN3c107complexIdEEEEPKSL_lEENS0_5tupleIJPlS6_EEENSQ_IJSD_SD_EEES6_PiJS6_EEE10hipError_tPvRmT3_T4_T5_T6_T7_T9_mT8_P12ihipStream_tbDpT10_ENKUlT_T0_E_clISt17integral_constantIbLb0EES1E_EEDaS19_S1A_EUlS19_E_NS1_11comp_targetILNS1_3genE2ELNS1_11target_archE906ELNS1_3gpuE6ELNS1_3repE0EEENS1_30default_config_static_selectorELNS0_4arch9wavefront6targetE0EEEvT1_.has_recursion, 0
	.set _ZN7rocprim17ROCPRIM_400000_NS6detail17trampoline_kernelINS0_14default_configENS1_25partition_config_selectorILNS1_17partition_subalgoE5ElNS0_10empty_typeEbEEZZNS1_14partition_implILS5_5ELb0ES3_mN6hipcub16HIPCUB_304000_NS21CountingInputIteratorIllEEPS6_NSA_22TransformInputIteratorIbN2at6native12_GLOBAL__N_19NonZeroOpIN3c107complexIdEEEEPKSL_lEENS0_5tupleIJPlS6_EEENSQ_IJSD_SD_EEES6_PiJS6_EEE10hipError_tPvRmT3_T4_T5_T6_T7_T9_mT8_P12ihipStream_tbDpT10_ENKUlT_T0_E_clISt17integral_constantIbLb0EES1E_EEDaS19_S1A_EUlS19_E_NS1_11comp_targetILNS1_3genE2ELNS1_11target_archE906ELNS1_3gpuE6ELNS1_3repE0EEENS1_30default_config_static_selectorELNS0_4arch9wavefront6targetE0EEEvT1_.has_indirect_call, 0
	.section	.AMDGPU.csdata,"",@progbits
; Kernel info:
; codeLenInByte = 0
; TotalNumSgprs: 0
; NumVgprs: 0
; ScratchSize: 0
; MemoryBound: 0
; FloatMode: 240
; IeeeMode: 1
; LDSByteSize: 0 bytes/workgroup (compile time only)
; SGPRBlocks: 0
; VGPRBlocks: 0
; NumSGPRsForWavesPerEU: 1
; NumVGPRsForWavesPerEU: 1
; Occupancy: 16
; WaveLimiterHint : 0
; COMPUTE_PGM_RSRC2:SCRATCH_EN: 0
; COMPUTE_PGM_RSRC2:USER_SGPR: 2
; COMPUTE_PGM_RSRC2:TRAP_HANDLER: 0
; COMPUTE_PGM_RSRC2:TGID_X_EN: 1
; COMPUTE_PGM_RSRC2:TGID_Y_EN: 0
; COMPUTE_PGM_RSRC2:TGID_Z_EN: 0
; COMPUTE_PGM_RSRC2:TIDIG_COMP_CNT: 0
	.section	.text._ZN7rocprim17ROCPRIM_400000_NS6detail17trampoline_kernelINS0_14default_configENS1_25partition_config_selectorILNS1_17partition_subalgoE5ElNS0_10empty_typeEbEEZZNS1_14partition_implILS5_5ELb0ES3_mN6hipcub16HIPCUB_304000_NS21CountingInputIteratorIllEEPS6_NSA_22TransformInputIteratorIbN2at6native12_GLOBAL__N_19NonZeroOpIN3c107complexIdEEEEPKSL_lEENS0_5tupleIJPlS6_EEENSQ_IJSD_SD_EEES6_PiJS6_EEE10hipError_tPvRmT3_T4_T5_T6_T7_T9_mT8_P12ihipStream_tbDpT10_ENKUlT_T0_E_clISt17integral_constantIbLb0EES1E_EEDaS19_S1A_EUlS19_E_NS1_11comp_targetILNS1_3genE10ELNS1_11target_archE1200ELNS1_3gpuE4ELNS1_3repE0EEENS1_30default_config_static_selectorELNS0_4arch9wavefront6targetE0EEEvT1_,"axG",@progbits,_ZN7rocprim17ROCPRIM_400000_NS6detail17trampoline_kernelINS0_14default_configENS1_25partition_config_selectorILNS1_17partition_subalgoE5ElNS0_10empty_typeEbEEZZNS1_14partition_implILS5_5ELb0ES3_mN6hipcub16HIPCUB_304000_NS21CountingInputIteratorIllEEPS6_NSA_22TransformInputIteratorIbN2at6native12_GLOBAL__N_19NonZeroOpIN3c107complexIdEEEEPKSL_lEENS0_5tupleIJPlS6_EEENSQ_IJSD_SD_EEES6_PiJS6_EEE10hipError_tPvRmT3_T4_T5_T6_T7_T9_mT8_P12ihipStream_tbDpT10_ENKUlT_T0_E_clISt17integral_constantIbLb0EES1E_EEDaS19_S1A_EUlS19_E_NS1_11comp_targetILNS1_3genE10ELNS1_11target_archE1200ELNS1_3gpuE4ELNS1_3repE0EEENS1_30default_config_static_selectorELNS0_4arch9wavefront6targetE0EEEvT1_,comdat
	.globl	_ZN7rocprim17ROCPRIM_400000_NS6detail17trampoline_kernelINS0_14default_configENS1_25partition_config_selectorILNS1_17partition_subalgoE5ElNS0_10empty_typeEbEEZZNS1_14partition_implILS5_5ELb0ES3_mN6hipcub16HIPCUB_304000_NS21CountingInputIteratorIllEEPS6_NSA_22TransformInputIteratorIbN2at6native12_GLOBAL__N_19NonZeroOpIN3c107complexIdEEEEPKSL_lEENS0_5tupleIJPlS6_EEENSQ_IJSD_SD_EEES6_PiJS6_EEE10hipError_tPvRmT3_T4_T5_T6_T7_T9_mT8_P12ihipStream_tbDpT10_ENKUlT_T0_E_clISt17integral_constantIbLb0EES1E_EEDaS19_S1A_EUlS19_E_NS1_11comp_targetILNS1_3genE10ELNS1_11target_archE1200ELNS1_3gpuE4ELNS1_3repE0EEENS1_30default_config_static_selectorELNS0_4arch9wavefront6targetE0EEEvT1_ ; -- Begin function _ZN7rocprim17ROCPRIM_400000_NS6detail17trampoline_kernelINS0_14default_configENS1_25partition_config_selectorILNS1_17partition_subalgoE5ElNS0_10empty_typeEbEEZZNS1_14partition_implILS5_5ELb0ES3_mN6hipcub16HIPCUB_304000_NS21CountingInputIteratorIllEEPS6_NSA_22TransformInputIteratorIbN2at6native12_GLOBAL__N_19NonZeroOpIN3c107complexIdEEEEPKSL_lEENS0_5tupleIJPlS6_EEENSQ_IJSD_SD_EEES6_PiJS6_EEE10hipError_tPvRmT3_T4_T5_T6_T7_T9_mT8_P12ihipStream_tbDpT10_ENKUlT_T0_E_clISt17integral_constantIbLb0EES1E_EEDaS19_S1A_EUlS19_E_NS1_11comp_targetILNS1_3genE10ELNS1_11target_archE1200ELNS1_3gpuE4ELNS1_3repE0EEENS1_30default_config_static_selectorELNS0_4arch9wavefront6targetE0EEEvT1_
	.p2align	8
	.type	_ZN7rocprim17ROCPRIM_400000_NS6detail17trampoline_kernelINS0_14default_configENS1_25partition_config_selectorILNS1_17partition_subalgoE5ElNS0_10empty_typeEbEEZZNS1_14partition_implILS5_5ELb0ES3_mN6hipcub16HIPCUB_304000_NS21CountingInputIteratorIllEEPS6_NSA_22TransformInputIteratorIbN2at6native12_GLOBAL__N_19NonZeroOpIN3c107complexIdEEEEPKSL_lEENS0_5tupleIJPlS6_EEENSQ_IJSD_SD_EEES6_PiJS6_EEE10hipError_tPvRmT3_T4_T5_T6_T7_T9_mT8_P12ihipStream_tbDpT10_ENKUlT_T0_E_clISt17integral_constantIbLb0EES1E_EEDaS19_S1A_EUlS19_E_NS1_11comp_targetILNS1_3genE10ELNS1_11target_archE1200ELNS1_3gpuE4ELNS1_3repE0EEENS1_30default_config_static_selectorELNS0_4arch9wavefront6targetE0EEEvT1_,@function
_ZN7rocprim17ROCPRIM_400000_NS6detail17trampoline_kernelINS0_14default_configENS1_25partition_config_selectorILNS1_17partition_subalgoE5ElNS0_10empty_typeEbEEZZNS1_14partition_implILS5_5ELb0ES3_mN6hipcub16HIPCUB_304000_NS21CountingInputIteratorIllEEPS6_NSA_22TransformInputIteratorIbN2at6native12_GLOBAL__N_19NonZeroOpIN3c107complexIdEEEEPKSL_lEENS0_5tupleIJPlS6_EEENSQ_IJSD_SD_EEES6_PiJS6_EEE10hipError_tPvRmT3_T4_T5_T6_T7_T9_mT8_P12ihipStream_tbDpT10_ENKUlT_T0_E_clISt17integral_constantIbLb0EES1E_EEDaS19_S1A_EUlS19_E_NS1_11comp_targetILNS1_3genE10ELNS1_11target_archE1200ELNS1_3gpuE4ELNS1_3repE0EEENS1_30default_config_static_selectorELNS0_4arch9wavefront6targetE0EEEvT1_: ; @_ZN7rocprim17ROCPRIM_400000_NS6detail17trampoline_kernelINS0_14default_configENS1_25partition_config_selectorILNS1_17partition_subalgoE5ElNS0_10empty_typeEbEEZZNS1_14partition_implILS5_5ELb0ES3_mN6hipcub16HIPCUB_304000_NS21CountingInputIteratorIllEEPS6_NSA_22TransformInputIteratorIbN2at6native12_GLOBAL__N_19NonZeroOpIN3c107complexIdEEEEPKSL_lEENS0_5tupleIJPlS6_EEENSQ_IJSD_SD_EEES6_PiJS6_EEE10hipError_tPvRmT3_T4_T5_T6_T7_T9_mT8_P12ihipStream_tbDpT10_ENKUlT_T0_E_clISt17integral_constantIbLb0EES1E_EEDaS19_S1A_EUlS19_E_NS1_11comp_targetILNS1_3genE10ELNS1_11target_archE1200ELNS1_3gpuE4ELNS1_3repE0EEENS1_30default_config_static_selectorELNS0_4arch9wavefront6targetE0EEEvT1_
; %bb.0:
	s_clause 0x3
	s_load_b128 s[12:15], s[0:1], 0x48
	s_load_b32 s18, s[0:1], 0x70
	s_load_b128 s[4:7], s[0:1], 0x8
	s_load_b64 s[2:3], s[0:1], 0x58
	s_mov_b32 s9, 0
	s_lshl_b32 s8, ttmp9, 10
	s_mov_b32 s17, s9
	v_lshrrev_b32_e32 v12, 2, v0
	v_or_b32_e32 v9, 0x200, v0
	v_or_b32_e32 v10, 0x300, v0
	v_and_b32_e32 v11, 0xf8, v0
	s_mov_b32 s19, -1
	s_wait_kmcnt 0x0
	s_load_b64 s[10:11], s[14:15], 0x0
	s_lshl_b32 s16, s18, 10
	s_add_co_i32 s18, s18, -1
	s_add_nc_u64 s[14:15], s[6:7], s[16:17]
	s_lshl_b32 s16, s18, 10
	v_cmp_le_u64_e64 s14, s[2:3], s[14:15]
	s_add_co_i32 s3, s6, s16
	s_cmp_eq_u32 ttmp9, s18
	s_add_nc_u64 s[4:5], s[6:7], s[4:5]
	s_cselect_b32 s16, -1, 0
	s_delay_alu instid0(SALU_CYCLE_1) | instskip(SKIP_2) | instid1(SALU_CYCLE_1)
	s_and_b32 s14, s16, s14
	s_wait_alu 0xfffe
	s_xor_b32 s17, s14, -1
	s_and_b32 vcc_lo, exec_lo, s17
	s_cbranch_vccz .LBB531_2
; %bb.1:
	v_or_b32_e32 v7, 0x100, v0
	v_or_b32_e32 v1, s8, v0
	v_lshrrev_b32_e32 v8, 2, v9
	v_lshrrev_b32_e32 v13, 2, v10
	v_and_b32_e32 v14, 56, v12
	v_lshrrev_b32_e32 v7, 2, v7
	v_add_co_u32 v1, s14, s4, v1
	s_wait_alu 0xf1ff
	v_add_co_ci_u32_e64 v2, null, s5, 0, s14
	v_lshlrev_b32_e32 v15, 3, v0
	v_and_b32_e32 v16, 0x78, v7
	v_add_co_u32 v3, vcc_lo, 0x100, v1
	v_and_b32_e32 v17, 0xb8, v8
	v_and_b32_e32 v13, 0xf8, v13
	v_add_co_ci_u32_e64 v4, null, 0, v2, vcc_lo
	v_add_co_u32 v5, vcc_lo, 0x200, v1
	v_add_nc_u32_e32 v14, v14, v15
	s_wait_alu 0xfffd
	v_add_co_ci_u32_e64 v6, null, 0, v2, vcc_lo
	v_add_co_u32 v7, vcc_lo, 0x300, v1
	v_add_nc_u32_e32 v16, v16, v15
	v_add_nc_u32_e32 v17, v17, v15
	s_wait_alu 0xfffd
	v_add_co_ci_u32_e64 v8, null, 0, v2, vcc_lo
	v_add_nc_u32_e32 v13, v13, v15
	ds_store_b64 v14, v[1:2]
	ds_store_b64 v16, v[3:4] offset:2048
	ds_store_b64 v17, v[5:6] offset:4096
	;; [unrolled: 1-line block ×3, first 2 shown]
	v_lshl_add_u32 v1, v0, 5, v11
	s_wait_dscnt 0x0
	s_barrier_signal -1
	s_barrier_wait -1
	global_inv scope:SCOPE_SE
	ds_load_2addr_b64 v[5:8], v1 offset1:1
	ds_load_2addr_b64 v[1:4], v1 offset0:2 offset1:3
	s_mov_b32 s19, s9
	s_branch .LBB531_3
.LBB531_2:
                                        ; implicit-def: $vgpr3_vgpr4
                                        ; implicit-def: $vgpr7_vgpr8
.LBB531_3:
	s_load_b64 s[14:15], s[0:1], 0x20
	s_sub_co_i32 s18, s2, s3
	s_and_not1_b32 vcc_lo, exec_lo, s19
	v_cmp_gt_u32_e64 s2, s18, v0
	s_wait_alu 0xfffe
	s_cbranch_vccnz .LBB531_5
; %bb.4:
	s_wait_dscnt 0x1
	v_or_b32_e32 v7, 0x100, v0
	s_add_nc_u64 s[4:5], s[4:5], s[8:9]
	v_lshrrev_b32_e32 v14, 2, v9
	s_wait_dscnt 0x0
	s_wait_alu 0xfffe
	v_add_co_u32 v1, s3, s4, v0
	s_wait_alu 0xf1ff
	v_add_co_ci_u32_e64 v2, null, s5, 0, s3
	v_add_co_u32 v3, s3, s4, v7
	s_wait_alu 0xf1ff
	v_add_co_ci_u32_e64 v4, null, s5, 0, s3
	v_cmp_gt_u32_e32 vcc_lo, s18, v7
	v_add_co_u32 v13, s3, s4, v10
	s_wait_alu 0xf1ff
	v_add_co_ci_u32_e64 v8, null, s5, 0, s3
	s_wait_alu 0xfffd
	v_dual_cndmask_b32 v4, 0, v4 :: v_dual_cndmask_b32 v3, 0, v3
	v_cmp_gt_u32_e32 vcc_lo, s18, v10
	v_lshrrev_b32_e32 v7, 2, v7
	v_lshrrev_b32_e32 v15, 2, v10
	v_cndmask_b32_e64 v2, 0, v2, s2
	v_cndmask_b32_e64 v1, 0, v1, s2
	v_add_co_u32 v5, s2, s4, v9
	v_and_b32_e32 v12, 56, v12
	v_lshlrev_b32_e32 v16, 3, v0
	s_wait_alu 0xfffd
	v_dual_cndmask_b32 v8, 0, v8 :: v_dual_and_b32 v17, 0x78, v7
	s_wait_alu 0xf1ff
	v_add_co_ci_u32_e64 v6, null, s5, 0, s2
	v_cmp_gt_u32_e64 s2, s18, v9
	v_and_b32_e32 v14, 0xb8, v14
	v_and_b32_e32 v15, 0xf8, v15
	v_dual_cndmask_b32 v7, 0, v13 :: v_dual_add_nc_u32 v12, v12, v16
	v_add_nc_u32_e32 v13, v17, v16
	s_wait_alu 0xf1ff
	v_cndmask_b32_e64 v6, 0, v6, s2
	v_cndmask_b32_e64 v5, 0, v5, s2
	v_add_nc_u32_e32 v14, v14, v16
	v_add_nc_u32_e32 v15, v15, v16
	ds_store_b64 v12, v[1:2]
	ds_store_b64 v13, v[3:4] offset:2048
	ds_store_b64 v14, v[5:6] offset:4096
	;; [unrolled: 1-line block ×3, first 2 shown]
	v_lshl_add_u32 v1, v0, 5, v11
	s_wait_loadcnt_dscnt 0x0
	s_barrier_signal -1
	s_barrier_wait -1
	global_inv scope:SCOPE_SE
	ds_load_2addr_b64 v[5:8], v1 offset1:1
	ds_load_2addr_b64 v[1:4], v1 offset0:2 offset1:3
.LBB531_5:
	s_lshl_b64 s[2:3], s[6:7], 4
	v_lshlrev_b32_e32 v11, 4, v0
	v_lshrrev_b32_e32 v25, 5, v0
	s_wait_kmcnt 0x0
	s_wait_alu 0xfffe
	s_add_nc_u64 s[2:3], s[14:15], s[2:3]
	s_lshl_b64 s[4:5], s[8:9], 4
	s_and_b32 vcc_lo, exec_lo, s17
	s_wait_alu 0xfffe
	s_add_nc_u64 s[14:15], s[2:3], s[4:5]
	s_mov_b32 s2, -1
	s_wait_loadcnt_dscnt 0x0
	s_barrier_signal -1
	s_barrier_wait -1
	global_inv scope:SCOPE_SE
	s_cbranch_vccz .LBB531_7
; %bb.6:
	s_clause 0x3
	global_load_b128 v[12:15], v11, s[14:15]
	global_load_b128 v[16:19], v11, s[14:15] offset:4096
	global_load_b128 v[20:23], v11, s[14:15] offset:8192
	global_load_b128 v[26:29], v11, s[14:15] offset:12288
	s_wait_loadcnt 0x3
	v_cmp_neq_f64_e32 vcc_lo, 0, v[12:13]
	v_cmp_neq_f64_e64 s2, 0, v[14:15]
	s_wait_loadcnt 0x2
	v_cmp_neq_f64_e64 s3, 0, v[16:17]
	v_cmp_neq_f64_e64 s4, 0, v[18:19]
	s_wait_loadcnt 0x1
	v_cmp_neq_f64_e64 s5, 0, v[20:21]
	;; [unrolled: 3-line block ×3, first 2 shown]
	v_cmp_neq_f64_e64 s8, 0, v[28:29]
	v_or_b32_e32 v12, 0x100, v0
	v_lshrrev_b32_e32 v13, 5, v9
	v_lshrrev_b32_e32 v14, 5, v10
	v_and_b32_e32 v15, 4, v25
	s_delay_alu instid0(VALU_DEP_4) | instskip(NEXT) | instid1(VALU_DEP_4)
	v_lshrrev_b32_e32 v12, 5, v12
	v_and_b32_e32 v13, 20, v13
	s_delay_alu instid0(VALU_DEP_4) | instskip(NEXT) | instid1(VALU_DEP_4)
	v_and_b32_e32 v14, 28, v14
	v_add_nc_u32_e32 v15, v15, v0
	s_delay_alu instid0(VALU_DEP_4) | instskip(NEXT) | instid1(VALU_DEP_4)
	v_and_b32_e32 v12, 12, v12
	v_add_nc_u32_e32 v13, v13, v0
	s_delay_alu instid0(VALU_DEP_4) | instskip(NEXT) | instid1(VALU_DEP_3)
	v_add_nc_u32_e32 v14, v14, v0
	v_add_nc_u32_e32 v12, v12, v0
	s_wait_alu 0xfffe
	s_or_b32 s2, vcc_lo, s2
	s_wait_alu 0xfffe
	v_cndmask_b32_e64 v16, 0, 1, s2
	s_or_b32 s2, s3, s4
	s_wait_alu 0xfffe
	v_cndmask_b32_e64 v17, 0, 1, s2
	s_or_b32 s2, s5, s6
	;; [unrolled: 3-line block ×3, first 2 shown]
	s_wait_alu 0xfffe
	v_cndmask_b32_e64 v19, 0, 1, s2
	s_mov_b32 s2, 0
	ds_store_b8 v15, v16
	ds_store_b8 v12, v17 offset:256
	ds_store_b8 v13, v18 offset:512
	;; [unrolled: 1-line block ×3, first 2 shown]
	s_wait_dscnt 0x0
	s_barrier_signal -1
	s_barrier_wait -1
.LBB531_7:
	s_wait_alu 0xfffe
	s_and_not1_b32 vcc_lo, exec_lo, s2
	s_wait_alu 0xfffe
	s_cbranch_vccnz .LBB531_15
; %bb.8:
	v_dual_mov_b32 v12, 0 :: v_dual_mov_b32 v13, 0
	s_mov_b32 s3, exec_lo
	v_cmpx_gt_u32_e64 s18, v0
	s_cbranch_execz .LBB531_10
; %bb.9:
	global_load_b128 v[12:15], v11, s[14:15]
	s_wait_loadcnt 0x0
	v_cmp_neq_f64_e32 vcc_lo, 0, v[12:13]
	v_cmp_neq_f64_e64 s2, 0, v[14:15]
	s_or_b32 s2, vcc_lo, s2
	s_wait_alu 0xfffe
	v_cndmask_b32_e64 v12, 0, 1, s2
	v_cndmask_b32_e64 v13, 0, 1, s2
.LBB531_10:
	s_wait_alu 0xfffe
	s_or_b32 exec_lo, exec_lo, s3
	v_or_b32_e32 v14, 0x100, v0
	s_mov_b32 s3, exec_lo
	s_delay_alu instid0(VALU_DEP_1)
	v_cmpx_gt_u32_e64 s18, v14
	s_cbranch_execnz .LBB531_129
; %bb.11:
	s_wait_alu 0xfffe
	s_or_b32 exec_lo, exec_lo, s3
	s_delay_alu instid0(SALU_CYCLE_1)
	s_mov_b32 s3, exec_lo
	v_cmpx_gt_u32_e64 s18, v9
	s_cbranch_execnz .LBB531_130
.LBB531_12:
	s_wait_alu 0xfffe
	s_or_b32 exec_lo, exec_lo, s3
	s_delay_alu instid0(SALU_CYCLE_1)
	s_mov_b32 s3, exec_lo
	v_cmpx_gt_u32_e64 s18, v10
	s_cbranch_execz .LBB531_14
.LBB531_13:
	global_load_b128 v[15:18], v11, s[14:15] offset:12288
	s_wait_loadcnt 0x0
	v_cmp_neq_f64_e32 vcc_lo, 0, v[15:16]
	v_cmp_neq_f64_e64 s2, 0, v[17:18]
	v_lshrrev_b32_e32 v15, 16, v13
	s_or_b32 s2, vcc_lo, s2
	s_wait_alu 0xfffe
	v_cndmask_b32_e64 v11, 0, 1, s2
	s_delay_alu instid0(VALU_DEP_1) | instskip(NEXT) | instid1(VALU_DEP_1)
	v_lshlrev_b16 v11, 8, v11
	v_or_b32_e32 v11, v15, v11
	s_delay_alu instid0(VALU_DEP_1) | instskip(NEXT) | instid1(VALU_DEP_1)
	v_lshlrev_b32_e32 v11, 16, v11
	v_and_or_b32 v13, 0xffff, v13, v11
.LBB531_14:
	s_wait_alu 0xfffe
	s_or_b32 exec_lo, exec_lo, s3
	v_lshrrev_b32_e32 v11, 5, v14
	v_lshrrev_b32_e32 v9, 5, v9
	;; [unrolled: 1-line block ×3, first 2 shown]
	v_and_b32_e32 v14, 4, v25
	v_lshrrev_b32_e32 v15, 8, v13
	v_and_b32_e32 v11, 12, v11
	v_and_b32_e32 v9, 28, v9
	;; [unrolled: 1-line block ×3, first 2 shown]
	v_add_nc_u32_e32 v14, v14, v0
	v_lshrrev_b32_e32 v16, 24, v13
	v_add_nc_u32_e32 v11, v11, v0
	v_add_nc_u32_e32 v9, v9, v0
	v_add_nc_u32_e32 v10, v10, v0
	ds_store_b8 v14, v12
	ds_store_b8 v11, v15 offset:256
	ds_store_b8_d16_hi v9, v13 offset:512
	ds_store_b8 v10, v16 offset:768
	s_wait_loadcnt_dscnt 0x0
	s_barrier_signal -1
	s_barrier_wait -1
.LBB531_15:
	v_lshrrev_b32_e32 v9, 3, v0
	s_wait_loadcnt 0x0
	global_inv scope:SCOPE_SE
	s_load_b64 s[6:7], s[0:1], 0x68
	v_mbcnt_lo_u32_b32 v31, -1, 0
	s_cmp_lg_u32 ttmp9, 0
	v_dual_mov_b32 v10, 0 :: v_dual_and_b32 v9, 28, v9
	s_mov_b32 s3, -1
	s_delay_alu instid0(VALU_DEP_2) | instskip(NEXT) | instid1(VALU_DEP_2)
	v_and_b32_e32 v32, 15, v31
	v_lshl_add_u32 v9, v0, 2, v9
	ds_load_b32 v27, v9
	s_wait_loadcnt_dscnt 0x0
	s_barrier_signal -1
	s_barrier_wait -1
	global_inv scope:SCOPE_SE
	v_and_b32_e32 v30, 0xff, v27
	v_bfe_u32 v29, v27, 8, 8
	v_bfe_u32 v28, v27, 16, 8
	v_lshrrev_b32_e32 v26, 24, v27
	s_delay_alu instid0(VALU_DEP_2) | instskip(NEXT) | instid1(VALU_DEP_1)
	v_add3_u32 v9, v29, v30, v28
	v_add_co_u32 v17, s2, v9, v26
	s_wait_alu 0xf1ff
	v_add_co_ci_u32_e64 v18, null, 0, 0, s2
	v_cmp_ne_u32_e64 s2, 0, v32
	s_cbranch_scc0 .LBB531_72
; %bb.16:
	v_mov_b32_e32 v11, v17
	v_mov_b32_dpp v9, v17 row_shr:1 row_mask:0xf bank_mask:0xf
	v_mov_b32_dpp v14, v10 row_shr:1 row_mask:0xf bank_mask:0xf
	v_dual_mov_b32 v13, v17 :: v_dual_mov_b32 v12, v18
	s_and_saveexec_b32 s3, s2
; %bb.17:
	s_delay_alu instid0(VALU_DEP_3) | instskip(SKIP_2) | instid1(VALU_DEP_2)
	v_add_co_u32 v13, vcc_lo, v17, v9
	s_wait_alu 0xfffd
	v_add_co_ci_u32_e64 v10, null, 0, v18, vcc_lo
	v_add_co_u32 v9, vcc_lo, 0, v13
	s_wait_alu 0xfffd
	s_delay_alu instid0(VALU_DEP_2) | instskip(NEXT) | instid1(VALU_DEP_1)
	v_add_co_ci_u32_e64 v10, null, v14, v10, vcc_lo
	v_dual_mov_b32 v12, v10 :: v_dual_mov_b32 v11, v9
; %bb.18:
	s_wait_alu 0xfffe
	s_or_b32 exec_lo, exec_lo, s3
	v_mov_b32_dpp v9, v13 row_shr:2 row_mask:0xf bank_mask:0xf
	v_mov_b32_dpp v14, v10 row_shr:2 row_mask:0xf bank_mask:0xf
	s_mov_b32 s3, exec_lo
	v_cmpx_lt_u32_e32 1, v32
; %bb.19:
	s_delay_alu instid0(VALU_DEP_3) | instskip(SKIP_2) | instid1(VALU_DEP_2)
	v_add_co_u32 v13, vcc_lo, v11, v9
	s_wait_alu 0xfffd
	v_add_co_ci_u32_e64 v10, null, 0, v12, vcc_lo
	v_add_co_u32 v9, vcc_lo, 0, v13
	s_wait_alu 0xfffd
	s_delay_alu instid0(VALU_DEP_2) | instskip(NEXT) | instid1(VALU_DEP_1)
	v_add_co_ci_u32_e64 v10, null, v14, v10, vcc_lo
	v_dual_mov_b32 v12, v10 :: v_dual_mov_b32 v11, v9
; %bb.20:
	s_wait_alu 0xfffe
	s_or_b32 exec_lo, exec_lo, s3
	v_mov_b32_dpp v9, v13 row_shr:4 row_mask:0xf bank_mask:0xf
	v_mov_b32_dpp v14, v10 row_shr:4 row_mask:0xf bank_mask:0xf
	s_mov_b32 s3, exec_lo
	v_cmpx_lt_u32_e32 3, v32
	;; [unrolled: 17-line block ×3, first 2 shown]
; %bb.23:
	s_delay_alu instid0(VALU_DEP_3) | instskip(SKIP_2) | instid1(VALU_DEP_2)
	v_add_co_u32 v13, vcc_lo, v11, v14
	s_wait_alu 0xfffd
	v_add_co_ci_u32_e64 v10, null, 0, v12, vcc_lo
	v_add_co_u32 v11, vcc_lo, 0, v13
	s_wait_alu 0xfffd
	s_delay_alu instid0(VALU_DEP_2) | instskip(NEXT) | instid1(VALU_DEP_1)
	v_add_co_ci_u32_e64 v12, null, v9, v10, vcc_lo
	v_mov_b32_e32 v10, v12
; %bb.24:
	s_wait_alu 0xfffe
	s_or_b32 exec_lo, exec_lo, s3
	ds_swizzle_b32 v9, v13 offset:swizzle(BROADCAST,32,15)
	ds_swizzle_b32 v14, v10 offset:swizzle(BROADCAST,32,15)
	v_and_b32_e32 v15, 16, v31
	s_mov_b32 s3, exec_lo
	s_delay_alu instid0(VALU_DEP_1)
	v_cmpx_ne_u32_e32 0, v15
	s_cbranch_execz .LBB531_26
; %bb.25:
	s_wait_dscnt 0x1
	v_add_co_u32 v13, vcc_lo, v11, v9
	s_wait_alu 0xfffd
	v_add_co_ci_u32_e64 v10, null, 0, v12, vcc_lo
	s_delay_alu instid0(VALU_DEP_2) | instskip(SKIP_2) | instid1(VALU_DEP_2)
	v_add_co_u32 v9, vcc_lo, 0, v13
	s_wait_dscnt 0x0
	s_wait_alu 0xfffd
	v_add_co_ci_u32_e64 v10, null, v14, v10, vcc_lo
	s_delay_alu instid0(VALU_DEP_1)
	v_dual_mov_b32 v12, v10 :: v_dual_mov_b32 v11, v9
.LBB531_26:
	s_wait_alu 0xfffe
	s_or_b32 exec_lo, exec_lo, s3
	s_wait_dscnt 0x1
	v_or_b32_e32 v9, 31, v0
	s_mov_b32 s3, exec_lo
	s_delay_alu instid0(VALU_DEP_1)
	v_cmpx_eq_u32_e64 v0, v9
; %bb.27:
	v_lshlrev_b32_e32 v9, 3, v25
	ds_store_b64 v9, v[11:12]
; %bb.28:
	s_wait_alu 0xfffe
	s_or_b32 exec_lo, exec_lo, s3
	s_delay_alu instid0(SALU_CYCLE_1)
	s_mov_b32 s3, exec_lo
	s_wait_loadcnt_dscnt 0x0
	s_barrier_signal -1
	s_barrier_wait -1
	global_inv scope:SCOPE_SE
	v_cmpx_gt_u32_e32 8, v0
	s_cbranch_execz .LBB531_36
; %bb.29:
	v_lshlrev_b32_e32 v9, 3, v0
	s_mov_b32 s4, exec_lo
	ds_load_b64 v[11:12], v9
	s_wait_dscnt 0x0
	v_dual_mov_b32 v15, v11 :: v_dual_and_b32 v14, 7, v31
	v_mov_b32_dpp v19, v11 row_shr:1 row_mask:0xf bank_mask:0xf
	v_mov_b32_dpp v16, v12 row_shr:1 row_mask:0xf bank_mask:0xf
	s_delay_alu instid0(VALU_DEP_3)
	v_cmpx_ne_u32_e32 0, v14
; %bb.30:
	s_delay_alu instid0(VALU_DEP_3) | instskip(SKIP_2) | instid1(VALU_DEP_2)
	v_add_co_u32 v15, vcc_lo, v11, v19
	s_wait_alu 0xfffd
	v_add_co_ci_u32_e64 v12, null, 0, v12, vcc_lo
	v_add_co_u32 v11, vcc_lo, 0, v15
	s_wait_alu 0xfffd
	s_delay_alu instid0(VALU_DEP_2)
	v_add_co_ci_u32_e64 v12, null, v16, v12, vcc_lo
; %bb.31:
	s_wait_alu 0xfffe
	s_or_b32 exec_lo, exec_lo, s4
	v_mov_b32_dpp v19, v15 row_shr:2 row_mask:0xf bank_mask:0xf
	s_delay_alu instid0(VALU_DEP_2)
	v_mov_b32_dpp v16, v12 row_shr:2 row_mask:0xf bank_mask:0xf
	s_mov_b32 s4, exec_lo
	v_cmpx_lt_u32_e32 1, v14
; %bb.32:
	s_delay_alu instid0(VALU_DEP_3) | instskip(SKIP_2) | instid1(VALU_DEP_2)
	v_add_co_u32 v15, vcc_lo, v11, v19
	s_wait_alu 0xfffd
	v_add_co_ci_u32_e64 v12, null, 0, v12, vcc_lo
	v_add_co_u32 v11, vcc_lo, 0, v15
	s_wait_alu 0xfffd
	s_delay_alu instid0(VALU_DEP_2)
	v_add_co_ci_u32_e64 v12, null, v16, v12, vcc_lo
; %bb.33:
	s_wait_alu 0xfffe
	s_or_b32 exec_lo, exec_lo, s4
	v_mov_b32_dpp v16, v15 row_shr:4 row_mask:0xf bank_mask:0xf
	s_delay_alu instid0(VALU_DEP_2)
	v_mov_b32_dpp v15, v12 row_shr:4 row_mask:0xf bank_mask:0xf
	s_mov_b32 s4, exec_lo
	v_cmpx_lt_u32_e32 3, v14
; %bb.34:
	s_delay_alu instid0(VALU_DEP_3) | instskip(SKIP_2) | instid1(VALU_DEP_2)
	v_add_co_u32 v11, vcc_lo, v11, v16
	s_wait_alu 0xfffd
	v_add_co_ci_u32_e64 v12, null, 0, v12, vcc_lo
	v_add_co_u32 v11, vcc_lo, v11, 0
	s_wait_alu 0xfffd
	s_delay_alu instid0(VALU_DEP_2)
	v_add_co_ci_u32_e64 v12, null, v12, v15, vcc_lo
; %bb.35:
	s_wait_alu 0xfffe
	s_or_b32 exec_lo, exec_lo, s4
	ds_store_b64 v9, v[11:12]
.LBB531_36:
	s_wait_alu 0xfffe
	s_or_b32 exec_lo, exec_lo, s3
	s_delay_alu instid0(SALU_CYCLE_1)
	s_mov_b32 s4, exec_lo
	v_cmp_gt_u32_e32 vcc_lo, 32, v0
	s_wait_loadcnt_dscnt 0x0
	s_barrier_signal -1
	s_barrier_wait -1
	global_inv scope:SCOPE_SE
                                        ; implicit-def: $vgpr19_vgpr20
	v_cmpx_lt_u32_e32 31, v0
	s_cbranch_execz .LBB531_38
; %bb.37:
	v_lshl_add_u32 v9, v25, 3, -8
	ds_load_b64 v[19:20], v9
	s_wait_dscnt 0x0
	v_add_co_u32 v13, s3, v13, v19
	s_wait_alu 0xf1ff
	v_add_co_ci_u32_e64 v10, null, v10, v20, s3
.LBB531_38:
	s_wait_alu 0xfffe
	s_or_b32 exec_lo, exec_lo, s4
	v_sub_co_u32 v9, s3, v31, 1
	s_delay_alu instid0(VALU_DEP_1) | instskip(SKIP_1) | instid1(VALU_DEP_1)
	v_cmp_gt_i32_e64 s4, 0, v9
	s_wait_alu 0xf1ff
	v_cndmask_b32_e64 v9, v9, v31, s4
	s_delay_alu instid0(VALU_DEP_1)
	v_lshlrev_b32_e32 v9, 2, v9
	ds_bpermute_b32 v33, v9, v13
	ds_bpermute_b32 v34, v9, v10
	s_and_saveexec_b32 s4, vcc_lo
	s_cbranch_execz .LBB531_77
; %bb.39:
	v_mov_b32_e32 v12, 0
	ds_load_b64 v[9:10], v12 offset:56
	s_and_saveexec_b32 s5, s3
	s_cbranch_execz .LBB531_41
; %bb.40:
	s_add_co_i32 s8, ttmp9, 32
	s_wait_alu 0xfffe
	s_lshl_b64 s[8:9], s[8:9], 4
	s_wait_kmcnt 0x0
	s_wait_alu 0xfffe
	s_add_nc_u64 s[8:9], s[6:7], s[8:9]
	s_wait_alu 0xfffe
	v_dual_mov_b32 v11, 1 :: v_dual_mov_b32 v14, s9
	v_mov_b32_e32 v13, s8
	s_wait_dscnt 0x0
	;;#ASMSTART
	global_store_b128 v[13:14], v[9:12] off scope:SCOPE_DEV	
s_wait_storecnt 0x0
	;;#ASMEND
.LBB531_41:
	s_wait_alu 0xfffe
	s_or_b32 exec_lo, exec_lo, s5
	v_xad_u32 v21, v31, -1, ttmp9
	s_mov_b32 s8, 0
	s_mov_b32 s5, exec_lo
	s_delay_alu instid0(VALU_DEP_1) | instskip(NEXT) | instid1(VALU_DEP_1)
	v_add_nc_u32_e32 v11, 32, v21
	v_lshlrev_b64_e32 v[11:12], 4, v[11:12]
	s_wait_kmcnt 0x0
	s_delay_alu instid0(VALU_DEP_1) | instskip(SKIP_1) | instid1(VALU_DEP_2)
	v_add_co_u32 v11, vcc_lo, s6, v11
	s_wait_alu 0xfffd
	v_add_co_ci_u32_e64 v12, null, s7, v12, vcc_lo
	;;#ASMSTART
	global_load_b128 v[13:16], v[11:12] off scope:SCOPE_DEV	
s_wait_loadcnt 0x0
	;;#ASMEND
	v_and_b32_e32 v16, 0xff, v15
	s_delay_alu instid0(VALU_DEP_1)
	v_cmpx_eq_u16_e32 0, v16
	s_cbranch_execz .LBB531_44
.LBB531_42:                             ; =>This Inner Loop Header: Depth=1
	;;#ASMSTART
	global_load_b128 v[13:16], v[11:12] off scope:SCOPE_DEV	
s_wait_loadcnt 0x0
	;;#ASMEND
	v_and_b32_e32 v16, 0xff, v15
	s_delay_alu instid0(VALU_DEP_1)
	v_cmp_ne_u16_e32 vcc_lo, 0, v16
	s_wait_alu 0xfffe
	s_or_b32 s8, vcc_lo, s8
	s_wait_alu 0xfffe
	s_and_not1_b32 exec_lo, exec_lo, s8
	s_cbranch_execnz .LBB531_42
; %bb.43:
	s_or_b32 exec_lo, exec_lo, s8
.LBB531_44:
	s_wait_alu 0xfffe
	s_or_b32 exec_lo, exec_lo, s5
	v_cmp_ne_u32_e32 vcc_lo, 31, v31
	v_and_b32_e32 v12, 0xff, v15
	v_lshlrev_b32_e64 v36, v31, -1
	s_mov_b32 s5, exec_lo
	s_wait_alu 0xfffd
	v_add_co_ci_u32_e64 v11, null, 0, v31, vcc_lo
	v_cmp_eq_u16_e32 vcc_lo, 2, v12
	s_delay_alu instid0(VALU_DEP_2)
	v_dual_mov_b32 v12, v13 :: v_dual_lshlrev_b32 v35, 2, v11
	s_wait_alu 0xfffd
	v_and_or_b32 v11, vcc_lo, v36, 0x80000000
	ds_bpermute_b32 v22, v35, v13
	ds_bpermute_b32 v16, v35, v14
	v_ctz_i32_b32_e32 v11, v11
	s_delay_alu instid0(VALU_DEP_1)
	v_cmpx_lt_u32_e64 v31, v11
	s_cbranch_execz .LBB531_46
; %bb.45:
	s_wait_dscnt 0x1
	v_add_co_u32 v12, vcc_lo, v13, v22
	s_wait_alu 0xfffd
	v_add_co_ci_u32_e64 v14, null, 0, v14, vcc_lo
	s_delay_alu instid0(VALU_DEP_2) | instskip(SKIP_2) | instid1(VALU_DEP_2)
	v_add_co_u32 v13, vcc_lo, 0, v12
	s_wait_dscnt 0x0
	s_wait_alu 0xfffd
	v_add_co_ci_u32_e64 v14, null, v16, v14, vcc_lo
.LBB531_46:
	s_wait_alu 0xfffe
	s_or_b32 exec_lo, exec_lo, s5
	v_cmp_gt_u32_e32 vcc_lo, 30, v31
	v_add_nc_u32_e32 v38, 2, v31
	s_mov_b32 s5, exec_lo
	s_wait_dscnt 0x0
	s_wait_alu 0xfffd
	v_cndmask_b32_e64 v16, 0, 2, vcc_lo
	s_delay_alu instid0(VALU_DEP_1)
	v_add_lshl_u32 v37, v16, v31, 2
	ds_bpermute_b32 v22, v37, v12
	ds_bpermute_b32 v16, v37, v14
	v_cmpx_le_u32_e64 v38, v11
	s_cbranch_execz .LBB531_48
; %bb.47:
	s_wait_dscnt 0x1
	v_add_co_u32 v12, vcc_lo, v13, v22
	s_wait_alu 0xfffd
	v_add_co_ci_u32_e64 v14, null, 0, v14, vcc_lo
	s_delay_alu instid0(VALU_DEP_2) | instskip(SKIP_2) | instid1(VALU_DEP_2)
	v_add_co_u32 v13, vcc_lo, 0, v12
	s_wait_dscnt 0x0
	s_wait_alu 0xfffd
	v_add_co_ci_u32_e64 v14, null, v16, v14, vcc_lo
.LBB531_48:
	s_wait_alu 0xfffe
	s_or_b32 exec_lo, exec_lo, s5
	v_cmp_gt_u32_e32 vcc_lo, 28, v31
	v_add_nc_u32_e32 v40, 4, v31
	s_mov_b32 s5, exec_lo
	s_wait_dscnt 0x0
	s_wait_alu 0xfffd
	v_cndmask_b32_e64 v16, 0, 4, vcc_lo
	s_delay_alu instid0(VALU_DEP_1)
	v_add_lshl_u32 v39, v16, v31, 2
	ds_bpermute_b32 v22, v39, v12
	ds_bpermute_b32 v16, v39, v14
	v_cmpx_le_u32_e64 v40, v11
	;; [unrolled: 25-line block ×3, first 2 shown]
	s_cbranch_execz .LBB531_52
; %bb.51:
	s_wait_dscnt 0x1
	v_add_co_u32 v12, vcc_lo, v13, v22
	s_wait_alu 0xfffd
	v_add_co_ci_u32_e64 v14, null, 0, v14, vcc_lo
	s_delay_alu instid0(VALU_DEP_2) | instskip(SKIP_2) | instid1(VALU_DEP_2)
	v_add_co_u32 v13, vcc_lo, 0, v12
	s_wait_dscnt 0x0
	s_wait_alu 0xfffd
	v_add_co_ci_u32_e64 v14, null, v16, v14, vcc_lo
.LBB531_52:
	s_wait_alu 0xfffe
	s_or_b32 exec_lo, exec_lo, s5
	v_lshl_or_b32 v43, v31, 2, 64
	v_add_nc_u32_e32 v44, 16, v31
	s_mov_b32 s5, exec_lo
	s_wait_dscnt 0x0
	ds_bpermute_b32 v16, v43, v12
	ds_bpermute_b32 v12, v43, v14
	v_cmpx_le_u32_e64 v44, v11
	s_cbranch_execz .LBB531_54
; %bb.53:
	s_wait_dscnt 0x1
	v_add_co_u32 v11, vcc_lo, v13, v16
	s_wait_alu 0xfffd
	v_add_co_ci_u32_e64 v14, null, 0, v14, vcc_lo
	s_delay_alu instid0(VALU_DEP_2) | instskip(SKIP_2) | instid1(VALU_DEP_2)
	v_add_co_u32 v13, vcc_lo, v11, 0
	s_wait_dscnt 0x0
	s_wait_alu 0xfffd
	v_add_co_ci_u32_e64 v14, null, v14, v12, vcc_lo
.LBB531_54:
	s_wait_alu 0xfffe
	s_or_b32 exec_lo, exec_lo, s5
	v_mov_b32_e32 v22, 0
	s_branch .LBB531_57
.LBB531_55:                             ;   in Loop: Header=BB531_57 Depth=1
	s_wait_alu 0xfffe
	s_or_b32 exec_lo, exec_lo, s5
	v_add_co_u32 v13, vcc_lo, v13, v11
	v_subrev_nc_u32_e32 v21, 32, v21
	s_wait_alu 0xfffd
	v_add_co_ci_u32_e64 v14, null, v14, v12, vcc_lo
	s_mov_b32 s5, 0
.LBB531_56:                             ;   in Loop: Header=BB531_57 Depth=1
	s_wait_alu 0xfffe
	s_and_b32 vcc_lo, exec_lo, s5
	s_wait_alu 0xfffe
	s_cbranch_vccnz .LBB531_73
.LBB531_57:                             ; =>This Loop Header: Depth=1
                                        ;     Child Loop BB531_60 Depth 2
	v_and_b32_e32 v11, 0xff, v15
	s_mov_b32 s5, -1
	s_delay_alu instid0(VALU_DEP_1)
	v_cmp_ne_u16_e32 vcc_lo, 2, v11
	s_wait_dscnt 0x0
	v_dual_mov_b32 v11, v13 :: v_dual_mov_b32 v12, v14
                                        ; implicit-def: $vgpr13_vgpr14
	s_cmp_lg_u32 vcc_lo, exec_lo
	s_cbranch_scc1 .LBB531_56
; %bb.58:                               ;   in Loop: Header=BB531_57 Depth=1
	v_lshlrev_b64_e32 v[13:14], 4, v[21:22]
	s_mov_b32 s5, exec_lo
	s_delay_alu instid0(VALU_DEP_1) | instskip(SKIP_1) | instid1(VALU_DEP_2)
	v_add_co_u32 v23, vcc_lo, s6, v13
	s_wait_alu 0xfffd
	v_add_co_ci_u32_e64 v24, null, s7, v14, vcc_lo
	;;#ASMSTART
	global_load_b128 v[13:16], v[23:24] off scope:SCOPE_DEV	
s_wait_loadcnt 0x0
	;;#ASMEND
	v_and_b32_e32 v16, 0xff, v15
	s_delay_alu instid0(VALU_DEP_1)
	v_cmpx_eq_u16_e32 0, v16
	s_cbranch_execz .LBB531_62
; %bb.59:                               ;   in Loop: Header=BB531_57 Depth=1
	s_mov_b32 s8, 0
.LBB531_60:                             ;   Parent Loop BB531_57 Depth=1
                                        ; =>  This Inner Loop Header: Depth=2
	;;#ASMSTART
	global_load_b128 v[13:16], v[23:24] off scope:SCOPE_DEV	
s_wait_loadcnt 0x0
	;;#ASMEND
	v_and_b32_e32 v16, 0xff, v15
	s_delay_alu instid0(VALU_DEP_1)
	v_cmp_ne_u16_e32 vcc_lo, 0, v16
	s_wait_alu 0xfffe
	s_or_b32 s8, vcc_lo, s8
	s_wait_alu 0xfffe
	s_and_not1_b32 exec_lo, exec_lo, s8
	s_cbranch_execnz .LBB531_60
; %bb.61:                               ;   in Loop: Header=BB531_57 Depth=1
	s_or_b32 exec_lo, exec_lo, s8
.LBB531_62:                             ;   in Loop: Header=BB531_57 Depth=1
	s_wait_alu 0xfffe
	s_or_b32 exec_lo, exec_lo, s5
	v_dual_mov_b32 v23, v13 :: v_dual_and_b32 v16, 0xff, v15
	ds_bpermute_b32 v45, v35, v13
	ds_bpermute_b32 v24, v35, v14
	s_mov_b32 s5, exec_lo
	v_cmp_eq_u16_e32 vcc_lo, 2, v16
	s_wait_alu 0xfffd
	v_and_or_b32 v16, vcc_lo, v36, 0x80000000
	s_delay_alu instid0(VALU_DEP_1) | instskip(NEXT) | instid1(VALU_DEP_1)
	v_ctz_i32_b32_e32 v16, v16
	v_cmpx_lt_u32_e64 v31, v16
	s_cbranch_execz .LBB531_64
; %bb.63:                               ;   in Loop: Header=BB531_57 Depth=1
	s_wait_dscnt 0x1
	v_add_co_u32 v23, vcc_lo, v13, v45
	s_wait_alu 0xfffd
	v_add_co_ci_u32_e64 v14, null, 0, v14, vcc_lo
	s_delay_alu instid0(VALU_DEP_2) | instskip(SKIP_2) | instid1(VALU_DEP_2)
	v_add_co_u32 v13, vcc_lo, 0, v23
	s_wait_dscnt 0x0
	s_wait_alu 0xfffd
	v_add_co_ci_u32_e64 v14, null, v24, v14, vcc_lo
.LBB531_64:                             ;   in Loop: Header=BB531_57 Depth=1
	s_wait_alu 0xfffe
	s_or_b32 exec_lo, exec_lo, s5
	s_wait_dscnt 0x1
	ds_bpermute_b32 v45, v37, v23
	s_wait_dscnt 0x1
	ds_bpermute_b32 v24, v37, v14
	s_mov_b32 s5, exec_lo
	v_cmpx_le_u32_e64 v38, v16
	s_cbranch_execz .LBB531_66
; %bb.65:                               ;   in Loop: Header=BB531_57 Depth=1
	s_wait_dscnt 0x1
	v_add_co_u32 v23, vcc_lo, v13, v45
	s_wait_alu 0xfffd
	v_add_co_ci_u32_e64 v14, null, 0, v14, vcc_lo
	s_delay_alu instid0(VALU_DEP_2) | instskip(SKIP_2) | instid1(VALU_DEP_2)
	v_add_co_u32 v13, vcc_lo, 0, v23
	s_wait_dscnt 0x0
	s_wait_alu 0xfffd
	v_add_co_ci_u32_e64 v14, null, v24, v14, vcc_lo
.LBB531_66:                             ;   in Loop: Header=BB531_57 Depth=1
	s_wait_alu 0xfffe
	s_or_b32 exec_lo, exec_lo, s5
	s_wait_dscnt 0x1
	ds_bpermute_b32 v45, v39, v23
	s_wait_dscnt 0x1
	ds_bpermute_b32 v24, v39, v14
	s_mov_b32 s5, exec_lo
	v_cmpx_le_u32_e64 v40, v16
	;; [unrolled: 20-line block ×3, first 2 shown]
	s_cbranch_execz .LBB531_70
; %bb.69:                               ;   in Loop: Header=BB531_57 Depth=1
	s_wait_dscnt 0x1
	v_add_co_u32 v23, vcc_lo, v13, v45
	s_wait_alu 0xfffd
	v_add_co_ci_u32_e64 v14, null, 0, v14, vcc_lo
	s_delay_alu instid0(VALU_DEP_2) | instskip(SKIP_2) | instid1(VALU_DEP_2)
	v_add_co_u32 v13, vcc_lo, 0, v23
	s_wait_dscnt 0x0
	s_wait_alu 0xfffd
	v_add_co_ci_u32_e64 v14, null, v24, v14, vcc_lo
.LBB531_70:                             ;   in Loop: Header=BB531_57 Depth=1
	s_wait_alu 0xfffe
	s_or_b32 exec_lo, exec_lo, s5
	s_wait_dscnt 0x0
	ds_bpermute_b32 v24, v43, v23
	ds_bpermute_b32 v23, v43, v14
	s_mov_b32 s5, exec_lo
	v_cmpx_le_u32_e64 v44, v16
	s_cbranch_execz .LBB531_55
; %bb.71:                               ;   in Loop: Header=BB531_57 Depth=1
	s_wait_dscnt 0x1
	v_add_co_u32 v13, vcc_lo, v13, v24
	s_wait_alu 0xfffd
	v_add_co_ci_u32_e64 v14, null, 0, v14, vcc_lo
	s_delay_alu instid0(VALU_DEP_2) | instskip(SKIP_2) | instid1(VALU_DEP_2)
	v_add_co_u32 v13, vcc_lo, v13, 0
	s_wait_dscnt 0x0
	s_wait_alu 0xfffd
	v_add_co_ci_u32_e64 v14, null, v14, v23, vcc_lo
	s_branch .LBB531_55
.LBB531_72:
                                        ; implicit-def: $vgpr15_vgpr16
                                        ; implicit-def: $vgpr13_vgpr14
                                        ; implicit-def: $vgpr19_vgpr20
                                        ; implicit-def: $vgpr21_vgpr22
                                        ; implicit-def: $vgpr11_vgpr12
	s_load_b64 s[4:5], s[0:1], 0x30
	s_and_b32 vcc_lo, exec_lo, s3
	s_wait_alu 0xfffe
	s_cbranch_vccnz .LBB531_78
	s_branch .LBB531_103
.LBB531_73:
	s_and_saveexec_b32 s5, s3
	s_cbranch_execz .LBB531_75
; %bb.74:
	s_add_co_i32 s8, ttmp9, 32
	s_mov_b32 s9, 0
	v_add_co_u32 v13, vcc_lo, v11, v9
	s_wait_alu 0xfffe
	s_lshl_b64 s[8:9], s[8:9], 4
	v_dual_mov_b32 v15, 2 :: v_dual_mov_b32 v16, 0
	s_wait_alu 0xfffe
	s_add_nc_u64 s[8:9], s[6:7], s[8:9]
	s_wait_alu 0xfffd
	v_add_co_ci_u32_e64 v14, null, v12, v10, vcc_lo
	s_wait_alu 0xfffe
	v_dual_mov_b32 v22, s9 :: v_dual_mov_b32 v21, s8
	;;#ASMSTART
	global_store_b128 v[21:22], v[13:16] off scope:SCOPE_DEV	
s_wait_storecnt 0x0
	;;#ASMEND
	ds_store_b128 v16, v[9:12] offset:8448
.LBB531_75:
	s_wait_alu 0xfffe
	s_or_b32 exec_lo, exec_lo, s5
	v_cmp_eq_u32_e32 vcc_lo, 0, v0
	s_and_b32 exec_lo, exec_lo, vcc_lo
; %bb.76:
	v_mov_b32_e32 v9, 0
	ds_store_b64 v9, v[11:12] offset:56
.LBB531_77:
	s_wait_alu 0xfffe
	s_or_b32 exec_lo, exec_lo, s4
	s_wait_dscnt 0x1
	v_cndmask_b32_e64 v10, v33, v19, s3
	v_cmp_ne_u32_e32 vcc_lo, 0, v0
	v_mov_b32_e32 v9, 0
	s_wait_loadcnt_dscnt 0x0
	s_barrier_signal -1
	s_barrier_wait -1
	global_inv scope:SCOPE_SE
	s_wait_alu 0xfffd
	v_cndmask_b32_e32 v16, 0, v10, vcc_lo
	ds_load_b64 v[13:14], v9 offset:56
	v_cndmask_b32_e64 v11, v34, v20, s3
	s_wait_loadcnt_dscnt 0x0
	s_barrier_signal -1
	s_barrier_wait -1
	global_inv scope:SCOPE_SE
	v_cndmask_b32_e32 v15, 0, v11, vcc_lo
	ds_load_b128 v[9:12], v9 offset:8448
	v_add_co_u32 v21, vcc_lo, v13, v16
	s_wait_alu 0xfffd
	v_add_co_ci_u32_e64 v22, null, v14, v15, vcc_lo
	s_delay_alu instid0(VALU_DEP_2) | instskip(SKIP_1) | instid1(VALU_DEP_2)
	v_add_co_u32 v19, vcc_lo, v21, v30
	s_wait_alu 0xfffd
	v_add_co_ci_u32_e64 v20, null, 0, v22, vcc_lo
	s_delay_alu instid0(VALU_DEP_2) | instskip(SKIP_1) | instid1(VALU_DEP_2)
	;; [unrolled: 4-line block ×3, first 2 shown]
	v_add_co_u32 v15, vcc_lo, v13, v28
	s_wait_alu 0xfffd
	v_add_co_ci_u32_e64 v16, null, 0, v14, vcc_lo
	s_load_b64 s[4:5], s[0:1], 0x30
	s_branch .LBB531_103
.LBB531_78:
	s_wait_dscnt 0x0
	v_dual_mov_b32 v10, 0 :: v_dual_mov_b32 v11, v17
	v_mov_b32_dpp v12, v17 row_shr:1 row_mask:0xf bank_mask:0xf
	s_delay_alu instid0(VALU_DEP_2)
	v_mov_b32_dpp v9, v10 row_shr:1 row_mask:0xf bank_mask:0xf
	s_and_saveexec_b32 s0, s2
; %bb.79:
	s_delay_alu instid0(VALU_DEP_2) | instskip(SKIP_2) | instid1(VALU_DEP_2)
	v_add_co_u32 v11, vcc_lo, v17, v12
	s_wait_alu 0xfffd
	v_add_co_ci_u32_e64 v10, null, 0, v18, vcc_lo
	v_add_co_u32 v17, vcc_lo, 0, v11
	s_wait_alu 0xfffd
	s_delay_alu instid0(VALU_DEP_2) | instskip(NEXT) | instid1(VALU_DEP_1)
	v_add_co_ci_u32_e64 v18, null, v9, v10, vcc_lo
	v_mov_b32_e32 v10, v18
; %bb.80:
	s_or_b32 exec_lo, exec_lo, s0
	v_mov_b32_dpp v9, v11 row_shr:2 row_mask:0xf bank_mask:0xf
	s_delay_alu instid0(VALU_DEP_2)
	v_mov_b32_dpp v12, v10 row_shr:2 row_mask:0xf bank_mask:0xf
	s_mov_b32 s0, exec_lo
	v_cmpx_lt_u32_e32 1, v32
; %bb.81:
	s_delay_alu instid0(VALU_DEP_3) | instskip(SKIP_2) | instid1(VALU_DEP_2)
	v_add_co_u32 v11, vcc_lo, v17, v9
	s_wait_alu 0xfffd
	v_add_co_ci_u32_e64 v10, null, 0, v18, vcc_lo
	v_add_co_u32 v9, vcc_lo, 0, v11
	s_wait_alu 0xfffd
	s_delay_alu instid0(VALU_DEP_2) | instskip(NEXT) | instid1(VALU_DEP_1)
	v_add_co_ci_u32_e64 v10, null, v12, v10, vcc_lo
	v_dual_mov_b32 v18, v10 :: v_dual_mov_b32 v17, v9
; %bb.82:
	s_or_b32 exec_lo, exec_lo, s0
	v_mov_b32_dpp v9, v11 row_shr:4 row_mask:0xf bank_mask:0xf
	v_mov_b32_dpp v12, v10 row_shr:4 row_mask:0xf bank_mask:0xf
	s_mov_b32 s0, exec_lo
	v_cmpx_lt_u32_e32 3, v32
; %bb.83:
	s_delay_alu instid0(VALU_DEP_3) | instskip(SKIP_2) | instid1(VALU_DEP_2)
	v_add_co_u32 v11, vcc_lo, v17, v9
	s_wait_alu 0xfffd
	v_add_co_ci_u32_e64 v10, null, 0, v18, vcc_lo
	v_add_co_u32 v9, vcc_lo, 0, v11
	s_wait_alu 0xfffd
	s_delay_alu instid0(VALU_DEP_2) | instskip(NEXT) | instid1(VALU_DEP_1)
	v_add_co_ci_u32_e64 v10, null, v12, v10, vcc_lo
	v_dual_mov_b32 v18, v10 :: v_dual_mov_b32 v17, v9
; %bb.84:
	s_or_b32 exec_lo, exec_lo, s0
	v_mov_b32_dpp v12, v11 row_shr:8 row_mask:0xf bank_mask:0xf
	v_mov_b32_dpp v9, v10 row_shr:8 row_mask:0xf bank_mask:0xf
	s_mov_b32 s0, exec_lo
	v_cmpx_lt_u32_e32 7, v32
; %bb.85:
	s_delay_alu instid0(VALU_DEP_3) | instskip(SKIP_2) | instid1(VALU_DEP_2)
	v_add_co_u32 v11, vcc_lo, v17, v12
	s_wait_alu 0xfffd
	v_add_co_ci_u32_e64 v10, null, 0, v18, vcc_lo
	v_add_co_u32 v17, vcc_lo, 0, v11
	s_wait_alu 0xfffd
	s_delay_alu instid0(VALU_DEP_2) | instskip(NEXT) | instid1(VALU_DEP_1)
	v_add_co_ci_u32_e64 v18, null, v9, v10, vcc_lo
	v_mov_b32_e32 v10, v18
; %bb.86:
	s_or_b32 exec_lo, exec_lo, s0
	ds_swizzle_b32 v11, v11 offset:swizzle(BROADCAST,32,15)
	ds_swizzle_b32 v9, v10 offset:swizzle(BROADCAST,32,15)
	v_and_b32_e32 v10, 16, v31
	s_mov_b32 s0, exec_lo
	s_delay_alu instid0(VALU_DEP_1)
	v_cmpx_ne_u32_e32 0, v10
	s_cbranch_execz .LBB531_88
; %bb.87:
	s_wait_dscnt 0x1
	v_add_co_u32 v10, vcc_lo, v17, v11
	s_wait_alu 0xfffd
	v_add_co_ci_u32_e64 v11, null, 0, v18, vcc_lo
	s_delay_alu instid0(VALU_DEP_2) | instskip(SKIP_2) | instid1(VALU_DEP_2)
	v_add_co_u32 v17, vcc_lo, v10, 0
	s_wait_dscnt 0x0
	s_wait_alu 0xfffd
	v_add_co_ci_u32_e64 v18, null, v11, v9, vcc_lo
.LBB531_88:
	s_or_b32 exec_lo, exec_lo, s0
	s_wait_dscnt 0x0
	v_or_b32_e32 v9, 31, v0
	s_mov_b32 s0, exec_lo
	s_delay_alu instid0(VALU_DEP_1)
	v_cmpx_eq_u32_e64 v0, v9
; %bb.89:
	v_lshlrev_b32_e32 v9, 3, v25
	ds_store_b64 v9, v[17:18]
; %bb.90:
	s_or_b32 exec_lo, exec_lo, s0
	s_delay_alu instid0(SALU_CYCLE_1)
	s_mov_b32 s0, exec_lo
	s_wait_loadcnt_dscnt 0x0
	s_barrier_signal -1
	s_barrier_wait -1
	global_inv scope:SCOPE_SE
	v_cmpx_gt_u32_e32 8, v0
	s_cbranch_execz .LBB531_98
; %bb.91:
	v_lshlrev_b32_e32 v11, 3, v0
	s_mov_b32 s1, exec_lo
	ds_load_b64 v[9:10], v11
	s_wait_dscnt 0x0
	v_dual_mov_b32 v13, v9 :: v_dual_and_b32 v12, 7, v31
	v_mov_b32_dpp v15, v9 row_shr:1 row_mask:0xf bank_mask:0xf
	v_mov_b32_dpp v14, v10 row_shr:1 row_mask:0xf bank_mask:0xf
	s_delay_alu instid0(VALU_DEP_3)
	v_cmpx_ne_u32_e32 0, v12
; %bb.92:
	s_delay_alu instid0(VALU_DEP_3) | instskip(SKIP_2) | instid1(VALU_DEP_2)
	v_add_co_u32 v13, vcc_lo, v9, v15
	s_wait_alu 0xfffd
	v_add_co_ci_u32_e64 v10, null, 0, v10, vcc_lo
	v_add_co_u32 v9, vcc_lo, 0, v13
	s_wait_alu 0xfffd
	s_delay_alu instid0(VALU_DEP_2)
	v_add_co_ci_u32_e64 v10, null, v14, v10, vcc_lo
; %bb.93:
	s_or_b32 exec_lo, exec_lo, s1
	v_mov_b32_dpp v15, v13 row_shr:2 row_mask:0xf bank_mask:0xf
	s_delay_alu instid0(VALU_DEP_2)
	v_mov_b32_dpp v14, v10 row_shr:2 row_mask:0xf bank_mask:0xf
	s_mov_b32 s1, exec_lo
	v_cmpx_lt_u32_e32 1, v12
; %bb.94:
	s_delay_alu instid0(VALU_DEP_3) | instskip(SKIP_2) | instid1(VALU_DEP_2)
	v_add_co_u32 v13, vcc_lo, v9, v15
	s_wait_alu 0xfffd
	v_add_co_ci_u32_e64 v10, null, 0, v10, vcc_lo
	v_add_co_u32 v9, vcc_lo, 0, v13
	s_wait_alu 0xfffd
	s_delay_alu instid0(VALU_DEP_2)
	v_add_co_ci_u32_e64 v10, null, v14, v10, vcc_lo
; %bb.95:
	s_or_b32 exec_lo, exec_lo, s1
	v_mov_b32_dpp v14, v13 row_shr:4 row_mask:0xf bank_mask:0xf
	s_delay_alu instid0(VALU_DEP_2)
	v_mov_b32_dpp v13, v10 row_shr:4 row_mask:0xf bank_mask:0xf
	s_mov_b32 s1, exec_lo
	v_cmpx_lt_u32_e32 3, v12
; %bb.96:
	s_delay_alu instid0(VALU_DEP_3) | instskip(SKIP_2) | instid1(VALU_DEP_2)
	v_add_co_u32 v9, vcc_lo, v9, v14
	s_wait_alu 0xfffd
	v_add_co_ci_u32_e64 v10, null, 0, v10, vcc_lo
	v_add_co_u32 v9, vcc_lo, v9, 0
	s_wait_alu 0xfffd
	s_delay_alu instid0(VALU_DEP_2)
	v_add_co_ci_u32_e64 v10, null, v10, v13, vcc_lo
; %bb.97:
	s_or_b32 exec_lo, exec_lo, s1
	ds_store_b64 v11, v[9:10]
.LBB531_98:
	s_or_b32 exec_lo, exec_lo, s0
	v_mov_b32_e32 v13, 0
	v_mov_b32_e32 v14, 0
	s_mov_b32 s0, exec_lo
	s_wait_loadcnt_dscnt 0x0
	s_barrier_signal -1
	s_barrier_wait -1
	global_inv scope:SCOPE_SE
	v_cmpx_lt_u32_e32 31, v0
; %bb.99:
	v_lshl_add_u32 v9, v25, 3, -8
	ds_load_b64 v[13:14], v9
; %bb.100:
	s_or_b32 exec_lo, exec_lo, s0
	v_sub_co_u32 v9, vcc_lo, v31, 1
	v_mov_b32_e32 v12, 0
	s_delay_alu instid0(VALU_DEP_2) | instskip(NEXT) | instid1(VALU_DEP_1)
	v_cmp_gt_i32_e64 s0, 0, v9
	v_cndmask_b32_e64 v9, v9, v31, s0
	s_wait_dscnt 0x0
	v_add_co_u32 v10, s0, v13, v17
	s_wait_alu 0xf1ff
	v_add_co_ci_u32_e64 v11, null, v14, v18, s0
	v_lshlrev_b32_e32 v9, 2, v9
	v_cmp_eq_u32_e64 s0, 0, v0
	ds_bpermute_b32 v15, v9, v10
	ds_bpermute_b32 v16, v9, v11
	ds_load_b64 v[9:10], v12 offset:56
	s_and_saveexec_b32 s1, s0
	s_cbranch_execz .LBB531_102
; %bb.101:
	s_wait_kmcnt 0x0
	s_add_nc_u64 s[2:3], s[6:7], 0x200
	s_wait_alu 0xfffe
	v_dual_mov_b32 v11, 2 :: v_dual_mov_b32 v18, s3
	v_mov_b32_e32 v17, s2
	s_wait_dscnt 0x0
	;;#ASMSTART
	global_store_b128 v[17:18], v[9:12] off scope:SCOPE_DEV	
s_wait_storecnt 0x0
	;;#ASMEND
.LBB531_102:
	s_wait_alu 0xfffe
	s_or_b32 exec_lo, exec_lo, s1
	s_wait_dscnt 0x1
	s_wait_alu 0xfffd
	v_dual_cndmask_b32 v11, v15, v13 :: v_dual_cndmask_b32 v12, v16, v14
	s_wait_loadcnt_dscnt 0x0
	s_barrier_signal -1
	s_barrier_wait -1
	s_delay_alu instid0(VALU_DEP_1)
	v_cndmask_b32_e64 v21, v11, 0, s0
	v_cndmask_b32_e64 v22, v12, 0, s0
	v_mov_b32_e32 v11, 0
	v_mov_b32_e32 v12, 0
	global_inv scope:SCOPE_SE
	v_add_co_u32 v19, vcc_lo, v21, v30
	s_wait_alu 0xfffd
	v_add_co_ci_u32_e64 v20, null, 0, v22, vcc_lo
	s_delay_alu instid0(VALU_DEP_2) | instskip(SKIP_1) | instid1(VALU_DEP_2)
	v_add_co_u32 v13, vcc_lo, v19, v29
	s_wait_alu 0xfffd
	v_add_co_ci_u32_e64 v14, null, 0, v20, vcc_lo
	s_delay_alu instid0(VALU_DEP_2) | instskip(SKIP_1) | instid1(VALU_DEP_2)
	v_add_co_u32 v15, vcc_lo, v13, v28
	s_wait_alu 0xfffd
	v_add_co_ci_u32_e64 v16, null, 0, v14, vcc_lo
.LBB531_103:
	v_and_b32_e32 v25, 1, v27
	s_wait_dscnt 0x0
	v_cmp_gt_u64_e32 vcc_lo, 0x101, v[9:10]
	v_lshrrev_b32_e32 v23, 16, v27
	v_lshrrev_b32_e32 v24, 8, v27
	s_mov_b32 s1, -1
	v_cmp_eq_u32_e64 s0, 1, v25
	s_cbranch_vccnz .LBB531_107
; %bb.104:
	s_wait_alu 0xfffe
	s_and_b32 vcc_lo, exec_lo, s1
	s_wait_alu 0xfffe
	s_cbranch_vccnz .LBB531_116
.LBB531_105:
	v_cmp_eq_u32_e32 vcc_lo, 0, v0
	s_and_b32 s0, vcc_lo, s16
	s_wait_alu 0xfffe
	s_and_saveexec_b32 s1, s0
	s_cbranch_execnz .LBB531_128
.LBB531_106:
	s_endpgm
.LBB531_107:
	v_add_co_u32 v17, vcc_lo, v11, v9
	s_wait_alu 0xfffd
	v_add_co_ci_u32_e64 v18, null, v12, v10, vcc_lo
	s_delay_alu instid0(VALU_DEP_1)
	v_cmp_lt_u64_e32 vcc_lo, v[21:22], v[17:18]
	s_or_b32 s1, s17, vcc_lo
	s_wait_alu 0xfffe
	s_and_b32 s1, s1, s0
	s_wait_alu 0xfffe
	s_and_saveexec_b32 s0, s1
	s_cbranch_execz .LBB531_109
; %bb.108:
	v_lshlrev_b64_e32 v[27:28], 3, v[21:22]
	s_lshl_b64 s[2:3], s[10:11], 3
	s_wait_kmcnt 0x0
	s_wait_alu 0xfffe
	s_add_nc_u64 s[2:3], s[4:5], s[2:3]
	s_wait_alu 0xfffe
	v_add_co_u32 v27, vcc_lo, s2, v27
	s_wait_alu 0xfffd
	v_add_co_ci_u32_e64 v28, null, s3, v28, vcc_lo
	global_store_b64 v[27:28], v[5:6], off
.LBB531_109:
	s_wait_alu 0xfffe
	s_or_b32 exec_lo, exec_lo, s0
	v_and_b32_e32 v22, 1, v24
	v_cmp_lt_u64_e32 vcc_lo, v[19:20], v[17:18]
	s_delay_alu instid0(VALU_DEP_2)
	v_cmp_eq_u32_e64 s0, 1, v22
	s_or_b32 s1, s17, vcc_lo
	s_wait_alu 0xfffe
	s_and_b32 s1, s1, s0
	s_wait_alu 0xfffe
	s_and_saveexec_b32 s0, s1
	s_cbranch_execz .LBB531_111
; %bb.110:
	v_lshlrev_b64_e32 v[27:28], 3, v[19:20]
	s_lshl_b64 s[2:3], s[10:11], 3
	s_wait_kmcnt 0x0
	s_wait_alu 0xfffe
	s_add_nc_u64 s[2:3], s[4:5], s[2:3]
	s_wait_alu 0xfffe
	v_add_co_u32 v27, vcc_lo, s2, v27
	s_wait_alu 0xfffd
	v_add_co_ci_u32_e64 v28, null, s3, v28, vcc_lo
	global_store_b64 v[27:28], v[7:8], off
.LBB531_111:
	s_wait_alu 0xfffe
	s_or_b32 exec_lo, exec_lo, s0
	v_and_b32_e32 v20, 1, v23
	v_cmp_lt_u64_e32 vcc_lo, v[13:14], v[17:18]
	s_delay_alu instid0(VALU_DEP_2)
	v_cmp_eq_u32_e64 s0, 1, v20
	;; [unrolled: 24-line block ×3, first 2 shown]
	s_or_b32 s1, s17, vcc_lo
	s_wait_alu 0xfffe
	s_and_b32 s1, s1, s0
	s_wait_alu 0xfffe
	s_and_saveexec_b32 s0, s1
	s_cbranch_execz .LBB531_115
; %bb.114:
	v_lshlrev_b64_e32 v[16:17], 3, v[15:16]
	s_lshl_b64 s[2:3], s[10:11], 3
	s_wait_kmcnt 0x0
	s_wait_alu 0xfffe
	s_add_nc_u64 s[2:3], s[4:5], s[2:3]
	s_wait_alu 0xfffe
	v_add_co_u32 v16, vcc_lo, s2, v16
	s_wait_alu 0xfffd
	v_add_co_ci_u32_e64 v17, null, s3, v17, vcc_lo
	global_store_b64 v[16:17], v[3:4], off
.LBB531_115:
	s_wait_alu 0xfffe
	s_or_b32 exec_lo, exec_lo, s0
	s_branch .LBB531_105
.LBB531_116:
	s_mov_b32 s0, exec_lo
	v_cmpx_eq_u32_e32 1, v25
; %bb.117:
	v_sub_nc_u32_e32 v14, v21, v11
	s_delay_alu instid0(VALU_DEP_1)
	v_lshlrev_b32_e32 v14, 3, v14
	ds_store_b64 v14, v[5:6]
; %bb.118:
	s_wait_alu 0xfffe
	s_or_b32 exec_lo, exec_lo, s0
	v_and_b32_e32 v5, 1, v24
	s_mov_b32 s0, exec_lo
	s_delay_alu instid0(VALU_DEP_1)
	v_cmpx_eq_u32_e32 1, v5
; %bb.119:
	v_sub_nc_u32_e32 v5, v19, v11
	s_delay_alu instid0(VALU_DEP_1)
	v_lshlrev_b32_e32 v5, 3, v5
	ds_store_b64 v5, v[7:8]
; %bb.120:
	s_wait_alu 0xfffe
	s_or_b32 exec_lo, exec_lo, s0
	v_and_b32_e32 v5, 1, v23
	s_mov_b32 s0, exec_lo
	s_delay_alu instid0(VALU_DEP_1)
	;; [unrolled: 12-line block ×3, first 2 shown]
	v_cmpx_eq_u32_e32 1, v1
; %bb.123:
	v_sub_nc_u32_e32 v1, v15, v11
	s_delay_alu instid0(VALU_DEP_1)
	v_lshlrev_b32_e32 v1, 3, v1
	ds_store_b64 v1, v[3:4]
; %bb.124:
	s_wait_alu 0xfffe
	s_or_b32 exec_lo, exec_lo, s0
	v_mov_b32_e32 v3, 0
	s_mov_b32 s1, exec_lo
	s_wait_storecnt 0x0
	s_wait_loadcnt_dscnt 0x0
	s_barrier_signal -1
	s_barrier_wait -1
	v_mov_b32_e32 v1, v3
	global_inv scope:SCOPE_SE
	v_cmpx_gt_u64_e64 v[9:10], v[0:1]
	s_cbranch_execz .LBB531_127
; %bb.125:
	v_lshlrev_b64_e32 v[4:5], 3, v[11:12]
	s_lshl_b64 s[2:3], s[10:11], 3
	v_or_b32_e32 v2, 0x100, v0
	s_wait_kmcnt 0x0
	s_delay_alu instid0(VALU_DEP_2) | instskip(SKIP_3) | instid1(VALU_DEP_2)
	v_add_co_u32 v4, vcc_lo, s4, v4
	s_wait_alu 0xfffd
	v_add_co_ci_u32_e64 v5, null, s5, v5, vcc_lo
	s_wait_alu 0xfffe
	v_add_co_u32 v6, vcc_lo, v4, s2
	s_wait_alu 0xfffd
	s_delay_alu instid0(VALU_DEP_2)
	v_add_co_ci_u32_e64 v7, null, s3, v5, vcc_lo
	v_dual_mov_b32 v5, v1 :: v_dual_mov_b32 v4, v0
	s_mov_b32 s2, 0
.LBB531_126:                            ; =>This Inner Loop Header: Depth=1
	s_delay_alu instid0(VALU_DEP_1) | instskip(NEXT) | instid1(VALU_DEP_2)
	v_lshlrev_b32_e32 v1, 3, v4
	v_lshlrev_b64_e32 v[15:16], 3, v[4:5]
	v_dual_mov_b32 v5, v3 :: v_dual_mov_b32 v4, v2
	v_cmp_le_u64_e32 vcc_lo, v[9:10], v[2:3]
	ds_load_b64 v[13:14], v1
	v_add_nc_u32_e32 v2, 0x100, v2
	v_add_co_u32 v15, s0, v6, v15
	s_wait_alu 0xf1ff
	v_add_co_ci_u32_e64 v16, null, v7, v16, s0
	s_wait_alu 0xfffe
	s_or_b32 s2, vcc_lo, s2
	s_wait_dscnt 0x0
	global_store_b64 v[15:16], v[13:14], off
	s_wait_alu 0xfffe
	s_and_not1_b32 exec_lo, exec_lo, s2
	s_cbranch_execnz .LBB531_126
.LBB531_127:
	s_wait_alu 0xfffe
	s_or_b32 exec_lo, exec_lo, s1
	v_cmp_eq_u32_e32 vcc_lo, 0, v0
	s_and_b32 s0, vcc_lo, s16
	s_wait_alu 0xfffe
	s_and_saveexec_b32 s1, s0
	s_cbranch_execz .LBB531_106
.LBB531_128:
	v_add_co_u32 v0, vcc_lo, v11, v9
	s_wait_alu 0xfffd
	v_add_co_ci_u32_e64 v1, null, v12, v10, vcc_lo
	v_mov_b32_e32 v2, 0
	s_delay_alu instid0(VALU_DEP_3) | instskip(SKIP_1) | instid1(VALU_DEP_3)
	v_add_co_u32 v0, vcc_lo, v0, s10
	s_wait_alu 0xfffd
	v_add_co_ci_u32_e64 v1, null, s11, v1, vcc_lo
	global_store_b64 v2, v[0:1], s[12:13]
	s_endpgm
.LBB531_129:
	global_load_b128 v[15:18], v11, s[14:15] offset:4096
	s_wait_loadcnt 0x0
	v_cmp_neq_f64_e32 vcc_lo, 0, v[15:16]
	v_cmp_neq_f64_e64 s2, 0, v[17:18]
	s_or_b32 s2, vcc_lo, s2
	s_wait_alu 0xfffe
	v_cndmask_b32_e64 v15, 0, 1, s2
	s_delay_alu instid0(VALU_DEP_1) | instskip(NEXT) | instid1(VALU_DEP_1)
	v_lshlrev_b16 v15, 8, v15
	v_or_b32_e32 v13, v13, v15
	s_delay_alu instid0(VALU_DEP_1) | instskip(SKIP_1) | instid1(SALU_CYCLE_1)
	v_and_b32_e32 v13, 0xffff, v13
	s_or_b32 exec_lo, exec_lo, s3
	s_mov_b32 s3, exec_lo
	v_cmpx_gt_u32_e64 s18, v9
	s_cbranch_execz .LBB531_12
.LBB531_130:
	global_load_b128 v[15:18], v11, s[14:15] offset:8192
	s_wait_loadcnt 0x0
	v_cmp_neq_f64_e32 vcc_lo, 0, v[15:16]
	v_cmp_neq_f64_e64 s2, 0, v[17:18]
	s_or_b32 s2, vcc_lo, s2
	s_wait_alu 0xfffe
	v_cndmask_b32_e64 v15, 0, 1, s2
	s_delay_alu instid0(VALU_DEP_1) | instskip(SKIP_1) | instid1(SALU_CYCLE_1)
	v_lshl_or_b32 v13, v15, 16, v13
	s_or_b32 exec_lo, exec_lo, s3
	s_mov_b32 s3, exec_lo
	v_cmpx_gt_u32_e64 s18, v10
	s_cbranch_execnz .LBB531_13
	s_branch .LBB531_14
	.section	.rodata,"a",@progbits
	.p2align	6, 0x0
	.amdhsa_kernel _ZN7rocprim17ROCPRIM_400000_NS6detail17trampoline_kernelINS0_14default_configENS1_25partition_config_selectorILNS1_17partition_subalgoE5ElNS0_10empty_typeEbEEZZNS1_14partition_implILS5_5ELb0ES3_mN6hipcub16HIPCUB_304000_NS21CountingInputIteratorIllEEPS6_NSA_22TransformInputIteratorIbN2at6native12_GLOBAL__N_19NonZeroOpIN3c107complexIdEEEEPKSL_lEENS0_5tupleIJPlS6_EEENSQ_IJSD_SD_EEES6_PiJS6_EEE10hipError_tPvRmT3_T4_T5_T6_T7_T9_mT8_P12ihipStream_tbDpT10_ENKUlT_T0_E_clISt17integral_constantIbLb0EES1E_EEDaS19_S1A_EUlS19_E_NS1_11comp_targetILNS1_3genE10ELNS1_11target_archE1200ELNS1_3gpuE4ELNS1_3repE0EEENS1_30default_config_static_selectorELNS0_4arch9wavefront6targetE0EEEvT1_
		.amdhsa_group_segment_fixed_size 8464
		.amdhsa_private_segment_fixed_size 0
		.amdhsa_kernarg_size 120
		.amdhsa_user_sgpr_count 2
		.amdhsa_user_sgpr_dispatch_ptr 0
		.amdhsa_user_sgpr_queue_ptr 0
		.amdhsa_user_sgpr_kernarg_segment_ptr 1
		.amdhsa_user_sgpr_dispatch_id 0
		.amdhsa_user_sgpr_private_segment_size 0
		.amdhsa_wavefront_size32 1
		.amdhsa_uses_dynamic_stack 0
		.amdhsa_enable_private_segment 0
		.amdhsa_system_sgpr_workgroup_id_x 1
		.amdhsa_system_sgpr_workgroup_id_y 0
		.amdhsa_system_sgpr_workgroup_id_z 0
		.amdhsa_system_sgpr_workgroup_info 0
		.amdhsa_system_vgpr_workitem_id 0
		.amdhsa_next_free_vgpr 46
		.amdhsa_next_free_sgpr 20
		.amdhsa_reserve_vcc 1
		.amdhsa_float_round_mode_32 0
		.amdhsa_float_round_mode_16_64 0
		.amdhsa_float_denorm_mode_32 3
		.amdhsa_float_denorm_mode_16_64 3
		.amdhsa_fp16_overflow 0
		.amdhsa_workgroup_processor_mode 1
		.amdhsa_memory_ordered 1
		.amdhsa_forward_progress 1
		.amdhsa_inst_pref_size 55
		.amdhsa_round_robin_scheduling 0
		.amdhsa_exception_fp_ieee_invalid_op 0
		.amdhsa_exception_fp_denorm_src 0
		.amdhsa_exception_fp_ieee_div_zero 0
		.amdhsa_exception_fp_ieee_overflow 0
		.amdhsa_exception_fp_ieee_underflow 0
		.amdhsa_exception_fp_ieee_inexact 0
		.amdhsa_exception_int_div_zero 0
	.end_amdhsa_kernel
	.section	.text._ZN7rocprim17ROCPRIM_400000_NS6detail17trampoline_kernelINS0_14default_configENS1_25partition_config_selectorILNS1_17partition_subalgoE5ElNS0_10empty_typeEbEEZZNS1_14partition_implILS5_5ELb0ES3_mN6hipcub16HIPCUB_304000_NS21CountingInputIteratorIllEEPS6_NSA_22TransformInputIteratorIbN2at6native12_GLOBAL__N_19NonZeroOpIN3c107complexIdEEEEPKSL_lEENS0_5tupleIJPlS6_EEENSQ_IJSD_SD_EEES6_PiJS6_EEE10hipError_tPvRmT3_T4_T5_T6_T7_T9_mT8_P12ihipStream_tbDpT10_ENKUlT_T0_E_clISt17integral_constantIbLb0EES1E_EEDaS19_S1A_EUlS19_E_NS1_11comp_targetILNS1_3genE10ELNS1_11target_archE1200ELNS1_3gpuE4ELNS1_3repE0EEENS1_30default_config_static_selectorELNS0_4arch9wavefront6targetE0EEEvT1_,"axG",@progbits,_ZN7rocprim17ROCPRIM_400000_NS6detail17trampoline_kernelINS0_14default_configENS1_25partition_config_selectorILNS1_17partition_subalgoE5ElNS0_10empty_typeEbEEZZNS1_14partition_implILS5_5ELb0ES3_mN6hipcub16HIPCUB_304000_NS21CountingInputIteratorIllEEPS6_NSA_22TransformInputIteratorIbN2at6native12_GLOBAL__N_19NonZeroOpIN3c107complexIdEEEEPKSL_lEENS0_5tupleIJPlS6_EEENSQ_IJSD_SD_EEES6_PiJS6_EEE10hipError_tPvRmT3_T4_T5_T6_T7_T9_mT8_P12ihipStream_tbDpT10_ENKUlT_T0_E_clISt17integral_constantIbLb0EES1E_EEDaS19_S1A_EUlS19_E_NS1_11comp_targetILNS1_3genE10ELNS1_11target_archE1200ELNS1_3gpuE4ELNS1_3repE0EEENS1_30default_config_static_selectorELNS0_4arch9wavefront6targetE0EEEvT1_,comdat
.Lfunc_end531:
	.size	_ZN7rocprim17ROCPRIM_400000_NS6detail17trampoline_kernelINS0_14default_configENS1_25partition_config_selectorILNS1_17partition_subalgoE5ElNS0_10empty_typeEbEEZZNS1_14partition_implILS5_5ELb0ES3_mN6hipcub16HIPCUB_304000_NS21CountingInputIteratorIllEEPS6_NSA_22TransformInputIteratorIbN2at6native12_GLOBAL__N_19NonZeroOpIN3c107complexIdEEEEPKSL_lEENS0_5tupleIJPlS6_EEENSQ_IJSD_SD_EEES6_PiJS6_EEE10hipError_tPvRmT3_T4_T5_T6_T7_T9_mT8_P12ihipStream_tbDpT10_ENKUlT_T0_E_clISt17integral_constantIbLb0EES1E_EEDaS19_S1A_EUlS19_E_NS1_11comp_targetILNS1_3genE10ELNS1_11target_archE1200ELNS1_3gpuE4ELNS1_3repE0EEENS1_30default_config_static_selectorELNS0_4arch9wavefront6targetE0EEEvT1_, .Lfunc_end531-_ZN7rocprim17ROCPRIM_400000_NS6detail17trampoline_kernelINS0_14default_configENS1_25partition_config_selectorILNS1_17partition_subalgoE5ElNS0_10empty_typeEbEEZZNS1_14partition_implILS5_5ELb0ES3_mN6hipcub16HIPCUB_304000_NS21CountingInputIteratorIllEEPS6_NSA_22TransformInputIteratorIbN2at6native12_GLOBAL__N_19NonZeroOpIN3c107complexIdEEEEPKSL_lEENS0_5tupleIJPlS6_EEENSQ_IJSD_SD_EEES6_PiJS6_EEE10hipError_tPvRmT3_T4_T5_T6_T7_T9_mT8_P12ihipStream_tbDpT10_ENKUlT_T0_E_clISt17integral_constantIbLb0EES1E_EEDaS19_S1A_EUlS19_E_NS1_11comp_targetILNS1_3genE10ELNS1_11target_archE1200ELNS1_3gpuE4ELNS1_3repE0EEENS1_30default_config_static_selectorELNS0_4arch9wavefront6targetE0EEEvT1_
                                        ; -- End function
	.set _ZN7rocprim17ROCPRIM_400000_NS6detail17trampoline_kernelINS0_14default_configENS1_25partition_config_selectorILNS1_17partition_subalgoE5ElNS0_10empty_typeEbEEZZNS1_14partition_implILS5_5ELb0ES3_mN6hipcub16HIPCUB_304000_NS21CountingInputIteratorIllEEPS6_NSA_22TransformInputIteratorIbN2at6native12_GLOBAL__N_19NonZeroOpIN3c107complexIdEEEEPKSL_lEENS0_5tupleIJPlS6_EEENSQ_IJSD_SD_EEES6_PiJS6_EEE10hipError_tPvRmT3_T4_T5_T6_T7_T9_mT8_P12ihipStream_tbDpT10_ENKUlT_T0_E_clISt17integral_constantIbLb0EES1E_EEDaS19_S1A_EUlS19_E_NS1_11comp_targetILNS1_3genE10ELNS1_11target_archE1200ELNS1_3gpuE4ELNS1_3repE0EEENS1_30default_config_static_selectorELNS0_4arch9wavefront6targetE0EEEvT1_.num_vgpr, 46
	.set _ZN7rocprim17ROCPRIM_400000_NS6detail17trampoline_kernelINS0_14default_configENS1_25partition_config_selectorILNS1_17partition_subalgoE5ElNS0_10empty_typeEbEEZZNS1_14partition_implILS5_5ELb0ES3_mN6hipcub16HIPCUB_304000_NS21CountingInputIteratorIllEEPS6_NSA_22TransformInputIteratorIbN2at6native12_GLOBAL__N_19NonZeroOpIN3c107complexIdEEEEPKSL_lEENS0_5tupleIJPlS6_EEENSQ_IJSD_SD_EEES6_PiJS6_EEE10hipError_tPvRmT3_T4_T5_T6_T7_T9_mT8_P12ihipStream_tbDpT10_ENKUlT_T0_E_clISt17integral_constantIbLb0EES1E_EEDaS19_S1A_EUlS19_E_NS1_11comp_targetILNS1_3genE10ELNS1_11target_archE1200ELNS1_3gpuE4ELNS1_3repE0EEENS1_30default_config_static_selectorELNS0_4arch9wavefront6targetE0EEEvT1_.num_agpr, 0
	.set _ZN7rocprim17ROCPRIM_400000_NS6detail17trampoline_kernelINS0_14default_configENS1_25partition_config_selectorILNS1_17partition_subalgoE5ElNS0_10empty_typeEbEEZZNS1_14partition_implILS5_5ELb0ES3_mN6hipcub16HIPCUB_304000_NS21CountingInputIteratorIllEEPS6_NSA_22TransformInputIteratorIbN2at6native12_GLOBAL__N_19NonZeroOpIN3c107complexIdEEEEPKSL_lEENS0_5tupleIJPlS6_EEENSQ_IJSD_SD_EEES6_PiJS6_EEE10hipError_tPvRmT3_T4_T5_T6_T7_T9_mT8_P12ihipStream_tbDpT10_ENKUlT_T0_E_clISt17integral_constantIbLb0EES1E_EEDaS19_S1A_EUlS19_E_NS1_11comp_targetILNS1_3genE10ELNS1_11target_archE1200ELNS1_3gpuE4ELNS1_3repE0EEENS1_30default_config_static_selectorELNS0_4arch9wavefront6targetE0EEEvT1_.numbered_sgpr, 20
	.set _ZN7rocprim17ROCPRIM_400000_NS6detail17trampoline_kernelINS0_14default_configENS1_25partition_config_selectorILNS1_17partition_subalgoE5ElNS0_10empty_typeEbEEZZNS1_14partition_implILS5_5ELb0ES3_mN6hipcub16HIPCUB_304000_NS21CountingInputIteratorIllEEPS6_NSA_22TransformInputIteratorIbN2at6native12_GLOBAL__N_19NonZeroOpIN3c107complexIdEEEEPKSL_lEENS0_5tupleIJPlS6_EEENSQ_IJSD_SD_EEES6_PiJS6_EEE10hipError_tPvRmT3_T4_T5_T6_T7_T9_mT8_P12ihipStream_tbDpT10_ENKUlT_T0_E_clISt17integral_constantIbLb0EES1E_EEDaS19_S1A_EUlS19_E_NS1_11comp_targetILNS1_3genE10ELNS1_11target_archE1200ELNS1_3gpuE4ELNS1_3repE0EEENS1_30default_config_static_selectorELNS0_4arch9wavefront6targetE0EEEvT1_.num_named_barrier, 0
	.set _ZN7rocprim17ROCPRIM_400000_NS6detail17trampoline_kernelINS0_14default_configENS1_25partition_config_selectorILNS1_17partition_subalgoE5ElNS0_10empty_typeEbEEZZNS1_14partition_implILS5_5ELb0ES3_mN6hipcub16HIPCUB_304000_NS21CountingInputIteratorIllEEPS6_NSA_22TransformInputIteratorIbN2at6native12_GLOBAL__N_19NonZeroOpIN3c107complexIdEEEEPKSL_lEENS0_5tupleIJPlS6_EEENSQ_IJSD_SD_EEES6_PiJS6_EEE10hipError_tPvRmT3_T4_T5_T6_T7_T9_mT8_P12ihipStream_tbDpT10_ENKUlT_T0_E_clISt17integral_constantIbLb0EES1E_EEDaS19_S1A_EUlS19_E_NS1_11comp_targetILNS1_3genE10ELNS1_11target_archE1200ELNS1_3gpuE4ELNS1_3repE0EEENS1_30default_config_static_selectorELNS0_4arch9wavefront6targetE0EEEvT1_.private_seg_size, 0
	.set _ZN7rocprim17ROCPRIM_400000_NS6detail17trampoline_kernelINS0_14default_configENS1_25partition_config_selectorILNS1_17partition_subalgoE5ElNS0_10empty_typeEbEEZZNS1_14partition_implILS5_5ELb0ES3_mN6hipcub16HIPCUB_304000_NS21CountingInputIteratorIllEEPS6_NSA_22TransformInputIteratorIbN2at6native12_GLOBAL__N_19NonZeroOpIN3c107complexIdEEEEPKSL_lEENS0_5tupleIJPlS6_EEENSQ_IJSD_SD_EEES6_PiJS6_EEE10hipError_tPvRmT3_T4_T5_T6_T7_T9_mT8_P12ihipStream_tbDpT10_ENKUlT_T0_E_clISt17integral_constantIbLb0EES1E_EEDaS19_S1A_EUlS19_E_NS1_11comp_targetILNS1_3genE10ELNS1_11target_archE1200ELNS1_3gpuE4ELNS1_3repE0EEENS1_30default_config_static_selectorELNS0_4arch9wavefront6targetE0EEEvT1_.uses_vcc, 1
	.set _ZN7rocprim17ROCPRIM_400000_NS6detail17trampoline_kernelINS0_14default_configENS1_25partition_config_selectorILNS1_17partition_subalgoE5ElNS0_10empty_typeEbEEZZNS1_14partition_implILS5_5ELb0ES3_mN6hipcub16HIPCUB_304000_NS21CountingInputIteratorIllEEPS6_NSA_22TransformInputIteratorIbN2at6native12_GLOBAL__N_19NonZeroOpIN3c107complexIdEEEEPKSL_lEENS0_5tupleIJPlS6_EEENSQ_IJSD_SD_EEES6_PiJS6_EEE10hipError_tPvRmT3_T4_T5_T6_T7_T9_mT8_P12ihipStream_tbDpT10_ENKUlT_T0_E_clISt17integral_constantIbLb0EES1E_EEDaS19_S1A_EUlS19_E_NS1_11comp_targetILNS1_3genE10ELNS1_11target_archE1200ELNS1_3gpuE4ELNS1_3repE0EEENS1_30default_config_static_selectorELNS0_4arch9wavefront6targetE0EEEvT1_.uses_flat_scratch, 0
	.set _ZN7rocprim17ROCPRIM_400000_NS6detail17trampoline_kernelINS0_14default_configENS1_25partition_config_selectorILNS1_17partition_subalgoE5ElNS0_10empty_typeEbEEZZNS1_14partition_implILS5_5ELb0ES3_mN6hipcub16HIPCUB_304000_NS21CountingInputIteratorIllEEPS6_NSA_22TransformInputIteratorIbN2at6native12_GLOBAL__N_19NonZeroOpIN3c107complexIdEEEEPKSL_lEENS0_5tupleIJPlS6_EEENSQ_IJSD_SD_EEES6_PiJS6_EEE10hipError_tPvRmT3_T4_T5_T6_T7_T9_mT8_P12ihipStream_tbDpT10_ENKUlT_T0_E_clISt17integral_constantIbLb0EES1E_EEDaS19_S1A_EUlS19_E_NS1_11comp_targetILNS1_3genE10ELNS1_11target_archE1200ELNS1_3gpuE4ELNS1_3repE0EEENS1_30default_config_static_selectorELNS0_4arch9wavefront6targetE0EEEvT1_.has_dyn_sized_stack, 0
	.set _ZN7rocprim17ROCPRIM_400000_NS6detail17trampoline_kernelINS0_14default_configENS1_25partition_config_selectorILNS1_17partition_subalgoE5ElNS0_10empty_typeEbEEZZNS1_14partition_implILS5_5ELb0ES3_mN6hipcub16HIPCUB_304000_NS21CountingInputIteratorIllEEPS6_NSA_22TransformInputIteratorIbN2at6native12_GLOBAL__N_19NonZeroOpIN3c107complexIdEEEEPKSL_lEENS0_5tupleIJPlS6_EEENSQ_IJSD_SD_EEES6_PiJS6_EEE10hipError_tPvRmT3_T4_T5_T6_T7_T9_mT8_P12ihipStream_tbDpT10_ENKUlT_T0_E_clISt17integral_constantIbLb0EES1E_EEDaS19_S1A_EUlS19_E_NS1_11comp_targetILNS1_3genE10ELNS1_11target_archE1200ELNS1_3gpuE4ELNS1_3repE0EEENS1_30default_config_static_selectorELNS0_4arch9wavefront6targetE0EEEvT1_.has_recursion, 0
	.set _ZN7rocprim17ROCPRIM_400000_NS6detail17trampoline_kernelINS0_14default_configENS1_25partition_config_selectorILNS1_17partition_subalgoE5ElNS0_10empty_typeEbEEZZNS1_14partition_implILS5_5ELb0ES3_mN6hipcub16HIPCUB_304000_NS21CountingInputIteratorIllEEPS6_NSA_22TransformInputIteratorIbN2at6native12_GLOBAL__N_19NonZeroOpIN3c107complexIdEEEEPKSL_lEENS0_5tupleIJPlS6_EEENSQ_IJSD_SD_EEES6_PiJS6_EEE10hipError_tPvRmT3_T4_T5_T6_T7_T9_mT8_P12ihipStream_tbDpT10_ENKUlT_T0_E_clISt17integral_constantIbLb0EES1E_EEDaS19_S1A_EUlS19_E_NS1_11comp_targetILNS1_3genE10ELNS1_11target_archE1200ELNS1_3gpuE4ELNS1_3repE0EEENS1_30default_config_static_selectorELNS0_4arch9wavefront6targetE0EEEvT1_.has_indirect_call, 0
	.section	.AMDGPU.csdata,"",@progbits
; Kernel info:
; codeLenInByte = 6924
; TotalNumSgprs: 22
; NumVgprs: 46
; ScratchSize: 0
; MemoryBound: 0
; FloatMode: 240
; IeeeMode: 1
; LDSByteSize: 8464 bytes/workgroup (compile time only)
; SGPRBlocks: 0
; VGPRBlocks: 5
; NumSGPRsForWavesPerEU: 22
; NumVGPRsForWavesPerEU: 46
; Occupancy: 16
; WaveLimiterHint : 1
; COMPUTE_PGM_RSRC2:SCRATCH_EN: 0
; COMPUTE_PGM_RSRC2:USER_SGPR: 2
; COMPUTE_PGM_RSRC2:TRAP_HANDLER: 0
; COMPUTE_PGM_RSRC2:TGID_X_EN: 1
; COMPUTE_PGM_RSRC2:TGID_Y_EN: 0
; COMPUTE_PGM_RSRC2:TGID_Z_EN: 0
; COMPUTE_PGM_RSRC2:TIDIG_COMP_CNT: 0
	.section	.text._ZN7rocprim17ROCPRIM_400000_NS6detail17trampoline_kernelINS0_14default_configENS1_25partition_config_selectorILNS1_17partition_subalgoE5ElNS0_10empty_typeEbEEZZNS1_14partition_implILS5_5ELb0ES3_mN6hipcub16HIPCUB_304000_NS21CountingInputIteratorIllEEPS6_NSA_22TransformInputIteratorIbN2at6native12_GLOBAL__N_19NonZeroOpIN3c107complexIdEEEEPKSL_lEENS0_5tupleIJPlS6_EEENSQ_IJSD_SD_EEES6_PiJS6_EEE10hipError_tPvRmT3_T4_T5_T6_T7_T9_mT8_P12ihipStream_tbDpT10_ENKUlT_T0_E_clISt17integral_constantIbLb0EES1E_EEDaS19_S1A_EUlS19_E_NS1_11comp_targetILNS1_3genE9ELNS1_11target_archE1100ELNS1_3gpuE3ELNS1_3repE0EEENS1_30default_config_static_selectorELNS0_4arch9wavefront6targetE0EEEvT1_,"axG",@progbits,_ZN7rocprim17ROCPRIM_400000_NS6detail17trampoline_kernelINS0_14default_configENS1_25partition_config_selectorILNS1_17partition_subalgoE5ElNS0_10empty_typeEbEEZZNS1_14partition_implILS5_5ELb0ES3_mN6hipcub16HIPCUB_304000_NS21CountingInputIteratorIllEEPS6_NSA_22TransformInputIteratorIbN2at6native12_GLOBAL__N_19NonZeroOpIN3c107complexIdEEEEPKSL_lEENS0_5tupleIJPlS6_EEENSQ_IJSD_SD_EEES6_PiJS6_EEE10hipError_tPvRmT3_T4_T5_T6_T7_T9_mT8_P12ihipStream_tbDpT10_ENKUlT_T0_E_clISt17integral_constantIbLb0EES1E_EEDaS19_S1A_EUlS19_E_NS1_11comp_targetILNS1_3genE9ELNS1_11target_archE1100ELNS1_3gpuE3ELNS1_3repE0EEENS1_30default_config_static_selectorELNS0_4arch9wavefront6targetE0EEEvT1_,comdat
	.globl	_ZN7rocprim17ROCPRIM_400000_NS6detail17trampoline_kernelINS0_14default_configENS1_25partition_config_selectorILNS1_17partition_subalgoE5ElNS0_10empty_typeEbEEZZNS1_14partition_implILS5_5ELb0ES3_mN6hipcub16HIPCUB_304000_NS21CountingInputIteratorIllEEPS6_NSA_22TransformInputIteratorIbN2at6native12_GLOBAL__N_19NonZeroOpIN3c107complexIdEEEEPKSL_lEENS0_5tupleIJPlS6_EEENSQ_IJSD_SD_EEES6_PiJS6_EEE10hipError_tPvRmT3_T4_T5_T6_T7_T9_mT8_P12ihipStream_tbDpT10_ENKUlT_T0_E_clISt17integral_constantIbLb0EES1E_EEDaS19_S1A_EUlS19_E_NS1_11comp_targetILNS1_3genE9ELNS1_11target_archE1100ELNS1_3gpuE3ELNS1_3repE0EEENS1_30default_config_static_selectorELNS0_4arch9wavefront6targetE0EEEvT1_ ; -- Begin function _ZN7rocprim17ROCPRIM_400000_NS6detail17trampoline_kernelINS0_14default_configENS1_25partition_config_selectorILNS1_17partition_subalgoE5ElNS0_10empty_typeEbEEZZNS1_14partition_implILS5_5ELb0ES3_mN6hipcub16HIPCUB_304000_NS21CountingInputIteratorIllEEPS6_NSA_22TransformInputIteratorIbN2at6native12_GLOBAL__N_19NonZeroOpIN3c107complexIdEEEEPKSL_lEENS0_5tupleIJPlS6_EEENSQ_IJSD_SD_EEES6_PiJS6_EEE10hipError_tPvRmT3_T4_T5_T6_T7_T9_mT8_P12ihipStream_tbDpT10_ENKUlT_T0_E_clISt17integral_constantIbLb0EES1E_EEDaS19_S1A_EUlS19_E_NS1_11comp_targetILNS1_3genE9ELNS1_11target_archE1100ELNS1_3gpuE3ELNS1_3repE0EEENS1_30default_config_static_selectorELNS0_4arch9wavefront6targetE0EEEvT1_
	.p2align	8
	.type	_ZN7rocprim17ROCPRIM_400000_NS6detail17trampoline_kernelINS0_14default_configENS1_25partition_config_selectorILNS1_17partition_subalgoE5ElNS0_10empty_typeEbEEZZNS1_14partition_implILS5_5ELb0ES3_mN6hipcub16HIPCUB_304000_NS21CountingInputIteratorIllEEPS6_NSA_22TransformInputIteratorIbN2at6native12_GLOBAL__N_19NonZeroOpIN3c107complexIdEEEEPKSL_lEENS0_5tupleIJPlS6_EEENSQ_IJSD_SD_EEES6_PiJS6_EEE10hipError_tPvRmT3_T4_T5_T6_T7_T9_mT8_P12ihipStream_tbDpT10_ENKUlT_T0_E_clISt17integral_constantIbLb0EES1E_EEDaS19_S1A_EUlS19_E_NS1_11comp_targetILNS1_3genE9ELNS1_11target_archE1100ELNS1_3gpuE3ELNS1_3repE0EEENS1_30default_config_static_selectorELNS0_4arch9wavefront6targetE0EEEvT1_,@function
_ZN7rocprim17ROCPRIM_400000_NS6detail17trampoline_kernelINS0_14default_configENS1_25partition_config_selectorILNS1_17partition_subalgoE5ElNS0_10empty_typeEbEEZZNS1_14partition_implILS5_5ELb0ES3_mN6hipcub16HIPCUB_304000_NS21CountingInputIteratorIllEEPS6_NSA_22TransformInputIteratorIbN2at6native12_GLOBAL__N_19NonZeroOpIN3c107complexIdEEEEPKSL_lEENS0_5tupleIJPlS6_EEENSQ_IJSD_SD_EEES6_PiJS6_EEE10hipError_tPvRmT3_T4_T5_T6_T7_T9_mT8_P12ihipStream_tbDpT10_ENKUlT_T0_E_clISt17integral_constantIbLb0EES1E_EEDaS19_S1A_EUlS19_E_NS1_11comp_targetILNS1_3genE9ELNS1_11target_archE1100ELNS1_3gpuE3ELNS1_3repE0EEENS1_30default_config_static_selectorELNS0_4arch9wavefront6targetE0EEEvT1_: ; @_ZN7rocprim17ROCPRIM_400000_NS6detail17trampoline_kernelINS0_14default_configENS1_25partition_config_selectorILNS1_17partition_subalgoE5ElNS0_10empty_typeEbEEZZNS1_14partition_implILS5_5ELb0ES3_mN6hipcub16HIPCUB_304000_NS21CountingInputIteratorIllEEPS6_NSA_22TransformInputIteratorIbN2at6native12_GLOBAL__N_19NonZeroOpIN3c107complexIdEEEEPKSL_lEENS0_5tupleIJPlS6_EEENSQ_IJSD_SD_EEES6_PiJS6_EEE10hipError_tPvRmT3_T4_T5_T6_T7_T9_mT8_P12ihipStream_tbDpT10_ENKUlT_T0_E_clISt17integral_constantIbLb0EES1E_EEDaS19_S1A_EUlS19_E_NS1_11comp_targetILNS1_3genE9ELNS1_11target_archE1100ELNS1_3gpuE3ELNS1_3repE0EEENS1_30default_config_static_selectorELNS0_4arch9wavefront6targetE0EEEvT1_
; %bb.0:
	.section	.rodata,"a",@progbits
	.p2align	6, 0x0
	.amdhsa_kernel _ZN7rocprim17ROCPRIM_400000_NS6detail17trampoline_kernelINS0_14default_configENS1_25partition_config_selectorILNS1_17partition_subalgoE5ElNS0_10empty_typeEbEEZZNS1_14partition_implILS5_5ELb0ES3_mN6hipcub16HIPCUB_304000_NS21CountingInputIteratorIllEEPS6_NSA_22TransformInputIteratorIbN2at6native12_GLOBAL__N_19NonZeroOpIN3c107complexIdEEEEPKSL_lEENS0_5tupleIJPlS6_EEENSQ_IJSD_SD_EEES6_PiJS6_EEE10hipError_tPvRmT3_T4_T5_T6_T7_T9_mT8_P12ihipStream_tbDpT10_ENKUlT_T0_E_clISt17integral_constantIbLb0EES1E_EEDaS19_S1A_EUlS19_E_NS1_11comp_targetILNS1_3genE9ELNS1_11target_archE1100ELNS1_3gpuE3ELNS1_3repE0EEENS1_30default_config_static_selectorELNS0_4arch9wavefront6targetE0EEEvT1_
		.amdhsa_group_segment_fixed_size 0
		.amdhsa_private_segment_fixed_size 0
		.amdhsa_kernarg_size 120
		.amdhsa_user_sgpr_count 2
		.amdhsa_user_sgpr_dispatch_ptr 0
		.amdhsa_user_sgpr_queue_ptr 0
		.amdhsa_user_sgpr_kernarg_segment_ptr 1
		.amdhsa_user_sgpr_dispatch_id 0
		.amdhsa_user_sgpr_private_segment_size 0
		.amdhsa_wavefront_size32 1
		.amdhsa_uses_dynamic_stack 0
		.amdhsa_enable_private_segment 0
		.amdhsa_system_sgpr_workgroup_id_x 1
		.amdhsa_system_sgpr_workgroup_id_y 0
		.amdhsa_system_sgpr_workgroup_id_z 0
		.amdhsa_system_sgpr_workgroup_info 0
		.amdhsa_system_vgpr_workitem_id 0
		.amdhsa_next_free_vgpr 1
		.amdhsa_next_free_sgpr 1
		.amdhsa_reserve_vcc 0
		.amdhsa_float_round_mode_32 0
		.amdhsa_float_round_mode_16_64 0
		.amdhsa_float_denorm_mode_32 3
		.amdhsa_float_denorm_mode_16_64 3
		.amdhsa_fp16_overflow 0
		.amdhsa_workgroup_processor_mode 1
		.amdhsa_memory_ordered 1
		.amdhsa_forward_progress 1
		.amdhsa_inst_pref_size 0
		.amdhsa_round_robin_scheduling 0
		.amdhsa_exception_fp_ieee_invalid_op 0
		.amdhsa_exception_fp_denorm_src 0
		.amdhsa_exception_fp_ieee_div_zero 0
		.amdhsa_exception_fp_ieee_overflow 0
		.amdhsa_exception_fp_ieee_underflow 0
		.amdhsa_exception_fp_ieee_inexact 0
		.amdhsa_exception_int_div_zero 0
	.end_amdhsa_kernel
	.section	.text._ZN7rocprim17ROCPRIM_400000_NS6detail17trampoline_kernelINS0_14default_configENS1_25partition_config_selectorILNS1_17partition_subalgoE5ElNS0_10empty_typeEbEEZZNS1_14partition_implILS5_5ELb0ES3_mN6hipcub16HIPCUB_304000_NS21CountingInputIteratorIllEEPS6_NSA_22TransformInputIteratorIbN2at6native12_GLOBAL__N_19NonZeroOpIN3c107complexIdEEEEPKSL_lEENS0_5tupleIJPlS6_EEENSQ_IJSD_SD_EEES6_PiJS6_EEE10hipError_tPvRmT3_T4_T5_T6_T7_T9_mT8_P12ihipStream_tbDpT10_ENKUlT_T0_E_clISt17integral_constantIbLb0EES1E_EEDaS19_S1A_EUlS19_E_NS1_11comp_targetILNS1_3genE9ELNS1_11target_archE1100ELNS1_3gpuE3ELNS1_3repE0EEENS1_30default_config_static_selectorELNS0_4arch9wavefront6targetE0EEEvT1_,"axG",@progbits,_ZN7rocprim17ROCPRIM_400000_NS6detail17trampoline_kernelINS0_14default_configENS1_25partition_config_selectorILNS1_17partition_subalgoE5ElNS0_10empty_typeEbEEZZNS1_14partition_implILS5_5ELb0ES3_mN6hipcub16HIPCUB_304000_NS21CountingInputIteratorIllEEPS6_NSA_22TransformInputIteratorIbN2at6native12_GLOBAL__N_19NonZeroOpIN3c107complexIdEEEEPKSL_lEENS0_5tupleIJPlS6_EEENSQ_IJSD_SD_EEES6_PiJS6_EEE10hipError_tPvRmT3_T4_T5_T6_T7_T9_mT8_P12ihipStream_tbDpT10_ENKUlT_T0_E_clISt17integral_constantIbLb0EES1E_EEDaS19_S1A_EUlS19_E_NS1_11comp_targetILNS1_3genE9ELNS1_11target_archE1100ELNS1_3gpuE3ELNS1_3repE0EEENS1_30default_config_static_selectorELNS0_4arch9wavefront6targetE0EEEvT1_,comdat
.Lfunc_end532:
	.size	_ZN7rocprim17ROCPRIM_400000_NS6detail17trampoline_kernelINS0_14default_configENS1_25partition_config_selectorILNS1_17partition_subalgoE5ElNS0_10empty_typeEbEEZZNS1_14partition_implILS5_5ELb0ES3_mN6hipcub16HIPCUB_304000_NS21CountingInputIteratorIllEEPS6_NSA_22TransformInputIteratorIbN2at6native12_GLOBAL__N_19NonZeroOpIN3c107complexIdEEEEPKSL_lEENS0_5tupleIJPlS6_EEENSQ_IJSD_SD_EEES6_PiJS6_EEE10hipError_tPvRmT3_T4_T5_T6_T7_T9_mT8_P12ihipStream_tbDpT10_ENKUlT_T0_E_clISt17integral_constantIbLb0EES1E_EEDaS19_S1A_EUlS19_E_NS1_11comp_targetILNS1_3genE9ELNS1_11target_archE1100ELNS1_3gpuE3ELNS1_3repE0EEENS1_30default_config_static_selectorELNS0_4arch9wavefront6targetE0EEEvT1_, .Lfunc_end532-_ZN7rocprim17ROCPRIM_400000_NS6detail17trampoline_kernelINS0_14default_configENS1_25partition_config_selectorILNS1_17partition_subalgoE5ElNS0_10empty_typeEbEEZZNS1_14partition_implILS5_5ELb0ES3_mN6hipcub16HIPCUB_304000_NS21CountingInputIteratorIllEEPS6_NSA_22TransformInputIteratorIbN2at6native12_GLOBAL__N_19NonZeroOpIN3c107complexIdEEEEPKSL_lEENS0_5tupleIJPlS6_EEENSQ_IJSD_SD_EEES6_PiJS6_EEE10hipError_tPvRmT3_T4_T5_T6_T7_T9_mT8_P12ihipStream_tbDpT10_ENKUlT_T0_E_clISt17integral_constantIbLb0EES1E_EEDaS19_S1A_EUlS19_E_NS1_11comp_targetILNS1_3genE9ELNS1_11target_archE1100ELNS1_3gpuE3ELNS1_3repE0EEENS1_30default_config_static_selectorELNS0_4arch9wavefront6targetE0EEEvT1_
                                        ; -- End function
	.set _ZN7rocprim17ROCPRIM_400000_NS6detail17trampoline_kernelINS0_14default_configENS1_25partition_config_selectorILNS1_17partition_subalgoE5ElNS0_10empty_typeEbEEZZNS1_14partition_implILS5_5ELb0ES3_mN6hipcub16HIPCUB_304000_NS21CountingInputIteratorIllEEPS6_NSA_22TransformInputIteratorIbN2at6native12_GLOBAL__N_19NonZeroOpIN3c107complexIdEEEEPKSL_lEENS0_5tupleIJPlS6_EEENSQ_IJSD_SD_EEES6_PiJS6_EEE10hipError_tPvRmT3_T4_T5_T6_T7_T9_mT8_P12ihipStream_tbDpT10_ENKUlT_T0_E_clISt17integral_constantIbLb0EES1E_EEDaS19_S1A_EUlS19_E_NS1_11comp_targetILNS1_3genE9ELNS1_11target_archE1100ELNS1_3gpuE3ELNS1_3repE0EEENS1_30default_config_static_selectorELNS0_4arch9wavefront6targetE0EEEvT1_.num_vgpr, 0
	.set _ZN7rocprim17ROCPRIM_400000_NS6detail17trampoline_kernelINS0_14default_configENS1_25partition_config_selectorILNS1_17partition_subalgoE5ElNS0_10empty_typeEbEEZZNS1_14partition_implILS5_5ELb0ES3_mN6hipcub16HIPCUB_304000_NS21CountingInputIteratorIllEEPS6_NSA_22TransformInputIteratorIbN2at6native12_GLOBAL__N_19NonZeroOpIN3c107complexIdEEEEPKSL_lEENS0_5tupleIJPlS6_EEENSQ_IJSD_SD_EEES6_PiJS6_EEE10hipError_tPvRmT3_T4_T5_T6_T7_T9_mT8_P12ihipStream_tbDpT10_ENKUlT_T0_E_clISt17integral_constantIbLb0EES1E_EEDaS19_S1A_EUlS19_E_NS1_11comp_targetILNS1_3genE9ELNS1_11target_archE1100ELNS1_3gpuE3ELNS1_3repE0EEENS1_30default_config_static_selectorELNS0_4arch9wavefront6targetE0EEEvT1_.num_agpr, 0
	.set _ZN7rocprim17ROCPRIM_400000_NS6detail17trampoline_kernelINS0_14default_configENS1_25partition_config_selectorILNS1_17partition_subalgoE5ElNS0_10empty_typeEbEEZZNS1_14partition_implILS5_5ELb0ES3_mN6hipcub16HIPCUB_304000_NS21CountingInputIteratorIllEEPS6_NSA_22TransformInputIteratorIbN2at6native12_GLOBAL__N_19NonZeroOpIN3c107complexIdEEEEPKSL_lEENS0_5tupleIJPlS6_EEENSQ_IJSD_SD_EEES6_PiJS6_EEE10hipError_tPvRmT3_T4_T5_T6_T7_T9_mT8_P12ihipStream_tbDpT10_ENKUlT_T0_E_clISt17integral_constantIbLb0EES1E_EEDaS19_S1A_EUlS19_E_NS1_11comp_targetILNS1_3genE9ELNS1_11target_archE1100ELNS1_3gpuE3ELNS1_3repE0EEENS1_30default_config_static_selectorELNS0_4arch9wavefront6targetE0EEEvT1_.numbered_sgpr, 0
	.set _ZN7rocprim17ROCPRIM_400000_NS6detail17trampoline_kernelINS0_14default_configENS1_25partition_config_selectorILNS1_17partition_subalgoE5ElNS0_10empty_typeEbEEZZNS1_14partition_implILS5_5ELb0ES3_mN6hipcub16HIPCUB_304000_NS21CountingInputIteratorIllEEPS6_NSA_22TransformInputIteratorIbN2at6native12_GLOBAL__N_19NonZeroOpIN3c107complexIdEEEEPKSL_lEENS0_5tupleIJPlS6_EEENSQ_IJSD_SD_EEES6_PiJS6_EEE10hipError_tPvRmT3_T4_T5_T6_T7_T9_mT8_P12ihipStream_tbDpT10_ENKUlT_T0_E_clISt17integral_constantIbLb0EES1E_EEDaS19_S1A_EUlS19_E_NS1_11comp_targetILNS1_3genE9ELNS1_11target_archE1100ELNS1_3gpuE3ELNS1_3repE0EEENS1_30default_config_static_selectorELNS0_4arch9wavefront6targetE0EEEvT1_.num_named_barrier, 0
	.set _ZN7rocprim17ROCPRIM_400000_NS6detail17trampoline_kernelINS0_14default_configENS1_25partition_config_selectorILNS1_17partition_subalgoE5ElNS0_10empty_typeEbEEZZNS1_14partition_implILS5_5ELb0ES3_mN6hipcub16HIPCUB_304000_NS21CountingInputIteratorIllEEPS6_NSA_22TransformInputIteratorIbN2at6native12_GLOBAL__N_19NonZeroOpIN3c107complexIdEEEEPKSL_lEENS0_5tupleIJPlS6_EEENSQ_IJSD_SD_EEES6_PiJS6_EEE10hipError_tPvRmT3_T4_T5_T6_T7_T9_mT8_P12ihipStream_tbDpT10_ENKUlT_T0_E_clISt17integral_constantIbLb0EES1E_EEDaS19_S1A_EUlS19_E_NS1_11comp_targetILNS1_3genE9ELNS1_11target_archE1100ELNS1_3gpuE3ELNS1_3repE0EEENS1_30default_config_static_selectorELNS0_4arch9wavefront6targetE0EEEvT1_.private_seg_size, 0
	.set _ZN7rocprim17ROCPRIM_400000_NS6detail17trampoline_kernelINS0_14default_configENS1_25partition_config_selectorILNS1_17partition_subalgoE5ElNS0_10empty_typeEbEEZZNS1_14partition_implILS5_5ELb0ES3_mN6hipcub16HIPCUB_304000_NS21CountingInputIteratorIllEEPS6_NSA_22TransformInputIteratorIbN2at6native12_GLOBAL__N_19NonZeroOpIN3c107complexIdEEEEPKSL_lEENS0_5tupleIJPlS6_EEENSQ_IJSD_SD_EEES6_PiJS6_EEE10hipError_tPvRmT3_T4_T5_T6_T7_T9_mT8_P12ihipStream_tbDpT10_ENKUlT_T0_E_clISt17integral_constantIbLb0EES1E_EEDaS19_S1A_EUlS19_E_NS1_11comp_targetILNS1_3genE9ELNS1_11target_archE1100ELNS1_3gpuE3ELNS1_3repE0EEENS1_30default_config_static_selectorELNS0_4arch9wavefront6targetE0EEEvT1_.uses_vcc, 0
	.set _ZN7rocprim17ROCPRIM_400000_NS6detail17trampoline_kernelINS0_14default_configENS1_25partition_config_selectorILNS1_17partition_subalgoE5ElNS0_10empty_typeEbEEZZNS1_14partition_implILS5_5ELb0ES3_mN6hipcub16HIPCUB_304000_NS21CountingInputIteratorIllEEPS6_NSA_22TransformInputIteratorIbN2at6native12_GLOBAL__N_19NonZeroOpIN3c107complexIdEEEEPKSL_lEENS0_5tupleIJPlS6_EEENSQ_IJSD_SD_EEES6_PiJS6_EEE10hipError_tPvRmT3_T4_T5_T6_T7_T9_mT8_P12ihipStream_tbDpT10_ENKUlT_T0_E_clISt17integral_constantIbLb0EES1E_EEDaS19_S1A_EUlS19_E_NS1_11comp_targetILNS1_3genE9ELNS1_11target_archE1100ELNS1_3gpuE3ELNS1_3repE0EEENS1_30default_config_static_selectorELNS0_4arch9wavefront6targetE0EEEvT1_.uses_flat_scratch, 0
	.set _ZN7rocprim17ROCPRIM_400000_NS6detail17trampoline_kernelINS0_14default_configENS1_25partition_config_selectorILNS1_17partition_subalgoE5ElNS0_10empty_typeEbEEZZNS1_14partition_implILS5_5ELb0ES3_mN6hipcub16HIPCUB_304000_NS21CountingInputIteratorIllEEPS6_NSA_22TransformInputIteratorIbN2at6native12_GLOBAL__N_19NonZeroOpIN3c107complexIdEEEEPKSL_lEENS0_5tupleIJPlS6_EEENSQ_IJSD_SD_EEES6_PiJS6_EEE10hipError_tPvRmT3_T4_T5_T6_T7_T9_mT8_P12ihipStream_tbDpT10_ENKUlT_T0_E_clISt17integral_constantIbLb0EES1E_EEDaS19_S1A_EUlS19_E_NS1_11comp_targetILNS1_3genE9ELNS1_11target_archE1100ELNS1_3gpuE3ELNS1_3repE0EEENS1_30default_config_static_selectorELNS0_4arch9wavefront6targetE0EEEvT1_.has_dyn_sized_stack, 0
	.set _ZN7rocprim17ROCPRIM_400000_NS6detail17trampoline_kernelINS0_14default_configENS1_25partition_config_selectorILNS1_17partition_subalgoE5ElNS0_10empty_typeEbEEZZNS1_14partition_implILS5_5ELb0ES3_mN6hipcub16HIPCUB_304000_NS21CountingInputIteratorIllEEPS6_NSA_22TransformInputIteratorIbN2at6native12_GLOBAL__N_19NonZeroOpIN3c107complexIdEEEEPKSL_lEENS0_5tupleIJPlS6_EEENSQ_IJSD_SD_EEES6_PiJS6_EEE10hipError_tPvRmT3_T4_T5_T6_T7_T9_mT8_P12ihipStream_tbDpT10_ENKUlT_T0_E_clISt17integral_constantIbLb0EES1E_EEDaS19_S1A_EUlS19_E_NS1_11comp_targetILNS1_3genE9ELNS1_11target_archE1100ELNS1_3gpuE3ELNS1_3repE0EEENS1_30default_config_static_selectorELNS0_4arch9wavefront6targetE0EEEvT1_.has_recursion, 0
	.set _ZN7rocprim17ROCPRIM_400000_NS6detail17trampoline_kernelINS0_14default_configENS1_25partition_config_selectorILNS1_17partition_subalgoE5ElNS0_10empty_typeEbEEZZNS1_14partition_implILS5_5ELb0ES3_mN6hipcub16HIPCUB_304000_NS21CountingInputIteratorIllEEPS6_NSA_22TransformInputIteratorIbN2at6native12_GLOBAL__N_19NonZeroOpIN3c107complexIdEEEEPKSL_lEENS0_5tupleIJPlS6_EEENSQ_IJSD_SD_EEES6_PiJS6_EEE10hipError_tPvRmT3_T4_T5_T6_T7_T9_mT8_P12ihipStream_tbDpT10_ENKUlT_T0_E_clISt17integral_constantIbLb0EES1E_EEDaS19_S1A_EUlS19_E_NS1_11comp_targetILNS1_3genE9ELNS1_11target_archE1100ELNS1_3gpuE3ELNS1_3repE0EEENS1_30default_config_static_selectorELNS0_4arch9wavefront6targetE0EEEvT1_.has_indirect_call, 0
	.section	.AMDGPU.csdata,"",@progbits
; Kernel info:
; codeLenInByte = 0
; TotalNumSgprs: 0
; NumVgprs: 0
; ScratchSize: 0
; MemoryBound: 0
; FloatMode: 240
; IeeeMode: 1
; LDSByteSize: 0 bytes/workgroup (compile time only)
; SGPRBlocks: 0
; VGPRBlocks: 0
; NumSGPRsForWavesPerEU: 1
; NumVGPRsForWavesPerEU: 1
; Occupancy: 16
; WaveLimiterHint : 0
; COMPUTE_PGM_RSRC2:SCRATCH_EN: 0
; COMPUTE_PGM_RSRC2:USER_SGPR: 2
; COMPUTE_PGM_RSRC2:TRAP_HANDLER: 0
; COMPUTE_PGM_RSRC2:TGID_X_EN: 1
; COMPUTE_PGM_RSRC2:TGID_Y_EN: 0
; COMPUTE_PGM_RSRC2:TGID_Z_EN: 0
; COMPUTE_PGM_RSRC2:TIDIG_COMP_CNT: 0
	.section	.text._ZN7rocprim17ROCPRIM_400000_NS6detail17trampoline_kernelINS0_14default_configENS1_25partition_config_selectorILNS1_17partition_subalgoE5ElNS0_10empty_typeEbEEZZNS1_14partition_implILS5_5ELb0ES3_mN6hipcub16HIPCUB_304000_NS21CountingInputIteratorIllEEPS6_NSA_22TransformInputIteratorIbN2at6native12_GLOBAL__N_19NonZeroOpIN3c107complexIdEEEEPKSL_lEENS0_5tupleIJPlS6_EEENSQ_IJSD_SD_EEES6_PiJS6_EEE10hipError_tPvRmT3_T4_T5_T6_T7_T9_mT8_P12ihipStream_tbDpT10_ENKUlT_T0_E_clISt17integral_constantIbLb0EES1E_EEDaS19_S1A_EUlS19_E_NS1_11comp_targetILNS1_3genE8ELNS1_11target_archE1030ELNS1_3gpuE2ELNS1_3repE0EEENS1_30default_config_static_selectorELNS0_4arch9wavefront6targetE0EEEvT1_,"axG",@progbits,_ZN7rocprim17ROCPRIM_400000_NS6detail17trampoline_kernelINS0_14default_configENS1_25partition_config_selectorILNS1_17partition_subalgoE5ElNS0_10empty_typeEbEEZZNS1_14partition_implILS5_5ELb0ES3_mN6hipcub16HIPCUB_304000_NS21CountingInputIteratorIllEEPS6_NSA_22TransformInputIteratorIbN2at6native12_GLOBAL__N_19NonZeroOpIN3c107complexIdEEEEPKSL_lEENS0_5tupleIJPlS6_EEENSQ_IJSD_SD_EEES6_PiJS6_EEE10hipError_tPvRmT3_T4_T5_T6_T7_T9_mT8_P12ihipStream_tbDpT10_ENKUlT_T0_E_clISt17integral_constantIbLb0EES1E_EEDaS19_S1A_EUlS19_E_NS1_11comp_targetILNS1_3genE8ELNS1_11target_archE1030ELNS1_3gpuE2ELNS1_3repE0EEENS1_30default_config_static_selectorELNS0_4arch9wavefront6targetE0EEEvT1_,comdat
	.globl	_ZN7rocprim17ROCPRIM_400000_NS6detail17trampoline_kernelINS0_14default_configENS1_25partition_config_selectorILNS1_17partition_subalgoE5ElNS0_10empty_typeEbEEZZNS1_14partition_implILS5_5ELb0ES3_mN6hipcub16HIPCUB_304000_NS21CountingInputIteratorIllEEPS6_NSA_22TransformInputIteratorIbN2at6native12_GLOBAL__N_19NonZeroOpIN3c107complexIdEEEEPKSL_lEENS0_5tupleIJPlS6_EEENSQ_IJSD_SD_EEES6_PiJS6_EEE10hipError_tPvRmT3_T4_T5_T6_T7_T9_mT8_P12ihipStream_tbDpT10_ENKUlT_T0_E_clISt17integral_constantIbLb0EES1E_EEDaS19_S1A_EUlS19_E_NS1_11comp_targetILNS1_3genE8ELNS1_11target_archE1030ELNS1_3gpuE2ELNS1_3repE0EEENS1_30default_config_static_selectorELNS0_4arch9wavefront6targetE0EEEvT1_ ; -- Begin function _ZN7rocprim17ROCPRIM_400000_NS6detail17trampoline_kernelINS0_14default_configENS1_25partition_config_selectorILNS1_17partition_subalgoE5ElNS0_10empty_typeEbEEZZNS1_14partition_implILS5_5ELb0ES3_mN6hipcub16HIPCUB_304000_NS21CountingInputIteratorIllEEPS6_NSA_22TransformInputIteratorIbN2at6native12_GLOBAL__N_19NonZeroOpIN3c107complexIdEEEEPKSL_lEENS0_5tupleIJPlS6_EEENSQ_IJSD_SD_EEES6_PiJS6_EEE10hipError_tPvRmT3_T4_T5_T6_T7_T9_mT8_P12ihipStream_tbDpT10_ENKUlT_T0_E_clISt17integral_constantIbLb0EES1E_EEDaS19_S1A_EUlS19_E_NS1_11comp_targetILNS1_3genE8ELNS1_11target_archE1030ELNS1_3gpuE2ELNS1_3repE0EEENS1_30default_config_static_selectorELNS0_4arch9wavefront6targetE0EEEvT1_
	.p2align	8
	.type	_ZN7rocprim17ROCPRIM_400000_NS6detail17trampoline_kernelINS0_14default_configENS1_25partition_config_selectorILNS1_17partition_subalgoE5ElNS0_10empty_typeEbEEZZNS1_14partition_implILS5_5ELb0ES3_mN6hipcub16HIPCUB_304000_NS21CountingInputIteratorIllEEPS6_NSA_22TransformInputIteratorIbN2at6native12_GLOBAL__N_19NonZeroOpIN3c107complexIdEEEEPKSL_lEENS0_5tupleIJPlS6_EEENSQ_IJSD_SD_EEES6_PiJS6_EEE10hipError_tPvRmT3_T4_T5_T6_T7_T9_mT8_P12ihipStream_tbDpT10_ENKUlT_T0_E_clISt17integral_constantIbLb0EES1E_EEDaS19_S1A_EUlS19_E_NS1_11comp_targetILNS1_3genE8ELNS1_11target_archE1030ELNS1_3gpuE2ELNS1_3repE0EEENS1_30default_config_static_selectorELNS0_4arch9wavefront6targetE0EEEvT1_,@function
_ZN7rocprim17ROCPRIM_400000_NS6detail17trampoline_kernelINS0_14default_configENS1_25partition_config_selectorILNS1_17partition_subalgoE5ElNS0_10empty_typeEbEEZZNS1_14partition_implILS5_5ELb0ES3_mN6hipcub16HIPCUB_304000_NS21CountingInputIteratorIllEEPS6_NSA_22TransformInputIteratorIbN2at6native12_GLOBAL__N_19NonZeroOpIN3c107complexIdEEEEPKSL_lEENS0_5tupleIJPlS6_EEENSQ_IJSD_SD_EEES6_PiJS6_EEE10hipError_tPvRmT3_T4_T5_T6_T7_T9_mT8_P12ihipStream_tbDpT10_ENKUlT_T0_E_clISt17integral_constantIbLb0EES1E_EEDaS19_S1A_EUlS19_E_NS1_11comp_targetILNS1_3genE8ELNS1_11target_archE1030ELNS1_3gpuE2ELNS1_3repE0EEENS1_30default_config_static_selectorELNS0_4arch9wavefront6targetE0EEEvT1_: ; @_ZN7rocprim17ROCPRIM_400000_NS6detail17trampoline_kernelINS0_14default_configENS1_25partition_config_selectorILNS1_17partition_subalgoE5ElNS0_10empty_typeEbEEZZNS1_14partition_implILS5_5ELb0ES3_mN6hipcub16HIPCUB_304000_NS21CountingInputIteratorIllEEPS6_NSA_22TransformInputIteratorIbN2at6native12_GLOBAL__N_19NonZeroOpIN3c107complexIdEEEEPKSL_lEENS0_5tupleIJPlS6_EEENSQ_IJSD_SD_EEES6_PiJS6_EEE10hipError_tPvRmT3_T4_T5_T6_T7_T9_mT8_P12ihipStream_tbDpT10_ENKUlT_T0_E_clISt17integral_constantIbLb0EES1E_EEDaS19_S1A_EUlS19_E_NS1_11comp_targetILNS1_3genE8ELNS1_11target_archE1030ELNS1_3gpuE2ELNS1_3repE0EEENS1_30default_config_static_selectorELNS0_4arch9wavefront6targetE0EEEvT1_
; %bb.0:
	.section	.rodata,"a",@progbits
	.p2align	6, 0x0
	.amdhsa_kernel _ZN7rocprim17ROCPRIM_400000_NS6detail17trampoline_kernelINS0_14default_configENS1_25partition_config_selectorILNS1_17partition_subalgoE5ElNS0_10empty_typeEbEEZZNS1_14partition_implILS5_5ELb0ES3_mN6hipcub16HIPCUB_304000_NS21CountingInputIteratorIllEEPS6_NSA_22TransformInputIteratorIbN2at6native12_GLOBAL__N_19NonZeroOpIN3c107complexIdEEEEPKSL_lEENS0_5tupleIJPlS6_EEENSQ_IJSD_SD_EEES6_PiJS6_EEE10hipError_tPvRmT3_T4_T5_T6_T7_T9_mT8_P12ihipStream_tbDpT10_ENKUlT_T0_E_clISt17integral_constantIbLb0EES1E_EEDaS19_S1A_EUlS19_E_NS1_11comp_targetILNS1_3genE8ELNS1_11target_archE1030ELNS1_3gpuE2ELNS1_3repE0EEENS1_30default_config_static_selectorELNS0_4arch9wavefront6targetE0EEEvT1_
		.amdhsa_group_segment_fixed_size 0
		.amdhsa_private_segment_fixed_size 0
		.amdhsa_kernarg_size 120
		.amdhsa_user_sgpr_count 2
		.amdhsa_user_sgpr_dispatch_ptr 0
		.amdhsa_user_sgpr_queue_ptr 0
		.amdhsa_user_sgpr_kernarg_segment_ptr 1
		.amdhsa_user_sgpr_dispatch_id 0
		.amdhsa_user_sgpr_private_segment_size 0
		.amdhsa_wavefront_size32 1
		.amdhsa_uses_dynamic_stack 0
		.amdhsa_enable_private_segment 0
		.amdhsa_system_sgpr_workgroup_id_x 1
		.amdhsa_system_sgpr_workgroup_id_y 0
		.amdhsa_system_sgpr_workgroup_id_z 0
		.amdhsa_system_sgpr_workgroup_info 0
		.amdhsa_system_vgpr_workitem_id 0
		.amdhsa_next_free_vgpr 1
		.amdhsa_next_free_sgpr 1
		.amdhsa_reserve_vcc 0
		.amdhsa_float_round_mode_32 0
		.amdhsa_float_round_mode_16_64 0
		.amdhsa_float_denorm_mode_32 3
		.amdhsa_float_denorm_mode_16_64 3
		.amdhsa_fp16_overflow 0
		.amdhsa_workgroup_processor_mode 1
		.amdhsa_memory_ordered 1
		.amdhsa_forward_progress 1
		.amdhsa_inst_pref_size 0
		.amdhsa_round_robin_scheduling 0
		.amdhsa_exception_fp_ieee_invalid_op 0
		.amdhsa_exception_fp_denorm_src 0
		.amdhsa_exception_fp_ieee_div_zero 0
		.amdhsa_exception_fp_ieee_overflow 0
		.amdhsa_exception_fp_ieee_underflow 0
		.amdhsa_exception_fp_ieee_inexact 0
		.amdhsa_exception_int_div_zero 0
	.end_amdhsa_kernel
	.section	.text._ZN7rocprim17ROCPRIM_400000_NS6detail17trampoline_kernelINS0_14default_configENS1_25partition_config_selectorILNS1_17partition_subalgoE5ElNS0_10empty_typeEbEEZZNS1_14partition_implILS5_5ELb0ES3_mN6hipcub16HIPCUB_304000_NS21CountingInputIteratorIllEEPS6_NSA_22TransformInputIteratorIbN2at6native12_GLOBAL__N_19NonZeroOpIN3c107complexIdEEEEPKSL_lEENS0_5tupleIJPlS6_EEENSQ_IJSD_SD_EEES6_PiJS6_EEE10hipError_tPvRmT3_T4_T5_T6_T7_T9_mT8_P12ihipStream_tbDpT10_ENKUlT_T0_E_clISt17integral_constantIbLb0EES1E_EEDaS19_S1A_EUlS19_E_NS1_11comp_targetILNS1_3genE8ELNS1_11target_archE1030ELNS1_3gpuE2ELNS1_3repE0EEENS1_30default_config_static_selectorELNS0_4arch9wavefront6targetE0EEEvT1_,"axG",@progbits,_ZN7rocprim17ROCPRIM_400000_NS6detail17trampoline_kernelINS0_14default_configENS1_25partition_config_selectorILNS1_17partition_subalgoE5ElNS0_10empty_typeEbEEZZNS1_14partition_implILS5_5ELb0ES3_mN6hipcub16HIPCUB_304000_NS21CountingInputIteratorIllEEPS6_NSA_22TransformInputIteratorIbN2at6native12_GLOBAL__N_19NonZeroOpIN3c107complexIdEEEEPKSL_lEENS0_5tupleIJPlS6_EEENSQ_IJSD_SD_EEES6_PiJS6_EEE10hipError_tPvRmT3_T4_T5_T6_T7_T9_mT8_P12ihipStream_tbDpT10_ENKUlT_T0_E_clISt17integral_constantIbLb0EES1E_EEDaS19_S1A_EUlS19_E_NS1_11comp_targetILNS1_3genE8ELNS1_11target_archE1030ELNS1_3gpuE2ELNS1_3repE0EEENS1_30default_config_static_selectorELNS0_4arch9wavefront6targetE0EEEvT1_,comdat
.Lfunc_end533:
	.size	_ZN7rocprim17ROCPRIM_400000_NS6detail17trampoline_kernelINS0_14default_configENS1_25partition_config_selectorILNS1_17partition_subalgoE5ElNS0_10empty_typeEbEEZZNS1_14partition_implILS5_5ELb0ES3_mN6hipcub16HIPCUB_304000_NS21CountingInputIteratorIllEEPS6_NSA_22TransformInputIteratorIbN2at6native12_GLOBAL__N_19NonZeroOpIN3c107complexIdEEEEPKSL_lEENS0_5tupleIJPlS6_EEENSQ_IJSD_SD_EEES6_PiJS6_EEE10hipError_tPvRmT3_T4_T5_T6_T7_T9_mT8_P12ihipStream_tbDpT10_ENKUlT_T0_E_clISt17integral_constantIbLb0EES1E_EEDaS19_S1A_EUlS19_E_NS1_11comp_targetILNS1_3genE8ELNS1_11target_archE1030ELNS1_3gpuE2ELNS1_3repE0EEENS1_30default_config_static_selectorELNS0_4arch9wavefront6targetE0EEEvT1_, .Lfunc_end533-_ZN7rocprim17ROCPRIM_400000_NS6detail17trampoline_kernelINS0_14default_configENS1_25partition_config_selectorILNS1_17partition_subalgoE5ElNS0_10empty_typeEbEEZZNS1_14partition_implILS5_5ELb0ES3_mN6hipcub16HIPCUB_304000_NS21CountingInputIteratorIllEEPS6_NSA_22TransformInputIteratorIbN2at6native12_GLOBAL__N_19NonZeroOpIN3c107complexIdEEEEPKSL_lEENS0_5tupleIJPlS6_EEENSQ_IJSD_SD_EEES6_PiJS6_EEE10hipError_tPvRmT3_T4_T5_T6_T7_T9_mT8_P12ihipStream_tbDpT10_ENKUlT_T0_E_clISt17integral_constantIbLb0EES1E_EEDaS19_S1A_EUlS19_E_NS1_11comp_targetILNS1_3genE8ELNS1_11target_archE1030ELNS1_3gpuE2ELNS1_3repE0EEENS1_30default_config_static_selectorELNS0_4arch9wavefront6targetE0EEEvT1_
                                        ; -- End function
	.set _ZN7rocprim17ROCPRIM_400000_NS6detail17trampoline_kernelINS0_14default_configENS1_25partition_config_selectorILNS1_17partition_subalgoE5ElNS0_10empty_typeEbEEZZNS1_14partition_implILS5_5ELb0ES3_mN6hipcub16HIPCUB_304000_NS21CountingInputIteratorIllEEPS6_NSA_22TransformInputIteratorIbN2at6native12_GLOBAL__N_19NonZeroOpIN3c107complexIdEEEEPKSL_lEENS0_5tupleIJPlS6_EEENSQ_IJSD_SD_EEES6_PiJS6_EEE10hipError_tPvRmT3_T4_T5_T6_T7_T9_mT8_P12ihipStream_tbDpT10_ENKUlT_T0_E_clISt17integral_constantIbLb0EES1E_EEDaS19_S1A_EUlS19_E_NS1_11comp_targetILNS1_3genE8ELNS1_11target_archE1030ELNS1_3gpuE2ELNS1_3repE0EEENS1_30default_config_static_selectorELNS0_4arch9wavefront6targetE0EEEvT1_.num_vgpr, 0
	.set _ZN7rocprim17ROCPRIM_400000_NS6detail17trampoline_kernelINS0_14default_configENS1_25partition_config_selectorILNS1_17partition_subalgoE5ElNS0_10empty_typeEbEEZZNS1_14partition_implILS5_5ELb0ES3_mN6hipcub16HIPCUB_304000_NS21CountingInputIteratorIllEEPS6_NSA_22TransformInputIteratorIbN2at6native12_GLOBAL__N_19NonZeroOpIN3c107complexIdEEEEPKSL_lEENS0_5tupleIJPlS6_EEENSQ_IJSD_SD_EEES6_PiJS6_EEE10hipError_tPvRmT3_T4_T5_T6_T7_T9_mT8_P12ihipStream_tbDpT10_ENKUlT_T0_E_clISt17integral_constantIbLb0EES1E_EEDaS19_S1A_EUlS19_E_NS1_11comp_targetILNS1_3genE8ELNS1_11target_archE1030ELNS1_3gpuE2ELNS1_3repE0EEENS1_30default_config_static_selectorELNS0_4arch9wavefront6targetE0EEEvT1_.num_agpr, 0
	.set _ZN7rocprim17ROCPRIM_400000_NS6detail17trampoline_kernelINS0_14default_configENS1_25partition_config_selectorILNS1_17partition_subalgoE5ElNS0_10empty_typeEbEEZZNS1_14partition_implILS5_5ELb0ES3_mN6hipcub16HIPCUB_304000_NS21CountingInputIteratorIllEEPS6_NSA_22TransformInputIteratorIbN2at6native12_GLOBAL__N_19NonZeroOpIN3c107complexIdEEEEPKSL_lEENS0_5tupleIJPlS6_EEENSQ_IJSD_SD_EEES6_PiJS6_EEE10hipError_tPvRmT3_T4_T5_T6_T7_T9_mT8_P12ihipStream_tbDpT10_ENKUlT_T0_E_clISt17integral_constantIbLb0EES1E_EEDaS19_S1A_EUlS19_E_NS1_11comp_targetILNS1_3genE8ELNS1_11target_archE1030ELNS1_3gpuE2ELNS1_3repE0EEENS1_30default_config_static_selectorELNS0_4arch9wavefront6targetE0EEEvT1_.numbered_sgpr, 0
	.set _ZN7rocprim17ROCPRIM_400000_NS6detail17trampoline_kernelINS0_14default_configENS1_25partition_config_selectorILNS1_17partition_subalgoE5ElNS0_10empty_typeEbEEZZNS1_14partition_implILS5_5ELb0ES3_mN6hipcub16HIPCUB_304000_NS21CountingInputIteratorIllEEPS6_NSA_22TransformInputIteratorIbN2at6native12_GLOBAL__N_19NonZeroOpIN3c107complexIdEEEEPKSL_lEENS0_5tupleIJPlS6_EEENSQ_IJSD_SD_EEES6_PiJS6_EEE10hipError_tPvRmT3_T4_T5_T6_T7_T9_mT8_P12ihipStream_tbDpT10_ENKUlT_T0_E_clISt17integral_constantIbLb0EES1E_EEDaS19_S1A_EUlS19_E_NS1_11comp_targetILNS1_3genE8ELNS1_11target_archE1030ELNS1_3gpuE2ELNS1_3repE0EEENS1_30default_config_static_selectorELNS0_4arch9wavefront6targetE0EEEvT1_.num_named_barrier, 0
	.set _ZN7rocprim17ROCPRIM_400000_NS6detail17trampoline_kernelINS0_14default_configENS1_25partition_config_selectorILNS1_17partition_subalgoE5ElNS0_10empty_typeEbEEZZNS1_14partition_implILS5_5ELb0ES3_mN6hipcub16HIPCUB_304000_NS21CountingInputIteratorIllEEPS6_NSA_22TransformInputIteratorIbN2at6native12_GLOBAL__N_19NonZeroOpIN3c107complexIdEEEEPKSL_lEENS0_5tupleIJPlS6_EEENSQ_IJSD_SD_EEES6_PiJS6_EEE10hipError_tPvRmT3_T4_T5_T6_T7_T9_mT8_P12ihipStream_tbDpT10_ENKUlT_T0_E_clISt17integral_constantIbLb0EES1E_EEDaS19_S1A_EUlS19_E_NS1_11comp_targetILNS1_3genE8ELNS1_11target_archE1030ELNS1_3gpuE2ELNS1_3repE0EEENS1_30default_config_static_selectorELNS0_4arch9wavefront6targetE0EEEvT1_.private_seg_size, 0
	.set _ZN7rocprim17ROCPRIM_400000_NS6detail17trampoline_kernelINS0_14default_configENS1_25partition_config_selectorILNS1_17partition_subalgoE5ElNS0_10empty_typeEbEEZZNS1_14partition_implILS5_5ELb0ES3_mN6hipcub16HIPCUB_304000_NS21CountingInputIteratorIllEEPS6_NSA_22TransformInputIteratorIbN2at6native12_GLOBAL__N_19NonZeroOpIN3c107complexIdEEEEPKSL_lEENS0_5tupleIJPlS6_EEENSQ_IJSD_SD_EEES6_PiJS6_EEE10hipError_tPvRmT3_T4_T5_T6_T7_T9_mT8_P12ihipStream_tbDpT10_ENKUlT_T0_E_clISt17integral_constantIbLb0EES1E_EEDaS19_S1A_EUlS19_E_NS1_11comp_targetILNS1_3genE8ELNS1_11target_archE1030ELNS1_3gpuE2ELNS1_3repE0EEENS1_30default_config_static_selectorELNS0_4arch9wavefront6targetE0EEEvT1_.uses_vcc, 0
	.set _ZN7rocprim17ROCPRIM_400000_NS6detail17trampoline_kernelINS0_14default_configENS1_25partition_config_selectorILNS1_17partition_subalgoE5ElNS0_10empty_typeEbEEZZNS1_14partition_implILS5_5ELb0ES3_mN6hipcub16HIPCUB_304000_NS21CountingInputIteratorIllEEPS6_NSA_22TransformInputIteratorIbN2at6native12_GLOBAL__N_19NonZeroOpIN3c107complexIdEEEEPKSL_lEENS0_5tupleIJPlS6_EEENSQ_IJSD_SD_EEES6_PiJS6_EEE10hipError_tPvRmT3_T4_T5_T6_T7_T9_mT8_P12ihipStream_tbDpT10_ENKUlT_T0_E_clISt17integral_constantIbLb0EES1E_EEDaS19_S1A_EUlS19_E_NS1_11comp_targetILNS1_3genE8ELNS1_11target_archE1030ELNS1_3gpuE2ELNS1_3repE0EEENS1_30default_config_static_selectorELNS0_4arch9wavefront6targetE0EEEvT1_.uses_flat_scratch, 0
	.set _ZN7rocprim17ROCPRIM_400000_NS6detail17trampoline_kernelINS0_14default_configENS1_25partition_config_selectorILNS1_17partition_subalgoE5ElNS0_10empty_typeEbEEZZNS1_14partition_implILS5_5ELb0ES3_mN6hipcub16HIPCUB_304000_NS21CountingInputIteratorIllEEPS6_NSA_22TransformInputIteratorIbN2at6native12_GLOBAL__N_19NonZeroOpIN3c107complexIdEEEEPKSL_lEENS0_5tupleIJPlS6_EEENSQ_IJSD_SD_EEES6_PiJS6_EEE10hipError_tPvRmT3_T4_T5_T6_T7_T9_mT8_P12ihipStream_tbDpT10_ENKUlT_T0_E_clISt17integral_constantIbLb0EES1E_EEDaS19_S1A_EUlS19_E_NS1_11comp_targetILNS1_3genE8ELNS1_11target_archE1030ELNS1_3gpuE2ELNS1_3repE0EEENS1_30default_config_static_selectorELNS0_4arch9wavefront6targetE0EEEvT1_.has_dyn_sized_stack, 0
	.set _ZN7rocprim17ROCPRIM_400000_NS6detail17trampoline_kernelINS0_14default_configENS1_25partition_config_selectorILNS1_17partition_subalgoE5ElNS0_10empty_typeEbEEZZNS1_14partition_implILS5_5ELb0ES3_mN6hipcub16HIPCUB_304000_NS21CountingInputIteratorIllEEPS6_NSA_22TransformInputIteratorIbN2at6native12_GLOBAL__N_19NonZeroOpIN3c107complexIdEEEEPKSL_lEENS0_5tupleIJPlS6_EEENSQ_IJSD_SD_EEES6_PiJS6_EEE10hipError_tPvRmT3_T4_T5_T6_T7_T9_mT8_P12ihipStream_tbDpT10_ENKUlT_T0_E_clISt17integral_constantIbLb0EES1E_EEDaS19_S1A_EUlS19_E_NS1_11comp_targetILNS1_3genE8ELNS1_11target_archE1030ELNS1_3gpuE2ELNS1_3repE0EEENS1_30default_config_static_selectorELNS0_4arch9wavefront6targetE0EEEvT1_.has_recursion, 0
	.set _ZN7rocprim17ROCPRIM_400000_NS6detail17trampoline_kernelINS0_14default_configENS1_25partition_config_selectorILNS1_17partition_subalgoE5ElNS0_10empty_typeEbEEZZNS1_14partition_implILS5_5ELb0ES3_mN6hipcub16HIPCUB_304000_NS21CountingInputIteratorIllEEPS6_NSA_22TransformInputIteratorIbN2at6native12_GLOBAL__N_19NonZeroOpIN3c107complexIdEEEEPKSL_lEENS0_5tupleIJPlS6_EEENSQ_IJSD_SD_EEES6_PiJS6_EEE10hipError_tPvRmT3_T4_T5_T6_T7_T9_mT8_P12ihipStream_tbDpT10_ENKUlT_T0_E_clISt17integral_constantIbLb0EES1E_EEDaS19_S1A_EUlS19_E_NS1_11comp_targetILNS1_3genE8ELNS1_11target_archE1030ELNS1_3gpuE2ELNS1_3repE0EEENS1_30default_config_static_selectorELNS0_4arch9wavefront6targetE0EEEvT1_.has_indirect_call, 0
	.section	.AMDGPU.csdata,"",@progbits
; Kernel info:
; codeLenInByte = 0
; TotalNumSgprs: 0
; NumVgprs: 0
; ScratchSize: 0
; MemoryBound: 0
; FloatMode: 240
; IeeeMode: 1
; LDSByteSize: 0 bytes/workgroup (compile time only)
; SGPRBlocks: 0
; VGPRBlocks: 0
; NumSGPRsForWavesPerEU: 1
; NumVGPRsForWavesPerEU: 1
; Occupancy: 16
; WaveLimiterHint : 0
; COMPUTE_PGM_RSRC2:SCRATCH_EN: 0
; COMPUTE_PGM_RSRC2:USER_SGPR: 2
; COMPUTE_PGM_RSRC2:TRAP_HANDLER: 0
; COMPUTE_PGM_RSRC2:TGID_X_EN: 1
; COMPUTE_PGM_RSRC2:TGID_Y_EN: 0
; COMPUTE_PGM_RSRC2:TGID_Z_EN: 0
; COMPUTE_PGM_RSRC2:TIDIG_COMP_CNT: 0
	.section	.text._ZN7rocprim17ROCPRIM_400000_NS6detail17trampoline_kernelINS0_14default_configENS1_25partition_config_selectorILNS1_17partition_subalgoE5ElNS0_10empty_typeEbEEZZNS1_14partition_implILS5_5ELb0ES3_mN6hipcub16HIPCUB_304000_NS21CountingInputIteratorIllEEPS6_NSA_22TransformInputIteratorIbN2at6native12_GLOBAL__N_19NonZeroOpIN3c107complexIdEEEEPKSL_lEENS0_5tupleIJPlS6_EEENSQ_IJSD_SD_EEES6_PiJS6_EEE10hipError_tPvRmT3_T4_T5_T6_T7_T9_mT8_P12ihipStream_tbDpT10_ENKUlT_T0_E_clISt17integral_constantIbLb1EES1E_EEDaS19_S1A_EUlS19_E_NS1_11comp_targetILNS1_3genE0ELNS1_11target_archE4294967295ELNS1_3gpuE0ELNS1_3repE0EEENS1_30default_config_static_selectorELNS0_4arch9wavefront6targetE0EEEvT1_,"axG",@progbits,_ZN7rocprim17ROCPRIM_400000_NS6detail17trampoline_kernelINS0_14default_configENS1_25partition_config_selectorILNS1_17partition_subalgoE5ElNS0_10empty_typeEbEEZZNS1_14partition_implILS5_5ELb0ES3_mN6hipcub16HIPCUB_304000_NS21CountingInputIteratorIllEEPS6_NSA_22TransformInputIteratorIbN2at6native12_GLOBAL__N_19NonZeroOpIN3c107complexIdEEEEPKSL_lEENS0_5tupleIJPlS6_EEENSQ_IJSD_SD_EEES6_PiJS6_EEE10hipError_tPvRmT3_T4_T5_T6_T7_T9_mT8_P12ihipStream_tbDpT10_ENKUlT_T0_E_clISt17integral_constantIbLb1EES1E_EEDaS19_S1A_EUlS19_E_NS1_11comp_targetILNS1_3genE0ELNS1_11target_archE4294967295ELNS1_3gpuE0ELNS1_3repE0EEENS1_30default_config_static_selectorELNS0_4arch9wavefront6targetE0EEEvT1_,comdat
	.globl	_ZN7rocprim17ROCPRIM_400000_NS6detail17trampoline_kernelINS0_14default_configENS1_25partition_config_selectorILNS1_17partition_subalgoE5ElNS0_10empty_typeEbEEZZNS1_14partition_implILS5_5ELb0ES3_mN6hipcub16HIPCUB_304000_NS21CountingInputIteratorIllEEPS6_NSA_22TransformInputIteratorIbN2at6native12_GLOBAL__N_19NonZeroOpIN3c107complexIdEEEEPKSL_lEENS0_5tupleIJPlS6_EEENSQ_IJSD_SD_EEES6_PiJS6_EEE10hipError_tPvRmT3_T4_T5_T6_T7_T9_mT8_P12ihipStream_tbDpT10_ENKUlT_T0_E_clISt17integral_constantIbLb1EES1E_EEDaS19_S1A_EUlS19_E_NS1_11comp_targetILNS1_3genE0ELNS1_11target_archE4294967295ELNS1_3gpuE0ELNS1_3repE0EEENS1_30default_config_static_selectorELNS0_4arch9wavefront6targetE0EEEvT1_ ; -- Begin function _ZN7rocprim17ROCPRIM_400000_NS6detail17trampoline_kernelINS0_14default_configENS1_25partition_config_selectorILNS1_17partition_subalgoE5ElNS0_10empty_typeEbEEZZNS1_14partition_implILS5_5ELb0ES3_mN6hipcub16HIPCUB_304000_NS21CountingInputIteratorIllEEPS6_NSA_22TransformInputIteratorIbN2at6native12_GLOBAL__N_19NonZeroOpIN3c107complexIdEEEEPKSL_lEENS0_5tupleIJPlS6_EEENSQ_IJSD_SD_EEES6_PiJS6_EEE10hipError_tPvRmT3_T4_T5_T6_T7_T9_mT8_P12ihipStream_tbDpT10_ENKUlT_T0_E_clISt17integral_constantIbLb1EES1E_EEDaS19_S1A_EUlS19_E_NS1_11comp_targetILNS1_3genE0ELNS1_11target_archE4294967295ELNS1_3gpuE0ELNS1_3repE0EEENS1_30default_config_static_selectorELNS0_4arch9wavefront6targetE0EEEvT1_
	.p2align	8
	.type	_ZN7rocprim17ROCPRIM_400000_NS6detail17trampoline_kernelINS0_14default_configENS1_25partition_config_selectorILNS1_17partition_subalgoE5ElNS0_10empty_typeEbEEZZNS1_14partition_implILS5_5ELb0ES3_mN6hipcub16HIPCUB_304000_NS21CountingInputIteratorIllEEPS6_NSA_22TransformInputIteratorIbN2at6native12_GLOBAL__N_19NonZeroOpIN3c107complexIdEEEEPKSL_lEENS0_5tupleIJPlS6_EEENSQ_IJSD_SD_EEES6_PiJS6_EEE10hipError_tPvRmT3_T4_T5_T6_T7_T9_mT8_P12ihipStream_tbDpT10_ENKUlT_T0_E_clISt17integral_constantIbLb1EES1E_EEDaS19_S1A_EUlS19_E_NS1_11comp_targetILNS1_3genE0ELNS1_11target_archE4294967295ELNS1_3gpuE0ELNS1_3repE0EEENS1_30default_config_static_selectorELNS0_4arch9wavefront6targetE0EEEvT1_,@function
_ZN7rocprim17ROCPRIM_400000_NS6detail17trampoline_kernelINS0_14default_configENS1_25partition_config_selectorILNS1_17partition_subalgoE5ElNS0_10empty_typeEbEEZZNS1_14partition_implILS5_5ELb0ES3_mN6hipcub16HIPCUB_304000_NS21CountingInputIteratorIllEEPS6_NSA_22TransformInputIteratorIbN2at6native12_GLOBAL__N_19NonZeroOpIN3c107complexIdEEEEPKSL_lEENS0_5tupleIJPlS6_EEENSQ_IJSD_SD_EEES6_PiJS6_EEE10hipError_tPvRmT3_T4_T5_T6_T7_T9_mT8_P12ihipStream_tbDpT10_ENKUlT_T0_E_clISt17integral_constantIbLb1EES1E_EEDaS19_S1A_EUlS19_E_NS1_11comp_targetILNS1_3genE0ELNS1_11target_archE4294967295ELNS1_3gpuE0ELNS1_3repE0EEENS1_30default_config_static_selectorELNS0_4arch9wavefront6targetE0EEEvT1_: ; @_ZN7rocprim17ROCPRIM_400000_NS6detail17trampoline_kernelINS0_14default_configENS1_25partition_config_selectorILNS1_17partition_subalgoE5ElNS0_10empty_typeEbEEZZNS1_14partition_implILS5_5ELb0ES3_mN6hipcub16HIPCUB_304000_NS21CountingInputIteratorIllEEPS6_NSA_22TransformInputIteratorIbN2at6native12_GLOBAL__N_19NonZeroOpIN3c107complexIdEEEEPKSL_lEENS0_5tupleIJPlS6_EEENSQ_IJSD_SD_EEES6_PiJS6_EEE10hipError_tPvRmT3_T4_T5_T6_T7_T9_mT8_P12ihipStream_tbDpT10_ENKUlT_T0_E_clISt17integral_constantIbLb1EES1E_EEDaS19_S1A_EUlS19_E_NS1_11comp_targetILNS1_3genE0ELNS1_11target_archE4294967295ELNS1_3gpuE0ELNS1_3repE0EEENS1_30default_config_static_selectorELNS0_4arch9wavefront6targetE0EEEvT1_
; %bb.0:
	.section	.rodata,"a",@progbits
	.p2align	6, 0x0
	.amdhsa_kernel _ZN7rocprim17ROCPRIM_400000_NS6detail17trampoline_kernelINS0_14default_configENS1_25partition_config_selectorILNS1_17partition_subalgoE5ElNS0_10empty_typeEbEEZZNS1_14partition_implILS5_5ELb0ES3_mN6hipcub16HIPCUB_304000_NS21CountingInputIteratorIllEEPS6_NSA_22TransformInputIteratorIbN2at6native12_GLOBAL__N_19NonZeroOpIN3c107complexIdEEEEPKSL_lEENS0_5tupleIJPlS6_EEENSQ_IJSD_SD_EEES6_PiJS6_EEE10hipError_tPvRmT3_T4_T5_T6_T7_T9_mT8_P12ihipStream_tbDpT10_ENKUlT_T0_E_clISt17integral_constantIbLb1EES1E_EEDaS19_S1A_EUlS19_E_NS1_11comp_targetILNS1_3genE0ELNS1_11target_archE4294967295ELNS1_3gpuE0ELNS1_3repE0EEENS1_30default_config_static_selectorELNS0_4arch9wavefront6targetE0EEEvT1_
		.amdhsa_group_segment_fixed_size 0
		.amdhsa_private_segment_fixed_size 0
		.amdhsa_kernarg_size 136
		.amdhsa_user_sgpr_count 2
		.amdhsa_user_sgpr_dispatch_ptr 0
		.amdhsa_user_sgpr_queue_ptr 0
		.amdhsa_user_sgpr_kernarg_segment_ptr 1
		.amdhsa_user_sgpr_dispatch_id 0
		.amdhsa_user_sgpr_private_segment_size 0
		.amdhsa_wavefront_size32 1
		.amdhsa_uses_dynamic_stack 0
		.amdhsa_enable_private_segment 0
		.amdhsa_system_sgpr_workgroup_id_x 1
		.amdhsa_system_sgpr_workgroup_id_y 0
		.amdhsa_system_sgpr_workgroup_id_z 0
		.amdhsa_system_sgpr_workgroup_info 0
		.amdhsa_system_vgpr_workitem_id 0
		.amdhsa_next_free_vgpr 1
		.amdhsa_next_free_sgpr 1
		.amdhsa_reserve_vcc 0
		.amdhsa_float_round_mode_32 0
		.amdhsa_float_round_mode_16_64 0
		.amdhsa_float_denorm_mode_32 3
		.amdhsa_float_denorm_mode_16_64 3
		.amdhsa_fp16_overflow 0
		.amdhsa_workgroup_processor_mode 1
		.amdhsa_memory_ordered 1
		.amdhsa_forward_progress 1
		.amdhsa_inst_pref_size 0
		.amdhsa_round_robin_scheduling 0
		.amdhsa_exception_fp_ieee_invalid_op 0
		.amdhsa_exception_fp_denorm_src 0
		.amdhsa_exception_fp_ieee_div_zero 0
		.amdhsa_exception_fp_ieee_overflow 0
		.amdhsa_exception_fp_ieee_underflow 0
		.amdhsa_exception_fp_ieee_inexact 0
		.amdhsa_exception_int_div_zero 0
	.end_amdhsa_kernel
	.section	.text._ZN7rocprim17ROCPRIM_400000_NS6detail17trampoline_kernelINS0_14default_configENS1_25partition_config_selectorILNS1_17partition_subalgoE5ElNS0_10empty_typeEbEEZZNS1_14partition_implILS5_5ELb0ES3_mN6hipcub16HIPCUB_304000_NS21CountingInputIteratorIllEEPS6_NSA_22TransformInputIteratorIbN2at6native12_GLOBAL__N_19NonZeroOpIN3c107complexIdEEEEPKSL_lEENS0_5tupleIJPlS6_EEENSQ_IJSD_SD_EEES6_PiJS6_EEE10hipError_tPvRmT3_T4_T5_T6_T7_T9_mT8_P12ihipStream_tbDpT10_ENKUlT_T0_E_clISt17integral_constantIbLb1EES1E_EEDaS19_S1A_EUlS19_E_NS1_11comp_targetILNS1_3genE0ELNS1_11target_archE4294967295ELNS1_3gpuE0ELNS1_3repE0EEENS1_30default_config_static_selectorELNS0_4arch9wavefront6targetE0EEEvT1_,"axG",@progbits,_ZN7rocprim17ROCPRIM_400000_NS6detail17trampoline_kernelINS0_14default_configENS1_25partition_config_selectorILNS1_17partition_subalgoE5ElNS0_10empty_typeEbEEZZNS1_14partition_implILS5_5ELb0ES3_mN6hipcub16HIPCUB_304000_NS21CountingInputIteratorIllEEPS6_NSA_22TransformInputIteratorIbN2at6native12_GLOBAL__N_19NonZeroOpIN3c107complexIdEEEEPKSL_lEENS0_5tupleIJPlS6_EEENSQ_IJSD_SD_EEES6_PiJS6_EEE10hipError_tPvRmT3_T4_T5_T6_T7_T9_mT8_P12ihipStream_tbDpT10_ENKUlT_T0_E_clISt17integral_constantIbLb1EES1E_EEDaS19_S1A_EUlS19_E_NS1_11comp_targetILNS1_3genE0ELNS1_11target_archE4294967295ELNS1_3gpuE0ELNS1_3repE0EEENS1_30default_config_static_selectorELNS0_4arch9wavefront6targetE0EEEvT1_,comdat
.Lfunc_end534:
	.size	_ZN7rocprim17ROCPRIM_400000_NS6detail17trampoline_kernelINS0_14default_configENS1_25partition_config_selectorILNS1_17partition_subalgoE5ElNS0_10empty_typeEbEEZZNS1_14partition_implILS5_5ELb0ES3_mN6hipcub16HIPCUB_304000_NS21CountingInputIteratorIllEEPS6_NSA_22TransformInputIteratorIbN2at6native12_GLOBAL__N_19NonZeroOpIN3c107complexIdEEEEPKSL_lEENS0_5tupleIJPlS6_EEENSQ_IJSD_SD_EEES6_PiJS6_EEE10hipError_tPvRmT3_T4_T5_T6_T7_T9_mT8_P12ihipStream_tbDpT10_ENKUlT_T0_E_clISt17integral_constantIbLb1EES1E_EEDaS19_S1A_EUlS19_E_NS1_11comp_targetILNS1_3genE0ELNS1_11target_archE4294967295ELNS1_3gpuE0ELNS1_3repE0EEENS1_30default_config_static_selectorELNS0_4arch9wavefront6targetE0EEEvT1_, .Lfunc_end534-_ZN7rocprim17ROCPRIM_400000_NS6detail17trampoline_kernelINS0_14default_configENS1_25partition_config_selectorILNS1_17partition_subalgoE5ElNS0_10empty_typeEbEEZZNS1_14partition_implILS5_5ELb0ES3_mN6hipcub16HIPCUB_304000_NS21CountingInputIteratorIllEEPS6_NSA_22TransformInputIteratorIbN2at6native12_GLOBAL__N_19NonZeroOpIN3c107complexIdEEEEPKSL_lEENS0_5tupleIJPlS6_EEENSQ_IJSD_SD_EEES6_PiJS6_EEE10hipError_tPvRmT3_T4_T5_T6_T7_T9_mT8_P12ihipStream_tbDpT10_ENKUlT_T0_E_clISt17integral_constantIbLb1EES1E_EEDaS19_S1A_EUlS19_E_NS1_11comp_targetILNS1_3genE0ELNS1_11target_archE4294967295ELNS1_3gpuE0ELNS1_3repE0EEENS1_30default_config_static_selectorELNS0_4arch9wavefront6targetE0EEEvT1_
                                        ; -- End function
	.set _ZN7rocprim17ROCPRIM_400000_NS6detail17trampoline_kernelINS0_14default_configENS1_25partition_config_selectorILNS1_17partition_subalgoE5ElNS0_10empty_typeEbEEZZNS1_14partition_implILS5_5ELb0ES3_mN6hipcub16HIPCUB_304000_NS21CountingInputIteratorIllEEPS6_NSA_22TransformInputIteratorIbN2at6native12_GLOBAL__N_19NonZeroOpIN3c107complexIdEEEEPKSL_lEENS0_5tupleIJPlS6_EEENSQ_IJSD_SD_EEES6_PiJS6_EEE10hipError_tPvRmT3_T4_T5_T6_T7_T9_mT8_P12ihipStream_tbDpT10_ENKUlT_T0_E_clISt17integral_constantIbLb1EES1E_EEDaS19_S1A_EUlS19_E_NS1_11comp_targetILNS1_3genE0ELNS1_11target_archE4294967295ELNS1_3gpuE0ELNS1_3repE0EEENS1_30default_config_static_selectorELNS0_4arch9wavefront6targetE0EEEvT1_.num_vgpr, 0
	.set _ZN7rocprim17ROCPRIM_400000_NS6detail17trampoline_kernelINS0_14default_configENS1_25partition_config_selectorILNS1_17partition_subalgoE5ElNS0_10empty_typeEbEEZZNS1_14partition_implILS5_5ELb0ES3_mN6hipcub16HIPCUB_304000_NS21CountingInputIteratorIllEEPS6_NSA_22TransformInputIteratorIbN2at6native12_GLOBAL__N_19NonZeroOpIN3c107complexIdEEEEPKSL_lEENS0_5tupleIJPlS6_EEENSQ_IJSD_SD_EEES6_PiJS6_EEE10hipError_tPvRmT3_T4_T5_T6_T7_T9_mT8_P12ihipStream_tbDpT10_ENKUlT_T0_E_clISt17integral_constantIbLb1EES1E_EEDaS19_S1A_EUlS19_E_NS1_11comp_targetILNS1_3genE0ELNS1_11target_archE4294967295ELNS1_3gpuE0ELNS1_3repE0EEENS1_30default_config_static_selectorELNS0_4arch9wavefront6targetE0EEEvT1_.num_agpr, 0
	.set _ZN7rocprim17ROCPRIM_400000_NS6detail17trampoline_kernelINS0_14default_configENS1_25partition_config_selectorILNS1_17partition_subalgoE5ElNS0_10empty_typeEbEEZZNS1_14partition_implILS5_5ELb0ES3_mN6hipcub16HIPCUB_304000_NS21CountingInputIteratorIllEEPS6_NSA_22TransformInputIteratorIbN2at6native12_GLOBAL__N_19NonZeroOpIN3c107complexIdEEEEPKSL_lEENS0_5tupleIJPlS6_EEENSQ_IJSD_SD_EEES6_PiJS6_EEE10hipError_tPvRmT3_T4_T5_T6_T7_T9_mT8_P12ihipStream_tbDpT10_ENKUlT_T0_E_clISt17integral_constantIbLb1EES1E_EEDaS19_S1A_EUlS19_E_NS1_11comp_targetILNS1_3genE0ELNS1_11target_archE4294967295ELNS1_3gpuE0ELNS1_3repE0EEENS1_30default_config_static_selectorELNS0_4arch9wavefront6targetE0EEEvT1_.numbered_sgpr, 0
	.set _ZN7rocprim17ROCPRIM_400000_NS6detail17trampoline_kernelINS0_14default_configENS1_25partition_config_selectorILNS1_17partition_subalgoE5ElNS0_10empty_typeEbEEZZNS1_14partition_implILS5_5ELb0ES3_mN6hipcub16HIPCUB_304000_NS21CountingInputIteratorIllEEPS6_NSA_22TransformInputIteratorIbN2at6native12_GLOBAL__N_19NonZeroOpIN3c107complexIdEEEEPKSL_lEENS0_5tupleIJPlS6_EEENSQ_IJSD_SD_EEES6_PiJS6_EEE10hipError_tPvRmT3_T4_T5_T6_T7_T9_mT8_P12ihipStream_tbDpT10_ENKUlT_T0_E_clISt17integral_constantIbLb1EES1E_EEDaS19_S1A_EUlS19_E_NS1_11comp_targetILNS1_3genE0ELNS1_11target_archE4294967295ELNS1_3gpuE0ELNS1_3repE0EEENS1_30default_config_static_selectorELNS0_4arch9wavefront6targetE0EEEvT1_.num_named_barrier, 0
	.set _ZN7rocprim17ROCPRIM_400000_NS6detail17trampoline_kernelINS0_14default_configENS1_25partition_config_selectorILNS1_17partition_subalgoE5ElNS0_10empty_typeEbEEZZNS1_14partition_implILS5_5ELb0ES3_mN6hipcub16HIPCUB_304000_NS21CountingInputIteratorIllEEPS6_NSA_22TransformInputIteratorIbN2at6native12_GLOBAL__N_19NonZeroOpIN3c107complexIdEEEEPKSL_lEENS0_5tupleIJPlS6_EEENSQ_IJSD_SD_EEES6_PiJS6_EEE10hipError_tPvRmT3_T4_T5_T6_T7_T9_mT8_P12ihipStream_tbDpT10_ENKUlT_T0_E_clISt17integral_constantIbLb1EES1E_EEDaS19_S1A_EUlS19_E_NS1_11comp_targetILNS1_3genE0ELNS1_11target_archE4294967295ELNS1_3gpuE0ELNS1_3repE0EEENS1_30default_config_static_selectorELNS0_4arch9wavefront6targetE0EEEvT1_.private_seg_size, 0
	.set _ZN7rocprim17ROCPRIM_400000_NS6detail17trampoline_kernelINS0_14default_configENS1_25partition_config_selectorILNS1_17partition_subalgoE5ElNS0_10empty_typeEbEEZZNS1_14partition_implILS5_5ELb0ES3_mN6hipcub16HIPCUB_304000_NS21CountingInputIteratorIllEEPS6_NSA_22TransformInputIteratorIbN2at6native12_GLOBAL__N_19NonZeroOpIN3c107complexIdEEEEPKSL_lEENS0_5tupleIJPlS6_EEENSQ_IJSD_SD_EEES6_PiJS6_EEE10hipError_tPvRmT3_T4_T5_T6_T7_T9_mT8_P12ihipStream_tbDpT10_ENKUlT_T0_E_clISt17integral_constantIbLb1EES1E_EEDaS19_S1A_EUlS19_E_NS1_11comp_targetILNS1_3genE0ELNS1_11target_archE4294967295ELNS1_3gpuE0ELNS1_3repE0EEENS1_30default_config_static_selectorELNS0_4arch9wavefront6targetE0EEEvT1_.uses_vcc, 0
	.set _ZN7rocprim17ROCPRIM_400000_NS6detail17trampoline_kernelINS0_14default_configENS1_25partition_config_selectorILNS1_17partition_subalgoE5ElNS0_10empty_typeEbEEZZNS1_14partition_implILS5_5ELb0ES3_mN6hipcub16HIPCUB_304000_NS21CountingInputIteratorIllEEPS6_NSA_22TransformInputIteratorIbN2at6native12_GLOBAL__N_19NonZeroOpIN3c107complexIdEEEEPKSL_lEENS0_5tupleIJPlS6_EEENSQ_IJSD_SD_EEES6_PiJS6_EEE10hipError_tPvRmT3_T4_T5_T6_T7_T9_mT8_P12ihipStream_tbDpT10_ENKUlT_T0_E_clISt17integral_constantIbLb1EES1E_EEDaS19_S1A_EUlS19_E_NS1_11comp_targetILNS1_3genE0ELNS1_11target_archE4294967295ELNS1_3gpuE0ELNS1_3repE0EEENS1_30default_config_static_selectorELNS0_4arch9wavefront6targetE0EEEvT1_.uses_flat_scratch, 0
	.set _ZN7rocprim17ROCPRIM_400000_NS6detail17trampoline_kernelINS0_14default_configENS1_25partition_config_selectorILNS1_17partition_subalgoE5ElNS0_10empty_typeEbEEZZNS1_14partition_implILS5_5ELb0ES3_mN6hipcub16HIPCUB_304000_NS21CountingInputIteratorIllEEPS6_NSA_22TransformInputIteratorIbN2at6native12_GLOBAL__N_19NonZeroOpIN3c107complexIdEEEEPKSL_lEENS0_5tupleIJPlS6_EEENSQ_IJSD_SD_EEES6_PiJS6_EEE10hipError_tPvRmT3_T4_T5_T6_T7_T9_mT8_P12ihipStream_tbDpT10_ENKUlT_T0_E_clISt17integral_constantIbLb1EES1E_EEDaS19_S1A_EUlS19_E_NS1_11comp_targetILNS1_3genE0ELNS1_11target_archE4294967295ELNS1_3gpuE0ELNS1_3repE0EEENS1_30default_config_static_selectorELNS0_4arch9wavefront6targetE0EEEvT1_.has_dyn_sized_stack, 0
	.set _ZN7rocprim17ROCPRIM_400000_NS6detail17trampoline_kernelINS0_14default_configENS1_25partition_config_selectorILNS1_17partition_subalgoE5ElNS0_10empty_typeEbEEZZNS1_14partition_implILS5_5ELb0ES3_mN6hipcub16HIPCUB_304000_NS21CountingInputIteratorIllEEPS6_NSA_22TransformInputIteratorIbN2at6native12_GLOBAL__N_19NonZeroOpIN3c107complexIdEEEEPKSL_lEENS0_5tupleIJPlS6_EEENSQ_IJSD_SD_EEES6_PiJS6_EEE10hipError_tPvRmT3_T4_T5_T6_T7_T9_mT8_P12ihipStream_tbDpT10_ENKUlT_T0_E_clISt17integral_constantIbLb1EES1E_EEDaS19_S1A_EUlS19_E_NS1_11comp_targetILNS1_3genE0ELNS1_11target_archE4294967295ELNS1_3gpuE0ELNS1_3repE0EEENS1_30default_config_static_selectorELNS0_4arch9wavefront6targetE0EEEvT1_.has_recursion, 0
	.set _ZN7rocprim17ROCPRIM_400000_NS6detail17trampoline_kernelINS0_14default_configENS1_25partition_config_selectorILNS1_17partition_subalgoE5ElNS0_10empty_typeEbEEZZNS1_14partition_implILS5_5ELb0ES3_mN6hipcub16HIPCUB_304000_NS21CountingInputIteratorIllEEPS6_NSA_22TransformInputIteratorIbN2at6native12_GLOBAL__N_19NonZeroOpIN3c107complexIdEEEEPKSL_lEENS0_5tupleIJPlS6_EEENSQ_IJSD_SD_EEES6_PiJS6_EEE10hipError_tPvRmT3_T4_T5_T6_T7_T9_mT8_P12ihipStream_tbDpT10_ENKUlT_T0_E_clISt17integral_constantIbLb1EES1E_EEDaS19_S1A_EUlS19_E_NS1_11comp_targetILNS1_3genE0ELNS1_11target_archE4294967295ELNS1_3gpuE0ELNS1_3repE0EEENS1_30default_config_static_selectorELNS0_4arch9wavefront6targetE0EEEvT1_.has_indirect_call, 0
	.section	.AMDGPU.csdata,"",@progbits
; Kernel info:
; codeLenInByte = 0
; TotalNumSgprs: 0
; NumVgprs: 0
; ScratchSize: 0
; MemoryBound: 0
; FloatMode: 240
; IeeeMode: 1
; LDSByteSize: 0 bytes/workgroup (compile time only)
; SGPRBlocks: 0
; VGPRBlocks: 0
; NumSGPRsForWavesPerEU: 1
; NumVGPRsForWavesPerEU: 1
; Occupancy: 16
; WaveLimiterHint : 0
; COMPUTE_PGM_RSRC2:SCRATCH_EN: 0
; COMPUTE_PGM_RSRC2:USER_SGPR: 2
; COMPUTE_PGM_RSRC2:TRAP_HANDLER: 0
; COMPUTE_PGM_RSRC2:TGID_X_EN: 1
; COMPUTE_PGM_RSRC2:TGID_Y_EN: 0
; COMPUTE_PGM_RSRC2:TGID_Z_EN: 0
; COMPUTE_PGM_RSRC2:TIDIG_COMP_CNT: 0
	.section	.text._ZN7rocprim17ROCPRIM_400000_NS6detail17trampoline_kernelINS0_14default_configENS1_25partition_config_selectorILNS1_17partition_subalgoE5ElNS0_10empty_typeEbEEZZNS1_14partition_implILS5_5ELb0ES3_mN6hipcub16HIPCUB_304000_NS21CountingInputIteratorIllEEPS6_NSA_22TransformInputIteratorIbN2at6native12_GLOBAL__N_19NonZeroOpIN3c107complexIdEEEEPKSL_lEENS0_5tupleIJPlS6_EEENSQ_IJSD_SD_EEES6_PiJS6_EEE10hipError_tPvRmT3_T4_T5_T6_T7_T9_mT8_P12ihipStream_tbDpT10_ENKUlT_T0_E_clISt17integral_constantIbLb1EES1E_EEDaS19_S1A_EUlS19_E_NS1_11comp_targetILNS1_3genE5ELNS1_11target_archE942ELNS1_3gpuE9ELNS1_3repE0EEENS1_30default_config_static_selectorELNS0_4arch9wavefront6targetE0EEEvT1_,"axG",@progbits,_ZN7rocprim17ROCPRIM_400000_NS6detail17trampoline_kernelINS0_14default_configENS1_25partition_config_selectorILNS1_17partition_subalgoE5ElNS0_10empty_typeEbEEZZNS1_14partition_implILS5_5ELb0ES3_mN6hipcub16HIPCUB_304000_NS21CountingInputIteratorIllEEPS6_NSA_22TransformInputIteratorIbN2at6native12_GLOBAL__N_19NonZeroOpIN3c107complexIdEEEEPKSL_lEENS0_5tupleIJPlS6_EEENSQ_IJSD_SD_EEES6_PiJS6_EEE10hipError_tPvRmT3_T4_T5_T6_T7_T9_mT8_P12ihipStream_tbDpT10_ENKUlT_T0_E_clISt17integral_constantIbLb1EES1E_EEDaS19_S1A_EUlS19_E_NS1_11comp_targetILNS1_3genE5ELNS1_11target_archE942ELNS1_3gpuE9ELNS1_3repE0EEENS1_30default_config_static_selectorELNS0_4arch9wavefront6targetE0EEEvT1_,comdat
	.globl	_ZN7rocprim17ROCPRIM_400000_NS6detail17trampoline_kernelINS0_14default_configENS1_25partition_config_selectorILNS1_17partition_subalgoE5ElNS0_10empty_typeEbEEZZNS1_14partition_implILS5_5ELb0ES3_mN6hipcub16HIPCUB_304000_NS21CountingInputIteratorIllEEPS6_NSA_22TransformInputIteratorIbN2at6native12_GLOBAL__N_19NonZeroOpIN3c107complexIdEEEEPKSL_lEENS0_5tupleIJPlS6_EEENSQ_IJSD_SD_EEES6_PiJS6_EEE10hipError_tPvRmT3_T4_T5_T6_T7_T9_mT8_P12ihipStream_tbDpT10_ENKUlT_T0_E_clISt17integral_constantIbLb1EES1E_EEDaS19_S1A_EUlS19_E_NS1_11comp_targetILNS1_3genE5ELNS1_11target_archE942ELNS1_3gpuE9ELNS1_3repE0EEENS1_30default_config_static_selectorELNS0_4arch9wavefront6targetE0EEEvT1_ ; -- Begin function _ZN7rocprim17ROCPRIM_400000_NS6detail17trampoline_kernelINS0_14default_configENS1_25partition_config_selectorILNS1_17partition_subalgoE5ElNS0_10empty_typeEbEEZZNS1_14partition_implILS5_5ELb0ES3_mN6hipcub16HIPCUB_304000_NS21CountingInputIteratorIllEEPS6_NSA_22TransformInputIteratorIbN2at6native12_GLOBAL__N_19NonZeroOpIN3c107complexIdEEEEPKSL_lEENS0_5tupleIJPlS6_EEENSQ_IJSD_SD_EEES6_PiJS6_EEE10hipError_tPvRmT3_T4_T5_T6_T7_T9_mT8_P12ihipStream_tbDpT10_ENKUlT_T0_E_clISt17integral_constantIbLb1EES1E_EEDaS19_S1A_EUlS19_E_NS1_11comp_targetILNS1_3genE5ELNS1_11target_archE942ELNS1_3gpuE9ELNS1_3repE0EEENS1_30default_config_static_selectorELNS0_4arch9wavefront6targetE0EEEvT1_
	.p2align	8
	.type	_ZN7rocprim17ROCPRIM_400000_NS6detail17trampoline_kernelINS0_14default_configENS1_25partition_config_selectorILNS1_17partition_subalgoE5ElNS0_10empty_typeEbEEZZNS1_14partition_implILS5_5ELb0ES3_mN6hipcub16HIPCUB_304000_NS21CountingInputIteratorIllEEPS6_NSA_22TransformInputIteratorIbN2at6native12_GLOBAL__N_19NonZeroOpIN3c107complexIdEEEEPKSL_lEENS0_5tupleIJPlS6_EEENSQ_IJSD_SD_EEES6_PiJS6_EEE10hipError_tPvRmT3_T4_T5_T6_T7_T9_mT8_P12ihipStream_tbDpT10_ENKUlT_T0_E_clISt17integral_constantIbLb1EES1E_EEDaS19_S1A_EUlS19_E_NS1_11comp_targetILNS1_3genE5ELNS1_11target_archE942ELNS1_3gpuE9ELNS1_3repE0EEENS1_30default_config_static_selectorELNS0_4arch9wavefront6targetE0EEEvT1_,@function
_ZN7rocprim17ROCPRIM_400000_NS6detail17trampoline_kernelINS0_14default_configENS1_25partition_config_selectorILNS1_17partition_subalgoE5ElNS0_10empty_typeEbEEZZNS1_14partition_implILS5_5ELb0ES3_mN6hipcub16HIPCUB_304000_NS21CountingInputIteratorIllEEPS6_NSA_22TransformInputIteratorIbN2at6native12_GLOBAL__N_19NonZeroOpIN3c107complexIdEEEEPKSL_lEENS0_5tupleIJPlS6_EEENSQ_IJSD_SD_EEES6_PiJS6_EEE10hipError_tPvRmT3_T4_T5_T6_T7_T9_mT8_P12ihipStream_tbDpT10_ENKUlT_T0_E_clISt17integral_constantIbLb1EES1E_EEDaS19_S1A_EUlS19_E_NS1_11comp_targetILNS1_3genE5ELNS1_11target_archE942ELNS1_3gpuE9ELNS1_3repE0EEENS1_30default_config_static_selectorELNS0_4arch9wavefront6targetE0EEEvT1_: ; @_ZN7rocprim17ROCPRIM_400000_NS6detail17trampoline_kernelINS0_14default_configENS1_25partition_config_selectorILNS1_17partition_subalgoE5ElNS0_10empty_typeEbEEZZNS1_14partition_implILS5_5ELb0ES3_mN6hipcub16HIPCUB_304000_NS21CountingInputIteratorIllEEPS6_NSA_22TransformInputIteratorIbN2at6native12_GLOBAL__N_19NonZeroOpIN3c107complexIdEEEEPKSL_lEENS0_5tupleIJPlS6_EEENSQ_IJSD_SD_EEES6_PiJS6_EEE10hipError_tPvRmT3_T4_T5_T6_T7_T9_mT8_P12ihipStream_tbDpT10_ENKUlT_T0_E_clISt17integral_constantIbLb1EES1E_EEDaS19_S1A_EUlS19_E_NS1_11comp_targetILNS1_3genE5ELNS1_11target_archE942ELNS1_3gpuE9ELNS1_3repE0EEENS1_30default_config_static_selectorELNS0_4arch9wavefront6targetE0EEEvT1_
; %bb.0:
	.section	.rodata,"a",@progbits
	.p2align	6, 0x0
	.amdhsa_kernel _ZN7rocprim17ROCPRIM_400000_NS6detail17trampoline_kernelINS0_14default_configENS1_25partition_config_selectorILNS1_17partition_subalgoE5ElNS0_10empty_typeEbEEZZNS1_14partition_implILS5_5ELb0ES3_mN6hipcub16HIPCUB_304000_NS21CountingInputIteratorIllEEPS6_NSA_22TransformInputIteratorIbN2at6native12_GLOBAL__N_19NonZeroOpIN3c107complexIdEEEEPKSL_lEENS0_5tupleIJPlS6_EEENSQ_IJSD_SD_EEES6_PiJS6_EEE10hipError_tPvRmT3_T4_T5_T6_T7_T9_mT8_P12ihipStream_tbDpT10_ENKUlT_T0_E_clISt17integral_constantIbLb1EES1E_EEDaS19_S1A_EUlS19_E_NS1_11comp_targetILNS1_3genE5ELNS1_11target_archE942ELNS1_3gpuE9ELNS1_3repE0EEENS1_30default_config_static_selectorELNS0_4arch9wavefront6targetE0EEEvT1_
		.amdhsa_group_segment_fixed_size 0
		.amdhsa_private_segment_fixed_size 0
		.amdhsa_kernarg_size 136
		.amdhsa_user_sgpr_count 2
		.amdhsa_user_sgpr_dispatch_ptr 0
		.amdhsa_user_sgpr_queue_ptr 0
		.amdhsa_user_sgpr_kernarg_segment_ptr 1
		.amdhsa_user_sgpr_dispatch_id 0
		.amdhsa_user_sgpr_private_segment_size 0
		.amdhsa_wavefront_size32 1
		.amdhsa_uses_dynamic_stack 0
		.amdhsa_enable_private_segment 0
		.amdhsa_system_sgpr_workgroup_id_x 1
		.amdhsa_system_sgpr_workgroup_id_y 0
		.amdhsa_system_sgpr_workgroup_id_z 0
		.amdhsa_system_sgpr_workgroup_info 0
		.amdhsa_system_vgpr_workitem_id 0
		.amdhsa_next_free_vgpr 1
		.amdhsa_next_free_sgpr 1
		.amdhsa_reserve_vcc 0
		.amdhsa_float_round_mode_32 0
		.amdhsa_float_round_mode_16_64 0
		.amdhsa_float_denorm_mode_32 3
		.amdhsa_float_denorm_mode_16_64 3
		.amdhsa_fp16_overflow 0
		.amdhsa_workgroup_processor_mode 1
		.amdhsa_memory_ordered 1
		.amdhsa_forward_progress 1
		.amdhsa_inst_pref_size 0
		.amdhsa_round_robin_scheduling 0
		.amdhsa_exception_fp_ieee_invalid_op 0
		.amdhsa_exception_fp_denorm_src 0
		.amdhsa_exception_fp_ieee_div_zero 0
		.amdhsa_exception_fp_ieee_overflow 0
		.amdhsa_exception_fp_ieee_underflow 0
		.amdhsa_exception_fp_ieee_inexact 0
		.amdhsa_exception_int_div_zero 0
	.end_amdhsa_kernel
	.section	.text._ZN7rocprim17ROCPRIM_400000_NS6detail17trampoline_kernelINS0_14default_configENS1_25partition_config_selectorILNS1_17partition_subalgoE5ElNS0_10empty_typeEbEEZZNS1_14partition_implILS5_5ELb0ES3_mN6hipcub16HIPCUB_304000_NS21CountingInputIteratorIllEEPS6_NSA_22TransformInputIteratorIbN2at6native12_GLOBAL__N_19NonZeroOpIN3c107complexIdEEEEPKSL_lEENS0_5tupleIJPlS6_EEENSQ_IJSD_SD_EEES6_PiJS6_EEE10hipError_tPvRmT3_T4_T5_T6_T7_T9_mT8_P12ihipStream_tbDpT10_ENKUlT_T0_E_clISt17integral_constantIbLb1EES1E_EEDaS19_S1A_EUlS19_E_NS1_11comp_targetILNS1_3genE5ELNS1_11target_archE942ELNS1_3gpuE9ELNS1_3repE0EEENS1_30default_config_static_selectorELNS0_4arch9wavefront6targetE0EEEvT1_,"axG",@progbits,_ZN7rocprim17ROCPRIM_400000_NS6detail17trampoline_kernelINS0_14default_configENS1_25partition_config_selectorILNS1_17partition_subalgoE5ElNS0_10empty_typeEbEEZZNS1_14partition_implILS5_5ELb0ES3_mN6hipcub16HIPCUB_304000_NS21CountingInputIteratorIllEEPS6_NSA_22TransformInputIteratorIbN2at6native12_GLOBAL__N_19NonZeroOpIN3c107complexIdEEEEPKSL_lEENS0_5tupleIJPlS6_EEENSQ_IJSD_SD_EEES6_PiJS6_EEE10hipError_tPvRmT3_T4_T5_T6_T7_T9_mT8_P12ihipStream_tbDpT10_ENKUlT_T0_E_clISt17integral_constantIbLb1EES1E_EEDaS19_S1A_EUlS19_E_NS1_11comp_targetILNS1_3genE5ELNS1_11target_archE942ELNS1_3gpuE9ELNS1_3repE0EEENS1_30default_config_static_selectorELNS0_4arch9wavefront6targetE0EEEvT1_,comdat
.Lfunc_end535:
	.size	_ZN7rocprim17ROCPRIM_400000_NS6detail17trampoline_kernelINS0_14default_configENS1_25partition_config_selectorILNS1_17partition_subalgoE5ElNS0_10empty_typeEbEEZZNS1_14partition_implILS5_5ELb0ES3_mN6hipcub16HIPCUB_304000_NS21CountingInputIteratorIllEEPS6_NSA_22TransformInputIteratorIbN2at6native12_GLOBAL__N_19NonZeroOpIN3c107complexIdEEEEPKSL_lEENS0_5tupleIJPlS6_EEENSQ_IJSD_SD_EEES6_PiJS6_EEE10hipError_tPvRmT3_T4_T5_T6_T7_T9_mT8_P12ihipStream_tbDpT10_ENKUlT_T0_E_clISt17integral_constantIbLb1EES1E_EEDaS19_S1A_EUlS19_E_NS1_11comp_targetILNS1_3genE5ELNS1_11target_archE942ELNS1_3gpuE9ELNS1_3repE0EEENS1_30default_config_static_selectorELNS0_4arch9wavefront6targetE0EEEvT1_, .Lfunc_end535-_ZN7rocprim17ROCPRIM_400000_NS6detail17trampoline_kernelINS0_14default_configENS1_25partition_config_selectorILNS1_17partition_subalgoE5ElNS0_10empty_typeEbEEZZNS1_14partition_implILS5_5ELb0ES3_mN6hipcub16HIPCUB_304000_NS21CountingInputIteratorIllEEPS6_NSA_22TransformInputIteratorIbN2at6native12_GLOBAL__N_19NonZeroOpIN3c107complexIdEEEEPKSL_lEENS0_5tupleIJPlS6_EEENSQ_IJSD_SD_EEES6_PiJS6_EEE10hipError_tPvRmT3_T4_T5_T6_T7_T9_mT8_P12ihipStream_tbDpT10_ENKUlT_T0_E_clISt17integral_constantIbLb1EES1E_EEDaS19_S1A_EUlS19_E_NS1_11comp_targetILNS1_3genE5ELNS1_11target_archE942ELNS1_3gpuE9ELNS1_3repE0EEENS1_30default_config_static_selectorELNS0_4arch9wavefront6targetE0EEEvT1_
                                        ; -- End function
	.set _ZN7rocprim17ROCPRIM_400000_NS6detail17trampoline_kernelINS0_14default_configENS1_25partition_config_selectorILNS1_17partition_subalgoE5ElNS0_10empty_typeEbEEZZNS1_14partition_implILS5_5ELb0ES3_mN6hipcub16HIPCUB_304000_NS21CountingInputIteratorIllEEPS6_NSA_22TransformInputIteratorIbN2at6native12_GLOBAL__N_19NonZeroOpIN3c107complexIdEEEEPKSL_lEENS0_5tupleIJPlS6_EEENSQ_IJSD_SD_EEES6_PiJS6_EEE10hipError_tPvRmT3_T4_T5_T6_T7_T9_mT8_P12ihipStream_tbDpT10_ENKUlT_T0_E_clISt17integral_constantIbLb1EES1E_EEDaS19_S1A_EUlS19_E_NS1_11comp_targetILNS1_3genE5ELNS1_11target_archE942ELNS1_3gpuE9ELNS1_3repE0EEENS1_30default_config_static_selectorELNS0_4arch9wavefront6targetE0EEEvT1_.num_vgpr, 0
	.set _ZN7rocprim17ROCPRIM_400000_NS6detail17trampoline_kernelINS0_14default_configENS1_25partition_config_selectorILNS1_17partition_subalgoE5ElNS0_10empty_typeEbEEZZNS1_14partition_implILS5_5ELb0ES3_mN6hipcub16HIPCUB_304000_NS21CountingInputIteratorIllEEPS6_NSA_22TransformInputIteratorIbN2at6native12_GLOBAL__N_19NonZeroOpIN3c107complexIdEEEEPKSL_lEENS0_5tupleIJPlS6_EEENSQ_IJSD_SD_EEES6_PiJS6_EEE10hipError_tPvRmT3_T4_T5_T6_T7_T9_mT8_P12ihipStream_tbDpT10_ENKUlT_T0_E_clISt17integral_constantIbLb1EES1E_EEDaS19_S1A_EUlS19_E_NS1_11comp_targetILNS1_3genE5ELNS1_11target_archE942ELNS1_3gpuE9ELNS1_3repE0EEENS1_30default_config_static_selectorELNS0_4arch9wavefront6targetE0EEEvT1_.num_agpr, 0
	.set _ZN7rocprim17ROCPRIM_400000_NS6detail17trampoline_kernelINS0_14default_configENS1_25partition_config_selectorILNS1_17partition_subalgoE5ElNS0_10empty_typeEbEEZZNS1_14partition_implILS5_5ELb0ES3_mN6hipcub16HIPCUB_304000_NS21CountingInputIteratorIllEEPS6_NSA_22TransformInputIteratorIbN2at6native12_GLOBAL__N_19NonZeroOpIN3c107complexIdEEEEPKSL_lEENS0_5tupleIJPlS6_EEENSQ_IJSD_SD_EEES6_PiJS6_EEE10hipError_tPvRmT3_T4_T5_T6_T7_T9_mT8_P12ihipStream_tbDpT10_ENKUlT_T0_E_clISt17integral_constantIbLb1EES1E_EEDaS19_S1A_EUlS19_E_NS1_11comp_targetILNS1_3genE5ELNS1_11target_archE942ELNS1_3gpuE9ELNS1_3repE0EEENS1_30default_config_static_selectorELNS0_4arch9wavefront6targetE0EEEvT1_.numbered_sgpr, 0
	.set _ZN7rocprim17ROCPRIM_400000_NS6detail17trampoline_kernelINS0_14default_configENS1_25partition_config_selectorILNS1_17partition_subalgoE5ElNS0_10empty_typeEbEEZZNS1_14partition_implILS5_5ELb0ES3_mN6hipcub16HIPCUB_304000_NS21CountingInputIteratorIllEEPS6_NSA_22TransformInputIteratorIbN2at6native12_GLOBAL__N_19NonZeroOpIN3c107complexIdEEEEPKSL_lEENS0_5tupleIJPlS6_EEENSQ_IJSD_SD_EEES6_PiJS6_EEE10hipError_tPvRmT3_T4_T5_T6_T7_T9_mT8_P12ihipStream_tbDpT10_ENKUlT_T0_E_clISt17integral_constantIbLb1EES1E_EEDaS19_S1A_EUlS19_E_NS1_11comp_targetILNS1_3genE5ELNS1_11target_archE942ELNS1_3gpuE9ELNS1_3repE0EEENS1_30default_config_static_selectorELNS0_4arch9wavefront6targetE0EEEvT1_.num_named_barrier, 0
	.set _ZN7rocprim17ROCPRIM_400000_NS6detail17trampoline_kernelINS0_14default_configENS1_25partition_config_selectorILNS1_17partition_subalgoE5ElNS0_10empty_typeEbEEZZNS1_14partition_implILS5_5ELb0ES3_mN6hipcub16HIPCUB_304000_NS21CountingInputIteratorIllEEPS6_NSA_22TransformInputIteratorIbN2at6native12_GLOBAL__N_19NonZeroOpIN3c107complexIdEEEEPKSL_lEENS0_5tupleIJPlS6_EEENSQ_IJSD_SD_EEES6_PiJS6_EEE10hipError_tPvRmT3_T4_T5_T6_T7_T9_mT8_P12ihipStream_tbDpT10_ENKUlT_T0_E_clISt17integral_constantIbLb1EES1E_EEDaS19_S1A_EUlS19_E_NS1_11comp_targetILNS1_3genE5ELNS1_11target_archE942ELNS1_3gpuE9ELNS1_3repE0EEENS1_30default_config_static_selectorELNS0_4arch9wavefront6targetE0EEEvT1_.private_seg_size, 0
	.set _ZN7rocprim17ROCPRIM_400000_NS6detail17trampoline_kernelINS0_14default_configENS1_25partition_config_selectorILNS1_17partition_subalgoE5ElNS0_10empty_typeEbEEZZNS1_14partition_implILS5_5ELb0ES3_mN6hipcub16HIPCUB_304000_NS21CountingInputIteratorIllEEPS6_NSA_22TransformInputIteratorIbN2at6native12_GLOBAL__N_19NonZeroOpIN3c107complexIdEEEEPKSL_lEENS0_5tupleIJPlS6_EEENSQ_IJSD_SD_EEES6_PiJS6_EEE10hipError_tPvRmT3_T4_T5_T6_T7_T9_mT8_P12ihipStream_tbDpT10_ENKUlT_T0_E_clISt17integral_constantIbLb1EES1E_EEDaS19_S1A_EUlS19_E_NS1_11comp_targetILNS1_3genE5ELNS1_11target_archE942ELNS1_3gpuE9ELNS1_3repE0EEENS1_30default_config_static_selectorELNS0_4arch9wavefront6targetE0EEEvT1_.uses_vcc, 0
	.set _ZN7rocprim17ROCPRIM_400000_NS6detail17trampoline_kernelINS0_14default_configENS1_25partition_config_selectorILNS1_17partition_subalgoE5ElNS0_10empty_typeEbEEZZNS1_14partition_implILS5_5ELb0ES3_mN6hipcub16HIPCUB_304000_NS21CountingInputIteratorIllEEPS6_NSA_22TransformInputIteratorIbN2at6native12_GLOBAL__N_19NonZeroOpIN3c107complexIdEEEEPKSL_lEENS0_5tupleIJPlS6_EEENSQ_IJSD_SD_EEES6_PiJS6_EEE10hipError_tPvRmT3_T4_T5_T6_T7_T9_mT8_P12ihipStream_tbDpT10_ENKUlT_T0_E_clISt17integral_constantIbLb1EES1E_EEDaS19_S1A_EUlS19_E_NS1_11comp_targetILNS1_3genE5ELNS1_11target_archE942ELNS1_3gpuE9ELNS1_3repE0EEENS1_30default_config_static_selectorELNS0_4arch9wavefront6targetE0EEEvT1_.uses_flat_scratch, 0
	.set _ZN7rocprim17ROCPRIM_400000_NS6detail17trampoline_kernelINS0_14default_configENS1_25partition_config_selectorILNS1_17partition_subalgoE5ElNS0_10empty_typeEbEEZZNS1_14partition_implILS5_5ELb0ES3_mN6hipcub16HIPCUB_304000_NS21CountingInputIteratorIllEEPS6_NSA_22TransformInputIteratorIbN2at6native12_GLOBAL__N_19NonZeroOpIN3c107complexIdEEEEPKSL_lEENS0_5tupleIJPlS6_EEENSQ_IJSD_SD_EEES6_PiJS6_EEE10hipError_tPvRmT3_T4_T5_T6_T7_T9_mT8_P12ihipStream_tbDpT10_ENKUlT_T0_E_clISt17integral_constantIbLb1EES1E_EEDaS19_S1A_EUlS19_E_NS1_11comp_targetILNS1_3genE5ELNS1_11target_archE942ELNS1_3gpuE9ELNS1_3repE0EEENS1_30default_config_static_selectorELNS0_4arch9wavefront6targetE0EEEvT1_.has_dyn_sized_stack, 0
	.set _ZN7rocprim17ROCPRIM_400000_NS6detail17trampoline_kernelINS0_14default_configENS1_25partition_config_selectorILNS1_17partition_subalgoE5ElNS0_10empty_typeEbEEZZNS1_14partition_implILS5_5ELb0ES3_mN6hipcub16HIPCUB_304000_NS21CountingInputIteratorIllEEPS6_NSA_22TransformInputIteratorIbN2at6native12_GLOBAL__N_19NonZeroOpIN3c107complexIdEEEEPKSL_lEENS0_5tupleIJPlS6_EEENSQ_IJSD_SD_EEES6_PiJS6_EEE10hipError_tPvRmT3_T4_T5_T6_T7_T9_mT8_P12ihipStream_tbDpT10_ENKUlT_T0_E_clISt17integral_constantIbLb1EES1E_EEDaS19_S1A_EUlS19_E_NS1_11comp_targetILNS1_3genE5ELNS1_11target_archE942ELNS1_3gpuE9ELNS1_3repE0EEENS1_30default_config_static_selectorELNS0_4arch9wavefront6targetE0EEEvT1_.has_recursion, 0
	.set _ZN7rocprim17ROCPRIM_400000_NS6detail17trampoline_kernelINS0_14default_configENS1_25partition_config_selectorILNS1_17partition_subalgoE5ElNS0_10empty_typeEbEEZZNS1_14partition_implILS5_5ELb0ES3_mN6hipcub16HIPCUB_304000_NS21CountingInputIteratorIllEEPS6_NSA_22TransformInputIteratorIbN2at6native12_GLOBAL__N_19NonZeroOpIN3c107complexIdEEEEPKSL_lEENS0_5tupleIJPlS6_EEENSQ_IJSD_SD_EEES6_PiJS6_EEE10hipError_tPvRmT3_T4_T5_T6_T7_T9_mT8_P12ihipStream_tbDpT10_ENKUlT_T0_E_clISt17integral_constantIbLb1EES1E_EEDaS19_S1A_EUlS19_E_NS1_11comp_targetILNS1_3genE5ELNS1_11target_archE942ELNS1_3gpuE9ELNS1_3repE0EEENS1_30default_config_static_selectorELNS0_4arch9wavefront6targetE0EEEvT1_.has_indirect_call, 0
	.section	.AMDGPU.csdata,"",@progbits
; Kernel info:
; codeLenInByte = 0
; TotalNumSgprs: 0
; NumVgprs: 0
; ScratchSize: 0
; MemoryBound: 0
; FloatMode: 240
; IeeeMode: 1
; LDSByteSize: 0 bytes/workgroup (compile time only)
; SGPRBlocks: 0
; VGPRBlocks: 0
; NumSGPRsForWavesPerEU: 1
; NumVGPRsForWavesPerEU: 1
; Occupancy: 16
; WaveLimiterHint : 0
; COMPUTE_PGM_RSRC2:SCRATCH_EN: 0
; COMPUTE_PGM_RSRC2:USER_SGPR: 2
; COMPUTE_PGM_RSRC2:TRAP_HANDLER: 0
; COMPUTE_PGM_RSRC2:TGID_X_EN: 1
; COMPUTE_PGM_RSRC2:TGID_Y_EN: 0
; COMPUTE_PGM_RSRC2:TGID_Z_EN: 0
; COMPUTE_PGM_RSRC2:TIDIG_COMP_CNT: 0
	.section	.text._ZN7rocprim17ROCPRIM_400000_NS6detail17trampoline_kernelINS0_14default_configENS1_25partition_config_selectorILNS1_17partition_subalgoE5ElNS0_10empty_typeEbEEZZNS1_14partition_implILS5_5ELb0ES3_mN6hipcub16HIPCUB_304000_NS21CountingInputIteratorIllEEPS6_NSA_22TransformInputIteratorIbN2at6native12_GLOBAL__N_19NonZeroOpIN3c107complexIdEEEEPKSL_lEENS0_5tupleIJPlS6_EEENSQ_IJSD_SD_EEES6_PiJS6_EEE10hipError_tPvRmT3_T4_T5_T6_T7_T9_mT8_P12ihipStream_tbDpT10_ENKUlT_T0_E_clISt17integral_constantIbLb1EES1E_EEDaS19_S1A_EUlS19_E_NS1_11comp_targetILNS1_3genE4ELNS1_11target_archE910ELNS1_3gpuE8ELNS1_3repE0EEENS1_30default_config_static_selectorELNS0_4arch9wavefront6targetE0EEEvT1_,"axG",@progbits,_ZN7rocprim17ROCPRIM_400000_NS6detail17trampoline_kernelINS0_14default_configENS1_25partition_config_selectorILNS1_17partition_subalgoE5ElNS0_10empty_typeEbEEZZNS1_14partition_implILS5_5ELb0ES3_mN6hipcub16HIPCUB_304000_NS21CountingInputIteratorIllEEPS6_NSA_22TransformInputIteratorIbN2at6native12_GLOBAL__N_19NonZeroOpIN3c107complexIdEEEEPKSL_lEENS0_5tupleIJPlS6_EEENSQ_IJSD_SD_EEES6_PiJS6_EEE10hipError_tPvRmT3_T4_T5_T6_T7_T9_mT8_P12ihipStream_tbDpT10_ENKUlT_T0_E_clISt17integral_constantIbLb1EES1E_EEDaS19_S1A_EUlS19_E_NS1_11comp_targetILNS1_3genE4ELNS1_11target_archE910ELNS1_3gpuE8ELNS1_3repE0EEENS1_30default_config_static_selectorELNS0_4arch9wavefront6targetE0EEEvT1_,comdat
	.globl	_ZN7rocprim17ROCPRIM_400000_NS6detail17trampoline_kernelINS0_14default_configENS1_25partition_config_selectorILNS1_17partition_subalgoE5ElNS0_10empty_typeEbEEZZNS1_14partition_implILS5_5ELb0ES3_mN6hipcub16HIPCUB_304000_NS21CountingInputIteratorIllEEPS6_NSA_22TransformInputIteratorIbN2at6native12_GLOBAL__N_19NonZeroOpIN3c107complexIdEEEEPKSL_lEENS0_5tupleIJPlS6_EEENSQ_IJSD_SD_EEES6_PiJS6_EEE10hipError_tPvRmT3_T4_T5_T6_T7_T9_mT8_P12ihipStream_tbDpT10_ENKUlT_T0_E_clISt17integral_constantIbLb1EES1E_EEDaS19_S1A_EUlS19_E_NS1_11comp_targetILNS1_3genE4ELNS1_11target_archE910ELNS1_3gpuE8ELNS1_3repE0EEENS1_30default_config_static_selectorELNS0_4arch9wavefront6targetE0EEEvT1_ ; -- Begin function _ZN7rocprim17ROCPRIM_400000_NS6detail17trampoline_kernelINS0_14default_configENS1_25partition_config_selectorILNS1_17partition_subalgoE5ElNS0_10empty_typeEbEEZZNS1_14partition_implILS5_5ELb0ES3_mN6hipcub16HIPCUB_304000_NS21CountingInputIteratorIllEEPS6_NSA_22TransformInputIteratorIbN2at6native12_GLOBAL__N_19NonZeroOpIN3c107complexIdEEEEPKSL_lEENS0_5tupleIJPlS6_EEENSQ_IJSD_SD_EEES6_PiJS6_EEE10hipError_tPvRmT3_T4_T5_T6_T7_T9_mT8_P12ihipStream_tbDpT10_ENKUlT_T0_E_clISt17integral_constantIbLb1EES1E_EEDaS19_S1A_EUlS19_E_NS1_11comp_targetILNS1_3genE4ELNS1_11target_archE910ELNS1_3gpuE8ELNS1_3repE0EEENS1_30default_config_static_selectorELNS0_4arch9wavefront6targetE0EEEvT1_
	.p2align	8
	.type	_ZN7rocprim17ROCPRIM_400000_NS6detail17trampoline_kernelINS0_14default_configENS1_25partition_config_selectorILNS1_17partition_subalgoE5ElNS0_10empty_typeEbEEZZNS1_14partition_implILS5_5ELb0ES3_mN6hipcub16HIPCUB_304000_NS21CountingInputIteratorIllEEPS6_NSA_22TransformInputIteratorIbN2at6native12_GLOBAL__N_19NonZeroOpIN3c107complexIdEEEEPKSL_lEENS0_5tupleIJPlS6_EEENSQ_IJSD_SD_EEES6_PiJS6_EEE10hipError_tPvRmT3_T4_T5_T6_T7_T9_mT8_P12ihipStream_tbDpT10_ENKUlT_T0_E_clISt17integral_constantIbLb1EES1E_EEDaS19_S1A_EUlS19_E_NS1_11comp_targetILNS1_3genE4ELNS1_11target_archE910ELNS1_3gpuE8ELNS1_3repE0EEENS1_30default_config_static_selectorELNS0_4arch9wavefront6targetE0EEEvT1_,@function
_ZN7rocprim17ROCPRIM_400000_NS6detail17trampoline_kernelINS0_14default_configENS1_25partition_config_selectorILNS1_17partition_subalgoE5ElNS0_10empty_typeEbEEZZNS1_14partition_implILS5_5ELb0ES3_mN6hipcub16HIPCUB_304000_NS21CountingInputIteratorIllEEPS6_NSA_22TransformInputIteratorIbN2at6native12_GLOBAL__N_19NonZeroOpIN3c107complexIdEEEEPKSL_lEENS0_5tupleIJPlS6_EEENSQ_IJSD_SD_EEES6_PiJS6_EEE10hipError_tPvRmT3_T4_T5_T6_T7_T9_mT8_P12ihipStream_tbDpT10_ENKUlT_T0_E_clISt17integral_constantIbLb1EES1E_EEDaS19_S1A_EUlS19_E_NS1_11comp_targetILNS1_3genE4ELNS1_11target_archE910ELNS1_3gpuE8ELNS1_3repE0EEENS1_30default_config_static_selectorELNS0_4arch9wavefront6targetE0EEEvT1_: ; @_ZN7rocprim17ROCPRIM_400000_NS6detail17trampoline_kernelINS0_14default_configENS1_25partition_config_selectorILNS1_17partition_subalgoE5ElNS0_10empty_typeEbEEZZNS1_14partition_implILS5_5ELb0ES3_mN6hipcub16HIPCUB_304000_NS21CountingInputIteratorIllEEPS6_NSA_22TransformInputIteratorIbN2at6native12_GLOBAL__N_19NonZeroOpIN3c107complexIdEEEEPKSL_lEENS0_5tupleIJPlS6_EEENSQ_IJSD_SD_EEES6_PiJS6_EEE10hipError_tPvRmT3_T4_T5_T6_T7_T9_mT8_P12ihipStream_tbDpT10_ENKUlT_T0_E_clISt17integral_constantIbLb1EES1E_EEDaS19_S1A_EUlS19_E_NS1_11comp_targetILNS1_3genE4ELNS1_11target_archE910ELNS1_3gpuE8ELNS1_3repE0EEENS1_30default_config_static_selectorELNS0_4arch9wavefront6targetE0EEEvT1_
; %bb.0:
	.section	.rodata,"a",@progbits
	.p2align	6, 0x0
	.amdhsa_kernel _ZN7rocprim17ROCPRIM_400000_NS6detail17trampoline_kernelINS0_14default_configENS1_25partition_config_selectorILNS1_17partition_subalgoE5ElNS0_10empty_typeEbEEZZNS1_14partition_implILS5_5ELb0ES3_mN6hipcub16HIPCUB_304000_NS21CountingInputIteratorIllEEPS6_NSA_22TransformInputIteratorIbN2at6native12_GLOBAL__N_19NonZeroOpIN3c107complexIdEEEEPKSL_lEENS0_5tupleIJPlS6_EEENSQ_IJSD_SD_EEES6_PiJS6_EEE10hipError_tPvRmT3_T4_T5_T6_T7_T9_mT8_P12ihipStream_tbDpT10_ENKUlT_T0_E_clISt17integral_constantIbLb1EES1E_EEDaS19_S1A_EUlS19_E_NS1_11comp_targetILNS1_3genE4ELNS1_11target_archE910ELNS1_3gpuE8ELNS1_3repE0EEENS1_30default_config_static_selectorELNS0_4arch9wavefront6targetE0EEEvT1_
		.amdhsa_group_segment_fixed_size 0
		.amdhsa_private_segment_fixed_size 0
		.amdhsa_kernarg_size 136
		.amdhsa_user_sgpr_count 2
		.amdhsa_user_sgpr_dispatch_ptr 0
		.amdhsa_user_sgpr_queue_ptr 0
		.amdhsa_user_sgpr_kernarg_segment_ptr 1
		.amdhsa_user_sgpr_dispatch_id 0
		.amdhsa_user_sgpr_private_segment_size 0
		.amdhsa_wavefront_size32 1
		.amdhsa_uses_dynamic_stack 0
		.amdhsa_enable_private_segment 0
		.amdhsa_system_sgpr_workgroup_id_x 1
		.amdhsa_system_sgpr_workgroup_id_y 0
		.amdhsa_system_sgpr_workgroup_id_z 0
		.amdhsa_system_sgpr_workgroup_info 0
		.amdhsa_system_vgpr_workitem_id 0
		.amdhsa_next_free_vgpr 1
		.amdhsa_next_free_sgpr 1
		.amdhsa_reserve_vcc 0
		.amdhsa_float_round_mode_32 0
		.amdhsa_float_round_mode_16_64 0
		.amdhsa_float_denorm_mode_32 3
		.amdhsa_float_denorm_mode_16_64 3
		.amdhsa_fp16_overflow 0
		.amdhsa_workgroup_processor_mode 1
		.amdhsa_memory_ordered 1
		.amdhsa_forward_progress 1
		.amdhsa_inst_pref_size 0
		.amdhsa_round_robin_scheduling 0
		.amdhsa_exception_fp_ieee_invalid_op 0
		.amdhsa_exception_fp_denorm_src 0
		.amdhsa_exception_fp_ieee_div_zero 0
		.amdhsa_exception_fp_ieee_overflow 0
		.amdhsa_exception_fp_ieee_underflow 0
		.amdhsa_exception_fp_ieee_inexact 0
		.amdhsa_exception_int_div_zero 0
	.end_amdhsa_kernel
	.section	.text._ZN7rocprim17ROCPRIM_400000_NS6detail17trampoline_kernelINS0_14default_configENS1_25partition_config_selectorILNS1_17partition_subalgoE5ElNS0_10empty_typeEbEEZZNS1_14partition_implILS5_5ELb0ES3_mN6hipcub16HIPCUB_304000_NS21CountingInputIteratorIllEEPS6_NSA_22TransformInputIteratorIbN2at6native12_GLOBAL__N_19NonZeroOpIN3c107complexIdEEEEPKSL_lEENS0_5tupleIJPlS6_EEENSQ_IJSD_SD_EEES6_PiJS6_EEE10hipError_tPvRmT3_T4_T5_T6_T7_T9_mT8_P12ihipStream_tbDpT10_ENKUlT_T0_E_clISt17integral_constantIbLb1EES1E_EEDaS19_S1A_EUlS19_E_NS1_11comp_targetILNS1_3genE4ELNS1_11target_archE910ELNS1_3gpuE8ELNS1_3repE0EEENS1_30default_config_static_selectorELNS0_4arch9wavefront6targetE0EEEvT1_,"axG",@progbits,_ZN7rocprim17ROCPRIM_400000_NS6detail17trampoline_kernelINS0_14default_configENS1_25partition_config_selectorILNS1_17partition_subalgoE5ElNS0_10empty_typeEbEEZZNS1_14partition_implILS5_5ELb0ES3_mN6hipcub16HIPCUB_304000_NS21CountingInputIteratorIllEEPS6_NSA_22TransformInputIteratorIbN2at6native12_GLOBAL__N_19NonZeroOpIN3c107complexIdEEEEPKSL_lEENS0_5tupleIJPlS6_EEENSQ_IJSD_SD_EEES6_PiJS6_EEE10hipError_tPvRmT3_T4_T5_T6_T7_T9_mT8_P12ihipStream_tbDpT10_ENKUlT_T0_E_clISt17integral_constantIbLb1EES1E_EEDaS19_S1A_EUlS19_E_NS1_11comp_targetILNS1_3genE4ELNS1_11target_archE910ELNS1_3gpuE8ELNS1_3repE0EEENS1_30default_config_static_selectorELNS0_4arch9wavefront6targetE0EEEvT1_,comdat
.Lfunc_end536:
	.size	_ZN7rocprim17ROCPRIM_400000_NS6detail17trampoline_kernelINS0_14default_configENS1_25partition_config_selectorILNS1_17partition_subalgoE5ElNS0_10empty_typeEbEEZZNS1_14partition_implILS5_5ELb0ES3_mN6hipcub16HIPCUB_304000_NS21CountingInputIteratorIllEEPS6_NSA_22TransformInputIteratorIbN2at6native12_GLOBAL__N_19NonZeroOpIN3c107complexIdEEEEPKSL_lEENS0_5tupleIJPlS6_EEENSQ_IJSD_SD_EEES6_PiJS6_EEE10hipError_tPvRmT3_T4_T5_T6_T7_T9_mT8_P12ihipStream_tbDpT10_ENKUlT_T0_E_clISt17integral_constantIbLb1EES1E_EEDaS19_S1A_EUlS19_E_NS1_11comp_targetILNS1_3genE4ELNS1_11target_archE910ELNS1_3gpuE8ELNS1_3repE0EEENS1_30default_config_static_selectorELNS0_4arch9wavefront6targetE0EEEvT1_, .Lfunc_end536-_ZN7rocprim17ROCPRIM_400000_NS6detail17trampoline_kernelINS0_14default_configENS1_25partition_config_selectorILNS1_17partition_subalgoE5ElNS0_10empty_typeEbEEZZNS1_14partition_implILS5_5ELb0ES3_mN6hipcub16HIPCUB_304000_NS21CountingInputIteratorIllEEPS6_NSA_22TransformInputIteratorIbN2at6native12_GLOBAL__N_19NonZeroOpIN3c107complexIdEEEEPKSL_lEENS0_5tupleIJPlS6_EEENSQ_IJSD_SD_EEES6_PiJS6_EEE10hipError_tPvRmT3_T4_T5_T6_T7_T9_mT8_P12ihipStream_tbDpT10_ENKUlT_T0_E_clISt17integral_constantIbLb1EES1E_EEDaS19_S1A_EUlS19_E_NS1_11comp_targetILNS1_3genE4ELNS1_11target_archE910ELNS1_3gpuE8ELNS1_3repE0EEENS1_30default_config_static_selectorELNS0_4arch9wavefront6targetE0EEEvT1_
                                        ; -- End function
	.set _ZN7rocprim17ROCPRIM_400000_NS6detail17trampoline_kernelINS0_14default_configENS1_25partition_config_selectorILNS1_17partition_subalgoE5ElNS0_10empty_typeEbEEZZNS1_14partition_implILS5_5ELb0ES3_mN6hipcub16HIPCUB_304000_NS21CountingInputIteratorIllEEPS6_NSA_22TransformInputIteratorIbN2at6native12_GLOBAL__N_19NonZeroOpIN3c107complexIdEEEEPKSL_lEENS0_5tupleIJPlS6_EEENSQ_IJSD_SD_EEES6_PiJS6_EEE10hipError_tPvRmT3_T4_T5_T6_T7_T9_mT8_P12ihipStream_tbDpT10_ENKUlT_T0_E_clISt17integral_constantIbLb1EES1E_EEDaS19_S1A_EUlS19_E_NS1_11comp_targetILNS1_3genE4ELNS1_11target_archE910ELNS1_3gpuE8ELNS1_3repE0EEENS1_30default_config_static_selectorELNS0_4arch9wavefront6targetE0EEEvT1_.num_vgpr, 0
	.set _ZN7rocprim17ROCPRIM_400000_NS6detail17trampoline_kernelINS0_14default_configENS1_25partition_config_selectorILNS1_17partition_subalgoE5ElNS0_10empty_typeEbEEZZNS1_14partition_implILS5_5ELb0ES3_mN6hipcub16HIPCUB_304000_NS21CountingInputIteratorIllEEPS6_NSA_22TransformInputIteratorIbN2at6native12_GLOBAL__N_19NonZeroOpIN3c107complexIdEEEEPKSL_lEENS0_5tupleIJPlS6_EEENSQ_IJSD_SD_EEES6_PiJS6_EEE10hipError_tPvRmT3_T4_T5_T6_T7_T9_mT8_P12ihipStream_tbDpT10_ENKUlT_T0_E_clISt17integral_constantIbLb1EES1E_EEDaS19_S1A_EUlS19_E_NS1_11comp_targetILNS1_3genE4ELNS1_11target_archE910ELNS1_3gpuE8ELNS1_3repE0EEENS1_30default_config_static_selectorELNS0_4arch9wavefront6targetE0EEEvT1_.num_agpr, 0
	.set _ZN7rocprim17ROCPRIM_400000_NS6detail17trampoline_kernelINS0_14default_configENS1_25partition_config_selectorILNS1_17partition_subalgoE5ElNS0_10empty_typeEbEEZZNS1_14partition_implILS5_5ELb0ES3_mN6hipcub16HIPCUB_304000_NS21CountingInputIteratorIllEEPS6_NSA_22TransformInputIteratorIbN2at6native12_GLOBAL__N_19NonZeroOpIN3c107complexIdEEEEPKSL_lEENS0_5tupleIJPlS6_EEENSQ_IJSD_SD_EEES6_PiJS6_EEE10hipError_tPvRmT3_T4_T5_T6_T7_T9_mT8_P12ihipStream_tbDpT10_ENKUlT_T0_E_clISt17integral_constantIbLb1EES1E_EEDaS19_S1A_EUlS19_E_NS1_11comp_targetILNS1_3genE4ELNS1_11target_archE910ELNS1_3gpuE8ELNS1_3repE0EEENS1_30default_config_static_selectorELNS0_4arch9wavefront6targetE0EEEvT1_.numbered_sgpr, 0
	.set _ZN7rocprim17ROCPRIM_400000_NS6detail17trampoline_kernelINS0_14default_configENS1_25partition_config_selectorILNS1_17partition_subalgoE5ElNS0_10empty_typeEbEEZZNS1_14partition_implILS5_5ELb0ES3_mN6hipcub16HIPCUB_304000_NS21CountingInputIteratorIllEEPS6_NSA_22TransformInputIteratorIbN2at6native12_GLOBAL__N_19NonZeroOpIN3c107complexIdEEEEPKSL_lEENS0_5tupleIJPlS6_EEENSQ_IJSD_SD_EEES6_PiJS6_EEE10hipError_tPvRmT3_T4_T5_T6_T7_T9_mT8_P12ihipStream_tbDpT10_ENKUlT_T0_E_clISt17integral_constantIbLb1EES1E_EEDaS19_S1A_EUlS19_E_NS1_11comp_targetILNS1_3genE4ELNS1_11target_archE910ELNS1_3gpuE8ELNS1_3repE0EEENS1_30default_config_static_selectorELNS0_4arch9wavefront6targetE0EEEvT1_.num_named_barrier, 0
	.set _ZN7rocprim17ROCPRIM_400000_NS6detail17trampoline_kernelINS0_14default_configENS1_25partition_config_selectorILNS1_17partition_subalgoE5ElNS0_10empty_typeEbEEZZNS1_14partition_implILS5_5ELb0ES3_mN6hipcub16HIPCUB_304000_NS21CountingInputIteratorIllEEPS6_NSA_22TransformInputIteratorIbN2at6native12_GLOBAL__N_19NonZeroOpIN3c107complexIdEEEEPKSL_lEENS0_5tupleIJPlS6_EEENSQ_IJSD_SD_EEES6_PiJS6_EEE10hipError_tPvRmT3_T4_T5_T6_T7_T9_mT8_P12ihipStream_tbDpT10_ENKUlT_T0_E_clISt17integral_constantIbLb1EES1E_EEDaS19_S1A_EUlS19_E_NS1_11comp_targetILNS1_3genE4ELNS1_11target_archE910ELNS1_3gpuE8ELNS1_3repE0EEENS1_30default_config_static_selectorELNS0_4arch9wavefront6targetE0EEEvT1_.private_seg_size, 0
	.set _ZN7rocprim17ROCPRIM_400000_NS6detail17trampoline_kernelINS0_14default_configENS1_25partition_config_selectorILNS1_17partition_subalgoE5ElNS0_10empty_typeEbEEZZNS1_14partition_implILS5_5ELb0ES3_mN6hipcub16HIPCUB_304000_NS21CountingInputIteratorIllEEPS6_NSA_22TransformInputIteratorIbN2at6native12_GLOBAL__N_19NonZeroOpIN3c107complexIdEEEEPKSL_lEENS0_5tupleIJPlS6_EEENSQ_IJSD_SD_EEES6_PiJS6_EEE10hipError_tPvRmT3_T4_T5_T6_T7_T9_mT8_P12ihipStream_tbDpT10_ENKUlT_T0_E_clISt17integral_constantIbLb1EES1E_EEDaS19_S1A_EUlS19_E_NS1_11comp_targetILNS1_3genE4ELNS1_11target_archE910ELNS1_3gpuE8ELNS1_3repE0EEENS1_30default_config_static_selectorELNS0_4arch9wavefront6targetE0EEEvT1_.uses_vcc, 0
	.set _ZN7rocprim17ROCPRIM_400000_NS6detail17trampoline_kernelINS0_14default_configENS1_25partition_config_selectorILNS1_17partition_subalgoE5ElNS0_10empty_typeEbEEZZNS1_14partition_implILS5_5ELb0ES3_mN6hipcub16HIPCUB_304000_NS21CountingInputIteratorIllEEPS6_NSA_22TransformInputIteratorIbN2at6native12_GLOBAL__N_19NonZeroOpIN3c107complexIdEEEEPKSL_lEENS0_5tupleIJPlS6_EEENSQ_IJSD_SD_EEES6_PiJS6_EEE10hipError_tPvRmT3_T4_T5_T6_T7_T9_mT8_P12ihipStream_tbDpT10_ENKUlT_T0_E_clISt17integral_constantIbLb1EES1E_EEDaS19_S1A_EUlS19_E_NS1_11comp_targetILNS1_3genE4ELNS1_11target_archE910ELNS1_3gpuE8ELNS1_3repE0EEENS1_30default_config_static_selectorELNS0_4arch9wavefront6targetE0EEEvT1_.uses_flat_scratch, 0
	.set _ZN7rocprim17ROCPRIM_400000_NS6detail17trampoline_kernelINS0_14default_configENS1_25partition_config_selectorILNS1_17partition_subalgoE5ElNS0_10empty_typeEbEEZZNS1_14partition_implILS5_5ELb0ES3_mN6hipcub16HIPCUB_304000_NS21CountingInputIteratorIllEEPS6_NSA_22TransformInputIteratorIbN2at6native12_GLOBAL__N_19NonZeroOpIN3c107complexIdEEEEPKSL_lEENS0_5tupleIJPlS6_EEENSQ_IJSD_SD_EEES6_PiJS6_EEE10hipError_tPvRmT3_T4_T5_T6_T7_T9_mT8_P12ihipStream_tbDpT10_ENKUlT_T0_E_clISt17integral_constantIbLb1EES1E_EEDaS19_S1A_EUlS19_E_NS1_11comp_targetILNS1_3genE4ELNS1_11target_archE910ELNS1_3gpuE8ELNS1_3repE0EEENS1_30default_config_static_selectorELNS0_4arch9wavefront6targetE0EEEvT1_.has_dyn_sized_stack, 0
	.set _ZN7rocprim17ROCPRIM_400000_NS6detail17trampoline_kernelINS0_14default_configENS1_25partition_config_selectorILNS1_17partition_subalgoE5ElNS0_10empty_typeEbEEZZNS1_14partition_implILS5_5ELb0ES3_mN6hipcub16HIPCUB_304000_NS21CountingInputIteratorIllEEPS6_NSA_22TransformInputIteratorIbN2at6native12_GLOBAL__N_19NonZeroOpIN3c107complexIdEEEEPKSL_lEENS0_5tupleIJPlS6_EEENSQ_IJSD_SD_EEES6_PiJS6_EEE10hipError_tPvRmT3_T4_T5_T6_T7_T9_mT8_P12ihipStream_tbDpT10_ENKUlT_T0_E_clISt17integral_constantIbLb1EES1E_EEDaS19_S1A_EUlS19_E_NS1_11comp_targetILNS1_3genE4ELNS1_11target_archE910ELNS1_3gpuE8ELNS1_3repE0EEENS1_30default_config_static_selectorELNS0_4arch9wavefront6targetE0EEEvT1_.has_recursion, 0
	.set _ZN7rocprim17ROCPRIM_400000_NS6detail17trampoline_kernelINS0_14default_configENS1_25partition_config_selectorILNS1_17partition_subalgoE5ElNS0_10empty_typeEbEEZZNS1_14partition_implILS5_5ELb0ES3_mN6hipcub16HIPCUB_304000_NS21CountingInputIteratorIllEEPS6_NSA_22TransformInputIteratorIbN2at6native12_GLOBAL__N_19NonZeroOpIN3c107complexIdEEEEPKSL_lEENS0_5tupleIJPlS6_EEENSQ_IJSD_SD_EEES6_PiJS6_EEE10hipError_tPvRmT3_T4_T5_T6_T7_T9_mT8_P12ihipStream_tbDpT10_ENKUlT_T0_E_clISt17integral_constantIbLb1EES1E_EEDaS19_S1A_EUlS19_E_NS1_11comp_targetILNS1_3genE4ELNS1_11target_archE910ELNS1_3gpuE8ELNS1_3repE0EEENS1_30default_config_static_selectorELNS0_4arch9wavefront6targetE0EEEvT1_.has_indirect_call, 0
	.section	.AMDGPU.csdata,"",@progbits
; Kernel info:
; codeLenInByte = 0
; TotalNumSgprs: 0
; NumVgprs: 0
; ScratchSize: 0
; MemoryBound: 0
; FloatMode: 240
; IeeeMode: 1
; LDSByteSize: 0 bytes/workgroup (compile time only)
; SGPRBlocks: 0
; VGPRBlocks: 0
; NumSGPRsForWavesPerEU: 1
; NumVGPRsForWavesPerEU: 1
; Occupancy: 16
; WaveLimiterHint : 0
; COMPUTE_PGM_RSRC2:SCRATCH_EN: 0
; COMPUTE_PGM_RSRC2:USER_SGPR: 2
; COMPUTE_PGM_RSRC2:TRAP_HANDLER: 0
; COMPUTE_PGM_RSRC2:TGID_X_EN: 1
; COMPUTE_PGM_RSRC2:TGID_Y_EN: 0
; COMPUTE_PGM_RSRC2:TGID_Z_EN: 0
; COMPUTE_PGM_RSRC2:TIDIG_COMP_CNT: 0
	.section	.text._ZN7rocprim17ROCPRIM_400000_NS6detail17trampoline_kernelINS0_14default_configENS1_25partition_config_selectorILNS1_17partition_subalgoE5ElNS0_10empty_typeEbEEZZNS1_14partition_implILS5_5ELb0ES3_mN6hipcub16HIPCUB_304000_NS21CountingInputIteratorIllEEPS6_NSA_22TransformInputIteratorIbN2at6native12_GLOBAL__N_19NonZeroOpIN3c107complexIdEEEEPKSL_lEENS0_5tupleIJPlS6_EEENSQ_IJSD_SD_EEES6_PiJS6_EEE10hipError_tPvRmT3_T4_T5_T6_T7_T9_mT8_P12ihipStream_tbDpT10_ENKUlT_T0_E_clISt17integral_constantIbLb1EES1E_EEDaS19_S1A_EUlS19_E_NS1_11comp_targetILNS1_3genE3ELNS1_11target_archE908ELNS1_3gpuE7ELNS1_3repE0EEENS1_30default_config_static_selectorELNS0_4arch9wavefront6targetE0EEEvT1_,"axG",@progbits,_ZN7rocprim17ROCPRIM_400000_NS6detail17trampoline_kernelINS0_14default_configENS1_25partition_config_selectorILNS1_17partition_subalgoE5ElNS0_10empty_typeEbEEZZNS1_14partition_implILS5_5ELb0ES3_mN6hipcub16HIPCUB_304000_NS21CountingInputIteratorIllEEPS6_NSA_22TransformInputIteratorIbN2at6native12_GLOBAL__N_19NonZeroOpIN3c107complexIdEEEEPKSL_lEENS0_5tupleIJPlS6_EEENSQ_IJSD_SD_EEES6_PiJS6_EEE10hipError_tPvRmT3_T4_T5_T6_T7_T9_mT8_P12ihipStream_tbDpT10_ENKUlT_T0_E_clISt17integral_constantIbLb1EES1E_EEDaS19_S1A_EUlS19_E_NS1_11comp_targetILNS1_3genE3ELNS1_11target_archE908ELNS1_3gpuE7ELNS1_3repE0EEENS1_30default_config_static_selectorELNS0_4arch9wavefront6targetE0EEEvT1_,comdat
	.globl	_ZN7rocprim17ROCPRIM_400000_NS6detail17trampoline_kernelINS0_14default_configENS1_25partition_config_selectorILNS1_17partition_subalgoE5ElNS0_10empty_typeEbEEZZNS1_14partition_implILS5_5ELb0ES3_mN6hipcub16HIPCUB_304000_NS21CountingInputIteratorIllEEPS6_NSA_22TransformInputIteratorIbN2at6native12_GLOBAL__N_19NonZeroOpIN3c107complexIdEEEEPKSL_lEENS0_5tupleIJPlS6_EEENSQ_IJSD_SD_EEES6_PiJS6_EEE10hipError_tPvRmT3_T4_T5_T6_T7_T9_mT8_P12ihipStream_tbDpT10_ENKUlT_T0_E_clISt17integral_constantIbLb1EES1E_EEDaS19_S1A_EUlS19_E_NS1_11comp_targetILNS1_3genE3ELNS1_11target_archE908ELNS1_3gpuE7ELNS1_3repE0EEENS1_30default_config_static_selectorELNS0_4arch9wavefront6targetE0EEEvT1_ ; -- Begin function _ZN7rocprim17ROCPRIM_400000_NS6detail17trampoline_kernelINS0_14default_configENS1_25partition_config_selectorILNS1_17partition_subalgoE5ElNS0_10empty_typeEbEEZZNS1_14partition_implILS5_5ELb0ES3_mN6hipcub16HIPCUB_304000_NS21CountingInputIteratorIllEEPS6_NSA_22TransformInputIteratorIbN2at6native12_GLOBAL__N_19NonZeroOpIN3c107complexIdEEEEPKSL_lEENS0_5tupleIJPlS6_EEENSQ_IJSD_SD_EEES6_PiJS6_EEE10hipError_tPvRmT3_T4_T5_T6_T7_T9_mT8_P12ihipStream_tbDpT10_ENKUlT_T0_E_clISt17integral_constantIbLb1EES1E_EEDaS19_S1A_EUlS19_E_NS1_11comp_targetILNS1_3genE3ELNS1_11target_archE908ELNS1_3gpuE7ELNS1_3repE0EEENS1_30default_config_static_selectorELNS0_4arch9wavefront6targetE0EEEvT1_
	.p2align	8
	.type	_ZN7rocprim17ROCPRIM_400000_NS6detail17trampoline_kernelINS0_14default_configENS1_25partition_config_selectorILNS1_17partition_subalgoE5ElNS0_10empty_typeEbEEZZNS1_14partition_implILS5_5ELb0ES3_mN6hipcub16HIPCUB_304000_NS21CountingInputIteratorIllEEPS6_NSA_22TransformInputIteratorIbN2at6native12_GLOBAL__N_19NonZeroOpIN3c107complexIdEEEEPKSL_lEENS0_5tupleIJPlS6_EEENSQ_IJSD_SD_EEES6_PiJS6_EEE10hipError_tPvRmT3_T4_T5_T6_T7_T9_mT8_P12ihipStream_tbDpT10_ENKUlT_T0_E_clISt17integral_constantIbLb1EES1E_EEDaS19_S1A_EUlS19_E_NS1_11comp_targetILNS1_3genE3ELNS1_11target_archE908ELNS1_3gpuE7ELNS1_3repE0EEENS1_30default_config_static_selectorELNS0_4arch9wavefront6targetE0EEEvT1_,@function
_ZN7rocprim17ROCPRIM_400000_NS6detail17trampoline_kernelINS0_14default_configENS1_25partition_config_selectorILNS1_17partition_subalgoE5ElNS0_10empty_typeEbEEZZNS1_14partition_implILS5_5ELb0ES3_mN6hipcub16HIPCUB_304000_NS21CountingInputIteratorIllEEPS6_NSA_22TransformInputIteratorIbN2at6native12_GLOBAL__N_19NonZeroOpIN3c107complexIdEEEEPKSL_lEENS0_5tupleIJPlS6_EEENSQ_IJSD_SD_EEES6_PiJS6_EEE10hipError_tPvRmT3_T4_T5_T6_T7_T9_mT8_P12ihipStream_tbDpT10_ENKUlT_T0_E_clISt17integral_constantIbLb1EES1E_EEDaS19_S1A_EUlS19_E_NS1_11comp_targetILNS1_3genE3ELNS1_11target_archE908ELNS1_3gpuE7ELNS1_3repE0EEENS1_30default_config_static_selectorELNS0_4arch9wavefront6targetE0EEEvT1_: ; @_ZN7rocprim17ROCPRIM_400000_NS6detail17trampoline_kernelINS0_14default_configENS1_25partition_config_selectorILNS1_17partition_subalgoE5ElNS0_10empty_typeEbEEZZNS1_14partition_implILS5_5ELb0ES3_mN6hipcub16HIPCUB_304000_NS21CountingInputIteratorIllEEPS6_NSA_22TransformInputIteratorIbN2at6native12_GLOBAL__N_19NonZeroOpIN3c107complexIdEEEEPKSL_lEENS0_5tupleIJPlS6_EEENSQ_IJSD_SD_EEES6_PiJS6_EEE10hipError_tPvRmT3_T4_T5_T6_T7_T9_mT8_P12ihipStream_tbDpT10_ENKUlT_T0_E_clISt17integral_constantIbLb1EES1E_EEDaS19_S1A_EUlS19_E_NS1_11comp_targetILNS1_3genE3ELNS1_11target_archE908ELNS1_3gpuE7ELNS1_3repE0EEENS1_30default_config_static_selectorELNS0_4arch9wavefront6targetE0EEEvT1_
; %bb.0:
	.section	.rodata,"a",@progbits
	.p2align	6, 0x0
	.amdhsa_kernel _ZN7rocprim17ROCPRIM_400000_NS6detail17trampoline_kernelINS0_14default_configENS1_25partition_config_selectorILNS1_17partition_subalgoE5ElNS0_10empty_typeEbEEZZNS1_14partition_implILS5_5ELb0ES3_mN6hipcub16HIPCUB_304000_NS21CountingInputIteratorIllEEPS6_NSA_22TransformInputIteratorIbN2at6native12_GLOBAL__N_19NonZeroOpIN3c107complexIdEEEEPKSL_lEENS0_5tupleIJPlS6_EEENSQ_IJSD_SD_EEES6_PiJS6_EEE10hipError_tPvRmT3_T4_T5_T6_T7_T9_mT8_P12ihipStream_tbDpT10_ENKUlT_T0_E_clISt17integral_constantIbLb1EES1E_EEDaS19_S1A_EUlS19_E_NS1_11comp_targetILNS1_3genE3ELNS1_11target_archE908ELNS1_3gpuE7ELNS1_3repE0EEENS1_30default_config_static_selectorELNS0_4arch9wavefront6targetE0EEEvT1_
		.amdhsa_group_segment_fixed_size 0
		.amdhsa_private_segment_fixed_size 0
		.amdhsa_kernarg_size 136
		.amdhsa_user_sgpr_count 2
		.amdhsa_user_sgpr_dispatch_ptr 0
		.amdhsa_user_sgpr_queue_ptr 0
		.amdhsa_user_sgpr_kernarg_segment_ptr 1
		.amdhsa_user_sgpr_dispatch_id 0
		.amdhsa_user_sgpr_private_segment_size 0
		.amdhsa_wavefront_size32 1
		.amdhsa_uses_dynamic_stack 0
		.amdhsa_enable_private_segment 0
		.amdhsa_system_sgpr_workgroup_id_x 1
		.amdhsa_system_sgpr_workgroup_id_y 0
		.amdhsa_system_sgpr_workgroup_id_z 0
		.amdhsa_system_sgpr_workgroup_info 0
		.amdhsa_system_vgpr_workitem_id 0
		.amdhsa_next_free_vgpr 1
		.amdhsa_next_free_sgpr 1
		.amdhsa_reserve_vcc 0
		.amdhsa_float_round_mode_32 0
		.amdhsa_float_round_mode_16_64 0
		.amdhsa_float_denorm_mode_32 3
		.amdhsa_float_denorm_mode_16_64 3
		.amdhsa_fp16_overflow 0
		.amdhsa_workgroup_processor_mode 1
		.amdhsa_memory_ordered 1
		.amdhsa_forward_progress 1
		.amdhsa_inst_pref_size 0
		.amdhsa_round_robin_scheduling 0
		.amdhsa_exception_fp_ieee_invalid_op 0
		.amdhsa_exception_fp_denorm_src 0
		.amdhsa_exception_fp_ieee_div_zero 0
		.amdhsa_exception_fp_ieee_overflow 0
		.amdhsa_exception_fp_ieee_underflow 0
		.amdhsa_exception_fp_ieee_inexact 0
		.amdhsa_exception_int_div_zero 0
	.end_amdhsa_kernel
	.section	.text._ZN7rocprim17ROCPRIM_400000_NS6detail17trampoline_kernelINS0_14default_configENS1_25partition_config_selectorILNS1_17partition_subalgoE5ElNS0_10empty_typeEbEEZZNS1_14partition_implILS5_5ELb0ES3_mN6hipcub16HIPCUB_304000_NS21CountingInputIteratorIllEEPS6_NSA_22TransformInputIteratorIbN2at6native12_GLOBAL__N_19NonZeroOpIN3c107complexIdEEEEPKSL_lEENS0_5tupleIJPlS6_EEENSQ_IJSD_SD_EEES6_PiJS6_EEE10hipError_tPvRmT3_T4_T5_T6_T7_T9_mT8_P12ihipStream_tbDpT10_ENKUlT_T0_E_clISt17integral_constantIbLb1EES1E_EEDaS19_S1A_EUlS19_E_NS1_11comp_targetILNS1_3genE3ELNS1_11target_archE908ELNS1_3gpuE7ELNS1_3repE0EEENS1_30default_config_static_selectorELNS0_4arch9wavefront6targetE0EEEvT1_,"axG",@progbits,_ZN7rocprim17ROCPRIM_400000_NS6detail17trampoline_kernelINS0_14default_configENS1_25partition_config_selectorILNS1_17partition_subalgoE5ElNS0_10empty_typeEbEEZZNS1_14partition_implILS5_5ELb0ES3_mN6hipcub16HIPCUB_304000_NS21CountingInputIteratorIllEEPS6_NSA_22TransformInputIteratorIbN2at6native12_GLOBAL__N_19NonZeroOpIN3c107complexIdEEEEPKSL_lEENS0_5tupleIJPlS6_EEENSQ_IJSD_SD_EEES6_PiJS6_EEE10hipError_tPvRmT3_T4_T5_T6_T7_T9_mT8_P12ihipStream_tbDpT10_ENKUlT_T0_E_clISt17integral_constantIbLb1EES1E_EEDaS19_S1A_EUlS19_E_NS1_11comp_targetILNS1_3genE3ELNS1_11target_archE908ELNS1_3gpuE7ELNS1_3repE0EEENS1_30default_config_static_selectorELNS0_4arch9wavefront6targetE0EEEvT1_,comdat
.Lfunc_end537:
	.size	_ZN7rocprim17ROCPRIM_400000_NS6detail17trampoline_kernelINS0_14default_configENS1_25partition_config_selectorILNS1_17partition_subalgoE5ElNS0_10empty_typeEbEEZZNS1_14partition_implILS5_5ELb0ES3_mN6hipcub16HIPCUB_304000_NS21CountingInputIteratorIllEEPS6_NSA_22TransformInputIteratorIbN2at6native12_GLOBAL__N_19NonZeroOpIN3c107complexIdEEEEPKSL_lEENS0_5tupleIJPlS6_EEENSQ_IJSD_SD_EEES6_PiJS6_EEE10hipError_tPvRmT3_T4_T5_T6_T7_T9_mT8_P12ihipStream_tbDpT10_ENKUlT_T0_E_clISt17integral_constantIbLb1EES1E_EEDaS19_S1A_EUlS19_E_NS1_11comp_targetILNS1_3genE3ELNS1_11target_archE908ELNS1_3gpuE7ELNS1_3repE0EEENS1_30default_config_static_selectorELNS0_4arch9wavefront6targetE0EEEvT1_, .Lfunc_end537-_ZN7rocprim17ROCPRIM_400000_NS6detail17trampoline_kernelINS0_14default_configENS1_25partition_config_selectorILNS1_17partition_subalgoE5ElNS0_10empty_typeEbEEZZNS1_14partition_implILS5_5ELb0ES3_mN6hipcub16HIPCUB_304000_NS21CountingInputIteratorIllEEPS6_NSA_22TransformInputIteratorIbN2at6native12_GLOBAL__N_19NonZeroOpIN3c107complexIdEEEEPKSL_lEENS0_5tupleIJPlS6_EEENSQ_IJSD_SD_EEES6_PiJS6_EEE10hipError_tPvRmT3_T4_T5_T6_T7_T9_mT8_P12ihipStream_tbDpT10_ENKUlT_T0_E_clISt17integral_constantIbLb1EES1E_EEDaS19_S1A_EUlS19_E_NS1_11comp_targetILNS1_3genE3ELNS1_11target_archE908ELNS1_3gpuE7ELNS1_3repE0EEENS1_30default_config_static_selectorELNS0_4arch9wavefront6targetE0EEEvT1_
                                        ; -- End function
	.set _ZN7rocprim17ROCPRIM_400000_NS6detail17trampoline_kernelINS0_14default_configENS1_25partition_config_selectorILNS1_17partition_subalgoE5ElNS0_10empty_typeEbEEZZNS1_14partition_implILS5_5ELb0ES3_mN6hipcub16HIPCUB_304000_NS21CountingInputIteratorIllEEPS6_NSA_22TransformInputIteratorIbN2at6native12_GLOBAL__N_19NonZeroOpIN3c107complexIdEEEEPKSL_lEENS0_5tupleIJPlS6_EEENSQ_IJSD_SD_EEES6_PiJS6_EEE10hipError_tPvRmT3_T4_T5_T6_T7_T9_mT8_P12ihipStream_tbDpT10_ENKUlT_T0_E_clISt17integral_constantIbLb1EES1E_EEDaS19_S1A_EUlS19_E_NS1_11comp_targetILNS1_3genE3ELNS1_11target_archE908ELNS1_3gpuE7ELNS1_3repE0EEENS1_30default_config_static_selectorELNS0_4arch9wavefront6targetE0EEEvT1_.num_vgpr, 0
	.set _ZN7rocprim17ROCPRIM_400000_NS6detail17trampoline_kernelINS0_14default_configENS1_25partition_config_selectorILNS1_17partition_subalgoE5ElNS0_10empty_typeEbEEZZNS1_14partition_implILS5_5ELb0ES3_mN6hipcub16HIPCUB_304000_NS21CountingInputIteratorIllEEPS6_NSA_22TransformInputIteratorIbN2at6native12_GLOBAL__N_19NonZeroOpIN3c107complexIdEEEEPKSL_lEENS0_5tupleIJPlS6_EEENSQ_IJSD_SD_EEES6_PiJS6_EEE10hipError_tPvRmT3_T4_T5_T6_T7_T9_mT8_P12ihipStream_tbDpT10_ENKUlT_T0_E_clISt17integral_constantIbLb1EES1E_EEDaS19_S1A_EUlS19_E_NS1_11comp_targetILNS1_3genE3ELNS1_11target_archE908ELNS1_3gpuE7ELNS1_3repE0EEENS1_30default_config_static_selectorELNS0_4arch9wavefront6targetE0EEEvT1_.num_agpr, 0
	.set _ZN7rocprim17ROCPRIM_400000_NS6detail17trampoline_kernelINS0_14default_configENS1_25partition_config_selectorILNS1_17partition_subalgoE5ElNS0_10empty_typeEbEEZZNS1_14partition_implILS5_5ELb0ES3_mN6hipcub16HIPCUB_304000_NS21CountingInputIteratorIllEEPS6_NSA_22TransformInputIteratorIbN2at6native12_GLOBAL__N_19NonZeroOpIN3c107complexIdEEEEPKSL_lEENS0_5tupleIJPlS6_EEENSQ_IJSD_SD_EEES6_PiJS6_EEE10hipError_tPvRmT3_T4_T5_T6_T7_T9_mT8_P12ihipStream_tbDpT10_ENKUlT_T0_E_clISt17integral_constantIbLb1EES1E_EEDaS19_S1A_EUlS19_E_NS1_11comp_targetILNS1_3genE3ELNS1_11target_archE908ELNS1_3gpuE7ELNS1_3repE0EEENS1_30default_config_static_selectorELNS0_4arch9wavefront6targetE0EEEvT1_.numbered_sgpr, 0
	.set _ZN7rocprim17ROCPRIM_400000_NS6detail17trampoline_kernelINS0_14default_configENS1_25partition_config_selectorILNS1_17partition_subalgoE5ElNS0_10empty_typeEbEEZZNS1_14partition_implILS5_5ELb0ES3_mN6hipcub16HIPCUB_304000_NS21CountingInputIteratorIllEEPS6_NSA_22TransformInputIteratorIbN2at6native12_GLOBAL__N_19NonZeroOpIN3c107complexIdEEEEPKSL_lEENS0_5tupleIJPlS6_EEENSQ_IJSD_SD_EEES6_PiJS6_EEE10hipError_tPvRmT3_T4_T5_T6_T7_T9_mT8_P12ihipStream_tbDpT10_ENKUlT_T0_E_clISt17integral_constantIbLb1EES1E_EEDaS19_S1A_EUlS19_E_NS1_11comp_targetILNS1_3genE3ELNS1_11target_archE908ELNS1_3gpuE7ELNS1_3repE0EEENS1_30default_config_static_selectorELNS0_4arch9wavefront6targetE0EEEvT1_.num_named_barrier, 0
	.set _ZN7rocprim17ROCPRIM_400000_NS6detail17trampoline_kernelINS0_14default_configENS1_25partition_config_selectorILNS1_17partition_subalgoE5ElNS0_10empty_typeEbEEZZNS1_14partition_implILS5_5ELb0ES3_mN6hipcub16HIPCUB_304000_NS21CountingInputIteratorIllEEPS6_NSA_22TransformInputIteratorIbN2at6native12_GLOBAL__N_19NonZeroOpIN3c107complexIdEEEEPKSL_lEENS0_5tupleIJPlS6_EEENSQ_IJSD_SD_EEES6_PiJS6_EEE10hipError_tPvRmT3_T4_T5_T6_T7_T9_mT8_P12ihipStream_tbDpT10_ENKUlT_T0_E_clISt17integral_constantIbLb1EES1E_EEDaS19_S1A_EUlS19_E_NS1_11comp_targetILNS1_3genE3ELNS1_11target_archE908ELNS1_3gpuE7ELNS1_3repE0EEENS1_30default_config_static_selectorELNS0_4arch9wavefront6targetE0EEEvT1_.private_seg_size, 0
	.set _ZN7rocprim17ROCPRIM_400000_NS6detail17trampoline_kernelINS0_14default_configENS1_25partition_config_selectorILNS1_17partition_subalgoE5ElNS0_10empty_typeEbEEZZNS1_14partition_implILS5_5ELb0ES3_mN6hipcub16HIPCUB_304000_NS21CountingInputIteratorIllEEPS6_NSA_22TransformInputIteratorIbN2at6native12_GLOBAL__N_19NonZeroOpIN3c107complexIdEEEEPKSL_lEENS0_5tupleIJPlS6_EEENSQ_IJSD_SD_EEES6_PiJS6_EEE10hipError_tPvRmT3_T4_T5_T6_T7_T9_mT8_P12ihipStream_tbDpT10_ENKUlT_T0_E_clISt17integral_constantIbLb1EES1E_EEDaS19_S1A_EUlS19_E_NS1_11comp_targetILNS1_3genE3ELNS1_11target_archE908ELNS1_3gpuE7ELNS1_3repE0EEENS1_30default_config_static_selectorELNS0_4arch9wavefront6targetE0EEEvT1_.uses_vcc, 0
	.set _ZN7rocprim17ROCPRIM_400000_NS6detail17trampoline_kernelINS0_14default_configENS1_25partition_config_selectorILNS1_17partition_subalgoE5ElNS0_10empty_typeEbEEZZNS1_14partition_implILS5_5ELb0ES3_mN6hipcub16HIPCUB_304000_NS21CountingInputIteratorIllEEPS6_NSA_22TransformInputIteratorIbN2at6native12_GLOBAL__N_19NonZeroOpIN3c107complexIdEEEEPKSL_lEENS0_5tupleIJPlS6_EEENSQ_IJSD_SD_EEES6_PiJS6_EEE10hipError_tPvRmT3_T4_T5_T6_T7_T9_mT8_P12ihipStream_tbDpT10_ENKUlT_T0_E_clISt17integral_constantIbLb1EES1E_EEDaS19_S1A_EUlS19_E_NS1_11comp_targetILNS1_3genE3ELNS1_11target_archE908ELNS1_3gpuE7ELNS1_3repE0EEENS1_30default_config_static_selectorELNS0_4arch9wavefront6targetE0EEEvT1_.uses_flat_scratch, 0
	.set _ZN7rocprim17ROCPRIM_400000_NS6detail17trampoline_kernelINS0_14default_configENS1_25partition_config_selectorILNS1_17partition_subalgoE5ElNS0_10empty_typeEbEEZZNS1_14partition_implILS5_5ELb0ES3_mN6hipcub16HIPCUB_304000_NS21CountingInputIteratorIllEEPS6_NSA_22TransformInputIteratorIbN2at6native12_GLOBAL__N_19NonZeroOpIN3c107complexIdEEEEPKSL_lEENS0_5tupleIJPlS6_EEENSQ_IJSD_SD_EEES6_PiJS6_EEE10hipError_tPvRmT3_T4_T5_T6_T7_T9_mT8_P12ihipStream_tbDpT10_ENKUlT_T0_E_clISt17integral_constantIbLb1EES1E_EEDaS19_S1A_EUlS19_E_NS1_11comp_targetILNS1_3genE3ELNS1_11target_archE908ELNS1_3gpuE7ELNS1_3repE0EEENS1_30default_config_static_selectorELNS0_4arch9wavefront6targetE0EEEvT1_.has_dyn_sized_stack, 0
	.set _ZN7rocprim17ROCPRIM_400000_NS6detail17trampoline_kernelINS0_14default_configENS1_25partition_config_selectorILNS1_17partition_subalgoE5ElNS0_10empty_typeEbEEZZNS1_14partition_implILS5_5ELb0ES3_mN6hipcub16HIPCUB_304000_NS21CountingInputIteratorIllEEPS6_NSA_22TransformInputIteratorIbN2at6native12_GLOBAL__N_19NonZeroOpIN3c107complexIdEEEEPKSL_lEENS0_5tupleIJPlS6_EEENSQ_IJSD_SD_EEES6_PiJS6_EEE10hipError_tPvRmT3_T4_T5_T6_T7_T9_mT8_P12ihipStream_tbDpT10_ENKUlT_T0_E_clISt17integral_constantIbLb1EES1E_EEDaS19_S1A_EUlS19_E_NS1_11comp_targetILNS1_3genE3ELNS1_11target_archE908ELNS1_3gpuE7ELNS1_3repE0EEENS1_30default_config_static_selectorELNS0_4arch9wavefront6targetE0EEEvT1_.has_recursion, 0
	.set _ZN7rocprim17ROCPRIM_400000_NS6detail17trampoline_kernelINS0_14default_configENS1_25partition_config_selectorILNS1_17partition_subalgoE5ElNS0_10empty_typeEbEEZZNS1_14partition_implILS5_5ELb0ES3_mN6hipcub16HIPCUB_304000_NS21CountingInputIteratorIllEEPS6_NSA_22TransformInputIteratorIbN2at6native12_GLOBAL__N_19NonZeroOpIN3c107complexIdEEEEPKSL_lEENS0_5tupleIJPlS6_EEENSQ_IJSD_SD_EEES6_PiJS6_EEE10hipError_tPvRmT3_T4_T5_T6_T7_T9_mT8_P12ihipStream_tbDpT10_ENKUlT_T0_E_clISt17integral_constantIbLb1EES1E_EEDaS19_S1A_EUlS19_E_NS1_11comp_targetILNS1_3genE3ELNS1_11target_archE908ELNS1_3gpuE7ELNS1_3repE0EEENS1_30default_config_static_selectorELNS0_4arch9wavefront6targetE0EEEvT1_.has_indirect_call, 0
	.section	.AMDGPU.csdata,"",@progbits
; Kernel info:
; codeLenInByte = 0
; TotalNumSgprs: 0
; NumVgprs: 0
; ScratchSize: 0
; MemoryBound: 0
; FloatMode: 240
; IeeeMode: 1
; LDSByteSize: 0 bytes/workgroup (compile time only)
; SGPRBlocks: 0
; VGPRBlocks: 0
; NumSGPRsForWavesPerEU: 1
; NumVGPRsForWavesPerEU: 1
; Occupancy: 16
; WaveLimiterHint : 0
; COMPUTE_PGM_RSRC2:SCRATCH_EN: 0
; COMPUTE_PGM_RSRC2:USER_SGPR: 2
; COMPUTE_PGM_RSRC2:TRAP_HANDLER: 0
; COMPUTE_PGM_RSRC2:TGID_X_EN: 1
; COMPUTE_PGM_RSRC2:TGID_Y_EN: 0
; COMPUTE_PGM_RSRC2:TGID_Z_EN: 0
; COMPUTE_PGM_RSRC2:TIDIG_COMP_CNT: 0
	.section	.text._ZN7rocprim17ROCPRIM_400000_NS6detail17trampoline_kernelINS0_14default_configENS1_25partition_config_selectorILNS1_17partition_subalgoE5ElNS0_10empty_typeEbEEZZNS1_14partition_implILS5_5ELb0ES3_mN6hipcub16HIPCUB_304000_NS21CountingInputIteratorIllEEPS6_NSA_22TransformInputIteratorIbN2at6native12_GLOBAL__N_19NonZeroOpIN3c107complexIdEEEEPKSL_lEENS0_5tupleIJPlS6_EEENSQ_IJSD_SD_EEES6_PiJS6_EEE10hipError_tPvRmT3_T4_T5_T6_T7_T9_mT8_P12ihipStream_tbDpT10_ENKUlT_T0_E_clISt17integral_constantIbLb1EES1E_EEDaS19_S1A_EUlS19_E_NS1_11comp_targetILNS1_3genE2ELNS1_11target_archE906ELNS1_3gpuE6ELNS1_3repE0EEENS1_30default_config_static_selectorELNS0_4arch9wavefront6targetE0EEEvT1_,"axG",@progbits,_ZN7rocprim17ROCPRIM_400000_NS6detail17trampoline_kernelINS0_14default_configENS1_25partition_config_selectorILNS1_17partition_subalgoE5ElNS0_10empty_typeEbEEZZNS1_14partition_implILS5_5ELb0ES3_mN6hipcub16HIPCUB_304000_NS21CountingInputIteratorIllEEPS6_NSA_22TransformInputIteratorIbN2at6native12_GLOBAL__N_19NonZeroOpIN3c107complexIdEEEEPKSL_lEENS0_5tupleIJPlS6_EEENSQ_IJSD_SD_EEES6_PiJS6_EEE10hipError_tPvRmT3_T4_T5_T6_T7_T9_mT8_P12ihipStream_tbDpT10_ENKUlT_T0_E_clISt17integral_constantIbLb1EES1E_EEDaS19_S1A_EUlS19_E_NS1_11comp_targetILNS1_3genE2ELNS1_11target_archE906ELNS1_3gpuE6ELNS1_3repE0EEENS1_30default_config_static_selectorELNS0_4arch9wavefront6targetE0EEEvT1_,comdat
	.globl	_ZN7rocprim17ROCPRIM_400000_NS6detail17trampoline_kernelINS0_14default_configENS1_25partition_config_selectorILNS1_17partition_subalgoE5ElNS0_10empty_typeEbEEZZNS1_14partition_implILS5_5ELb0ES3_mN6hipcub16HIPCUB_304000_NS21CountingInputIteratorIllEEPS6_NSA_22TransformInputIteratorIbN2at6native12_GLOBAL__N_19NonZeroOpIN3c107complexIdEEEEPKSL_lEENS0_5tupleIJPlS6_EEENSQ_IJSD_SD_EEES6_PiJS6_EEE10hipError_tPvRmT3_T4_T5_T6_T7_T9_mT8_P12ihipStream_tbDpT10_ENKUlT_T0_E_clISt17integral_constantIbLb1EES1E_EEDaS19_S1A_EUlS19_E_NS1_11comp_targetILNS1_3genE2ELNS1_11target_archE906ELNS1_3gpuE6ELNS1_3repE0EEENS1_30default_config_static_selectorELNS0_4arch9wavefront6targetE0EEEvT1_ ; -- Begin function _ZN7rocprim17ROCPRIM_400000_NS6detail17trampoline_kernelINS0_14default_configENS1_25partition_config_selectorILNS1_17partition_subalgoE5ElNS0_10empty_typeEbEEZZNS1_14partition_implILS5_5ELb0ES3_mN6hipcub16HIPCUB_304000_NS21CountingInputIteratorIllEEPS6_NSA_22TransformInputIteratorIbN2at6native12_GLOBAL__N_19NonZeroOpIN3c107complexIdEEEEPKSL_lEENS0_5tupleIJPlS6_EEENSQ_IJSD_SD_EEES6_PiJS6_EEE10hipError_tPvRmT3_T4_T5_T6_T7_T9_mT8_P12ihipStream_tbDpT10_ENKUlT_T0_E_clISt17integral_constantIbLb1EES1E_EEDaS19_S1A_EUlS19_E_NS1_11comp_targetILNS1_3genE2ELNS1_11target_archE906ELNS1_3gpuE6ELNS1_3repE0EEENS1_30default_config_static_selectorELNS0_4arch9wavefront6targetE0EEEvT1_
	.p2align	8
	.type	_ZN7rocprim17ROCPRIM_400000_NS6detail17trampoline_kernelINS0_14default_configENS1_25partition_config_selectorILNS1_17partition_subalgoE5ElNS0_10empty_typeEbEEZZNS1_14partition_implILS5_5ELb0ES3_mN6hipcub16HIPCUB_304000_NS21CountingInputIteratorIllEEPS6_NSA_22TransformInputIteratorIbN2at6native12_GLOBAL__N_19NonZeroOpIN3c107complexIdEEEEPKSL_lEENS0_5tupleIJPlS6_EEENSQ_IJSD_SD_EEES6_PiJS6_EEE10hipError_tPvRmT3_T4_T5_T6_T7_T9_mT8_P12ihipStream_tbDpT10_ENKUlT_T0_E_clISt17integral_constantIbLb1EES1E_EEDaS19_S1A_EUlS19_E_NS1_11comp_targetILNS1_3genE2ELNS1_11target_archE906ELNS1_3gpuE6ELNS1_3repE0EEENS1_30default_config_static_selectorELNS0_4arch9wavefront6targetE0EEEvT1_,@function
_ZN7rocprim17ROCPRIM_400000_NS6detail17trampoline_kernelINS0_14default_configENS1_25partition_config_selectorILNS1_17partition_subalgoE5ElNS0_10empty_typeEbEEZZNS1_14partition_implILS5_5ELb0ES3_mN6hipcub16HIPCUB_304000_NS21CountingInputIteratorIllEEPS6_NSA_22TransformInputIteratorIbN2at6native12_GLOBAL__N_19NonZeroOpIN3c107complexIdEEEEPKSL_lEENS0_5tupleIJPlS6_EEENSQ_IJSD_SD_EEES6_PiJS6_EEE10hipError_tPvRmT3_T4_T5_T6_T7_T9_mT8_P12ihipStream_tbDpT10_ENKUlT_T0_E_clISt17integral_constantIbLb1EES1E_EEDaS19_S1A_EUlS19_E_NS1_11comp_targetILNS1_3genE2ELNS1_11target_archE906ELNS1_3gpuE6ELNS1_3repE0EEENS1_30default_config_static_selectorELNS0_4arch9wavefront6targetE0EEEvT1_: ; @_ZN7rocprim17ROCPRIM_400000_NS6detail17trampoline_kernelINS0_14default_configENS1_25partition_config_selectorILNS1_17partition_subalgoE5ElNS0_10empty_typeEbEEZZNS1_14partition_implILS5_5ELb0ES3_mN6hipcub16HIPCUB_304000_NS21CountingInputIteratorIllEEPS6_NSA_22TransformInputIteratorIbN2at6native12_GLOBAL__N_19NonZeroOpIN3c107complexIdEEEEPKSL_lEENS0_5tupleIJPlS6_EEENSQ_IJSD_SD_EEES6_PiJS6_EEE10hipError_tPvRmT3_T4_T5_T6_T7_T9_mT8_P12ihipStream_tbDpT10_ENKUlT_T0_E_clISt17integral_constantIbLb1EES1E_EEDaS19_S1A_EUlS19_E_NS1_11comp_targetILNS1_3genE2ELNS1_11target_archE906ELNS1_3gpuE6ELNS1_3repE0EEENS1_30default_config_static_selectorELNS0_4arch9wavefront6targetE0EEEvT1_
; %bb.0:
	.section	.rodata,"a",@progbits
	.p2align	6, 0x0
	.amdhsa_kernel _ZN7rocprim17ROCPRIM_400000_NS6detail17trampoline_kernelINS0_14default_configENS1_25partition_config_selectorILNS1_17partition_subalgoE5ElNS0_10empty_typeEbEEZZNS1_14partition_implILS5_5ELb0ES3_mN6hipcub16HIPCUB_304000_NS21CountingInputIteratorIllEEPS6_NSA_22TransformInputIteratorIbN2at6native12_GLOBAL__N_19NonZeroOpIN3c107complexIdEEEEPKSL_lEENS0_5tupleIJPlS6_EEENSQ_IJSD_SD_EEES6_PiJS6_EEE10hipError_tPvRmT3_T4_T5_T6_T7_T9_mT8_P12ihipStream_tbDpT10_ENKUlT_T0_E_clISt17integral_constantIbLb1EES1E_EEDaS19_S1A_EUlS19_E_NS1_11comp_targetILNS1_3genE2ELNS1_11target_archE906ELNS1_3gpuE6ELNS1_3repE0EEENS1_30default_config_static_selectorELNS0_4arch9wavefront6targetE0EEEvT1_
		.amdhsa_group_segment_fixed_size 0
		.amdhsa_private_segment_fixed_size 0
		.amdhsa_kernarg_size 136
		.amdhsa_user_sgpr_count 2
		.amdhsa_user_sgpr_dispatch_ptr 0
		.amdhsa_user_sgpr_queue_ptr 0
		.amdhsa_user_sgpr_kernarg_segment_ptr 1
		.amdhsa_user_sgpr_dispatch_id 0
		.amdhsa_user_sgpr_private_segment_size 0
		.amdhsa_wavefront_size32 1
		.amdhsa_uses_dynamic_stack 0
		.amdhsa_enable_private_segment 0
		.amdhsa_system_sgpr_workgroup_id_x 1
		.amdhsa_system_sgpr_workgroup_id_y 0
		.amdhsa_system_sgpr_workgroup_id_z 0
		.amdhsa_system_sgpr_workgroup_info 0
		.amdhsa_system_vgpr_workitem_id 0
		.amdhsa_next_free_vgpr 1
		.amdhsa_next_free_sgpr 1
		.amdhsa_reserve_vcc 0
		.amdhsa_float_round_mode_32 0
		.amdhsa_float_round_mode_16_64 0
		.amdhsa_float_denorm_mode_32 3
		.amdhsa_float_denorm_mode_16_64 3
		.amdhsa_fp16_overflow 0
		.amdhsa_workgroup_processor_mode 1
		.amdhsa_memory_ordered 1
		.amdhsa_forward_progress 1
		.amdhsa_inst_pref_size 0
		.amdhsa_round_robin_scheduling 0
		.amdhsa_exception_fp_ieee_invalid_op 0
		.amdhsa_exception_fp_denorm_src 0
		.amdhsa_exception_fp_ieee_div_zero 0
		.amdhsa_exception_fp_ieee_overflow 0
		.amdhsa_exception_fp_ieee_underflow 0
		.amdhsa_exception_fp_ieee_inexact 0
		.amdhsa_exception_int_div_zero 0
	.end_amdhsa_kernel
	.section	.text._ZN7rocprim17ROCPRIM_400000_NS6detail17trampoline_kernelINS0_14default_configENS1_25partition_config_selectorILNS1_17partition_subalgoE5ElNS0_10empty_typeEbEEZZNS1_14partition_implILS5_5ELb0ES3_mN6hipcub16HIPCUB_304000_NS21CountingInputIteratorIllEEPS6_NSA_22TransformInputIteratorIbN2at6native12_GLOBAL__N_19NonZeroOpIN3c107complexIdEEEEPKSL_lEENS0_5tupleIJPlS6_EEENSQ_IJSD_SD_EEES6_PiJS6_EEE10hipError_tPvRmT3_T4_T5_T6_T7_T9_mT8_P12ihipStream_tbDpT10_ENKUlT_T0_E_clISt17integral_constantIbLb1EES1E_EEDaS19_S1A_EUlS19_E_NS1_11comp_targetILNS1_3genE2ELNS1_11target_archE906ELNS1_3gpuE6ELNS1_3repE0EEENS1_30default_config_static_selectorELNS0_4arch9wavefront6targetE0EEEvT1_,"axG",@progbits,_ZN7rocprim17ROCPRIM_400000_NS6detail17trampoline_kernelINS0_14default_configENS1_25partition_config_selectorILNS1_17partition_subalgoE5ElNS0_10empty_typeEbEEZZNS1_14partition_implILS5_5ELb0ES3_mN6hipcub16HIPCUB_304000_NS21CountingInputIteratorIllEEPS6_NSA_22TransformInputIteratorIbN2at6native12_GLOBAL__N_19NonZeroOpIN3c107complexIdEEEEPKSL_lEENS0_5tupleIJPlS6_EEENSQ_IJSD_SD_EEES6_PiJS6_EEE10hipError_tPvRmT3_T4_T5_T6_T7_T9_mT8_P12ihipStream_tbDpT10_ENKUlT_T0_E_clISt17integral_constantIbLb1EES1E_EEDaS19_S1A_EUlS19_E_NS1_11comp_targetILNS1_3genE2ELNS1_11target_archE906ELNS1_3gpuE6ELNS1_3repE0EEENS1_30default_config_static_selectorELNS0_4arch9wavefront6targetE0EEEvT1_,comdat
.Lfunc_end538:
	.size	_ZN7rocprim17ROCPRIM_400000_NS6detail17trampoline_kernelINS0_14default_configENS1_25partition_config_selectorILNS1_17partition_subalgoE5ElNS0_10empty_typeEbEEZZNS1_14partition_implILS5_5ELb0ES3_mN6hipcub16HIPCUB_304000_NS21CountingInputIteratorIllEEPS6_NSA_22TransformInputIteratorIbN2at6native12_GLOBAL__N_19NonZeroOpIN3c107complexIdEEEEPKSL_lEENS0_5tupleIJPlS6_EEENSQ_IJSD_SD_EEES6_PiJS6_EEE10hipError_tPvRmT3_T4_T5_T6_T7_T9_mT8_P12ihipStream_tbDpT10_ENKUlT_T0_E_clISt17integral_constantIbLb1EES1E_EEDaS19_S1A_EUlS19_E_NS1_11comp_targetILNS1_3genE2ELNS1_11target_archE906ELNS1_3gpuE6ELNS1_3repE0EEENS1_30default_config_static_selectorELNS0_4arch9wavefront6targetE0EEEvT1_, .Lfunc_end538-_ZN7rocprim17ROCPRIM_400000_NS6detail17trampoline_kernelINS0_14default_configENS1_25partition_config_selectorILNS1_17partition_subalgoE5ElNS0_10empty_typeEbEEZZNS1_14partition_implILS5_5ELb0ES3_mN6hipcub16HIPCUB_304000_NS21CountingInputIteratorIllEEPS6_NSA_22TransformInputIteratorIbN2at6native12_GLOBAL__N_19NonZeroOpIN3c107complexIdEEEEPKSL_lEENS0_5tupleIJPlS6_EEENSQ_IJSD_SD_EEES6_PiJS6_EEE10hipError_tPvRmT3_T4_T5_T6_T7_T9_mT8_P12ihipStream_tbDpT10_ENKUlT_T0_E_clISt17integral_constantIbLb1EES1E_EEDaS19_S1A_EUlS19_E_NS1_11comp_targetILNS1_3genE2ELNS1_11target_archE906ELNS1_3gpuE6ELNS1_3repE0EEENS1_30default_config_static_selectorELNS0_4arch9wavefront6targetE0EEEvT1_
                                        ; -- End function
	.set _ZN7rocprim17ROCPRIM_400000_NS6detail17trampoline_kernelINS0_14default_configENS1_25partition_config_selectorILNS1_17partition_subalgoE5ElNS0_10empty_typeEbEEZZNS1_14partition_implILS5_5ELb0ES3_mN6hipcub16HIPCUB_304000_NS21CountingInputIteratorIllEEPS6_NSA_22TransformInputIteratorIbN2at6native12_GLOBAL__N_19NonZeroOpIN3c107complexIdEEEEPKSL_lEENS0_5tupleIJPlS6_EEENSQ_IJSD_SD_EEES6_PiJS6_EEE10hipError_tPvRmT3_T4_T5_T6_T7_T9_mT8_P12ihipStream_tbDpT10_ENKUlT_T0_E_clISt17integral_constantIbLb1EES1E_EEDaS19_S1A_EUlS19_E_NS1_11comp_targetILNS1_3genE2ELNS1_11target_archE906ELNS1_3gpuE6ELNS1_3repE0EEENS1_30default_config_static_selectorELNS0_4arch9wavefront6targetE0EEEvT1_.num_vgpr, 0
	.set _ZN7rocprim17ROCPRIM_400000_NS6detail17trampoline_kernelINS0_14default_configENS1_25partition_config_selectorILNS1_17partition_subalgoE5ElNS0_10empty_typeEbEEZZNS1_14partition_implILS5_5ELb0ES3_mN6hipcub16HIPCUB_304000_NS21CountingInputIteratorIllEEPS6_NSA_22TransformInputIteratorIbN2at6native12_GLOBAL__N_19NonZeroOpIN3c107complexIdEEEEPKSL_lEENS0_5tupleIJPlS6_EEENSQ_IJSD_SD_EEES6_PiJS6_EEE10hipError_tPvRmT3_T4_T5_T6_T7_T9_mT8_P12ihipStream_tbDpT10_ENKUlT_T0_E_clISt17integral_constantIbLb1EES1E_EEDaS19_S1A_EUlS19_E_NS1_11comp_targetILNS1_3genE2ELNS1_11target_archE906ELNS1_3gpuE6ELNS1_3repE0EEENS1_30default_config_static_selectorELNS0_4arch9wavefront6targetE0EEEvT1_.num_agpr, 0
	.set _ZN7rocprim17ROCPRIM_400000_NS6detail17trampoline_kernelINS0_14default_configENS1_25partition_config_selectorILNS1_17partition_subalgoE5ElNS0_10empty_typeEbEEZZNS1_14partition_implILS5_5ELb0ES3_mN6hipcub16HIPCUB_304000_NS21CountingInputIteratorIllEEPS6_NSA_22TransformInputIteratorIbN2at6native12_GLOBAL__N_19NonZeroOpIN3c107complexIdEEEEPKSL_lEENS0_5tupleIJPlS6_EEENSQ_IJSD_SD_EEES6_PiJS6_EEE10hipError_tPvRmT3_T4_T5_T6_T7_T9_mT8_P12ihipStream_tbDpT10_ENKUlT_T0_E_clISt17integral_constantIbLb1EES1E_EEDaS19_S1A_EUlS19_E_NS1_11comp_targetILNS1_3genE2ELNS1_11target_archE906ELNS1_3gpuE6ELNS1_3repE0EEENS1_30default_config_static_selectorELNS0_4arch9wavefront6targetE0EEEvT1_.numbered_sgpr, 0
	.set _ZN7rocprim17ROCPRIM_400000_NS6detail17trampoline_kernelINS0_14default_configENS1_25partition_config_selectorILNS1_17partition_subalgoE5ElNS0_10empty_typeEbEEZZNS1_14partition_implILS5_5ELb0ES3_mN6hipcub16HIPCUB_304000_NS21CountingInputIteratorIllEEPS6_NSA_22TransformInputIteratorIbN2at6native12_GLOBAL__N_19NonZeroOpIN3c107complexIdEEEEPKSL_lEENS0_5tupleIJPlS6_EEENSQ_IJSD_SD_EEES6_PiJS6_EEE10hipError_tPvRmT3_T4_T5_T6_T7_T9_mT8_P12ihipStream_tbDpT10_ENKUlT_T0_E_clISt17integral_constantIbLb1EES1E_EEDaS19_S1A_EUlS19_E_NS1_11comp_targetILNS1_3genE2ELNS1_11target_archE906ELNS1_3gpuE6ELNS1_3repE0EEENS1_30default_config_static_selectorELNS0_4arch9wavefront6targetE0EEEvT1_.num_named_barrier, 0
	.set _ZN7rocprim17ROCPRIM_400000_NS6detail17trampoline_kernelINS0_14default_configENS1_25partition_config_selectorILNS1_17partition_subalgoE5ElNS0_10empty_typeEbEEZZNS1_14partition_implILS5_5ELb0ES3_mN6hipcub16HIPCUB_304000_NS21CountingInputIteratorIllEEPS6_NSA_22TransformInputIteratorIbN2at6native12_GLOBAL__N_19NonZeroOpIN3c107complexIdEEEEPKSL_lEENS0_5tupleIJPlS6_EEENSQ_IJSD_SD_EEES6_PiJS6_EEE10hipError_tPvRmT3_T4_T5_T6_T7_T9_mT8_P12ihipStream_tbDpT10_ENKUlT_T0_E_clISt17integral_constantIbLb1EES1E_EEDaS19_S1A_EUlS19_E_NS1_11comp_targetILNS1_3genE2ELNS1_11target_archE906ELNS1_3gpuE6ELNS1_3repE0EEENS1_30default_config_static_selectorELNS0_4arch9wavefront6targetE0EEEvT1_.private_seg_size, 0
	.set _ZN7rocprim17ROCPRIM_400000_NS6detail17trampoline_kernelINS0_14default_configENS1_25partition_config_selectorILNS1_17partition_subalgoE5ElNS0_10empty_typeEbEEZZNS1_14partition_implILS5_5ELb0ES3_mN6hipcub16HIPCUB_304000_NS21CountingInputIteratorIllEEPS6_NSA_22TransformInputIteratorIbN2at6native12_GLOBAL__N_19NonZeroOpIN3c107complexIdEEEEPKSL_lEENS0_5tupleIJPlS6_EEENSQ_IJSD_SD_EEES6_PiJS6_EEE10hipError_tPvRmT3_T4_T5_T6_T7_T9_mT8_P12ihipStream_tbDpT10_ENKUlT_T0_E_clISt17integral_constantIbLb1EES1E_EEDaS19_S1A_EUlS19_E_NS1_11comp_targetILNS1_3genE2ELNS1_11target_archE906ELNS1_3gpuE6ELNS1_3repE0EEENS1_30default_config_static_selectorELNS0_4arch9wavefront6targetE0EEEvT1_.uses_vcc, 0
	.set _ZN7rocprim17ROCPRIM_400000_NS6detail17trampoline_kernelINS0_14default_configENS1_25partition_config_selectorILNS1_17partition_subalgoE5ElNS0_10empty_typeEbEEZZNS1_14partition_implILS5_5ELb0ES3_mN6hipcub16HIPCUB_304000_NS21CountingInputIteratorIllEEPS6_NSA_22TransformInputIteratorIbN2at6native12_GLOBAL__N_19NonZeroOpIN3c107complexIdEEEEPKSL_lEENS0_5tupleIJPlS6_EEENSQ_IJSD_SD_EEES6_PiJS6_EEE10hipError_tPvRmT3_T4_T5_T6_T7_T9_mT8_P12ihipStream_tbDpT10_ENKUlT_T0_E_clISt17integral_constantIbLb1EES1E_EEDaS19_S1A_EUlS19_E_NS1_11comp_targetILNS1_3genE2ELNS1_11target_archE906ELNS1_3gpuE6ELNS1_3repE0EEENS1_30default_config_static_selectorELNS0_4arch9wavefront6targetE0EEEvT1_.uses_flat_scratch, 0
	.set _ZN7rocprim17ROCPRIM_400000_NS6detail17trampoline_kernelINS0_14default_configENS1_25partition_config_selectorILNS1_17partition_subalgoE5ElNS0_10empty_typeEbEEZZNS1_14partition_implILS5_5ELb0ES3_mN6hipcub16HIPCUB_304000_NS21CountingInputIteratorIllEEPS6_NSA_22TransformInputIteratorIbN2at6native12_GLOBAL__N_19NonZeroOpIN3c107complexIdEEEEPKSL_lEENS0_5tupleIJPlS6_EEENSQ_IJSD_SD_EEES6_PiJS6_EEE10hipError_tPvRmT3_T4_T5_T6_T7_T9_mT8_P12ihipStream_tbDpT10_ENKUlT_T0_E_clISt17integral_constantIbLb1EES1E_EEDaS19_S1A_EUlS19_E_NS1_11comp_targetILNS1_3genE2ELNS1_11target_archE906ELNS1_3gpuE6ELNS1_3repE0EEENS1_30default_config_static_selectorELNS0_4arch9wavefront6targetE0EEEvT1_.has_dyn_sized_stack, 0
	.set _ZN7rocprim17ROCPRIM_400000_NS6detail17trampoline_kernelINS0_14default_configENS1_25partition_config_selectorILNS1_17partition_subalgoE5ElNS0_10empty_typeEbEEZZNS1_14partition_implILS5_5ELb0ES3_mN6hipcub16HIPCUB_304000_NS21CountingInputIteratorIllEEPS6_NSA_22TransformInputIteratorIbN2at6native12_GLOBAL__N_19NonZeroOpIN3c107complexIdEEEEPKSL_lEENS0_5tupleIJPlS6_EEENSQ_IJSD_SD_EEES6_PiJS6_EEE10hipError_tPvRmT3_T4_T5_T6_T7_T9_mT8_P12ihipStream_tbDpT10_ENKUlT_T0_E_clISt17integral_constantIbLb1EES1E_EEDaS19_S1A_EUlS19_E_NS1_11comp_targetILNS1_3genE2ELNS1_11target_archE906ELNS1_3gpuE6ELNS1_3repE0EEENS1_30default_config_static_selectorELNS0_4arch9wavefront6targetE0EEEvT1_.has_recursion, 0
	.set _ZN7rocprim17ROCPRIM_400000_NS6detail17trampoline_kernelINS0_14default_configENS1_25partition_config_selectorILNS1_17partition_subalgoE5ElNS0_10empty_typeEbEEZZNS1_14partition_implILS5_5ELb0ES3_mN6hipcub16HIPCUB_304000_NS21CountingInputIteratorIllEEPS6_NSA_22TransformInputIteratorIbN2at6native12_GLOBAL__N_19NonZeroOpIN3c107complexIdEEEEPKSL_lEENS0_5tupleIJPlS6_EEENSQ_IJSD_SD_EEES6_PiJS6_EEE10hipError_tPvRmT3_T4_T5_T6_T7_T9_mT8_P12ihipStream_tbDpT10_ENKUlT_T0_E_clISt17integral_constantIbLb1EES1E_EEDaS19_S1A_EUlS19_E_NS1_11comp_targetILNS1_3genE2ELNS1_11target_archE906ELNS1_3gpuE6ELNS1_3repE0EEENS1_30default_config_static_selectorELNS0_4arch9wavefront6targetE0EEEvT1_.has_indirect_call, 0
	.section	.AMDGPU.csdata,"",@progbits
; Kernel info:
; codeLenInByte = 0
; TotalNumSgprs: 0
; NumVgprs: 0
; ScratchSize: 0
; MemoryBound: 0
; FloatMode: 240
; IeeeMode: 1
; LDSByteSize: 0 bytes/workgroup (compile time only)
; SGPRBlocks: 0
; VGPRBlocks: 0
; NumSGPRsForWavesPerEU: 1
; NumVGPRsForWavesPerEU: 1
; Occupancy: 16
; WaveLimiterHint : 0
; COMPUTE_PGM_RSRC2:SCRATCH_EN: 0
; COMPUTE_PGM_RSRC2:USER_SGPR: 2
; COMPUTE_PGM_RSRC2:TRAP_HANDLER: 0
; COMPUTE_PGM_RSRC2:TGID_X_EN: 1
; COMPUTE_PGM_RSRC2:TGID_Y_EN: 0
; COMPUTE_PGM_RSRC2:TGID_Z_EN: 0
; COMPUTE_PGM_RSRC2:TIDIG_COMP_CNT: 0
	.section	.text._ZN7rocprim17ROCPRIM_400000_NS6detail17trampoline_kernelINS0_14default_configENS1_25partition_config_selectorILNS1_17partition_subalgoE5ElNS0_10empty_typeEbEEZZNS1_14partition_implILS5_5ELb0ES3_mN6hipcub16HIPCUB_304000_NS21CountingInputIteratorIllEEPS6_NSA_22TransformInputIteratorIbN2at6native12_GLOBAL__N_19NonZeroOpIN3c107complexIdEEEEPKSL_lEENS0_5tupleIJPlS6_EEENSQ_IJSD_SD_EEES6_PiJS6_EEE10hipError_tPvRmT3_T4_T5_T6_T7_T9_mT8_P12ihipStream_tbDpT10_ENKUlT_T0_E_clISt17integral_constantIbLb1EES1E_EEDaS19_S1A_EUlS19_E_NS1_11comp_targetILNS1_3genE10ELNS1_11target_archE1200ELNS1_3gpuE4ELNS1_3repE0EEENS1_30default_config_static_selectorELNS0_4arch9wavefront6targetE0EEEvT1_,"axG",@progbits,_ZN7rocprim17ROCPRIM_400000_NS6detail17trampoline_kernelINS0_14default_configENS1_25partition_config_selectorILNS1_17partition_subalgoE5ElNS0_10empty_typeEbEEZZNS1_14partition_implILS5_5ELb0ES3_mN6hipcub16HIPCUB_304000_NS21CountingInputIteratorIllEEPS6_NSA_22TransformInputIteratorIbN2at6native12_GLOBAL__N_19NonZeroOpIN3c107complexIdEEEEPKSL_lEENS0_5tupleIJPlS6_EEENSQ_IJSD_SD_EEES6_PiJS6_EEE10hipError_tPvRmT3_T4_T5_T6_T7_T9_mT8_P12ihipStream_tbDpT10_ENKUlT_T0_E_clISt17integral_constantIbLb1EES1E_EEDaS19_S1A_EUlS19_E_NS1_11comp_targetILNS1_3genE10ELNS1_11target_archE1200ELNS1_3gpuE4ELNS1_3repE0EEENS1_30default_config_static_selectorELNS0_4arch9wavefront6targetE0EEEvT1_,comdat
	.globl	_ZN7rocprim17ROCPRIM_400000_NS6detail17trampoline_kernelINS0_14default_configENS1_25partition_config_selectorILNS1_17partition_subalgoE5ElNS0_10empty_typeEbEEZZNS1_14partition_implILS5_5ELb0ES3_mN6hipcub16HIPCUB_304000_NS21CountingInputIteratorIllEEPS6_NSA_22TransformInputIteratorIbN2at6native12_GLOBAL__N_19NonZeroOpIN3c107complexIdEEEEPKSL_lEENS0_5tupleIJPlS6_EEENSQ_IJSD_SD_EEES6_PiJS6_EEE10hipError_tPvRmT3_T4_T5_T6_T7_T9_mT8_P12ihipStream_tbDpT10_ENKUlT_T0_E_clISt17integral_constantIbLb1EES1E_EEDaS19_S1A_EUlS19_E_NS1_11comp_targetILNS1_3genE10ELNS1_11target_archE1200ELNS1_3gpuE4ELNS1_3repE0EEENS1_30default_config_static_selectorELNS0_4arch9wavefront6targetE0EEEvT1_ ; -- Begin function _ZN7rocprim17ROCPRIM_400000_NS6detail17trampoline_kernelINS0_14default_configENS1_25partition_config_selectorILNS1_17partition_subalgoE5ElNS0_10empty_typeEbEEZZNS1_14partition_implILS5_5ELb0ES3_mN6hipcub16HIPCUB_304000_NS21CountingInputIteratorIllEEPS6_NSA_22TransformInputIteratorIbN2at6native12_GLOBAL__N_19NonZeroOpIN3c107complexIdEEEEPKSL_lEENS0_5tupleIJPlS6_EEENSQ_IJSD_SD_EEES6_PiJS6_EEE10hipError_tPvRmT3_T4_T5_T6_T7_T9_mT8_P12ihipStream_tbDpT10_ENKUlT_T0_E_clISt17integral_constantIbLb1EES1E_EEDaS19_S1A_EUlS19_E_NS1_11comp_targetILNS1_3genE10ELNS1_11target_archE1200ELNS1_3gpuE4ELNS1_3repE0EEENS1_30default_config_static_selectorELNS0_4arch9wavefront6targetE0EEEvT1_
	.p2align	8
	.type	_ZN7rocprim17ROCPRIM_400000_NS6detail17trampoline_kernelINS0_14default_configENS1_25partition_config_selectorILNS1_17partition_subalgoE5ElNS0_10empty_typeEbEEZZNS1_14partition_implILS5_5ELb0ES3_mN6hipcub16HIPCUB_304000_NS21CountingInputIteratorIllEEPS6_NSA_22TransformInputIteratorIbN2at6native12_GLOBAL__N_19NonZeroOpIN3c107complexIdEEEEPKSL_lEENS0_5tupleIJPlS6_EEENSQ_IJSD_SD_EEES6_PiJS6_EEE10hipError_tPvRmT3_T4_T5_T6_T7_T9_mT8_P12ihipStream_tbDpT10_ENKUlT_T0_E_clISt17integral_constantIbLb1EES1E_EEDaS19_S1A_EUlS19_E_NS1_11comp_targetILNS1_3genE10ELNS1_11target_archE1200ELNS1_3gpuE4ELNS1_3repE0EEENS1_30default_config_static_selectorELNS0_4arch9wavefront6targetE0EEEvT1_,@function
_ZN7rocprim17ROCPRIM_400000_NS6detail17trampoline_kernelINS0_14default_configENS1_25partition_config_selectorILNS1_17partition_subalgoE5ElNS0_10empty_typeEbEEZZNS1_14partition_implILS5_5ELb0ES3_mN6hipcub16HIPCUB_304000_NS21CountingInputIteratorIllEEPS6_NSA_22TransformInputIteratorIbN2at6native12_GLOBAL__N_19NonZeroOpIN3c107complexIdEEEEPKSL_lEENS0_5tupleIJPlS6_EEENSQ_IJSD_SD_EEES6_PiJS6_EEE10hipError_tPvRmT3_T4_T5_T6_T7_T9_mT8_P12ihipStream_tbDpT10_ENKUlT_T0_E_clISt17integral_constantIbLb1EES1E_EEDaS19_S1A_EUlS19_E_NS1_11comp_targetILNS1_3genE10ELNS1_11target_archE1200ELNS1_3gpuE4ELNS1_3repE0EEENS1_30default_config_static_selectorELNS0_4arch9wavefront6targetE0EEEvT1_: ; @_ZN7rocprim17ROCPRIM_400000_NS6detail17trampoline_kernelINS0_14default_configENS1_25partition_config_selectorILNS1_17partition_subalgoE5ElNS0_10empty_typeEbEEZZNS1_14partition_implILS5_5ELb0ES3_mN6hipcub16HIPCUB_304000_NS21CountingInputIteratorIllEEPS6_NSA_22TransformInputIteratorIbN2at6native12_GLOBAL__N_19NonZeroOpIN3c107complexIdEEEEPKSL_lEENS0_5tupleIJPlS6_EEENSQ_IJSD_SD_EEES6_PiJS6_EEE10hipError_tPvRmT3_T4_T5_T6_T7_T9_mT8_P12ihipStream_tbDpT10_ENKUlT_T0_E_clISt17integral_constantIbLb1EES1E_EEDaS19_S1A_EUlS19_E_NS1_11comp_targetILNS1_3genE10ELNS1_11target_archE1200ELNS1_3gpuE4ELNS1_3repE0EEENS1_30default_config_static_selectorELNS0_4arch9wavefront6targetE0EEEvT1_
; %bb.0:
	s_endpgm
	.section	.rodata,"a",@progbits
	.p2align	6, 0x0
	.amdhsa_kernel _ZN7rocprim17ROCPRIM_400000_NS6detail17trampoline_kernelINS0_14default_configENS1_25partition_config_selectorILNS1_17partition_subalgoE5ElNS0_10empty_typeEbEEZZNS1_14partition_implILS5_5ELb0ES3_mN6hipcub16HIPCUB_304000_NS21CountingInputIteratorIllEEPS6_NSA_22TransformInputIteratorIbN2at6native12_GLOBAL__N_19NonZeroOpIN3c107complexIdEEEEPKSL_lEENS0_5tupleIJPlS6_EEENSQ_IJSD_SD_EEES6_PiJS6_EEE10hipError_tPvRmT3_T4_T5_T6_T7_T9_mT8_P12ihipStream_tbDpT10_ENKUlT_T0_E_clISt17integral_constantIbLb1EES1E_EEDaS19_S1A_EUlS19_E_NS1_11comp_targetILNS1_3genE10ELNS1_11target_archE1200ELNS1_3gpuE4ELNS1_3repE0EEENS1_30default_config_static_selectorELNS0_4arch9wavefront6targetE0EEEvT1_
		.amdhsa_group_segment_fixed_size 0
		.amdhsa_private_segment_fixed_size 0
		.amdhsa_kernarg_size 136
		.amdhsa_user_sgpr_count 2
		.amdhsa_user_sgpr_dispatch_ptr 0
		.amdhsa_user_sgpr_queue_ptr 0
		.amdhsa_user_sgpr_kernarg_segment_ptr 1
		.amdhsa_user_sgpr_dispatch_id 0
		.amdhsa_user_sgpr_private_segment_size 0
		.amdhsa_wavefront_size32 1
		.amdhsa_uses_dynamic_stack 0
		.amdhsa_enable_private_segment 0
		.amdhsa_system_sgpr_workgroup_id_x 1
		.amdhsa_system_sgpr_workgroup_id_y 0
		.amdhsa_system_sgpr_workgroup_id_z 0
		.amdhsa_system_sgpr_workgroup_info 0
		.amdhsa_system_vgpr_workitem_id 0
		.amdhsa_next_free_vgpr 1
		.amdhsa_next_free_sgpr 1
		.amdhsa_reserve_vcc 0
		.amdhsa_float_round_mode_32 0
		.amdhsa_float_round_mode_16_64 0
		.amdhsa_float_denorm_mode_32 3
		.amdhsa_float_denorm_mode_16_64 3
		.amdhsa_fp16_overflow 0
		.amdhsa_workgroup_processor_mode 1
		.amdhsa_memory_ordered 1
		.amdhsa_forward_progress 1
		.amdhsa_inst_pref_size 1
		.amdhsa_round_robin_scheduling 0
		.amdhsa_exception_fp_ieee_invalid_op 0
		.amdhsa_exception_fp_denorm_src 0
		.amdhsa_exception_fp_ieee_div_zero 0
		.amdhsa_exception_fp_ieee_overflow 0
		.amdhsa_exception_fp_ieee_underflow 0
		.amdhsa_exception_fp_ieee_inexact 0
		.amdhsa_exception_int_div_zero 0
	.end_amdhsa_kernel
	.section	.text._ZN7rocprim17ROCPRIM_400000_NS6detail17trampoline_kernelINS0_14default_configENS1_25partition_config_selectorILNS1_17partition_subalgoE5ElNS0_10empty_typeEbEEZZNS1_14partition_implILS5_5ELb0ES3_mN6hipcub16HIPCUB_304000_NS21CountingInputIteratorIllEEPS6_NSA_22TransformInputIteratorIbN2at6native12_GLOBAL__N_19NonZeroOpIN3c107complexIdEEEEPKSL_lEENS0_5tupleIJPlS6_EEENSQ_IJSD_SD_EEES6_PiJS6_EEE10hipError_tPvRmT3_T4_T5_T6_T7_T9_mT8_P12ihipStream_tbDpT10_ENKUlT_T0_E_clISt17integral_constantIbLb1EES1E_EEDaS19_S1A_EUlS19_E_NS1_11comp_targetILNS1_3genE10ELNS1_11target_archE1200ELNS1_3gpuE4ELNS1_3repE0EEENS1_30default_config_static_selectorELNS0_4arch9wavefront6targetE0EEEvT1_,"axG",@progbits,_ZN7rocprim17ROCPRIM_400000_NS6detail17trampoline_kernelINS0_14default_configENS1_25partition_config_selectorILNS1_17partition_subalgoE5ElNS0_10empty_typeEbEEZZNS1_14partition_implILS5_5ELb0ES3_mN6hipcub16HIPCUB_304000_NS21CountingInputIteratorIllEEPS6_NSA_22TransformInputIteratorIbN2at6native12_GLOBAL__N_19NonZeroOpIN3c107complexIdEEEEPKSL_lEENS0_5tupleIJPlS6_EEENSQ_IJSD_SD_EEES6_PiJS6_EEE10hipError_tPvRmT3_T4_T5_T6_T7_T9_mT8_P12ihipStream_tbDpT10_ENKUlT_T0_E_clISt17integral_constantIbLb1EES1E_EEDaS19_S1A_EUlS19_E_NS1_11comp_targetILNS1_3genE10ELNS1_11target_archE1200ELNS1_3gpuE4ELNS1_3repE0EEENS1_30default_config_static_selectorELNS0_4arch9wavefront6targetE0EEEvT1_,comdat
.Lfunc_end539:
	.size	_ZN7rocprim17ROCPRIM_400000_NS6detail17trampoline_kernelINS0_14default_configENS1_25partition_config_selectorILNS1_17partition_subalgoE5ElNS0_10empty_typeEbEEZZNS1_14partition_implILS5_5ELb0ES3_mN6hipcub16HIPCUB_304000_NS21CountingInputIteratorIllEEPS6_NSA_22TransformInputIteratorIbN2at6native12_GLOBAL__N_19NonZeroOpIN3c107complexIdEEEEPKSL_lEENS0_5tupleIJPlS6_EEENSQ_IJSD_SD_EEES6_PiJS6_EEE10hipError_tPvRmT3_T4_T5_T6_T7_T9_mT8_P12ihipStream_tbDpT10_ENKUlT_T0_E_clISt17integral_constantIbLb1EES1E_EEDaS19_S1A_EUlS19_E_NS1_11comp_targetILNS1_3genE10ELNS1_11target_archE1200ELNS1_3gpuE4ELNS1_3repE0EEENS1_30default_config_static_selectorELNS0_4arch9wavefront6targetE0EEEvT1_, .Lfunc_end539-_ZN7rocprim17ROCPRIM_400000_NS6detail17trampoline_kernelINS0_14default_configENS1_25partition_config_selectorILNS1_17partition_subalgoE5ElNS0_10empty_typeEbEEZZNS1_14partition_implILS5_5ELb0ES3_mN6hipcub16HIPCUB_304000_NS21CountingInputIteratorIllEEPS6_NSA_22TransformInputIteratorIbN2at6native12_GLOBAL__N_19NonZeroOpIN3c107complexIdEEEEPKSL_lEENS0_5tupleIJPlS6_EEENSQ_IJSD_SD_EEES6_PiJS6_EEE10hipError_tPvRmT3_T4_T5_T6_T7_T9_mT8_P12ihipStream_tbDpT10_ENKUlT_T0_E_clISt17integral_constantIbLb1EES1E_EEDaS19_S1A_EUlS19_E_NS1_11comp_targetILNS1_3genE10ELNS1_11target_archE1200ELNS1_3gpuE4ELNS1_3repE0EEENS1_30default_config_static_selectorELNS0_4arch9wavefront6targetE0EEEvT1_
                                        ; -- End function
	.set _ZN7rocprim17ROCPRIM_400000_NS6detail17trampoline_kernelINS0_14default_configENS1_25partition_config_selectorILNS1_17partition_subalgoE5ElNS0_10empty_typeEbEEZZNS1_14partition_implILS5_5ELb0ES3_mN6hipcub16HIPCUB_304000_NS21CountingInputIteratorIllEEPS6_NSA_22TransformInputIteratorIbN2at6native12_GLOBAL__N_19NonZeroOpIN3c107complexIdEEEEPKSL_lEENS0_5tupleIJPlS6_EEENSQ_IJSD_SD_EEES6_PiJS6_EEE10hipError_tPvRmT3_T4_T5_T6_T7_T9_mT8_P12ihipStream_tbDpT10_ENKUlT_T0_E_clISt17integral_constantIbLb1EES1E_EEDaS19_S1A_EUlS19_E_NS1_11comp_targetILNS1_3genE10ELNS1_11target_archE1200ELNS1_3gpuE4ELNS1_3repE0EEENS1_30default_config_static_selectorELNS0_4arch9wavefront6targetE0EEEvT1_.num_vgpr, 0
	.set _ZN7rocprim17ROCPRIM_400000_NS6detail17trampoline_kernelINS0_14default_configENS1_25partition_config_selectorILNS1_17partition_subalgoE5ElNS0_10empty_typeEbEEZZNS1_14partition_implILS5_5ELb0ES3_mN6hipcub16HIPCUB_304000_NS21CountingInputIteratorIllEEPS6_NSA_22TransformInputIteratorIbN2at6native12_GLOBAL__N_19NonZeroOpIN3c107complexIdEEEEPKSL_lEENS0_5tupleIJPlS6_EEENSQ_IJSD_SD_EEES6_PiJS6_EEE10hipError_tPvRmT3_T4_T5_T6_T7_T9_mT8_P12ihipStream_tbDpT10_ENKUlT_T0_E_clISt17integral_constantIbLb1EES1E_EEDaS19_S1A_EUlS19_E_NS1_11comp_targetILNS1_3genE10ELNS1_11target_archE1200ELNS1_3gpuE4ELNS1_3repE0EEENS1_30default_config_static_selectorELNS0_4arch9wavefront6targetE0EEEvT1_.num_agpr, 0
	.set _ZN7rocprim17ROCPRIM_400000_NS6detail17trampoline_kernelINS0_14default_configENS1_25partition_config_selectorILNS1_17partition_subalgoE5ElNS0_10empty_typeEbEEZZNS1_14partition_implILS5_5ELb0ES3_mN6hipcub16HIPCUB_304000_NS21CountingInputIteratorIllEEPS6_NSA_22TransformInputIteratorIbN2at6native12_GLOBAL__N_19NonZeroOpIN3c107complexIdEEEEPKSL_lEENS0_5tupleIJPlS6_EEENSQ_IJSD_SD_EEES6_PiJS6_EEE10hipError_tPvRmT3_T4_T5_T6_T7_T9_mT8_P12ihipStream_tbDpT10_ENKUlT_T0_E_clISt17integral_constantIbLb1EES1E_EEDaS19_S1A_EUlS19_E_NS1_11comp_targetILNS1_3genE10ELNS1_11target_archE1200ELNS1_3gpuE4ELNS1_3repE0EEENS1_30default_config_static_selectorELNS0_4arch9wavefront6targetE0EEEvT1_.numbered_sgpr, 0
	.set _ZN7rocprim17ROCPRIM_400000_NS6detail17trampoline_kernelINS0_14default_configENS1_25partition_config_selectorILNS1_17partition_subalgoE5ElNS0_10empty_typeEbEEZZNS1_14partition_implILS5_5ELb0ES3_mN6hipcub16HIPCUB_304000_NS21CountingInputIteratorIllEEPS6_NSA_22TransformInputIteratorIbN2at6native12_GLOBAL__N_19NonZeroOpIN3c107complexIdEEEEPKSL_lEENS0_5tupleIJPlS6_EEENSQ_IJSD_SD_EEES6_PiJS6_EEE10hipError_tPvRmT3_T4_T5_T6_T7_T9_mT8_P12ihipStream_tbDpT10_ENKUlT_T0_E_clISt17integral_constantIbLb1EES1E_EEDaS19_S1A_EUlS19_E_NS1_11comp_targetILNS1_3genE10ELNS1_11target_archE1200ELNS1_3gpuE4ELNS1_3repE0EEENS1_30default_config_static_selectorELNS0_4arch9wavefront6targetE0EEEvT1_.num_named_barrier, 0
	.set _ZN7rocprim17ROCPRIM_400000_NS6detail17trampoline_kernelINS0_14default_configENS1_25partition_config_selectorILNS1_17partition_subalgoE5ElNS0_10empty_typeEbEEZZNS1_14partition_implILS5_5ELb0ES3_mN6hipcub16HIPCUB_304000_NS21CountingInputIteratorIllEEPS6_NSA_22TransformInputIteratorIbN2at6native12_GLOBAL__N_19NonZeroOpIN3c107complexIdEEEEPKSL_lEENS0_5tupleIJPlS6_EEENSQ_IJSD_SD_EEES6_PiJS6_EEE10hipError_tPvRmT3_T4_T5_T6_T7_T9_mT8_P12ihipStream_tbDpT10_ENKUlT_T0_E_clISt17integral_constantIbLb1EES1E_EEDaS19_S1A_EUlS19_E_NS1_11comp_targetILNS1_3genE10ELNS1_11target_archE1200ELNS1_3gpuE4ELNS1_3repE0EEENS1_30default_config_static_selectorELNS0_4arch9wavefront6targetE0EEEvT1_.private_seg_size, 0
	.set _ZN7rocprim17ROCPRIM_400000_NS6detail17trampoline_kernelINS0_14default_configENS1_25partition_config_selectorILNS1_17partition_subalgoE5ElNS0_10empty_typeEbEEZZNS1_14partition_implILS5_5ELb0ES3_mN6hipcub16HIPCUB_304000_NS21CountingInputIteratorIllEEPS6_NSA_22TransformInputIteratorIbN2at6native12_GLOBAL__N_19NonZeroOpIN3c107complexIdEEEEPKSL_lEENS0_5tupleIJPlS6_EEENSQ_IJSD_SD_EEES6_PiJS6_EEE10hipError_tPvRmT3_T4_T5_T6_T7_T9_mT8_P12ihipStream_tbDpT10_ENKUlT_T0_E_clISt17integral_constantIbLb1EES1E_EEDaS19_S1A_EUlS19_E_NS1_11comp_targetILNS1_3genE10ELNS1_11target_archE1200ELNS1_3gpuE4ELNS1_3repE0EEENS1_30default_config_static_selectorELNS0_4arch9wavefront6targetE0EEEvT1_.uses_vcc, 0
	.set _ZN7rocprim17ROCPRIM_400000_NS6detail17trampoline_kernelINS0_14default_configENS1_25partition_config_selectorILNS1_17partition_subalgoE5ElNS0_10empty_typeEbEEZZNS1_14partition_implILS5_5ELb0ES3_mN6hipcub16HIPCUB_304000_NS21CountingInputIteratorIllEEPS6_NSA_22TransformInputIteratorIbN2at6native12_GLOBAL__N_19NonZeroOpIN3c107complexIdEEEEPKSL_lEENS0_5tupleIJPlS6_EEENSQ_IJSD_SD_EEES6_PiJS6_EEE10hipError_tPvRmT3_T4_T5_T6_T7_T9_mT8_P12ihipStream_tbDpT10_ENKUlT_T0_E_clISt17integral_constantIbLb1EES1E_EEDaS19_S1A_EUlS19_E_NS1_11comp_targetILNS1_3genE10ELNS1_11target_archE1200ELNS1_3gpuE4ELNS1_3repE0EEENS1_30default_config_static_selectorELNS0_4arch9wavefront6targetE0EEEvT1_.uses_flat_scratch, 0
	.set _ZN7rocprim17ROCPRIM_400000_NS6detail17trampoline_kernelINS0_14default_configENS1_25partition_config_selectorILNS1_17partition_subalgoE5ElNS0_10empty_typeEbEEZZNS1_14partition_implILS5_5ELb0ES3_mN6hipcub16HIPCUB_304000_NS21CountingInputIteratorIllEEPS6_NSA_22TransformInputIteratorIbN2at6native12_GLOBAL__N_19NonZeroOpIN3c107complexIdEEEEPKSL_lEENS0_5tupleIJPlS6_EEENSQ_IJSD_SD_EEES6_PiJS6_EEE10hipError_tPvRmT3_T4_T5_T6_T7_T9_mT8_P12ihipStream_tbDpT10_ENKUlT_T0_E_clISt17integral_constantIbLb1EES1E_EEDaS19_S1A_EUlS19_E_NS1_11comp_targetILNS1_3genE10ELNS1_11target_archE1200ELNS1_3gpuE4ELNS1_3repE0EEENS1_30default_config_static_selectorELNS0_4arch9wavefront6targetE0EEEvT1_.has_dyn_sized_stack, 0
	.set _ZN7rocprim17ROCPRIM_400000_NS6detail17trampoline_kernelINS0_14default_configENS1_25partition_config_selectorILNS1_17partition_subalgoE5ElNS0_10empty_typeEbEEZZNS1_14partition_implILS5_5ELb0ES3_mN6hipcub16HIPCUB_304000_NS21CountingInputIteratorIllEEPS6_NSA_22TransformInputIteratorIbN2at6native12_GLOBAL__N_19NonZeroOpIN3c107complexIdEEEEPKSL_lEENS0_5tupleIJPlS6_EEENSQ_IJSD_SD_EEES6_PiJS6_EEE10hipError_tPvRmT3_T4_T5_T6_T7_T9_mT8_P12ihipStream_tbDpT10_ENKUlT_T0_E_clISt17integral_constantIbLb1EES1E_EEDaS19_S1A_EUlS19_E_NS1_11comp_targetILNS1_3genE10ELNS1_11target_archE1200ELNS1_3gpuE4ELNS1_3repE0EEENS1_30default_config_static_selectorELNS0_4arch9wavefront6targetE0EEEvT1_.has_recursion, 0
	.set _ZN7rocprim17ROCPRIM_400000_NS6detail17trampoline_kernelINS0_14default_configENS1_25partition_config_selectorILNS1_17partition_subalgoE5ElNS0_10empty_typeEbEEZZNS1_14partition_implILS5_5ELb0ES3_mN6hipcub16HIPCUB_304000_NS21CountingInputIteratorIllEEPS6_NSA_22TransformInputIteratorIbN2at6native12_GLOBAL__N_19NonZeroOpIN3c107complexIdEEEEPKSL_lEENS0_5tupleIJPlS6_EEENSQ_IJSD_SD_EEES6_PiJS6_EEE10hipError_tPvRmT3_T4_T5_T6_T7_T9_mT8_P12ihipStream_tbDpT10_ENKUlT_T0_E_clISt17integral_constantIbLb1EES1E_EEDaS19_S1A_EUlS19_E_NS1_11comp_targetILNS1_3genE10ELNS1_11target_archE1200ELNS1_3gpuE4ELNS1_3repE0EEENS1_30default_config_static_selectorELNS0_4arch9wavefront6targetE0EEEvT1_.has_indirect_call, 0
	.section	.AMDGPU.csdata,"",@progbits
; Kernel info:
; codeLenInByte = 4
; TotalNumSgprs: 0
; NumVgprs: 0
; ScratchSize: 0
; MemoryBound: 0
; FloatMode: 240
; IeeeMode: 1
; LDSByteSize: 0 bytes/workgroup (compile time only)
; SGPRBlocks: 0
; VGPRBlocks: 0
; NumSGPRsForWavesPerEU: 1
; NumVGPRsForWavesPerEU: 1
; Occupancy: 16
; WaveLimiterHint : 0
; COMPUTE_PGM_RSRC2:SCRATCH_EN: 0
; COMPUTE_PGM_RSRC2:USER_SGPR: 2
; COMPUTE_PGM_RSRC2:TRAP_HANDLER: 0
; COMPUTE_PGM_RSRC2:TGID_X_EN: 1
; COMPUTE_PGM_RSRC2:TGID_Y_EN: 0
; COMPUTE_PGM_RSRC2:TGID_Z_EN: 0
; COMPUTE_PGM_RSRC2:TIDIG_COMP_CNT: 0
	.section	.text._ZN7rocprim17ROCPRIM_400000_NS6detail17trampoline_kernelINS0_14default_configENS1_25partition_config_selectorILNS1_17partition_subalgoE5ElNS0_10empty_typeEbEEZZNS1_14partition_implILS5_5ELb0ES3_mN6hipcub16HIPCUB_304000_NS21CountingInputIteratorIllEEPS6_NSA_22TransformInputIteratorIbN2at6native12_GLOBAL__N_19NonZeroOpIN3c107complexIdEEEEPKSL_lEENS0_5tupleIJPlS6_EEENSQ_IJSD_SD_EEES6_PiJS6_EEE10hipError_tPvRmT3_T4_T5_T6_T7_T9_mT8_P12ihipStream_tbDpT10_ENKUlT_T0_E_clISt17integral_constantIbLb1EES1E_EEDaS19_S1A_EUlS19_E_NS1_11comp_targetILNS1_3genE9ELNS1_11target_archE1100ELNS1_3gpuE3ELNS1_3repE0EEENS1_30default_config_static_selectorELNS0_4arch9wavefront6targetE0EEEvT1_,"axG",@progbits,_ZN7rocprim17ROCPRIM_400000_NS6detail17trampoline_kernelINS0_14default_configENS1_25partition_config_selectorILNS1_17partition_subalgoE5ElNS0_10empty_typeEbEEZZNS1_14partition_implILS5_5ELb0ES3_mN6hipcub16HIPCUB_304000_NS21CountingInputIteratorIllEEPS6_NSA_22TransformInputIteratorIbN2at6native12_GLOBAL__N_19NonZeroOpIN3c107complexIdEEEEPKSL_lEENS0_5tupleIJPlS6_EEENSQ_IJSD_SD_EEES6_PiJS6_EEE10hipError_tPvRmT3_T4_T5_T6_T7_T9_mT8_P12ihipStream_tbDpT10_ENKUlT_T0_E_clISt17integral_constantIbLb1EES1E_EEDaS19_S1A_EUlS19_E_NS1_11comp_targetILNS1_3genE9ELNS1_11target_archE1100ELNS1_3gpuE3ELNS1_3repE0EEENS1_30default_config_static_selectorELNS0_4arch9wavefront6targetE0EEEvT1_,comdat
	.globl	_ZN7rocprim17ROCPRIM_400000_NS6detail17trampoline_kernelINS0_14default_configENS1_25partition_config_selectorILNS1_17partition_subalgoE5ElNS0_10empty_typeEbEEZZNS1_14partition_implILS5_5ELb0ES3_mN6hipcub16HIPCUB_304000_NS21CountingInputIteratorIllEEPS6_NSA_22TransformInputIteratorIbN2at6native12_GLOBAL__N_19NonZeroOpIN3c107complexIdEEEEPKSL_lEENS0_5tupleIJPlS6_EEENSQ_IJSD_SD_EEES6_PiJS6_EEE10hipError_tPvRmT3_T4_T5_T6_T7_T9_mT8_P12ihipStream_tbDpT10_ENKUlT_T0_E_clISt17integral_constantIbLb1EES1E_EEDaS19_S1A_EUlS19_E_NS1_11comp_targetILNS1_3genE9ELNS1_11target_archE1100ELNS1_3gpuE3ELNS1_3repE0EEENS1_30default_config_static_selectorELNS0_4arch9wavefront6targetE0EEEvT1_ ; -- Begin function _ZN7rocprim17ROCPRIM_400000_NS6detail17trampoline_kernelINS0_14default_configENS1_25partition_config_selectorILNS1_17partition_subalgoE5ElNS0_10empty_typeEbEEZZNS1_14partition_implILS5_5ELb0ES3_mN6hipcub16HIPCUB_304000_NS21CountingInputIteratorIllEEPS6_NSA_22TransformInputIteratorIbN2at6native12_GLOBAL__N_19NonZeroOpIN3c107complexIdEEEEPKSL_lEENS0_5tupleIJPlS6_EEENSQ_IJSD_SD_EEES6_PiJS6_EEE10hipError_tPvRmT3_T4_T5_T6_T7_T9_mT8_P12ihipStream_tbDpT10_ENKUlT_T0_E_clISt17integral_constantIbLb1EES1E_EEDaS19_S1A_EUlS19_E_NS1_11comp_targetILNS1_3genE9ELNS1_11target_archE1100ELNS1_3gpuE3ELNS1_3repE0EEENS1_30default_config_static_selectorELNS0_4arch9wavefront6targetE0EEEvT1_
	.p2align	8
	.type	_ZN7rocprim17ROCPRIM_400000_NS6detail17trampoline_kernelINS0_14default_configENS1_25partition_config_selectorILNS1_17partition_subalgoE5ElNS0_10empty_typeEbEEZZNS1_14partition_implILS5_5ELb0ES3_mN6hipcub16HIPCUB_304000_NS21CountingInputIteratorIllEEPS6_NSA_22TransformInputIteratorIbN2at6native12_GLOBAL__N_19NonZeroOpIN3c107complexIdEEEEPKSL_lEENS0_5tupleIJPlS6_EEENSQ_IJSD_SD_EEES6_PiJS6_EEE10hipError_tPvRmT3_T4_T5_T6_T7_T9_mT8_P12ihipStream_tbDpT10_ENKUlT_T0_E_clISt17integral_constantIbLb1EES1E_EEDaS19_S1A_EUlS19_E_NS1_11comp_targetILNS1_3genE9ELNS1_11target_archE1100ELNS1_3gpuE3ELNS1_3repE0EEENS1_30default_config_static_selectorELNS0_4arch9wavefront6targetE0EEEvT1_,@function
_ZN7rocprim17ROCPRIM_400000_NS6detail17trampoline_kernelINS0_14default_configENS1_25partition_config_selectorILNS1_17partition_subalgoE5ElNS0_10empty_typeEbEEZZNS1_14partition_implILS5_5ELb0ES3_mN6hipcub16HIPCUB_304000_NS21CountingInputIteratorIllEEPS6_NSA_22TransformInputIteratorIbN2at6native12_GLOBAL__N_19NonZeroOpIN3c107complexIdEEEEPKSL_lEENS0_5tupleIJPlS6_EEENSQ_IJSD_SD_EEES6_PiJS6_EEE10hipError_tPvRmT3_T4_T5_T6_T7_T9_mT8_P12ihipStream_tbDpT10_ENKUlT_T0_E_clISt17integral_constantIbLb1EES1E_EEDaS19_S1A_EUlS19_E_NS1_11comp_targetILNS1_3genE9ELNS1_11target_archE1100ELNS1_3gpuE3ELNS1_3repE0EEENS1_30default_config_static_selectorELNS0_4arch9wavefront6targetE0EEEvT1_: ; @_ZN7rocprim17ROCPRIM_400000_NS6detail17trampoline_kernelINS0_14default_configENS1_25partition_config_selectorILNS1_17partition_subalgoE5ElNS0_10empty_typeEbEEZZNS1_14partition_implILS5_5ELb0ES3_mN6hipcub16HIPCUB_304000_NS21CountingInputIteratorIllEEPS6_NSA_22TransformInputIteratorIbN2at6native12_GLOBAL__N_19NonZeroOpIN3c107complexIdEEEEPKSL_lEENS0_5tupleIJPlS6_EEENSQ_IJSD_SD_EEES6_PiJS6_EEE10hipError_tPvRmT3_T4_T5_T6_T7_T9_mT8_P12ihipStream_tbDpT10_ENKUlT_T0_E_clISt17integral_constantIbLb1EES1E_EEDaS19_S1A_EUlS19_E_NS1_11comp_targetILNS1_3genE9ELNS1_11target_archE1100ELNS1_3gpuE3ELNS1_3repE0EEENS1_30default_config_static_selectorELNS0_4arch9wavefront6targetE0EEEvT1_
; %bb.0:
	.section	.rodata,"a",@progbits
	.p2align	6, 0x0
	.amdhsa_kernel _ZN7rocprim17ROCPRIM_400000_NS6detail17trampoline_kernelINS0_14default_configENS1_25partition_config_selectorILNS1_17partition_subalgoE5ElNS0_10empty_typeEbEEZZNS1_14partition_implILS5_5ELb0ES3_mN6hipcub16HIPCUB_304000_NS21CountingInputIteratorIllEEPS6_NSA_22TransformInputIteratorIbN2at6native12_GLOBAL__N_19NonZeroOpIN3c107complexIdEEEEPKSL_lEENS0_5tupleIJPlS6_EEENSQ_IJSD_SD_EEES6_PiJS6_EEE10hipError_tPvRmT3_T4_T5_T6_T7_T9_mT8_P12ihipStream_tbDpT10_ENKUlT_T0_E_clISt17integral_constantIbLb1EES1E_EEDaS19_S1A_EUlS19_E_NS1_11comp_targetILNS1_3genE9ELNS1_11target_archE1100ELNS1_3gpuE3ELNS1_3repE0EEENS1_30default_config_static_selectorELNS0_4arch9wavefront6targetE0EEEvT1_
		.amdhsa_group_segment_fixed_size 0
		.amdhsa_private_segment_fixed_size 0
		.amdhsa_kernarg_size 136
		.amdhsa_user_sgpr_count 2
		.amdhsa_user_sgpr_dispatch_ptr 0
		.amdhsa_user_sgpr_queue_ptr 0
		.amdhsa_user_sgpr_kernarg_segment_ptr 1
		.amdhsa_user_sgpr_dispatch_id 0
		.amdhsa_user_sgpr_private_segment_size 0
		.amdhsa_wavefront_size32 1
		.amdhsa_uses_dynamic_stack 0
		.amdhsa_enable_private_segment 0
		.amdhsa_system_sgpr_workgroup_id_x 1
		.amdhsa_system_sgpr_workgroup_id_y 0
		.amdhsa_system_sgpr_workgroup_id_z 0
		.amdhsa_system_sgpr_workgroup_info 0
		.amdhsa_system_vgpr_workitem_id 0
		.amdhsa_next_free_vgpr 1
		.amdhsa_next_free_sgpr 1
		.amdhsa_reserve_vcc 0
		.amdhsa_float_round_mode_32 0
		.amdhsa_float_round_mode_16_64 0
		.amdhsa_float_denorm_mode_32 3
		.amdhsa_float_denorm_mode_16_64 3
		.amdhsa_fp16_overflow 0
		.amdhsa_workgroup_processor_mode 1
		.amdhsa_memory_ordered 1
		.amdhsa_forward_progress 1
		.amdhsa_inst_pref_size 0
		.amdhsa_round_robin_scheduling 0
		.amdhsa_exception_fp_ieee_invalid_op 0
		.amdhsa_exception_fp_denorm_src 0
		.amdhsa_exception_fp_ieee_div_zero 0
		.amdhsa_exception_fp_ieee_overflow 0
		.amdhsa_exception_fp_ieee_underflow 0
		.amdhsa_exception_fp_ieee_inexact 0
		.amdhsa_exception_int_div_zero 0
	.end_amdhsa_kernel
	.section	.text._ZN7rocprim17ROCPRIM_400000_NS6detail17trampoline_kernelINS0_14default_configENS1_25partition_config_selectorILNS1_17partition_subalgoE5ElNS0_10empty_typeEbEEZZNS1_14partition_implILS5_5ELb0ES3_mN6hipcub16HIPCUB_304000_NS21CountingInputIteratorIllEEPS6_NSA_22TransformInputIteratorIbN2at6native12_GLOBAL__N_19NonZeroOpIN3c107complexIdEEEEPKSL_lEENS0_5tupleIJPlS6_EEENSQ_IJSD_SD_EEES6_PiJS6_EEE10hipError_tPvRmT3_T4_T5_T6_T7_T9_mT8_P12ihipStream_tbDpT10_ENKUlT_T0_E_clISt17integral_constantIbLb1EES1E_EEDaS19_S1A_EUlS19_E_NS1_11comp_targetILNS1_3genE9ELNS1_11target_archE1100ELNS1_3gpuE3ELNS1_3repE0EEENS1_30default_config_static_selectorELNS0_4arch9wavefront6targetE0EEEvT1_,"axG",@progbits,_ZN7rocprim17ROCPRIM_400000_NS6detail17trampoline_kernelINS0_14default_configENS1_25partition_config_selectorILNS1_17partition_subalgoE5ElNS0_10empty_typeEbEEZZNS1_14partition_implILS5_5ELb0ES3_mN6hipcub16HIPCUB_304000_NS21CountingInputIteratorIllEEPS6_NSA_22TransformInputIteratorIbN2at6native12_GLOBAL__N_19NonZeroOpIN3c107complexIdEEEEPKSL_lEENS0_5tupleIJPlS6_EEENSQ_IJSD_SD_EEES6_PiJS6_EEE10hipError_tPvRmT3_T4_T5_T6_T7_T9_mT8_P12ihipStream_tbDpT10_ENKUlT_T0_E_clISt17integral_constantIbLb1EES1E_EEDaS19_S1A_EUlS19_E_NS1_11comp_targetILNS1_3genE9ELNS1_11target_archE1100ELNS1_3gpuE3ELNS1_3repE0EEENS1_30default_config_static_selectorELNS0_4arch9wavefront6targetE0EEEvT1_,comdat
.Lfunc_end540:
	.size	_ZN7rocprim17ROCPRIM_400000_NS6detail17trampoline_kernelINS0_14default_configENS1_25partition_config_selectorILNS1_17partition_subalgoE5ElNS0_10empty_typeEbEEZZNS1_14partition_implILS5_5ELb0ES3_mN6hipcub16HIPCUB_304000_NS21CountingInputIteratorIllEEPS6_NSA_22TransformInputIteratorIbN2at6native12_GLOBAL__N_19NonZeroOpIN3c107complexIdEEEEPKSL_lEENS0_5tupleIJPlS6_EEENSQ_IJSD_SD_EEES6_PiJS6_EEE10hipError_tPvRmT3_T4_T5_T6_T7_T9_mT8_P12ihipStream_tbDpT10_ENKUlT_T0_E_clISt17integral_constantIbLb1EES1E_EEDaS19_S1A_EUlS19_E_NS1_11comp_targetILNS1_3genE9ELNS1_11target_archE1100ELNS1_3gpuE3ELNS1_3repE0EEENS1_30default_config_static_selectorELNS0_4arch9wavefront6targetE0EEEvT1_, .Lfunc_end540-_ZN7rocprim17ROCPRIM_400000_NS6detail17trampoline_kernelINS0_14default_configENS1_25partition_config_selectorILNS1_17partition_subalgoE5ElNS0_10empty_typeEbEEZZNS1_14partition_implILS5_5ELb0ES3_mN6hipcub16HIPCUB_304000_NS21CountingInputIteratorIllEEPS6_NSA_22TransformInputIteratorIbN2at6native12_GLOBAL__N_19NonZeroOpIN3c107complexIdEEEEPKSL_lEENS0_5tupleIJPlS6_EEENSQ_IJSD_SD_EEES6_PiJS6_EEE10hipError_tPvRmT3_T4_T5_T6_T7_T9_mT8_P12ihipStream_tbDpT10_ENKUlT_T0_E_clISt17integral_constantIbLb1EES1E_EEDaS19_S1A_EUlS19_E_NS1_11comp_targetILNS1_3genE9ELNS1_11target_archE1100ELNS1_3gpuE3ELNS1_3repE0EEENS1_30default_config_static_selectorELNS0_4arch9wavefront6targetE0EEEvT1_
                                        ; -- End function
	.set _ZN7rocprim17ROCPRIM_400000_NS6detail17trampoline_kernelINS0_14default_configENS1_25partition_config_selectorILNS1_17partition_subalgoE5ElNS0_10empty_typeEbEEZZNS1_14partition_implILS5_5ELb0ES3_mN6hipcub16HIPCUB_304000_NS21CountingInputIteratorIllEEPS6_NSA_22TransformInputIteratorIbN2at6native12_GLOBAL__N_19NonZeroOpIN3c107complexIdEEEEPKSL_lEENS0_5tupleIJPlS6_EEENSQ_IJSD_SD_EEES6_PiJS6_EEE10hipError_tPvRmT3_T4_T5_T6_T7_T9_mT8_P12ihipStream_tbDpT10_ENKUlT_T0_E_clISt17integral_constantIbLb1EES1E_EEDaS19_S1A_EUlS19_E_NS1_11comp_targetILNS1_3genE9ELNS1_11target_archE1100ELNS1_3gpuE3ELNS1_3repE0EEENS1_30default_config_static_selectorELNS0_4arch9wavefront6targetE0EEEvT1_.num_vgpr, 0
	.set _ZN7rocprim17ROCPRIM_400000_NS6detail17trampoline_kernelINS0_14default_configENS1_25partition_config_selectorILNS1_17partition_subalgoE5ElNS0_10empty_typeEbEEZZNS1_14partition_implILS5_5ELb0ES3_mN6hipcub16HIPCUB_304000_NS21CountingInputIteratorIllEEPS6_NSA_22TransformInputIteratorIbN2at6native12_GLOBAL__N_19NonZeroOpIN3c107complexIdEEEEPKSL_lEENS0_5tupleIJPlS6_EEENSQ_IJSD_SD_EEES6_PiJS6_EEE10hipError_tPvRmT3_T4_T5_T6_T7_T9_mT8_P12ihipStream_tbDpT10_ENKUlT_T0_E_clISt17integral_constantIbLb1EES1E_EEDaS19_S1A_EUlS19_E_NS1_11comp_targetILNS1_3genE9ELNS1_11target_archE1100ELNS1_3gpuE3ELNS1_3repE0EEENS1_30default_config_static_selectorELNS0_4arch9wavefront6targetE0EEEvT1_.num_agpr, 0
	.set _ZN7rocprim17ROCPRIM_400000_NS6detail17trampoline_kernelINS0_14default_configENS1_25partition_config_selectorILNS1_17partition_subalgoE5ElNS0_10empty_typeEbEEZZNS1_14partition_implILS5_5ELb0ES3_mN6hipcub16HIPCUB_304000_NS21CountingInputIteratorIllEEPS6_NSA_22TransformInputIteratorIbN2at6native12_GLOBAL__N_19NonZeroOpIN3c107complexIdEEEEPKSL_lEENS0_5tupleIJPlS6_EEENSQ_IJSD_SD_EEES6_PiJS6_EEE10hipError_tPvRmT3_T4_T5_T6_T7_T9_mT8_P12ihipStream_tbDpT10_ENKUlT_T0_E_clISt17integral_constantIbLb1EES1E_EEDaS19_S1A_EUlS19_E_NS1_11comp_targetILNS1_3genE9ELNS1_11target_archE1100ELNS1_3gpuE3ELNS1_3repE0EEENS1_30default_config_static_selectorELNS0_4arch9wavefront6targetE0EEEvT1_.numbered_sgpr, 0
	.set _ZN7rocprim17ROCPRIM_400000_NS6detail17trampoline_kernelINS0_14default_configENS1_25partition_config_selectorILNS1_17partition_subalgoE5ElNS0_10empty_typeEbEEZZNS1_14partition_implILS5_5ELb0ES3_mN6hipcub16HIPCUB_304000_NS21CountingInputIteratorIllEEPS6_NSA_22TransformInputIteratorIbN2at6native12_GLOBAL__N_19NonZeroOpIN3c107complexIdEEEEPKSL_lEENS0_5tupleIJPlS6_EEENSQ_IJSD_SD_EEES6_PiJS6_EEE10hipError_tPvRmT3_T4_T5_T6_T7_T9_mT8_P12ihipStream_tbDpT10_ENKUlT_T0_E_clISt17integral_constantIbLb1EES1E_EEDaS19_S1A_EUlS19_E_NS1_11comp_targetILNS1_3genE9ELNS1_11target_archE1100ELNS1_3gpuE3ELNS1_3repE0EEENS1_30default_config_static_selectorELNS0_4arch9wavefront6targetE0EEEvT1_.num_named_barrier, 0
	.set _ZN7rocprim17ROCPRIM_400000_NS6detail17trampoline_kernelINS0_14default_configENS1_25partition_config_selectorILNS1_17partition_subalgoE5ElNS0_10empty_typeEbEEZZNS1_14partition_implILS5_5ELb0ES3_mN6hipcub16HIPCUB_304000_NS21CountingInputIteratorIllEEPS6_NSA_22TransformInputIteratorIbN2at6native12_GLOBAL__N_19NonZeroOpIN3c107complexIdEEEEPKSL_lEENS0_5tupleIJPlS6_EEENSQ_IJSD_SD_EEES6_PiJS6_EEE10hipError_tPvRmT3_T4_T5_T6_T7_T9_mT8_P12ihipStream_tbDpT10_ENKUlT_T0_E_clISt17integral_constantIbLb1EES1E_EEDaS19_S1A_EUlS19_E_NS1_11comp_targetILNS1_3genE9ELNS1_11target_archE1100ELNS1_3gpuE3ELNS1_3repE0EEENS1_30default_config_static_selectorELNS0_4arch9wavefront6targetE0EEEvT1_.private_seg_size, 0
	.set _ZN7rocprim17ROCPRIM_400000_NS6detail17trampoline_kernelINS0_14default_configENS1_25partition_config_selectorILNS1_17partition_subalgoE5ElNS0_10empty_typeEbEEZZNS1_14partition_implILS5_5ELb0ES3_mN6hipcub16HIPCUB_304000_NS21CountingInputIteratorIllEEPS6_NSA_22TransformInputIteratorIbN2at6native12_GLOBAL__N_19NonZeroOpIN3c107complexIdEEEEPKSL_lEENS0_5tupleIJPlS6_EEENSQ_IJSD_SD_EEES6_PiJS6_EEE10hipError_tPvRmT3_T4_T5_T6_T7_T9_mT8_P12ihipStream_tbDpT10_ENKUlT_T0_E_clISt17integral_constantIbLb1EES1E_EEDaS19_S1A_EUlS19_E_NS1_11comp_targetILNS1_3genE9ELNS1_11target_archE1100ELNS1_3gpuE3ELNS1_3repE0EEENS1_30default_config_static_selectorELNS0_4arch9wavefront6targetE0EEEvT1_.uses_vcc, 0
	.set _ZN7rocprim17ROCPRIM_400000_NS6detail17trampoline_kernelINS0_14default_configENS1_25partition_config_selectorILNS1_17partition_subalgoE5ElNS0_10empty_typeEbEEZZNS1_14partition_implILS5_5ELb0ES3_mN6hipcub16HIPCUB_304000_NS21CountingInputIteratorIllEEPS6_NSA_22TransformInputIteratorIbN2at6native12_GLOBAL__N_19NonZeroOpIN3c107complexIdEEEEPKSL_lEENS0_5tupleIJPlS6_EEENSQ_IJSD_SD_EEES6_PiJS6_EEE10hipError_tPvRmT3_T4_T5_T6_T7_T9_mT8_P12ihipStream_tbDpT10_ENKUlT_T0_E_clISt17integral_constantIbLb1EES1E_EEDaS19_S1A_EUlS19_E_NS1_11comp_targetILNS1_3genE9ELNS1_11target_archE1100ELNS1_3gpuE3ELNS1_3repE0EEENS1_30default_config_static_selectorELNS0_4arch9wavefront6targetE0EEEvT1_.uses_flat_scratch, 0
	.set _ZN7rocprim17ROCPRIM_400000_NS6detail17trampoline_kernelINS0_14default_configENS1_25partition_config_selectorILNS1_17partition_subalgoE5ElNS0_10empty_typeEbEEZZNS1_14partition_implILS5_5ELb0ES3_mN6hipcub16HIPCUB_304000_NS21CountingInputIteratorIllEEPS6_NSA_22TransformInputIteratorIbN2at6native12_GLOBAL__N_19NonZeroOpIN3c107complexIdEEEEPKSL_lEENS0_5tupleIJPlS6_EEENSQ_IJSD_SD_EEES6_PiJS6_EEE10hipError_tPvRmT3_T4_T5_T6_T7_T9_mT8_P12ihipStream_tbDpT10_ENKUlT_T0_E_clISt17integral_constantIbLb1EES1E_EEDaS19_S1A_EUlS19_E_NS1_11comp_targetILNS1_3genE9ELNS1_11target_archE1100ELNS1_3gpuE3ELNS1_3repE0EEENS1_30default_config_static_selectorELNS0_4arch9wavefront6targetE0EEEvT1_.has_dyn_sized_stack, 0
	.set _ZN7rocprim17ROCPRIM_400000_NS6detail17trampoline_kernelINS0_14default_configENS1_25partition_config_selectorILNS1_17partition_subalgoE5ElNS0_10empty_typeEbEEZZNS1_14partition_implILS5_5ELb0ES3_mN6hipcub16HIPCUB_304000_NS21CountingInputIteratorIllEEPS6_NSA_22TransformInputIteratorIbN2at6native12_GLOBAL__N_19NonZeroOpIN3c107complexIdEEEEPKSL_lEENS0_5tupleIJPlS6_EEENSQ_IJSD_SD_EEES6_PiJS6_EEE10hipError_tPvRmT3_T4_T5_T6_T7_T9_mT8_P12ihipStream_tbDpT10_ENKUlT_T0_E_clISt17integral_constantIbLb1EES1E_EEDaS19_S1A_EUlS19_E_NS1_11comp_targetILNS1_3genE9ELNS1_11target_archE1100ELNS1_3gpuE3ELNS1_3repE0EEENS1_30default_config_static_selectorELNS0_4arch9wavefront6targetE0EEEvT1_.has_recursion, 0
	.set _ZN7rocprim17ROCPRIM_400000_NS6detail17trampoline_kernelINS0_14default_configENS1_25partition_config_selectorILNS1_17partition_subalgoE5ElNS0_10empty_typeEbEEZZNS1_14partition_implILS5_5ELb0ES3_mN6hipcub16HIPCUB_304000_NS21CountingInputIteratorIllEEPS6_NSA_22TransformInputIteratorIbN2at6native12_GLOBAL__N_19NonZeroOpIN3c107complexIdEEEEPKSL_lEENS0_5tupleIJPlS6_EEENSQ_IJSD_SD_EEES6_PiJS6_EEE10hipError_tPvRmT3_T4_T5_T6_T7_T9_mT8_P12ihipStream_tbDpT10_ENKUlT_T0_E_clISt17integral_constantIbLb1EES1E_EEDaS19_S1A_EUlS19_E_NS1_11comp_targetILNS1_3genE9ELNS1_11target_archE1100ELNS1_3gpuE3ELNS1_3repE0EEENS1_30default_config_static_selectorELNS0_4arch9wavefront6targetE0EEEvT1_.has_indirect_call, 0
	.section	.AMDGPU.csdata,"",@progbits
; Kernel info:
; codeLenInByte = 0
; TotalNumSgprs: 0
; NumVgprs: 0
; ScratchSize: 0
; MemoryBound: 0
; FloatMode: 240
; IeeeMode: 1
; LDSByteSize: 0 bytes/workgroup (compile time only)
; SGPRBlocks: 0
; VGPRBlocks: 0
; NumSGPRsForWavesPerEU: 1
; NumVGPRsForWavesPerEU: 1
; Occupancy: 16
; WaveLimiterHint : 0
; COMPUTE_PGM_RSRC2:SCRATCH_EN: 0
; COMPUTE_PGM_RSRC2:USER_SGPR: 2
; COMPUTE_PGM_RSRC2:TRAP_HANDLER: 0
; COMPUTE_PGM_RSRC2:TGID_X_EN: 1
; COMPUTE_PGM_RSRC2:TGID_Y_EN: 0
; COMPUTE_PGM_RSRC2:TGID_Z_EN: 0
; COMPUTE_PGM_RSRC2:TIDIG_COMP_CNT: 0
	.section	.text._ZN7rocprim17ROCPRIM_400000_NS6detail17trampoline_kernelINS0_14default_configENS1_25partition_config_selectorILNS1_17partition_subalgoE5ElNS0_10empty_typeEbEEZZNS1_14partition_implILS5_5ELb0ES3_mN6hipcub16HIPCUB_304000_NS21CountingInputIteratorIllEEPS6_NSA_22TransformInputIteratorIbN2at6native12_GLOBAL__N_19NonZeroOpIN3c107complexIdEEEEPKSL_lEENS0_5tupleIJPlS6_EEENSQ_IJSD_SD_EEES6_PiJS6_EEE10hipError_tPvRmT3_T4_T5_T6_T7_T9_mT8_P12ihipStream_tbDpT10_ENKUlT_T0_E_clISt17integral_constantIbLb1EES1E_EEDaS19_S1A_EUlS19_E_NS1_11comp_targetILNS1_3genE8ELNS1_11target_archE1030ELNS1_3gpuE2ELNS1_3repE0EEENS1_30default_config_static_selectorELNS0_4arch9wavefront6targetE0EEEvT1_,"axG",@progbits,_ZN7rocprim17ROCPRIM_400000_NS6detail17trampoline_kernelINS0_14default_configENS1_25partition_config_selectorILNS1_17partition_subalgoE5ElNS0_10empty_typeEbEEZZNS1_14partition_implILS5_5ELb0ES3_mN6hipcub16HIPCUB_304000_NS21CountingInputIteratorIllEEPS6_NSA_22TransformInputIteratorIbN2at6native12_GLOBAL__N_19NonZeroOpIN3c107complexIdEEEEPKSL_lEENS0_5tupleIJPlS6_EEENSQ_IJSD_SD_EEES6_PiJS6_EEE10hipError_tPvRmT3_T4_T5_T6_T7_T9_mT8_P12ihipStream_tbDpT10_ENKUlT_T0_E_clISt17integral_constantIbLb1EES1E_EEDaS19_S1A_EUlS19_E_NS1_11comp_targetILNS1_3genE8ELNS1_11target_archE1030ELNS1_3gpuE2ELNS1_3repE0EEENS1_30default_config_static_selectorELNS0_4arch9wavefront6targetE0EEEvT1_,comdat
	.globl	_ZN7rocprim17ROCPRIM_400000_NS6detail17trampoline_kernelINS0_14default_configENS1_25partition_config_selectorILNS1_17partition_subalgoE5ElNS0_10empty_typeEbEEZZNS1_14partition_implILS5_5ELb0ES3_mN6hipcub16HIPCUB_304000_NS21CountingInputIteratorIllEEPS6_NSA_22TransformInputIteratorIbN2at6native12_GLOBAL__N_19NonZeroOpIN3c107complexIdEEEEPKSL_lEENS0_5tupleIJPlS6_EEENSQ_IJSD_SD_EEES6_PiJS6_EEE10hipError_tPvRmT3_T4_T5_T6_T7_T9_mT8_P12ihipStream_tbDpT10_ENKUlT_T0_E_clISt17integral_constantIbLb1EES1E_EEDaS19_S1A_EUlS19_E_NS1_11comp_targetILNS1_3genE8ELNS1_11target_archE1030ELNS1_3gpuE2ELNS1_3repE0EEENS1_30default_config_static_selectorELNS0_4arch9wavefront6targetE0EEEvT1_ ; -- Begin function _ZN7rocprim17ROCPRIM_400000_NS6detail17trampoline_kernelINS0_14default_configENS1_25partition_config_selectorILNS1_17partition_subalgoE5ElNS0_10empty_typeEbEEZZNS1_14partition_implILS5_5ELb0ES3_mN6hipcub16HIPCUB_304000_NS21CountingInputIteratorIllEEPS6_NSA_22TransformInputIteratorIbN2at6native12_GLOBAL__N_19NonZeroOpIN3c107complexIdEEEEPKSL_lEENS0_5tupleIJPlS6_EEENSQ_IJSD_SD_EEES6_PiJS6_EEE10hipError_tPvRmT3_T4_T5_T6_T7_T9_mT8_P12ihipStream_tbDpT10_ENKUlT_T0_E_clISt17integral_constantIbLb1EES1E_EEDaS19_S1A_EUlS19_E_NS1_11comp_targetILNS1_3genE8ELNS1_11target_archE1030ELNS1_3gpuE2ELNS1_3repE0EEENS1_30default_config_static_selectorELNS0_4arch9wavefront6targetE0EEEvT1_
	.p2align	8
	.type	_ZN7rocprim17ROCPRIM_400000_NS6detail17trampoline_kernelINS0_14default_configENS1_25partition_config_selectorILNS1_17partition_subalgoE5ElNS0_10empty_typeEbEEZZNS1_14partition_implILS5_5ELb0ES3_mN6hipcub16HIPCUB_304000_NS21CountingInputIteratorIllEEPS6_NSA_22TransformInputIteratorIbN2at6native12_GLOBAL__N_19NonZeroOpIN3c107complexIdEEEEPKSL_lEENS0_5tupleIJPlS6_EEENSQ_IJSD_SD_EEES6_PiJS6_EEE10hipError_tPvRmT3_T4_T5_T6_T7_T9_mT8_P12ihipStream_tbDpT10_ENKUlT_T0_E_clISt17integral_constantIbLb1EES1E_EEDaS19_S1A_EUlS19_E_NS1_11comp_targetILNS1_3genE8ELNS1_11target_archE1030ELNS1_3gpuE2ELNS1_3repE0EEENS1_30default_config_static_selectorELNS0_4arch9wavefront6targetE0EEEvT1_,@function
_ZN7rocprim17ROCPRIM_400000_NS6detail17trampoline_kernelINS0_14default_configENS1_25partition_config_selectorILNS1_17partition_subalgoE5ElNS0_10empty_typeEbEEZZNS1_14partition_implILS5_5ELb0ES3_mN6hipcub16HIPCUB_304000_NS21CountingInputIteratorIllEEPS6_NSA_22TransformInputIteratorIbN2at6native12_GLOBAL__N_19NonZeroOpIN3c107complexIdEEEEPKSL_lEENS0_5tupleIJPlS6_EEENSQ_IJSD_SD_EEES6_PiJS6_EEE10hipError_tPvRmT3_T4_T5_T6_T7_T9_mT8_P12ihipStream_tbDpT10_ENKUlT_T0_E_clISt17integral_constantIbLb1EES1E_EEDaS19_S1A_EUlS19_E_NS1_11comp_targetILNS1_3genE8ELNS1_11target_archE1030ELNS1_3gpuE2ELNS1_3repE0EEENS1_30default_config_static_selectorELNS0_4arch9wavefront6targetE0EEEvT1_: ; @_ZN7rocprim17ROCPRIM_400000_NS6detail17trampoline_kernelINS0_14default_configENS1_25partition_config_selectorILNS1_17partition_subalgoE5ElNS0_10empty_typeEbEEZZNS1_14partition_implILS5_5ELb0ES3_mN6hipcub16HIPCUB_304000_NS21CountingInputIteratorIllEEPS6_NSA_22TransformInputIteratorIbN2at6native12_GLOBAL__N_19NonZeroOpIN3c107complexIdEEEEPKSL_lEENS0_5tupleIJPlS6_EEENSQ_IJSD_SD_EEES6_PiJS6_EEE10hipError_tPvRmT3_T4_T5_T6_T7_T9_mT8_P12ihipStream_tbDpT10_ENKUlT_T0_E_clISt17integral_constantIbLb1EES1E_EEDaS19_S1A_EUlS19_E_NS1_11comp_targetILNS1_3genE8ELNS1_11target_archE1030ELNS1_3gpuE2ELNS1_3repE0EEENS1_30default_config_static_selectorELNS0_4arch9wavefront6targetE0EEEvT1_
; %bb.0:
	.section	.rodata,"a",@progbits
	.p2align	6, 0x0
	.amdhsa_kernel _ZN7rocprim17ROCPRIM_400000_NS6detail17trampoline_kernelINS0_14default_configENS1_25partition_config_selectorILNS1_17partition_subalgoE5ElNS0_10empty_typeEbEEZZNS1_14partition_implILS5_5ELb0ES3_mN6hipcub16HIPCUB_304000_NS21CountingInputIteratorIllEEPS6_NSA_22TransformInputIteratorIbN2at6native12_GLOBAL__N_19NonZeroOpIN3c107complexIdEEEEPKSL_lEENS0_5tupleIJPlS6_EEENSQ_IJSD_SD_EEES6_PiJS6_EEE10hipError_tPvRmT3_T4_T5_T6_T7_T9_mT8_P12ihipStream_tbDpT10_ENKUlT_T0_E_clISt17integral_constantIbLb1EES1E_EEDaS19_S1A_EUlS19_E_NS1_11comp_targetILNS1_3genE8ELNS1_11target_archE1030ELNS1_3gpuE2ELNS1_3repE0EEENS1_30default_config_static_selectorELNS0_4arch9wavefront6targetE0EEEvT1_
		.amdhsa_group_segment_fixed_size 0
		.amdhsa_private_segment_fixed_size 0
		.amdhsa_kernarg_size 136
		.amdhsa_user_sgpr_count 2
		.amdhsa_user_sgpr_dispatch_ptr 0
		.amdhsa_user_sgpr_queue_ptr 0
		.amdhsa_user_sgpr_kernarg_segment_ptr 1
		.amdhsa_user_sgpr_dispatch_id 0
		.amdhsa_user_sgpr_private_segment_size 0
		.amdhsa_wavefront_size32 1
		.amdhsa_uses_dynamic_stack 0
		.amdhsa_enable_private_segment 0
		.amdhsa_system_sgpr_workgroup_id_x 1
		.amdhsa_system_sgpr_workgroup_id_y 0
		.amdhsa_system_sgpr_workgroup_id_z 0
		.amdhsa_system_sgpr_workgroup_info 0
		.amdhsa_system_vgpr_workitem_id 0
		.amdhsa_next_free_vgpr 1
		.amdhsa_next_free_sgpr 1
		.amdhsa_reserve_vcc 0
		.amdhsa_float_round_mode_32 0
		.amdhsa_float_round_mode_16_64 0
		.amdhsa_float_denorm_mode_32 3
		.amdhsa_float_denorm_mode_16_64 3
		.amdhsa_fp16_overflow 0
		.amdhsa_workgroup_processor_mode 1
		.amdhsa_memory_ordered 1
		.amdhsa_forward_progress 1
		.amdhsa_inst_pref_size 0
		.amdhsa_round_robin_scheduling 0
		.amdhsa_exception_fp_ieee_invalid_op 0
		.amdhsa_exception_fp_denorm_src 0
		.amdhsa_exception_fp_ieee_div_zero 0
		.amdhsa_exception_fp_ieee_overflow 0
		.amdhsa_exception_fp_ieee_underflow 0
		.amdhsa_exception_fp_ieee_inexact 0
		.amdhsa_exception_int_div_zero 0
	.end_amdhsa_kernel
	.section	.text._ZN7rocprim17ROCPRIM_400000_NS6detail17trampoline_kernelINS0_14default_configENS1_25partition_config_selectorILNS1_17partition_subalgoE5ElNS0_10empty_typeEbEEZZNS1_14partition_implILS5_5ELb0ES3_mN6hipcub16HIPCUB_304000_NS21CountingInputIteratorIllEEPS6_NSA_22TransformInputIteratorIbN2at6native12_GLOBAL__N_19NonZeroOpIN3c107complexIdEEEEPKSL_lEENS0_5tupleIJPlS6_EEENSQ_IJSD_SD_EEES6_PiJS6_EEE10hipError_tPvRmT3_T4_T5_T6_T7_T9_mT8_P12ihipStream_tbDpT10_ENKUlT_T0_E_clISt17integral_constantIbLb1EES1E_EEDaS19_S1A_EUlS19_E_NS1_11comp_targetILNS1_3genE8ELNS1_11target_archE1030ELNS1_3gpuE2ELNS1_3repE0EEENS1_30default_config_static_selectorELNS0_4arch9wavefront6targetE0EEEvT1_,"axG",@progbits,_ZN7rocprim17ROCPRIM_400000_NS6detail17trampoline_kernelINS0_14default_configENS1_25partition_config_selectorILNS1_17partition_subalgoE5ElNS0_10empty_typeEbEEZZNS1_14partition_implILS5_5ELb0ES3_mN6hipcub16HIPCUB_304000_NS21CountingInputIteratorIllEEPS6_NSA_22TransformInputIteratorIbN2at6native12_GLOBAL__N_19NonZeroOpIN3c107complexIdEEEEPKSL_lEENS0_5tupleIJPlS6_EEENSQ_IJSD_SD_EEES6_PiJS6_EEE10hipError_tPvRmT3_T4_T5_T6_T7_T9_mT8_P12ihipStream_tbDpT10_ENKUlT_T0_E_clISt17integral_constantIbLb1EES1E_EEDaS19_S1A_EUlS19_E_NS1_11comp_targetILNS1_3genE8ELNS1_11target_archE1030ELNS1_3gpuE2ELNS1_3repE0EEENS1_30default_config_static_selectorELNS0_4arch9wavefront6targetE0EEEvT1_,comdat
.Lfunc_end541:
	.size	_ZN7rocprim17ROCPRIM_400000_NS6detail17trampoline_kernelINS0_14default_configENS1_25partition_config_selectorILNS1_17partition_subalgoE5ElNS0_10empty_typeEbEEZZNS1_14partition_implILS5_5ELb0ES3_mN6hipcub16HIPCUB_304000_NS21CountingInputIteratorIllEEPS6_NSA_22TransformInputIteratorIbN2at6native12_GLOBAL__N_19NonZeroOpIN3c107complexIdEEEEPKSL_lEENS0_5tupleIJPlS6_EEENSQ_IJSD_SD_EEES6_PiJS6_EEE10hipError_tPvRmT3_T4_T5_T6_T7_T9_mT8_P12ihipStream_tbDpT10_ENKUlT_T0_E_clISt17integral_constantIbLb1EES1E_EEDaS19_S1A_EUlS19_E_NS1_11comp_targetILNS1_3genE8ELNS1_11target_archE1030ELNS1_3gpuE2ELNS1_3repE0EEENS1_30default_config_static_selectorELNS0_4arch9wavefront6targetE0EEEvT1_, .Lfunc_end541-_ZN7rocprim17ROCPRIM_400000_NS6detail17trampoline_kernelINS0_14default_configENS1_25partition_config_selectorILNS1_17partition_subalgoE5ElNS0_10empty_typeEbEEZZNS1_14partition_implILS5_5ELb0ES3_mN6hipcub16HIPCUB_304000_NS21CountingInputIteratorIllEEPS6_NSA_22TransformInputIteratorIbN2at6native12_GLOBAL__N_19NonZeroOpIN3c107complexIdEEEEPKSL_lEENS0_5tupleIJPlS6_EEENSQ_IJSD_SD_EEES6_PiJS6_EEE10hipError_tPvRmT3_T4_T5_T6_T7_T9_mT8_P12ihipStream_tbDpT10_ENKUlT_T0_E_clISt17integral_constantIbLb1EES1E_EEDaS19_S1A_EUlS19_E_NS1_11comp_targetILNS1_3genE8ELNS1_11target_archE1030ELNS1_3gpuE2ELNS1_3repE0EEENS1_30default_config_static_selectorELNS0_4arch9wavefront6targetE0EEEvT1_
                                        ; -- End function
	.set _ZN7rocprim17ROCPRIM_400000_NS6detail17trampoline_kernelINS0_14default_configENS1_25partition_config_selectorILNS1_17partition_subalgoE5ElNS0_10empty_typeEbEEZZNS1_14partition_implILS5_5ELb0ES3_mN6hipcub16HIPCUB_304000_NS21CountingInputIteratorIllEEPS6_NSA_22TransformInputIteratorIbN2at6native12_GLOBAL__N_19NonZeroOpIN3c107complexIdEEEEPKSL_lEENS0_5tupleIJPlS6_EEENSQ_IJSD_SD_EEES6_PiJS6_EEE10hipError_tPvRmT3_T4_T5_T6_T7_T9_mT8_P12ihipStream_tbDpT10_ENKUlT_T0_E_clISt17integral_constantIbLb1EES1E_EEDaS19_S1A_EUlS19_E_NS1_11comp_targetILNS1_3genE8ELNS1_11target_archE1030ELNS1_3gpuE2ELNS1_3repE0EEENS1_30default_config_static_selectorELNS0_4arch9wavefront6targetE0EEEvT1_.num_vgpr, 0
	.set _ZN7rocprim17ROCPRIM_400000_NS6detail17trampoline_kernelINS0_14default_configENS1_25partition_config_selectorILNS1_17partition_subalgoE5ElNS0_10empty_typeEbEEZZNS1_14partition_implILS5_5ELb0ES3_mN6hipcub16HIPCUB_304000_NS21CountingInputIteratorIllEEPS6_NSA_22TransformInputIteratorIbN2at6native12_GLOBAL__N_19NonZeroOpIN3c107complexIdEEEEPKSL_lEENS0_5tupleIJPlS6_EEENSQ_IJSD_SD_EEES6_PiJS6_EEE10hipError_tPvRmT3_T4_T5_T6_T7_T9_mT8_P12ihipStream_tbDpT10_ENKUlT_T0_E_clISt17integral_constantIbLb1EES1E_EEDaS19_S1A_EUlS19_E_NS1_11comp_targetILNS1_3genE8ELNS1_11target_archE1030ELNS1_3gpuE2ELNS1_3repE0EEENS1_30default_config_static_selectorELNS0_4arch9wavefront6targetE0EEEvT1_.num_agpr, 0
	.set _ZN7rocprim17ROCPRIM_400000_NS6detail17trampoline_kernelINS0_14default_configENS1_25partition_config_selectorILNS1_17partition_subalgoE5ElNS0_10empty_typeEbEEZZNS1_14partition_implILS5_5ELb0ES3_mN6hipcub16HIPCUB_304000_NS21CountingInputIteratorIllEEPS6_NSA_22TransformInputIteratorIbN2at6native12_GLOBAL__N_19NonZeroOpIN3c107complexIdEEEEPKSL_lEENS0_5tupleIJPlS6_EEENSQ_IJSD_SD_EEES6_PiJS6_EEE10hipError_tPvRmT3_T4_T5_T6_T7_T9_mT8_P12ihipStream_tbDpT10_ENKUlT_T0_E_clISt17integral_constantIbLb1EES1E_EEDaS19_S1A_EUlS19_E_NS1_11comp_targetILNS1_3genE8ELNS1_11target_archE1030ELNS1_3gpuE2ELNS1_3repE0EEENS1_30default_config_static_selectorELNS0_4arch9wavefront6targetE0EEEvT1_.numbered_sgpr, 0
	.set _ZN7rocprim17ROCPRIM_400000_NS6detail17trampoline_kernelINS0_14default_configENS1_25partition_config_selectorILNS1_17partition_subalgoE5ElNS0_10empty_typeEbEEZZNS1_14partition_implILS5_5ELb0ES3_mN6hipcub16HIPCUB_304000_NS21CountingInputIteratorIllEEPS6_NSA_22TransformInputIteratorIbN2at6native12_GLOBAL__N_19NonZeroOpIN3c107complexIdEEEEPKSL_lEENS0_5tupleIJPlS6_EEENSQ_IJSD_SD_EEES6_PiJS6_EEE10hipError_tPvRmT3_T4_T5_T6_T7_T9_mT8_P12ihipStream_tbDpT10_ENKUlT_T0_E_clISt17integral_constantIbLb1EES1E_EEDaS19_S1A_EUlS19_E_NS1_11comp_targetILNS1_3genE8ELNS1_11target_archE1030ELNS1_3gpuE2ELNS1_3repE0EEENS1_30default_config_static_selectorELNS0_4arch9wavefront6targetE0EEEvT1_.num_named_barrier, 0
	.set _ZN7rocprim17ROCPRIM_400000_NS6detail17trampoline_kernelINS0_14default_configENS1_25partition_config_selectorILNS1_17partition_subalgoE5ElNS0_10empty_typeEbEEZZNS1_14partition_implILS5_5ELb0ES3_mN6hipcub16HIPCUB_304000_NS21CountingInputIteratorIllEEPS6_NSA_22TransformInputIteratorIbN2at6native12_GLOBAL__N_19NonZeroOpIN3c107complexIdEEEEPKSL_lEENS0_5tupleIJPlS6_EEENSQ_IJSD_SD_EEES6_PiJS6_EEE10hipError_tPvRmT3_T4_T5_T6_T7_T9_mT8_P12ihipStream_tbDpT10_ENKUlT_T0_E_clISt17integral_constantIbLb1EES1E_EEDaS19_S1A_EUlS19_E_NS1_11comp_targetILNS1_3genE8ELNS1_11target_archE1030ELNS1_3gpuE2ELNS1_3repE0EEENS1_30default_config_static_selectorELNS0_4arch9wavefront6targetE0EEEvT1_.private_seg_size, 0
	.set _ZN7rocprim17ROCPRIM_400000_NS6detail17trampoline_kernelINS0_14default_configENS1_25partition_config_selectorILNS1_17partition_subalgoE5ElNS0_10empty_typeEbEEZZNS1_14partition_implILS5_5ELb0ES3_mN6hipcub16HIPCUB_304000_NS21CountingInputIteratorIllEEPS6_NSA_22TransformInputIteratorIbN2at6native12_GLOBAL__N_19NonZeroOpIN3c107complexIdEEEEPKSL_lEENS0_5tupleIJPlS6_EEENSQ_IJSD_SD_EEES6_PiJS6_EEE10hipError_tPvRmT3_T4_T5_T6_T7_T9_mT8_P12ihipStream_tbDpT10_ENKUlT_T0_E_clISt17integral_constantIbLb1EES1E_EEDaS19_S1A_EUlS19_E_NS1_11comp_targetILNS1_3genE8ELNS1_11target_archE1030ELNS1_3gpuE2ELNS1_3repE0EEENS1_30default_config_static_selectorELNS0_4arch9wavefront6targetE0EEEvT1_.uses_vcc, 0
	.set _ZN7rocprim17ROCPRIM_400000_NS6detail17trampoline_kernelINS0_14default_configENS1_25partition_config_selectorILNS1_17partition_subalgoE5ElNS0_10empty_typeEbEEZZNS1_14partition_implILS5_5ELb0ES3_mN6hipcub16HIPCUB_304000_NS21CountingInputIteratorIllEEPS6_NSA_22TransformInputIteratorIbN2at6native12_GLOBAL__N_19NonZeroOpIN3c107complexIdEEEEPKSL_lEENS0_5tupleIJPlS6_EEENSQ_IJSD_SD_EEES6_PiJS6_EEE10hipError_tPvRmT3_T4_T5_T6_T7_T9_mT8_P12ihipStream_tbDpT10_ENKUlT_T0_E_clISt17integral_constantIbLb1EES1E_EEDaS19_S1A_EUlS19_E_NS1_11comp_targetILNS1_3genE8ELNS1_11target_archE1030ELNS1_3gpuE2ELNS1_3repE0EEENS1_30default_config_static_selectorELNS0_4arch9wavefront6targetE0EEEvT1_.uses_flat_scratch, 0
	.set _ZN7rocprim17ROCPRIM_400000_NS6detail17trampoline_kernelINS0_14default_configENS1_25partition_config_selectorILNS1_17partition_subalgoE5ElNS0_10empty_typeEbEEZZNS1_14partition_implILS5_5ELb0ES3_mN6hipcub16HIPCUB_304000_NS21CountingInputIteratorIllEEPS6_NSA_22TransformInputIteratorIbN2at6native12_GLOBAL__N_19NonZeroOpIN3c107complexIdEEEEPKSL_lEENS0_5tupleIJPlS6_EEENSQ_IJSD_SD_EEES6_PiJS6_EEE10hipError_tPvRmT3_T4_T5_T6_T7_T9_mT8_P12ihipStream_tbDpT10_ENKUlT_T0_E_clISt17integral_constantIbLb1EES1E_EEDaS19_S1A_EUlS19_E_NS1_11comp_targetILNS1_3genE8ELNS1_11target_archE1030ELNS1_3gpuE2ELNS1_3repE0EEENS1_30default_config_static_selectorELNS0_4arch9wavefront6targetE0EEEvT1_.has_dyn_sized_stack, 0
	.set _ZN7rocprim17ROCPRIM_400000_NS6detail17trampoline_kernelINS0_14default_configENS1_25partition_config_selectorILNS1_17partition_subalgoE5ElNS0_10empty_typeEbEEZZNS1_14partition_implILS5_5ELb0ES3_mN6hipcub16HIPCUB_304000_NS21CountingInputIteratorIllEEPS6_NSA_22TransformInputIteratorIbN2at6native12_GLOBAL__N_19NonZeroOpIN3c107complexIdEEEEPKSL_lEENS0_5tupleIJPlS6_EEENSQ_IJSD_SD_EEES6_PiJS6_EEE10hipError_tPvRmT3_T4_T5_T6_T7_T9_mT8_P12ihipStream_tbDpT10_ENKUlT_T0_E_clISt17integral_constantIbLb1EES1E_EEDaS19_S1A_EUlS19_E_NS1_11comp_targetILNS1_3genE8ELNS1_11target_archE1030ELNS1_3gpuE2ELNS1_3repE0EEENS1_30default_config_static_selectorELNS0_4arch9wavefront6targetE0EEEvT1_.has_recursion, 0
	.set _ZN7rocprim17ROCPRIM_400000_NS6detail17trampoline_kernelINS0_14default_configENS1_25partition_config_selectorILNS1_17partition_subalgoE5ElNS0_10empty_typeEbEEZZNS1_14partition_implILS5_5ELb0ES3_mN6hipcub16HIPCUB_304000_NS21CountingInputIteratorIllEEPS6_NSA_22TransformInputIteratorIbN2at6native12_GLOBAL__N_19NonZeroOpIN3c107complexIdEEEEPKSL_lEENS0_5tupleIJPlS6_EEENSQ_IJSD_SD_EEES6_PiJS6_EEE10hipError_tPvRmT3_T4_T5_T6_T7_T9_mT8_P12ihipStream_tbDpT10_ENKUlT_T0_E_clISt17integral_constantIbLb1EES1E_EEDaS19_S1A_EUlS19_E_NS1_11comp_targetILNS1_3genE8ELNS1_11target_archE1030ELNS1_3gpuE2ELNS1_3repE0EEENS1_30default_config_static_selectorELNS0_4arch9wavefront6targetE0EEEvT1_.has_indirect_call, 0
	.section	.AMDGPU.csdata,"",@progbits
; Kernel info:
; codeLenInByte = 0
; TotalNumSgprs: 0
; NumVgprs: 0
; ScratchSize: 0
; MemoryBound: 0
; FloatMode: 240
; IeeeMode: 1
; LDSByteSize: 0 bytes/workgroup (compile time only)
; SGPRBlocks: 0
; VGPRBlocks: 0
; NumSGPRsForWavesPerEU: 1
; NumVGPRsForWavesPerEU: 1
; Occupancy: 16
; WaveLimiterHint : 0
; COMPUTE_PGM_RSRC2:SCRATCH_EN: 0
; COMPUTE_PGM_RSRC2:USER_SGPR: 2
; COMPUTE_PGM_RSRC2:TRAP_HANDLER: 0
; COMPUTE_PGM_RSRC2:TGID_X_EN: 1
; COMPUTE_PGM_RSRC2:TGID_Y_EN: 0
; COMPUTE_PGM_RSRC2:TGID_Z_EN: 0
; COMPUTE_PGM_RSRC2:TIDIG_COMP_CNT: 0
	.section	.text._ZN7rocprim17ROCPRIM_400000_NS6detail17trampoline_kernelINS0_14default_configENS1_25partition_config_selectorILNS1_17partition_subalgoE5ElNS0_10empty_typeEbEEZZNS1_14partition_implILS5_5ELb0ES3_mN6hipcub16HIPCUB_304000_NS21CountingInputIteratorIllEEPS6_NSA_22TransformInputIteratorIbN2at6native12_GLOBAL__N_19NonZeroOpIN3c107complexIdEEEEPKSL_lEENS0_5tupleIJPlS6_EEENSQ_IJSD_SD_EEES6_PiJS6_EEE10hipError_tPvRmT3_T4_T5_T6_T7_T9_mT8_P12ihipStream_tbDpT10_ENKUlT_T0_E_clISt17integral_constantIbLb1EES1D_IbLb0EEEEDaS19_S1A_EUlS19_E_NS1_11comp_targetILNS1_3genE0ELNS1_11target_archE4294967295ELNS1_3gpuE0ELNS1_3repE0EEENS1_30default_config_static_selectorELNS0_4arch9wavefront6targetE0EEEvT1_,"axG",@progbits,_ZN7rocprim17ROCPRIM_400000_NS6detail17trampoline_kernelINS0_14default_configENS1_25partition_config_selectorILNS1_17partition_subalgoE5ElNS0_10empty_typeEbEEZZNS1_14partition_implILS5_5ELb0ES3_mN6hipcub16HIPCUB_304000_NS21CountingInputIteratorIllEEPS6_NSA_22TransformInputIteratorIbN2at6native12_GLOBAL__N_19NonZeroOpIN3c107complexIdEEEEPKSL_lEENS0_5tupleIJPlS6_EEENSQ_IJSD_SD_EEES6_PiJS6_EEE10hipError_tPvRmT3_T4_T5_T6_T7_T9_mT8_P12ihipStream_tbDpT10_ENKUlT_T0_E_clISt17integral_constantIbLb1EES1D_IbLb0EEEEDaS19_S1A_EUlS19_E_NS1_11comp_targetILNS1_3genE0ELNS1_11target_archE4294967295ELNS1_3gpuE0ELNS1_3repE0EEENS1_30default_config_static_selectorELNS0_4arch9wavefront6targetE0EEEvT1_,comdat
	.globl	_ZN7rocprim17ROCPRIM_400000_NS6detail17trampoline_kernelINS0_14default_configENS1_25partition_config_selectorILNS1_17partition_subalgoE5ElNS0_10empty_typeEbEEZZNS1_14partition_implILS5_5ELb0ES3_mN6hipcub16HIPCUB_304000_NS21CountingInputIteratorIllEEPS6_NSA_22TransformInputIteratorIbN2at6native12_GLOBAL__N_19NonZeroOpIN3c107complexIdEEEEPKSL_lEENS0_5tupleIJPlS6_EEENSQ_IJSD_SD_EEES6_PiJS6_EEE10hipError_tPvRmT3_T4_T5_T6_T7_T9_mT8_P12ihipStream_tbDpT10_ENKUlT_T0_E_clISt17integral_constantIbLb1EES1D_IbLb0EEEEDaS19_S1A_EUlS19_E_NS1_11comp_targetILNS1_3genE0ELNS1_11target_archE4294967295ELNS1_3gpuE0ELNS1_3repE0EEENS1_30default_config_static_selectorELNS0_4arch9wavefront6targetE0EEEvT1_ ; -- Begin function _ZN7rocprim17ROCPRIM_400000_NS6detail17trampoline_kernelINS0_14default_configENS1_25partition_config_selectorILNS1_17partition_subalgoE5ElNS0_10empty_typeEbEEZZNS1_14partition_implILS5_5ELb0ES3_mN6hipcub16HIPCUB_304000_NS21CountingInputIteratorIllEEPS6_NSA_22TransformInputIteratorIbN2at6native12_GLOBAL__N_19NonZeroOpIN3c107complexIdEEEEPKSL_lEENS0_5tupleIJPlS6_EEENSQ_IJSD_SD_EEES6_PiJS6_EEE10hipError_tPvRmT3_T4_T5_T6_T7_T9_mT8_P12ihipStream_tbDpT10_ENKUlT_T0_E_clISt17integral_constantIbLb1EES1D_IbLb0EEEEDaS19_S1A_EUlS19_E_NS1_11comp_targetILNS1_3genE0ELNS1_11target_archE4294967295ELNS1_3gpuE0ELNS1_3repE0EEENS1_30default_config_static_selectorELNS0_4arch9wavefront6targetE0EEEvT1_
	.p2align	8
	.type	_ZN7rocprim17ROCPRIM_400000_NS6detail17trampoline_kernelINS0_14default_configENS1_25partition_config_selectorILNS1_17partition_subalgoE5ElNS0_10empty_typeEbEEZZNS1_14partition_implILS5_5ELb0ES3_mN6hipcub16HIPCUB_304000_NS21CountingInputIteratorIllEEPS6_NSA_22TransformInputIteratorIbN2at6native12_GLOBAL__N_19NonZeroOpIN3c107complexIdEEEEPKSL_lEENS0_5tupleIJPlS6_EEENSQ_IJSD_SD_EEES6_PiJS6_EEE10hipError_tPvRmT3_T4_T5_T6_T7_T9_mT8_P12ihipStream_tbDpT10_ENKUlT_T0_E_clISt17integral_constantIbLb1EES1D_IbLb0EEEEDaS19_S1A_EUlS19_E_NS1_11comp_targetILNS1_3genE0ELNS1_11target_archE4294967295ELNS1_3gpuE0ELNS1_3repE0EEENS1_30default_config_static_selectorELNS0_4arch9wavefront6targetE0EEEvT1_,@function
_ZN7rocprim17ROCPRIM_400000_NS6detail17trampoline_kernelINS0_14default_configENS1_25partition_config_selectorILNS1_17partition_subalgoE5ElNS0_10empty_typeEbEEZZNS1_14partition_implILS5_5ELb0ES3_mN6hipcub16HIPCUB_304000_NS21CountingInputIteratorIllEEPS6_NSA_22TransformInputIteratorIbN2at6native12_GLOBAL__N_19NonZeroOpIN3c107complexIdEEEEPKSL_lEENS0_5tupleIJPlS6_EEENSQ_IJSD_SD_EEES6_PiJS6_EEE10hipError_tPvRmT3_T4_T5_T6_T7_T9_mT8_P12ihipStream_tbDpT10_ENKUlT_T0_E_clISt17integral_constantIbLb1EES1D_IbLb0EEEEDaS19_S1A_EUlS19_E_NS1_11comp_targetILNS1_3genE0ELNS1_11target_archE4294967295ELNS1_3gpuE0ELNS1_3repE0EEENS1_30default_config_static_selectorELNS0_4arch9wavefront6targetE0EEEvT1_: ; @_ZN7rocprim17ROCPRIM_400000_NS6detail17trampoline_kernelINS0_14default_configENS1_25partition_config_selectorILNS1_17partition_subalgoE5ElNS0_10empty_typeEbEEZZNS1_14partition_implILS5_5ELb0ES3_mN6hipcub16HIPCUB_304000_NS21CountingInputIteratorIllEEPS6_NSA_22TransformInputIteratorIbN2at6native12_GLOBAL__N_19NonZeroOpIN3c107complexIdEEEEPKSL_lEENS0_5tupleIJPlS6_EEENSQ_IJSD_SD_EEES6_PiJS6_EEE10hipError_tPvRmT3_T4_T5_T6_T7_T9_mT8_P12ihipStream_tbDpT10_ENKUlT_T0_E_clISt17integral_constantIbLb1EES1D_IbLb0EEEEDaS19_S1A_EUlS19_E_NS1_11comp_targetILNS1_3genE0ELNS1_11target_archE4294967295ELNS1_3gpuE0ELNS1_3repE0EEENS1_30default_config_static_selectorELNS0_4arch9wavefront6targetE0EEEvT1_
; %bb.0:
	.section	.rodata,"a",@progbits
	.p2align	6, 0x0
	.amdhsa_kernel _ZN7rocprim17ROCPRIM_400000_NS6detail17trampoline_kernelINS0_14default_configENS1_25partition_config_selectorILNS1_17partition_subalgoE5ElNS0_10empty_typeEbEEZZNS1_14partition_implILS5_5ELb0ES3_mN6hipcub16HIPCUB_304000_NS21CountingInputIteratorIllEEPS6_NSA_22TransformInputIteratorIbN2at6native12_GLOBAL__N_19NonZeroOpIN3c107complexIdEEEEPKSL_lEENS0_5tupleIJPlS6_EEENSQ_IJSD_SD_EEES6_PiJS6_EEE10hipError_tPvRmT3_T4_T5_T6_T7_T9_mT8_P12ihipStream_tbDpT10_ENKUlT_T0_E_clISt17integral_constantIbLb1EES1D_IbLb0EEEEDaS19_S1A_EUlS19_E_NS1_11comp_targetILNS1_3genE0ELNS1_11target_archE4294967295ELNS1_3gpuE0ELNS1_3repE0EEENS1_30default_config_static_selectorELNS0_4arch9wavefront6targetE0EEEvT1_
		.amdhsa_group_segment_fixed_size 0
		.amdhsa_private_segment_fixed_size 0
		.amdhsa_kernarg_size 120
		.amdhsa_user_sgpr_count 2
		.amdhsa_user_sgpr_dispatch_ptr 0
		.amdhsa_user_sgpr_queue_ptr 0
		.amdhsa_user_sgpr_kernarg_segment_ptr 1
		.amdhsa_user_sgpr_dispatch_id 0
		.amdhsa_user_sgpr_private_segment_size 0
		.amdhsa_wavefront_size32 1
		.amdhsa_uses_dynamic_stack 0
		.amdhsa_enable_private_segment 0
		.amdhsa_system_sgpr_workgroup_id_x 1
		.amdhsa_system_sgpr_workgroup_id_y 0
		.amdhsa_system_sgpr_workgroup_id_z 0
		.amdhsa_system_sgpr_workgroup_info 0
		.amdhsa_system_vgpr_workitem_id 0
		.amdhsa_next_free_vgpr 1
		.amdhsa_next_free_sgpr 1
		.amdhsa_reserve_vcc 0
		.amdhsa_float_round_mode_32 0
		.amdhsa_float_round_mode_16_64 0
		.amdhsa_float_denorm_mode_32 3
		.amdhsa_float_denorm_mode_16_64 3
		.amdhsa_fp16_overflow 0
		.amdhsa_workgroup_processor_mode 1
		.amdhsa_memory_ordered 1
		.amdhsa_forward_progress 1
		.amdhsa_inst_pref_size 0
		.amdhsa_round_robin_scheduling 0
		.amdhsa_exception_fp_ieee_invalid_op 0
		.amdhsa_exception_fp_denorm_src 0
		.amdhsa_exception_fp_ieee_div_zero 0
		.amdhsa_exception_fp_ieee_overflow 0
		.amdhsa_exception_fp_ieee_underflow 0
		.amdhsa_exception_fp_ieee_inexact 0
		.amdhsa_exception_int_div_zero 0
	.end_amdhsa_kernel
	.section	.text._ZN7rocprim17ROCPRIM_400000_NS6detail17trampoline_kernelINS0_14default_configENS1_25partition_config_selectorILNS1_17partition_subalgoE5ElNS0_10empty_typeEbEEZZNS1_14partition_implILS5_5ELb0ES3_mN6hipcub16HIPCUB_304000_NS21CountingInputIteratorIllEEPS6_NSA_22TransformInputIteratorIbN2at6native12_GLOBAL__N_19NonZeroOpIN3c107complexIdEEEEPKSL_lEENS0_5tupleIJPlS6_EEENSQ_IJSD_SD_EEES6_PiJS6_EEE10hipError_tPvRmT3_T4_T5_T6_T7_T9_mT8_P12ihipStream_tbDpT10_ENKUlT_T0_E_clISt17integral_constantIbLb1EES1D_IbLb0EEEEDaS19_S1A_EUlS19_E_NS1_11comp_targetILNS1_3genE0ELNS1_11target_archE4294967295ELNS1_3gpuE0ELNS1_3repE0EEENS1_30default_config_static_selectorELNS0_4arch9wavefront6targetE0EEEvT1_,"axG",@progbits,_ZN7rocprim17ROCPRIM_400000_NS6detail17trampoline_kernelINS0_14default_configENS1_25partition_config_selectorILNS1_17partition_subalgoE5ElNS0_10empty_typeEbEEZZNS1_14partition_implILS5_5ELb0ES3_mN6hipcub16HIPCUB_304000_NS21CountingInputIteratorIllEEPS6_NSA_22TransformInputIteratorIbN2at6native12_GLOBAL__N_19NonZeroOpIN3c107complexIdEEEEPKSL_lEENS0_5tupleIJPlS6_EEENSQ_IJSD_SD_EEES6_PiJS6_EEE10hipError_tPvRmT3_T4_T5_T6_T7_T9_mT8_P12ihipStream_tbDpT10_ENKUlT_T0_E_clISt17integral_constantIbLb1EES1D_IbLb0EEEEDaS19_S1A_EUlS19_E_NS1_11comp_targetILNS1_3genE0ELNS1_11target_archE4294967295ELNS1_3gpuE0ELNS1_3repE0EEENS1_30default_config_static_selectorELNS0_4arch9wavefront6targetE0EEEvT1_,comdat
.Lfunc_end542:
	.size	_ZN7rocprim17ROCPRIM_400000_NS6detail17trampoline_kernelINS0_14default_configENS1_25partition_config_selectorILNS1_17partition_subalgoE5ElNS0_10empty_typeEbEEZZNS1_14partition_implILS5_5ELb0ES3_mN6hipcub16HIPCUB_304000_NS21CountingInputIteratorIllEEPS6_NSA_22TransformInputIteratorIbN2at6native12_GLOBAL__N_19NonZeroOpIN3c107complexIdEEEEPKSL_lEENS0_5tupleIJPlS6_EEENSQ_IJSD_SD_EEES6_PiJS6_EEE10hipError_tPvRmT3_T4_T5_T6_T7_T9_mT8_P12ihipStream_tbDpT10_ENKUlT_T0_E_clISt17integral_constantIbLb1EES1D_IbLb0EEEEDaS19_S1A_EUlS19_E_NS1_11comp_targetILNS1_3genE0ELNS1_11target_archE4294967295ELNS1_3gpuE0ELNS1_3repE0EEENS1_30default_config_static_selectorELNS0_4arch9wavefront6targetE0EEEvT1_, .Lfunc_end542-_ZN7rocprim17ROCPRIM_400000_NS6detail17trampoline_kernelINS0_14default_configENS1_25partition_config_selectorILNS1_17partition_subalgoE5ElNS0_10empty_typeEbEEZZNS1_14partition_implILS5_5ELb0ES3_mN6hipcub16HIPCUB_304000_NS21CountingInputIteratorIllEEPS6_NSA_22TransformInputIteratorIbN2at6native12_GLOBAL__N_19NonZeroOpIN3c107complexIdEEEEPKSL_lEENS0_5tupleIJPlS6_EEENSQ_IJSD_SD_EEES6_PiJS6_EEE10hipError_tPvRmT3_T4_T5_T6_T7_T9_mT8_P12ihipStream_tbDpT10_ENKUlT_T0_E_clISt17integral_constantIbLb1EES1D_IbLb0EEEEDaS19_S1A_EUlS19_E_NS1_11comp_targetILNS1_3genE0ELNS1_11target_archE4294967295ELNS1_3gpuE0ELNS1_3repE0EEENS1_30default_config_static_selectorELNS0_4arch9wavefront6targetE0EEEvT1_
                                        ; -- End function
	.set _ZN7rocprim17ROCPRIM_400000_NS6detail17trampoline_kernelINS0_14default_configENS1_25partition_config_selectorILNS1_17partition_subalgoE5ElNS0_10empty_typeEbEEZZNS1_14partition_implILS5_5ELb0ES3_mN6hipcub16HIPCUB_304000_NS21CountingInputIteratorIllEEPS6_NSA_22TransformInputIteratorIbN2at6native12_GLOBAL__N_19NonZeroOpIN3c107complexIdEEEEPKSL_lEENS0_5tupleIJPlS6_EEENSQ_IJSD_SD_EEES6_PiJS6_EEE10hipError_tPvRmT3_T4_T5_T6_T7_T9_mT8_P12ihipStream_tbDpT10_ENKUlT_T0_E_clISt17integral_constantIbLb1EES1D_IbLb0EEEEDaS19_S1A_EUlS19_E_NS1_11comp_targetILNS1_3genE0ELNS1_11target_archE4294967295ELNS1_3gpuE0ELNS1_3repE0EEENS1_30default_config_static_selectorELNS0_4arch9wavefront6targetE0EEEvT1_.num_vgpr, 0
	.set _ZN7rocprim17ROCPRIM_400000_NS6detail17trampoline_kernelINS0_14default_configENS1_25partition_config_selectorILNS1_17partition_subalgoE5ElNS0_10empty_typeEbEEZZNS1_14partition_implILS5_5ELb0ES3_mN6hipcub16HIPCUB_304000_NS21CountingInputIteratorIllEEPS6_NSA_22TransformInputIteratorIbN2at6native12_GLOBAL__N_19NonZeroOpIN3c107complexIdEEEEPKSL_lEENS0_5tupleIJPlS6_EEENSQ_IJSD_SD_EEES6_PiJS6_EEE10hipError_tPvRmT3_T4_T5_T6_T7_T9_mT8_P12ihipStream_tbDpT10_ENKUlT_T0_E_clISt17integral_constantIbLb1EES1D_IbLb0EEEEDaS19_S1A_EUlS19_E_NS1_11comp_targetILNS1_3genE0ELNS1_11target_archE4294967295ELNS1_3gpuE0ELNS1_3repE0EEENS1_30default_config_static_selectorELNS0_4arch9wavefront6targetE0EEEvT1_.num_agpr, 0
	.set _ZN7rocprim17ROCPRIM_400000_NS6detail17trampoline_kernelINS0_14default_configENS1_25partition_config_selectorILNS1_17partition_subalgoE5ElNS0_10empty_typeEbEEZZNS1_14partition_implILS5_5ELb0ES3_mN6hipcub16HIPCUB_304000_NS21CountingInputIteratorIllEEPS6_NSA_22TransformInputIteratorIbN2at6native12_GLOBAL__N_19NonZeroOpIN3c107complexIdEEEEPKSL_lEENS0_5tupleIJPlS6_EEENSQ_IJSD_SD_EEES6_PiJS6_EEE10hipError_tPvRmT3_T4_T5_T6_T7_T9_mT8_P12ihipStream_tbDpT10_ENKUlT_T0_E_clISt17integral_constantIbLb1EES1D_IbLb0EEEEDaS19_S1A_EUlS19_E_NS1_11comp_targetILNS1_3genE0ELNS1_11target_archE4294967295ELNS1_3gpuE0ELNS1_3repE0EEENS1_30default_config_static_selectorELNS0_4arch9wavefront6targetE0EEEvT1_.numbered_sgpr, 0
	.set _ZN7rocprim17ROCPRIM_400000_NS6detail17trampoline_kernelINS0_14default_configENS1_25partition_config_selectorILNS1_17partition_subalgoE5ElNS0_10empty_typeEbEEZZNS1_14partition_implILS5_5ELb0ES3_mN6hipcub16HIPCUB_304000_NS21CountingInputIteratorIllEEPS6_NSA_22TransformInputIteratorIbN2at6native12_GLOBAL__N_19NonZeroOpIN3c107complexIdEEEEPKSL_lEENS0_5tupleIJPlS6_EEENSQ_IJSD_SD_EEES6_PiJS6_EEE10hipError_tPvRmT3_T4_T5_T6_T7_T9_mT8_P12ihipStream_tbDpT10_ENKUlT_T0_E_clISt17integral_constantIbLb1EES1D_IbLb0EEEEDaS19_S1A_EUlS19_E_NS1_11comp_targetILNS1_3genE0ELNS1_11target_archE4294967295ELNS1_3gpuE0ELNS1_3repE0EEENS1_30default_config_static_selectorELNS0_4arch9wavefront6targetE0EEEvT1_.num_named_barrier, 0
	.set _ZN7rocprim17ROCPRIM_400000_NS6detail17trampoline_kernelINS0_14default_configENS1_25partition_config_selectorILNS1_17partition_subalgoE5ElNS0_10empty_typeEbEEZZNS1_14partition_implILS5_5ELb0ES3_mN6hipcub16HIPCUB_304000_NS21CountingInputIteratorIllEEPS6_NSA_22TransformInputIteratorIbN2at6native12_GLOBAL__N_19NonZeroOpIN3c107complexIdEEEEPKSL_lEENS0_5tupleIJPlS6_EEENSQ_IJSD_SD_EEES6_PiJS6_EEE10hipError_tPvRmT3_T4_T5_T6_T7_T9_mT8_P12ihipStream_tbDpT10_ENKUlT_T0_E_clISt17integral_constantIbLb1EES1D_IbLb0EEEEDaS19_S1A_EUlS19_E_NS1_11comp_targetILNS1_3genE0ELNS1_11target_archE4294967295ELNS1_3gpuE0ELNS1_3repE0EEENS1_30default_config_static_selectorELNS0_4arch9wavefront6targetE0EEEvT1_.private_seg_size, 0
	.set _ZN7rocprim17ROCPRIM_400000_NS6detail17trampoline_kernelINS0_14default_configENS1_25partition_config_selectorILNS1_17partition_subalgoE5ElNS0_10empty_typeEbEEZZNS1_14partition_implILS5_5ELb0ES3_mN6hipcub16HIPCUB_304000_NS21CountingInputIteratorIllEEPS6_NSA_22TransformInputIteratorIbN2at6native12_GLOBAL__N_19NonZeroOpIN3c107complexIdEEEEPKSL_lEENS0_5tupleIJPlS6_EEENSQ_IJSD_SD_EEES6_PiJS6_EEE10hipError_tPvRmT3_T4_T5_T6_T7_T9_mT8_P12ihipStream_tbDpT10_ENKUlT_T0_E_clISt17integral_constantIbLb1EES1D_IbLb0EEEEDaS19_S1A_EUlS19_E_NS1_11comp_targetILNS1_3genE0ELNS1_11target_archE4294967295ELNS1_3gpuE0ELNS1_3repE0EEENS1_30default_config_static_selectorELNS0_4arch9wavefront6targetE0EEEvT1_.uses_vcc, 0
	.set _ZN7rocprim17ROCPRIM_400000_NS6detail17trampoline_kernelINS0_14default_configENS1_25partition_config_selectorILNS1_17partition_subalgoE5ElNS0_10empty_typeEbEEZZNS1_14partition_implILS5_5ELb0ES3_mN6hipcub16HIPCUB_304000_NS21CountingInputIteratorIllEEPS6_NSA_22TransformInputIteratorIbN2at6native12_GLOBAL__N_19NonZeroOpIN3c107complexIdEEEEPKSL_lEENS0_5tupleIJPlS6_EEENSQ_IJSD_SD_EEES6_PiJS6_EEE10hipError_tPvRmT3_T4_T5_T6_T7_T9_mT8_P12ihipStream_tbDpT10_ENKUlT_T0_E_clISt17integral_constantIbLb1EES1D_IbLb0EEEEDaS19_S1A_EUlS19_E_NS1_11comp_targetILNS1_3genE0ELNS1_11target_archE4294967295ELNS1_3gpuE0ELNS1_3repE0EEENS1_30default_config_static_selectorELNS0_4arch9wavefront6targetE0EEEvT1_.uses_flat_scratch, 0
	.set _ZN7rocprim17ROCPRIM_400000_NS6detail17trampoline_kernelINS0_14default_configENS1_25partition_config_selectorILNS1_17partition_subalgoE5ElNS0_10empty_typeEbEEZZNS1_14partition_implILS5_5ELb0ES3_mN6hipcub16HIPCUB_304000_NS21CountingInputIteratorIllEEPS6_NSA_22TransformInputIteratorIbN2at6native12_GLOBAL__N_19NonZeroOpIN3c107complexIdEEEEPKSL_lEENS0_5tupleIJPlS6_EEENSQ_IJSD_SD_EEES6_PiJS6_EEE10hipError_tPvRmT3_T4_T5_T6_T7_T9_mT8_P12ihipStream_tbDpT10_ENKUlT_T0_E_clISt17integral_constantIbLb1EES1D_IbLb0EEEEDaS19_S1A_EUlS19_E_NS1_11comp_targetILNS1_3genE0ELNS1_11target_archE4294967295ELNS1_3gpuE0ELNS1_3repE0EEENS1_30default_config_static_selectorELNS0_4arch9wavefront6targetE0EEEvT1_.has_dyn_sized_stack, 0
	.set _ZN7rocprim17ROCPRIM_400000_NS6detail17trampoline_kernelINS0_14default_configENS1_25partition_config_selectorILNS1_17partition_subalgoE5ElNS0_10empty_typeEbEEZZNS1_14partition_implILS5_5ELb0ES3_mN6hipcub16HIPCUB_304000_NS21CountingInputIteratorIllEEPS6_NSA_22TransformInputIteratorIbN2at6native12_GLOBAL__N_19NonZeroOpIN3c107complexIdEEEEPKSL_lEENS0_5tupleIJPlS6_EEENSQ_IJSD_SD_EEES6_PiJS6_EEE10hipError_tPvRmT3_T4_T5_T6_T7_T9_mT8_P12ihipStream_tbDpT10_ENKUlT_T0_E_clISt17integral_constantIbLb1EES1D_IbLb0EEEEDaS19_S1A_EUlS19_E_NS1_11comp_targetILNS1_3genE0ELNS1_11target_archE4294967295ELNS1_3gpuE0ELNS1_3repE0EEENS1_30default_config_static_selectorELNS0_4arch9wavefront6targetE0EEEvT1_.has_recursion, 0
	.set _ZN7rocprim17ROCPRIM_400000_NS6detail17trampoline_kernelINS0_14default_configENS1_25partition_config_selectorILNS1_17partition_subalgoE5ElNS0_10empty_typeEbEEZZNS1_14partition_implILS5_5ELb0ES3_mN6hipcub16HIPCUB_304000_NS21CountingInputIteratorIllEEPS6_NSA_22TransformInputIteratorIbN2at6native12_GLOBAL__N_19NonZeroOpIN3c107complexIdEEEEPKSL_lEENS0_5tupleIJPlS6_EEENSQ_IJSD_SD_EEES6_PiJS6_EEE10hipError_tPvRmT3_T4_T5_T6_T7_T9_mT8_P12ihipStream_tbDpT10_ENKUlT_T0_E_clISt17integral_constantIbLb1EES1D_IbLb0EEEEDaS19_S1A_EUlS19_E_NS1_11comp_targetILNS1_3genE0ELNS1_11target_archE4294967295ELNS1_3gpuE0ELNS1_3repE0EEENS1_30default_config_static_selectorELNS0_4arch9wavefront6targetE0EEEvT1_.has_indirect_call, 0
	.section	.AMDGPU.csdata,"",@progbits
; Kernel info:
; codeLenInByte = 0
; TotalNumSgprs: 0
; NumVgprs: 0
; ScratchSize: 0
; MemoryBound: 0
; FloatMode: 240
; IeeeMode: 1
; LDSByteSize: 0 bytes/workgroup (compile time only)
; SGPRBlocks: 0
; VGPRBlocks: 0
; NumSGPRsForWavesPerEU: 1
; NumVGPRsForWavesPerEU: 1
; Occupancy: 16
; WaveLimiterHint : 0
; COMPUTE_PGM_RSRC2:SCRATCH_EN: 0
; COMPUTE_PGM_RSRC2:USER_SGPR: 2
; COMPUTE_PGM_RSRC2:TRAP_HANDLER: 0
; COMPUTE_PGM_RSRC2:TGID_X_EN: 1
; COMPUTE_PGM_RSRC2:TGID_Y_EN: 0
; COMPUTE_PGM_RSRC2:TGID_Z_EN: 0
; COMPUTE_PGM_RSRC2:TIDIG_COMP_CNT: 0
	.section	.text._ZN7rocprim17ROCPRIM_400000_NS6detail17trampoline_kernelINS0_14default_configENS1_25partition_config_selectorILNS1_17partition_subalgoE5ElNS0_10empty_typeEbEEZZNS1_14partition_implILS5_5ELb0ES3_mN6hipcub16HIPCUB_304000_NS21CountingInputIteratorIllEEPS6_NSA_22TransformInputIteratorIbN2at6native12_GLOBAL__N_19NonZeroOpIN3c107complexIdEEEEPKSL_lEENS0_5tupleIJPlS6_EEENSQ_IJSD_SD_EEES6_PiJS6_EEE10hipError_tPvRmT3_T4_T5_T6_T7_T9_mT8_P12ihipStream_tbDpT10_ENKUlT_T0_E_clISt17integral_constantIbLb1EES1D_IbLb0EEEEDaS19_S1A_EUlS19_E_NS1_11comp_targetILNS1_3genE5ELNS1_11target_archE942ELNS1_3gpuE9ELNS1_3repE0EEENS1_30default_config_static_selectorELNS0_4arch9wavefront6targetE0EEEvT1_,"axG",@progbits,_ZN7rocprim17ROCPRIM_400000_NS6detail17trampoline_kernelINS0_14default_configENS1_25partition_config_selectorILNS1_17partition_subalgoE5ElNS0_10empty_typeEbEEZZNS1_14partition_implILS5_5ELb0ES3_mN6hipcub16HIPCUB_304000_NS21CountingInputIteratorIllEEPS6_NSA_22TransformInputIteratorIbN2at6native12_GLOBAL__N_19NonZeroOpIN3c107complexIdEEEEPKSL_lEENS0_5tupleIJPlS6_EEENSQ_IJSD_SD_EEES6_PiJS6_EEE10hipError_tPvRmT3_T4_T5_T6_T7_T9_mT8_P12ihipStream_tbDpT10_ENKUlT_T0_E_clISt17integral_constantIbLb1EES1D_IbLb0EEEEDaS19_S1A_EUlS19_E_NS1_11comp_targetILNS1_3genE5ELNS1_11target_archE942ELNS1_3gpuE9ELNS1_3repE0EEENS1_30default_config_static_selectorELNS0_4arch9wavefront6targetE0EEEvT1_,comdat
	.globl	_ZN7rocprim17ROCPRIM_400000_NS6detail17trampoline_kernelINS0_14default_configENS1_25partition_config_selectorILNS1_17partition_subalgoE5ElNS0_10empty_typeEbEEZZNS1_14partition_implILS5_5ELb0ES3_mN6hipcub16HIPCUB_304000_NS21CountingInputIteratorIllEEPS6_NSA_22TransformInputIteratorIbN2at6native12_GLOBAL__N_19NonZeroOpIN3c107complexIdEEEEPKSL_lEENS0_5tupleIJPlS6_EEENSQ_IJSD_SD_EEES6_PiJS6_EEE10hipError_tPvRmT3_T4_T5_T6_T7_T9_mT8_P12ihipStream_tbDpT10_ENKUlT_T0_E_clISt17integral_constantIbLb1EES1D_IbLb0EEEEDaS19_S1A_EUlS19_E_NS1_11comp_targetILNS1_3genE5ELNS1_11target_archE942ELNS1_3gpuE9ELNS1_3repE0EEENS1_30default_config_static_selectorELNS0_4arch9wavefront6targetE0EEEvT1_ ; -- Begin function _ZN7rocprim17ROCPRIM_400000_NS6detail17trampoline_kernelINS0_14default_configENS1_25partition_config_selectorILNS1_17partition_subalgoE5ElNS0_10empty_typeEbEEZZNS1_14partition_implILS5_5ELb0ES3_mN6hipcub16HIPCUB_304000_NS21CountingInputIteratorIllEEPS6_NSA_22TransformInputIteratorIbN2at6native12_GLOBAL__N_19NonZeroOpIN3c107complexIdEEEEPKSL_lEENS0_5tupleIJPlS6_EEENSQ_IJSD_SD_EEES6_PiJS6_EEE10hipError_tPvRmT3_T4_T5_T6_T7_T9_mT8_P12ihipStream_tbDpT10_ENKUlT_T0_E_clISt17integral_constantIbLb1EES1D_IbLb0EEEEDaS19_S1A_EUlS19_E_NS1_11comp_targetILNS1_3genE5ELNS1_11target_archE942ELNS1_3gpuE9ELNS1_3repE0EEENS1_30default_config_static_selectorELNS0_4arch9wavefront6targetE0EEEvT1_
	.p2align	8
	.type	_ZN7rocprim17ROCPRIM_400000_NS6detail17trampoline_kernelINS0_14default_configENS1_25partition_config_selectorILNS1_17partition_subalgoE5ElNS0_10empty_typeEbEEZZNS1_14partition_implILS5_5ELb0ES3_mN6hipcub16HIPCUB_304000_NS21CountingInputIteratorIllEEPS6_NSA_22TransformInputIteratorIbN2at6native12_GLOBAL__N_19NonZeroOpIN3c107complexIdEEEEPKSL_lEENS0_5tupleIJPlS6_EEENSQ_IJSD_SD_EEES6_PiJS6_EEE10hipError_tPvRmT3_T4_T5_T6_T7_T9_mT8_P12ihipStream_tbDpT10_ENKUlT_T0_E_clISt17integral_constantIbLb1EES1D_IbLb0EEEEDaS19_S1A_EUlS19_E_NS1_11comp_targetILNS1_3genE5ELNS1_11target_archE942ELNS1_3gpuE9ELNS1_3repE0EEENS1_30default_config_static_selectorELNS0_4arch9wavefront6targetE0EEEvT1_,@function
_ZN7rocprim17ROCPRIM_400000_NS6detail17trampoline_kernelINS0_14default_configENS1_25partition_config_selectorILNS1_17partition_subalgoE5ElNS0_10empty_typeEbEEZZNS1_14partition_implILS5_5ELb0ES3_mN6hipcub16HIPCUB_304000_NS21CountingInputIteratorIllEEPS6_NSA_22TransformInputIteratorIbN2at6native12_GLOBAL__N_19NonZeroOpIN3c107complexIdEEEEPKSL_lEENS0_5tupleIJPlS6_EEENSQ_IJSD_SD_EEES6_PiJS6_EEE10hipError_tPvRmT3_T4_T5_T6_T7_T9_mT8_P12ihipStream_tbDpT10_ENKUlT_T0_E_clISt17integral_constantIbLb1EES1D_IbLb0EEEEDaS19_S1A_EUlS19_E_NS1_11comp_targetILNS1_3genE5ELNS1_11target_archE942ELNS1_3gpuE9ELNS1_3repE0EEENS1_30default_config_static_selectorELNS0_4arch9wavefront6targetE0EEEvT1_: ; @_ZN7rocprim17ROCPRIM_400000_NS6detail17trampoline_kernelINS0_14default_configENS1_25partition_config_selectorILNS1_17partition_subalgoE5ElNS0_10empty_typeEbEEZZNS1_14partition_implILS5_5ELb0ES3_mN6hipcub16HIPCUB_304000_NS21CountingInputIteratorIllEEPS6_NSA_22TransformInputIteratorIbN2at6native12_GLOBAL__N_19NonZeroOpIN3c107complexIdEEEEPKSL_lEENS0_5tupleIJPlS6_EEENSQ_IJSD_SD_EEES6_PiJS6_EEE10hipError_tPvRmT3_T4_T5_T6_T7_T9_mT8_P12ihipStream_tbDpT10_ENKUlT_T0_E_clISt17integral_constantIbLb1EES1D_IbLb0EEEEDaS19_S1A_EUlS19_E_NS1_11comp_targetILNS1_3genE5ELNS1_11target_archE942ELNS1_3gpuE9ELNS1_3repE0EEENS1_30default_config_static_selectorELNS0_4arch9wavefront6targetE0EEEvT1_
; %bb.0:
	.section	.rodata,"a",@progbits
	.p2align	6, 0x0
	.amdhsa_kernel _ZN7rocprim17ROCPRIM_400000_NS6detail17trampoline_kernelINS0_14default_configENS1_25partition_config_selectorILNS1_17partition_subalgoE5ElNS0_10empty_typeEbEEZZNS1_14partition_implILS5_5ELb0ES3_mN6hipcub16HIPCUB_304000_NS21CountingInputIteratorIllEEPS6_NSA_22TransformInputIteratorIbN2at6native12_GLOBAL__N_19NonZeroOpIN3c107complexIdEEEEPKSL_lEENS0_5tupleIJPlS6_EEENSQ_IJSD_SD_EEES6_PiJS6_EEE10hipError_tPvRmT3_T4_T5_T6_T7_T9_mT8_P12ihipStream_tbDpT10_ENKUlT_T0_E_clISt17integral_constantIbLb1EES1D_IbLb0EEEEDaS19_S1A_EUlS19_E_NS1_11comp_targetILNS1_3genE5ELNS1_11target_archE942ELNS1_3gpuE9ELNS1_3repE0EEENS1_30default_config_static_selectorELNS0_4arch9wavefront6targetE0EEEvT1_
		.amdhsa_group_segment_fixed_size 0
		.amdhsa_private_segment_fixed_size 0
		.amdhsa_kernarg_size 120
		.amdhsa_user_sgpr_count 2
		.amdhsa_user_sgpr_dispatch_ptr 0
		.amdhsa_user_sgpr_queue_ptr 0
		.amdhsa_user_sgpr_kernarg_segment_ptr 1
		.amdhsa_user_sgpr_dispatch_id 0
		.amdhsa_user_sgpr_private_segment_size 0
		.amdhsa_wavefront_size32 1
		.amdhsa_uses_dynamic_stack 0
		.amdhsa_enable_private_segment 0
		.amdhsa_system_sgpr_workgroup_id_x 1
		.amdhsa_system_sgpr_workgroup_id_y 0
		.amdhsa_system_sgpr_workgroup_id_z 0
		.amdhsa_system_sgpr_workgroup_info 0
		.amdhsa_system_vgpr_workitem_id 0
		.amdhsa_next_free_vgpr 1
		.amdhsa_next_free_sgpr 1
		.amdhsa_reserve_vcc 0
		.amdhsa_float_round_mode_32 0
		.amdhsa_float_round_mode_16_64 0
		.amdhsa_float_denorm_mode_32 3
		.amdhsa_float_denorm_mode_16_64 3
		.amdhsa_fp16_overflow 0
		.amdhsa_workgroup_processor_mode 1
		.amdhsa_memory_ordered 1
		.amdhsa_forward_progress 1
		.amdhsa_inst_pref_size 0
		.amdhsa_round_robin_scheduling 0
		.amdhsa_exception_fp_ieee_invalid_op 0
		.amdhsa_exception_fp_denorm_src 0
		.amdhsa_exception_fp_ieee_div_zero 0
		.amdhsa_exception_fp_ieee_overflow 0
		.amdhsa_exception_fp_ieee_underflow 0
		.amdhsa_exception_fp_ieee_inexact 0
		.amdhsa_exception_int_div_zero 0
	.end_amdhsa_kernel
	.section	.text._ZN7rocprim17ROCPRIM_400000_NS6detail17trampoline_kernelINS0_14default_configENS1_25partition_config_selectorILNS1_17partition_subalgoE5ElNS0_10empty_typeEbEEZZNS1_14partition_implILS5_5ELb0ES3_mN6hipcub16HIPCUB_304000_NS21CountingInputIteratorIllEEPS6_NSA_22TransformInputIteratorIbN2at6native12_GLOBAL__N_19NonZeroOpIN3c107complexIdEEEEPKSL_lEENS0_5tupleIJPlS6_EEENSQ_IJSD_SD_EEES6_PiJS6_EEE10hipError_tPvRmT3_T4_T5_T6_T7_T9_mT8_P12ihipStream_tbDpT10_ENKUlT_T0_E_clISt17integral_constantIbLb1EES1D_IbLb0EEEEDaS19_S1A_EUlS19_E_NS1_11comp_targetILNS1_3genE5ELNS1_11target_archE942ELNS1_3gpuE9ELNS1_3repE0EEENS1_30default_config_static_selectorELNS0_4arch9wavefront6targetE0EEEvT1_,"axG",@progbits,_ZN7rocprim17ROCPRIM_400000_NS6detail17trampoline_kernelINS0_14default_configENS1_25partition_config_selectorILNS1_17partition_subalgoE5ElNS0_10empty_typeEbEEZZNS1_14partition_implILS5_5ELb0ES3_mN6hipcub16HIPCUB_304000_NS21CountingInputIteratorIllEEPS6_NSA_22TransformInputIteratorIbN2at6native12_GLOBAL__N_19NonZeroOpIN3c107complexIdEEEEPKSL_lEENS0_5tupleIJPlS6_EEENSQ_IJSD_SD_EEES6_PiJS6_EEE10hipError_tPvRmT3_T4_T5_T6_T7_T9_mT8_P12ihipStream_tbDpT10_ENKUlT_T0_E_clISt17integral_constantIbLb1EES1D_IbLb0EEEEDaS19_S1A_EUlS19_E_NS1_11comp_targetILNS1_3genE5ELNS1_11target_archE942ELNS1_3gpuE9ELNS1_3repE0EEENS1_30default_config_static_selectorELNS0_4arch9wavefront6targetE0EEEvT1_,comdat
.Lfunc_end543:
	.size	_ZN7rocprim17ROCPRIM_400000_NS6detail17trampoline_kernelINS0_14default_configENS1_25partition_config_selectorILNS1_17partition_subalgoE5ElNS0_10empty_typeEbEEZZNS1_14partition_implILS5_5ELb0ES3_mN6hipcub16HIPCUB_304000_NS21CountingInputIteratorIllEEPS6_NSA_22TransformInputIteratorIbN2at6native12_GLOBAL__N_19NonZeroOpIN3c107complexIdEEEEPKSL_lEENS0_5tupleIJPlS6_EEENSQ_IJSD_SD_EEES6_PiJS6_EEE10hipError_tPvRmT3_T4_T5_T6_T7_T9_mT8_P12ihipStream_tbDpT10_ENKUlT_T0_E_clISt17integral_constantIbLb1EES1D_IbLb0EEEEDaS19_S1A_EUlS19_E_NS1_11comp_targetILNS1_3genE5ELNS1_11target_archE942ELNS1_3gpuE9ELNS1_3repE0EEENS1_30default_config_static_selectorELNS0_4arch9wavefront6targetE0EEEvT1_, .Lfunc_end543-_ZN7rocprim17ROCPRIM_400000_NS6detail17trampoline_kernelINS0_14default_configENS1_25partition_config_selectorILNS1_17partition_subalgoE5ElNS0_10empty_typeEbEEZZNS1_14partition_implILS5_5ELb0ES3_mN6hipcub16HIPCUB_304000_NS21CountingInputIteratorIllEEPS6_NSA_22TransformInputIteratorIbN2at6native12_GLOBAL__N_19NonZeroOpIN3c107complexIdEEEEPKSL_lEENS0_5tupleIJPlS6_EEENSQ_IJSD_SD_EEES6_PiJS6_EEE10hipError_tPvRmT3_T4_T5_T6_T7_T9_mT8_P12ihipStream_tbDpT10_ENKUlT_T0_E_clISt17integral_constantIbLb1EES1D_IbLb0EEEEDaS19_S1A_EUlS19_E_NS1_11comp_targetILNS1_3genE5ELNS1_11target_archE942ELNS1_3gpuE9ELNS1_3repE0EEENS1_30default_config_static_selectorELNS0_4arch9wavefront6targetE0EEEvT1_
                                        ; -- End function
	.set _ZN7rocprim17ROCPRIM_400000_NS6detail17trampoline_kernelINS0_14default_configENS1_25partition_config_selectorILNS1_17partition_subalgoE5ElNS0_10empty_typeEbEEZZNS1_14partition_implILS5_5ELb0ES3_mN6hipcub16HIPCUB_304000_NS21CountingInputIteratorIllEEPS6_NSA_22TransformInputIteratorIbN2at6native12_GLOBAL__N_19NonZeroOpIN3c107complexIdEEEEPKSL_lEENS0_5tupleIJPlS6_EEENSQ_IJSD_SD_EEES6_PiJS6_EEE10hipError_tPvRmT3_T4_T5_T6_T7_T9_mT8_P12ihipStream_tbDpT10_ENKUlT_T0_E_clISt17integral_constantIbLb1EES1D_IbLb0EEEEDaS19_S1A_EUlS19_E_NS1_11comp_targetILNS1_3genE5ELNS1_11target_archE942ELNS1_3gpuE9ELNS1_3repE0EEENS1_30default_config_static_selectorELNS0_4arch9wavefront6targetE0EEEvT1_.num_vgpr, 0
	.set _ZN7rocprim17ROCPRIM_400000_NS6detail17trampoline_kernelINS0_14default_configENS1_25partition_config_selectorILNS1_17partition_subalgoE5ElNS0_10empty_typeEbEEZZNS1_14partition_implILS5_5ELb0ES3_mN6hipcub16HIPCUB_304000_NS21CountingInputIteratorIllEEPS6_NSA_22TransformInputIteratorIbN2at6native12_GLOBAL__N_19NonZeroOpIN3c107complexIdEEEEPKSL_lEENS0_5tupleIJPlS6_EEENSQ_IJSD_SD_EEES6_PiJS6_EEE10hipError_tPvRmT3_T4_T5_T6_T7_T9_mT8_P12ihipStream_tbDpT10_ENKUlT_T0_E_clISt17integral_constantIbLb1EES1D_IbLb0EEEEDaS19_S1A_EUlS19_E_NS1_11comp_targetILNS1_3genE5ELNS1_11target_archE942ELNS1_3gpuE9ELNS1_3repE0EEENS1_30default_config_static_selectorELNS0_4arch9wavefront6targetE0EEEvT1_.num_agpr, 0
	.set _ZN7rocprim17ROCPRIM_400000_NS6detail17trampoline_kernelINS0_14default_configENS1_25partition_config_selectorILNS1_17partition_subalgoE5ElNS0_10empty_typeEbEEZZNS1_14partition_implILS5_5ELb0ES3_mN6hipcub16HIPCUB_304000_NS21CountingInputIteratorIllEEPS6_NSA_22TransformInputIteratorIbN2at6native12_GLOBAL__N_19NonZeroOpIN3c107complexIdEEEEPKSL_lEENS0_5tupleIJPlS6_EEENSQ_IJSD_SD_EEES6_PiJS6_EEE10hipError_tPvRmT3_T4_T5_T6_T7_T9_mT8_P12ihipStream_tbDpT10_ENKUlT_T0_E_clISt17integral_constantIbLb1EES1D_IbLb0EEEEDaS19_S1A_EUlS19_E_NS1_11comp_targetILNS1_3genE5ELNS1_11target_archE942ELNS1_3gpuE9ELNS1_3repE0EEENS1_30default_config_static_selectorELNS0_4arch9wavefront6targetE0EEEvT1_.numbered_sgpr, 0
	.set _ZN7rocprim17ROCPRIM_400000_NS6detail17trampoline_kernelINS0_14default_configENS1_25partition_config_selectorILNS1_17partition_subalgoE5ElNS0_10empty_typeEbEEZZNS1_14partition_implILS5_5ELb0ES3_mN6hipcub16HIPCUB_304000_NS21CountingInputIteratorIllEEPS6_NSA_22TransformInputIteratorIbN2at6native12_GLOBAL__N_19NonZeroOpIN3c107complexIdEEEEPKSL_lEENS0_5tupleIJPlS6_EEENSQ_IJSD_SD_EEES6_PiJS6_EEE10hipError_tPvRmT3_T4_T5_T6_T7_T9_mT8_P12ihipStream_tbDpT10_ENKUlT_T0_E_clISt17integral_constantIbLb1EES1D_IbLb0EEEEDaS19_S1A_EUlS19_E_NS1_11comp_targetILNS1_3genE5ELNS1_11target_archE942ELNS1_3gpuE9ELNS1_3repE0EEENS1_30default_config_static_selectorELNS0_4arch9wavefront6targetE0EEEvT1_.num_named_barrier, 0
	.set _ZN7rocprim17ROCPRIM_400000_NS6detail17trampoline_kernelINS0_14default_configENS1_25partition_config_selectorILNS1_17partition_subalgoE5ElNS0_10empty_typeEbEEZZNS1_14partition_implILS5_5ELb0ES3_mN6hipcub16HIPCUB_304000_NS21CountingInputIteratorIllEEPS6_NSA_22TransformInputIteratorIbN2at6native12_GLOBAL__N_19NonZeroOpIN3c107complexIdEEEEPKSL_lEENS0_5tupleIJPlS6_EEENSQ_IJSD_SD_EEES6_PiJS6_EEE10hipError_tPvRmT3_T4_T5_T6_T7_T9_mT8_P12ihipStream_tbDpT10_ENKUlT_T0_E_clISt17integral_constantIbLb1EES1D_IbLb0EEEEDaS19_S1A_EUlS19_E_NS1_11comp_targetILNS1_3genE5ELNS1_11target_archE942ELNS1_3gpuE9ELNS1_3repE0EEENS1_30default_config_static_selectorELNS0_4arch9wavefront6targetE0EEEvT1_.private_seg_size, 0
	.set _ZN7rocprim17ROCPRIM_400000_NS6detail17trampoline_kernelINS0_14default_configENS1_25partition_config_selectorILNS1_17partition_subalgoE5ElNS0_10empty_typeEbEEZZNS1_14partition_implILS5_5ELb0ES3_mN6hipcub16HIPCUB_304000_NS21CountingInputIteratorIllEEPS6_NSA_22TransformInputIteratorIbN2at6native12_GLOBAL__N_19NonZeroOpIN3c107complexIdEEEEPKSL_lEENS0_5tupleIJPlS6_EEENSQ_IJSD_SD_EEES6_PiJS6_EEE10hipError_tPvRmT3_T4_T5_T6_T7_T9_mT8_P12ihipStream_tbDpT10_ENKUlT_T0_E_clISt17integral_constantIbLb1EES1D_IbLb0EEEEDaS19_S1A_EUlS19_E_NS1_11comp_targetILNS1_3genE5ELNS1_11target_archE942ELNS1_3gpuE9ELNS1_3repE0EEENS1_30default_config_static_selectorELNS0_4arch9wavefront6targetE0EEEvT1_.uses_vcc, 0
	.set _ZN7rocprim17ROCPRIM_400000_NS6detail17trampoline_kernelINS0_14default_configENS1_25partition_config_selectorILNS1_17partition_subalgoE5ElNS0_10empty_typeEbEEZZNS1_14partition_implILS5_5ELb0ES3_mN6hipcub16HIPCUB_304000_NS21CountingInputIteratorIllEEPS6_NSA_22TransformInputIteratorIbN2at6native12_GLOBAL__N_19NonZeroOpIN3c107complexIdEEEEPKSL_lEENS0_5tupleIJPlS6_EEENSQ_IJSD_SD_EEES6_PiJS6_EEE10hipError_tPvRmT3_T4_T5_T6_T7_T9_mT8_P12ihipStream_tbDpT10_ENKUlT_T0_E_clISt17integral_constantIbLb1EES1D_IbLb0EEEEDaS19_S1A_EUlS19_E_NS1_11comp_targetILNS1_3genE5ELNS1_11target_archE942ELNS1_3gpuE9ELNS1_3repE0EEENS1_30default_config_static_selectorELNS0_4arch9wavefront6targetE0EEEvT1_.uses_flat_scratch, 0
	.set _ZN7rocprim17ROCPRIM_400000_NS6detail17trampoline_kernelINS0_14default_configENS1_25partition_config_selectorILNS1_17partition_subalgoE5ElNS0_10empty_typeEbEEZZNS1_14partition_implILS5_5ELb0ES3_mN6hipcub16HIPCUB_304000_NS21CountingInputIteratorIllEEPS6_NSA_22TransformInputIteratorIbN2at6native12_GLOBAL__N_19NonZeroOpIN3c107complexIdEEEEPKSL_lEENS0_5tupleIJPlS6_EEENSQ_IJSD_SD_EEES6_PiJS6_EEE10hipError_tPvRmT3_T4_T5_T6_T7_T9_mT8_P12ihipStream_tbDpT10_ENKUlT_T0_E_clISt17integral_constantIbLb1EES1D_IbLb0EEEEDaS19_S1A_EUlS19_E_NS1_11comp_targetILNS1_3genE5ELNS1_11target_archE942ELNS1_3gpuE9ELNS1_3repE0EEENS1_30default_config_static_selectorELNS0_4arch9wavefront6targetE0EEEvT1_.has_dyn_sized_stack, 0
	.set _ZN7rocprim17ROCPRIM_400000_NS6detail17trampoline_kernelINS0_14default_configENS1_25partition_config_selectorILNS1_17partition_subalgoE5ElNS0_10empty_typeEbEEZZNS1_14partition_implILS5_5ELb0ES3_mN6hipcub16HIPCUB_304000_NS21CountingInputIteratorIllEEPS6_NSA_22TransformInputIteratorIbN2at6native12_GLOBAL__N_19NonZeroOpIN3c107complexIdEEEEPKSL_lEENS0_5tupleIJPlS6_EEENSQ_IJSD_SD_EEES6_PiJS6_EEE10hipError_tPvRmT3_T4_T5_T6_T7_T9_mT8_P12ihipStream_tbDpT10_ENKUlT_T0_E_clISt17integral_constantIbLb1EES1D_IbLb0EEEEDaS19_S1A_EUlS19_E_NS1_11comp_targetILNS1_3genE5ELNS1_11target_archE942ELNS1_3gpuE9ELNS1_3repE0EEENS1_30default_config_static_selectorELNS0_4arch9wavefront6targetE0EEEvT1_.has_recursion, 0
	.set _ZN7rocprim17ROCPRIM_400000_NS6detail17trampoline_kernelINS0_14default_configENS1_25partition_config_selectorILNS1_17partition_subalgoE5ElNS0_10empty_typeEbEEZZNS1_14partition_implILS5_5ELb0ES3_mN6hipcub16HIPCUB_304000_NS21CountingInputIteratorIllEEPS6_NSA_22TransformInputIteratorIbN2at6native12_GLOBAL__N_19NonZeroOpIN3c107complexIdEEEEPKSL_lEENS0_5tupleIJPlS6_EEENSQ_IJSD_SD_EEES6_PiJS6_EEE10hipError_tPvRmT3_T4_T5_T6_T7_T9_mT8_P12ihipStream_tbDpT10_ENKUlT_T0_E_clISt17integral_constantIbLb1EES1D_IbLb0EEEEDaS19_S1A_EUlS19_E_NS1_11comp_targetILNS1_3genE5ELNS1_11target_archE942ELNS1_3gpuE9ELNS1_3repE0EEENS1_30default_config_static_selectorELNS0_4arch9wavefront6targetE0EEEvT1_.has_indirect_call, 0
	.section	.AMDGPU.csdata,"",@progbits
; Kernel info:
; codeLenInByte = 0
; TotalNumSgprs: 0
; NumVgprs: 0
; ScratchSize: 0
; MemoryBound: 0
; FloatMode: 240
; IeeeMode: 1
; LDSByteSize: 0 bytes/workgroup (compile time only)
; SGPRBlocks: 0
; VGPRBlocks: 0
; NumSGPRsForWavesPerEU: 1
; NumVGPRsForWavesPerEU: 1
; Occupancy: 16
; WaveLimiterHint : 0
; COMPUTE_PGM_RSRC2:SCRATCH_EN: 0
; COMPUTE_PGM_RSRC2:USER_SGPR: 2
; COMPUTE_PGM_RSRC2:TRAP_HANDLER: 0
; COMPUTE_PGM_RSRC2:TGID_X_EN: 1
; COMPUTE_PGM_RSRC2:TGID_Y_EN: 0
; COMPUTE_PGM_RSRC2:TGID_Z_EN: 0
; COMPUTE_PGM_RSRC2:TIDIG_COMP_CNT: 0
	.section	.text._ZN7rocprim17ROCPRIM_400000_NS6detail17trampoline_kernelINS0_14default_configENS1_25partition_config_selectorILNS1_17partition_subalgoE5ElNS0_10empty_typeEbEEZZNS1_14partition_implILS5_5ELb0ES3_mN6hipcub16HIPCUB_304000_NS21CountingInputIteratorIllEEPS6_NSA_22TransformInputIteratorIbN2at6native12_GLOBAL__N_19NonZeroOpIN3c107complexIdEEEEPKSL_lEENS0_5tupleIJPlS6_EEENSQ_IJSD_SD_EEES6_PiJS6_EEE10hipError_tPvRmT3_T4_T5_T6_T7_T9_mT8_P12ihipStream_tbDpT10_ENKUlT_T0_E_clISt17integral_constantIbLb1EES1D_IbLb0EEEEDaS19_S1A_EUlS19_E_NS1_11comp_targetILNS1_3genE4ELNS1_11target_archE910ELNS1_3gpuE8ELNS1_3repE0EEENS1_30default_config_static_selectorELNS0_4arch9wavefront6targetE0EEEvT1_,"axG",@progbits,_ZN7rocprim17ROCPRIM_400000_NS6detail17trampoline_kernelINS0_14default_configENS1_25partition_config_selectorILNS1_17partition_subalgoE5ElNS0_10empty_typeEbEEZZNS1_14partition_implILS5_5ELb0ES3_mN6hipcub16HIPCUB_304000_NS21CountingInputIteratorIllEEPS6_NSA_22TransformInputIteratorIbN2at6native12_GLOBAL__N_19NonZeroOpIN3c107complexIdEEEEPKSL_lEENS0_5tupleIJPlS6_EEENSQ_IJSD_SD_EEES6_PiJS6_EEE10hipError_tPvRmT3_T4_T5_T6_T7_T9_mT8_P12ihipStream_tbDpT10_ENKUlT_T0_E_clISt17integral_constantIbLb1EES1D_IbLb0EEEEDaS19_S1A_EUlS19_E_NS1_11comp_targetILNS1_3genE4ELNS1_11target_archE910ELNS1_3gpuE8ELNS1_3repE0EEENS1_30default_config_static_selectorELNS0_4arch9wavefront6targetE0EEEvT1_,comdat
	.globl	_ZN7rocprim17ROCPRIM_400000_NS6detail17trampoline_kernelINS0_14default_configENS1_25partition_config_selectorILNS1_17partition_subalgoE5ElNS0_10empty_typeEbEEZZNS1_14partition_implILS5_5ELb0ES3_mN6hipcub16HIPCUB_304000_NS21CountingInputIteratorIllEEPS6_NSA_22TransformInputIteratorIbN2at6native12_GLOBAL__N_19NonZeroOpIN3c107complexIdEEEEPKSL_lEENS0_5tupleIJPlS6_EEENSQ_IJSD_SD_EEES6_PiJS6_EEE10hipError_tPvRmT3_T4_T5_T6_T7_T9_mT8_P12ihipStream_tbDpT10_ENKUlT_T0_E_clISt17integral_constantIbLb1EES1D_IbLb0EEEEDaS19_S1A_EUlS19_E_NS1_11comp_targetILNS1_3genE4ELNS1_11target_archE910ELNS1_3gpuE8ELNS1_3repE0EEENS1_30default_config_static_selectorELNS0_4arch9wavefront6targetE0EEEvT1_ ; -- Begin function _ZN7rocprim17ROCPRIM_400000_NS6detail17trampoline_kernelINS0_14default_configENS1_25partition_config_selectorILNS1_17partition_subalgoE5ElNS0_10empty_typeEbEEZZNS1_14partition_implILS5_5ELb0ES3_mN6hipcub16HIPCUB_304000_NS21CountingInputIteratorIllEEPS6_NSA_22TransformInputIteratorIbN2at6native12_GLOBAL__N_19NonZeroOpIN3c107complexIdEEEEPKSL_lEENS0_5tupleIJPlS6_EEENSQ_IJSD_SD_EEES6_PiJS6_EEE10hipError_tPvRmT3_T4_T5_T6_T7_T9_mT8_P12ihipStream_tbDpT10_ENKUlT_T0_E_clISt17integral_constantIbLb1EES1D_IbLb0EEEEDaS19_S1A_EUlS19_E_NS1_11comp_targetILNS1_3genE4ELNS1_11target_archE910ELNS1_3gpuE8ELNS1_3repE0EEENS1_30default_config_static_selectorELNS0_4arch9wavefront6targetE0EEEvT1_
	.p2align	8
	.type	_ZN7rocprim17ROCPRIM_400000_NS6detail17trampoline_kernelINS0_14default_configENS1_25partition_config_selectorILNS1_17partition_subalgoE5ElNS0_10empty_typeEbEEZZNS1_14partition_implILS5_5ELb0ES3_mN6hipcub16HIPCUB_304000_NS21CountingInputIteratorIllEEPS6_NSA_22TransformInputIteratorIbN2at6native12_GLOBAL__N_19NonZeroOpIN3c107complexIdEEEEPKSL_lEENS0_5tupleIJPlS6_EEENSQ_IJSD_SD_EEES6_PiJS6_EEE10hipError_tPvRmT3_T4_T5_T6_T7_T9_mT8_P12ihipStream_tbDpT10_ENKUlT_T0_E_clISt17integral_constantIbLb1EES1D_IbLb0EEEEDaS19_S1A_EUlS19_E_NS1_11comp_targetILNS1_3genE4ELNS1_11target_archE910ELNS1_3gpuE8ELNS1_3repE0EEENS1_30default_config_static_selectorELNS0_4arch9wavefront6targetE0EEEvT1_,@function
_ZN7rocprim17ROCPRIM_400000_NS6detail17trampoline_kernelINS0_14default_configENS1_25partition_config_selectorILNS1_17partition_subalgoE5ElNS0_10empty_typeEbEEZZNS1_14partition_implILS5_5ELb0ES3_mN6hipcub16HIPCUB_304000_NS21CountingInputIteratorIllEEPS6_NSA_22TransformInputIteratorIbN2at6native12_GLOBAL__N_19NonZeroOpIN3c107complexIdEEEEPKSL_lEENS0_5tupleIJPlS6_EEENSQ_IJSD_SD_EEES6_PiJS6_EEE10hipError_tPvRmT3_T4_T5_T6_T7_T9_mT8_P12ihipStream_tbDpT10_ENKUlT_T0_E_clISt17integral_constantIbLb1EES1D_IbLb0EEEEDaS19_S1A_EUlS19_E_NS1_11comp_targetILNS1_3genE4ELNS1_11target_archE910ELNS1_3gpuE8ELNS1_3repE0EEENS1_30default_config_static_selectorELNS0_4arch9wavefront6targetE0EEEvT1_: ; @_ZN7rocprim17ROCPRIM_400000_NS6detail17trampoline_kernelINS0_14default_configENS1_25partition_config_selectorILNS1_17partition_subalgoE5ElNS0_10empty_typeEbEEZZNS1_14partition_implILS5_5ELb0ES3_mN6hipcub16HIPCUB_304000_NS21CountingInputIteratorIllEEPS6_NSA_22TransformInputIteratorIbN2at6native12_GLOBAL__N_19NonZeroOpIN3c107complexIdEEEEPKSL_lEENS0_5tupleIJPlS6_EEENSQ_IJSD_SD_EEES6_PiJS6_EEE10hipError_tPvRmT3_T4_T5_T6_T7_T9_mT8_P12ihipStream_tbDpT10_ENKUlT_T0_E_clISt17integral_constantIbLb1EES1D_IbLb0EEEEDaS19_S1A_EUlS19_E_NS1_11comp_targetILNS1_3genE4ELNS1_11target_archE910ELNS1_3gpuE8ELNS1_3repE0EEENS1_30default_config_static_selectorELNS0_4arch9wavefront6targetE0EEEvT1_
; %bb.0:
	.section	.rodata,"a",@progbits
	.p2align	6, 0x0
	.amdhsa_kernel _ZN7rocprim17ROCPRIM_400000_NS6detail17trampoline_kernelINS0_14default_configENS1_25partition_config_selectorILNS1_17partition_subalgoE5ElNS0_10empty_typeEbEEZZNS1_14partition_implILS5_5ELb0ES3_mN6hipcub16HIPCUB_304000_NS21CountingInputIteratorIllEEPS6_NSA_22TransformInputIteratorIbN2at6native12_GLOBAL__N_19NonZeroOpIN3c107complexIdEEEEPKSL_lEENS0_5tupleIJPlS6_EEENSQ_IJSD_SD_EEES6_PiJS6_EEE10hipError_tPvRmT3_T4_T5_T6_T7_T9_mT8_P12ihipStream_tbDpT10_ENKUlT_T0_E_clISt17integral_constantIbLb1EES1D_IbLb0EEEEDaS19_S1A_EUlS19_E_NS1_11comp_targetILNS1_3genE4ELNS1_11target_archE910ELNS1_3gpuE8ELNS1_3repE0EEENS1_30default_config_static_selectorELNS0_4arch9wavefront6targetE0EEEvT1_
		.amdhsa_group_segment_fixed_size 0
		.amdhsa_private_segment_fixed_size 0
		.amdhsa_kernarg_size 120
		.amdhsa_user_sgpr_count 2
		.amdhsa_user_sgpr_dispatch_ptr 0
		.amdhsa_user_sgpr_queue_ptr 0
		.amdhsa_user_sgpr_kernarg_segment_ptr 1
		.amdhsa_user_sgpr_dispatch_id 0
		.amdhsa_user_sgpr_private_segment_size 0
		.amdhsa_wavefront_size32 1
		.amdhsa_uses_dynamic_stack 0
		.amdhsa_enable_private_segment 0
		.amdhsa_system_sgpr_workgroup_id_x 1
		.amdhsa_system_sgpr_workgroup_id_y 0
		.amdhsa_system_sgpr_workgroup_id_z 0
		.amdhsa_system_sgpr_workgroup_info 0
		.amdhsa_system_vgpr_workitem_id 0
		.amdhsa_next_free_vgpr 1
		.amdhsa_next_free_sgpr 1
		.amdhsa_reserve_vcc 0
		.amdhsa_float_round_mode_32 0
		.amdhsa_float_round_mode_16_64 0
		.amdhsa_float_denorm_mode_32 3
		.amdhsa_float_denorm_mode_16_64 3
		.amdhsa_fp16_overflow 0
		.amdhsa_workgroup_processor_mode 1
		.amdhsa_memory_ordered 1
		.amdhsa_forward_progress 1
		.amdhsa_inst_pref_size 0
		.amdhsa_round_robin_scheduling 0
		.amdhsa_exception_fp_ieee_invalid_op 0
		.amdhsa_exception_fp_denorm_src 0
		.amdhsa_exception_fp_ieee_div_zero 0
		.amdhsa_exception_fp_ieee_overflow 0
		.amdhsa_exception_fp_ieee_underflow 0
		.amdhsa_exception_fp_ieee_inexact 0
		.amdhsa_exception_int_div_zero 0
	.end_amdhsa_kernel
	.section	.text._ZN7rocprim17ROCPRIM_400000_NS6detail17trampoline_kernelINS0_14default_configENS1_25partition_config_selectorILNS1_17partition_subalgoE5ElNS0_10empty_typeEbEEZZNS1_14partition_implILS5_5ELb0ES3_mN6hipcub16HIPCUB_304000_NS21CountingInputIteratorIllEEPS6_NSA_22TransformInputIteratorIbN2at6native12_GLOBAL__N_19NonZeroOpIN3c107complexIdEEEEPKSL_lEENS0_5tupleIJPlS6_EEENSQ_IJSD_SD_EEES6_PiJS6_EEE10hipError_tPvRmT3_T4_T5_T6_T7_T9_mT8_P12ihipStream_tbDpT10_ENKUlT_T0_E_clISt17integral_constantIbLb1EES1D_IbLb0EEEEDaS19_S1A_EUlS19_E_NS1_11comp_targetILNS1_3genE4ELNS1_11target_archE910ELNS1_3gpuE8ELNS1_3repE0EEENS1_30default_config_static_selectorELNS0_4arch9wavefront6targetE0EEEvT1_,"axG",@progbits,_ZN7rocprim17ROCPRIM_400000_NS6detail17trampoline_kernelINS0_14default_configENS1_25partition_config_selectorILNS1_17partition_subalgoE5ElNS0_10empty_typeEbEEZZNS1_14partition_implILS5_5ELb0ES3_mN6hipcub16HIPCUB_304000_NS21CountingInputIteratorIllEEPS6_NSA_22TransformInputIteratorIbN2at6native12_GLOBAL__N_19NonZeroOpIN3c107complexIdEEEEPKSL_lEENS0_5tupleIJPlS6_EEENSQ_IJSD_SD_EEES6_PiJS6_EEE10hipError_tPvRmT3_T4_T5_T6_T7_T9_mT8_P12ihipStream_tbDpT10_ENKUlT_T0_E_clISt17integral_constantIbLb1EES1D_IbLb0EEEEDaS19_S1A_EUlS19_E_NS1_11comp_targetILNS1_3genE4ELNS1_11target_archE910ELNS1_3gpuE8ELNS1_3repE0EEENS1_30default_config_static_selectorELNS0_4arch9wavefront6targetE0EEEvT1_,comdat
.Lfunc_end544:
	.size	_ZN7rocprim17ROCPRIM_400000_NS6detail17trampoline_kernelINS0_14default_configENS1_25partition_config_selectorILNS1_17partition_subalgoE5ElNS0_10empty_typeEbEEZZNS1_14partition_implILS5_5ELb0ES3_mN6hipcub16HIPCUB_304000_NS21CountingInputIteratorIllEEPS6_NSA_22TransformInputIteratorIbN2at6native12_GLOBAL__N_19NonZeroOpIN3c107complexIdEEEEPKSL_lEENS0_5tupleIJPlS6_EEENSQ_IJSD_SD_EEES6_PiJS6_EEE10hipError_tPvRmT3_T4_T5_T6_T7_T9_mT8_P12ihipStream_tbDpT10_ENKUlT_T0_E_clISt17integral_constantIbLb1EES1D_IbLb0EEEEDaS19_S1A_EUlS19_E_NS1_11comp_targetILNS1_3genE4ELNS1_11target_archE910ELNS1_3gpuE8ELNS1_3repE0EEENS1_30default_config_static_selectorELNS0_4arch9wavefront6targetE0EEEvT1_, .Lfunc_end544-_ZN7rocprim17ROCPRIM_400000_NS6detail17trampoline_kernelINS0_14default_configENS1_25partition_config_selectorILNS1_17partition_subalgoE5ElNS0_10empty_typeEbEEZZNS1_14partition_implILS5_5ELb0ES3_mN6hipcub16HIPCUB_304000_NS21CountingInputIteratorIllEEPS6_NSA_22TransformInputIteratorIbN2at6native12_GLOBAL__N_19NonZeroOpIN3c107complexIdEEEEPKSL_lEENS0_5tupleIJPlS6_EEENSQ_IJSD_SD_EEES6_PiJS6_EEE10hipError_tPvRmT3_T4_T5_T6_T7_T9_mT8_P12ihipStream_tbDpT10_ENKUlT_T0_E_clISt17integral_constantIbLb1EES1D_IbLb0EEEEDaS19_S1A_EUlS19_E_NS1_11comp_targetILNS1_3genE4ELNS1_11target_archE910ELNS1_3gpuE8ELNS1_3repE0EEENS1_30default_config_static_selectorELNS0_4arch9wavefront6targetE0EEEvT1_
                                        ; -- End function
	.set _ZN7rocprim17ROCPRIM_400000_NS6detail17trampoline_kernelINS0_14default_configENS1_25partition_config_selectorILNS1_17partition_subalgoE5ElNS0_10empty_typeEbEEZZNS1_14partition_implILS5_5ELb0ES3_mN6hipcub16HIPCUB_304000_NS21CountingInputIteratorIllEEPS6_NSA_22TransformInputIteratorIbN2at6native12_GLOBAL__N_19NonZeroOpIN3c107complexIdEEEEPKSL_lEENS0_5tupleIJPlS6_EEENSQ_IJSD_SD_EEES6_PiJS6_EEE10hipError_tPvRmT3_T4_T5_T6_T7_T9_mT8_P12ihipStream_tbDpT10_ENKUlT_T0_E_clISt17integral_constantIbLb1EES1D_IbLb0EEEEDaS19_S1A_EUlS19_E_NS1_11comp_targetILNS1_3genE4ELNS1_11target_archE910ELNS1_3gpuE8ELNS1_3repE0EEENS1_30default_config_static_selectorELNS0_4arch9wavefront6targetE0EEEvT1_.num_vgpr, 0
	.set _ZN7rocprim17ROCPRIM_400000_NS6detail17trampoline_kernelINS0_14default_configENS1_25partition_config_selectorILNS1_17partition_subalgoE5ElNS0_10empty_typeEbEEZZNS1_14partition_implILS5_5ELb0ES3_mN6hipcub16HIPCUB_304000_NS21CountingInputIteratorIllEEPS6_NSA_22TransformInputIteratorIbN2at6native12_GLOBAL__N_19NonZeroOpIN3c107complexIdEEEEPKSL_lEENS0_5tupleIJPlS6_EEENSQ_IJSD_SD_EEES6_PiJS6_EEE10hipError_tPvRmT3_T4_T5_T6_T7_T9_mT8_P12ihipStream_tbDpT10_ENKUlT_T0_E_clISt17integral_constantIbLb1EES1D_IbLb0EEEEDaS19_S1A_EUlS19_E_NS1_11comp_targetILNS1_3genE4ELNS1_11target_archE910ELNS1_3gpuE8ELNS1_3repE0EEENS1_30default_config_static_selectorELNS0_4arch9wavefront6targetE0EEEvT1_.num_agpr, 0
	.set _ZN7rocprim17ROCPRIM_400000_NS6detail17trampoline_kernelINS0_14default_configENS1_25partition_config_selectorILNS1_17partition_subalgoE5ElNS0_10empty_typeEbEEZZNS1_14partition_implILS5_5ELb0ES3_mN6hipcub16HIPCUB_304000_NS21CountingInputIteratorIllEEPS6_NSA_22TransformInputIteratorIbN2at6native12_GLOBAL__N_19NonZeroOpIN3c107complexIdEEEEPKSL_lEENS0_5tupleIJPlS6_EEENSQ_IJSD_SD_EEES6_PiJS6_EEE10hipError_tPvRmT3_T4_T5_T6_T7_T9_mT8_P12ihipStream_tbDpT10_ENKUlT_T0_E_clISt17integral_constantIbLb1EES1D_IbLb0EEEEDaS19_S1A_EUlS19_E_NS1_11comp_targetILNS1_3genE4ELNS1_11target_archE910ELNS1_3gpuE8ELNS1_3repE0EEENS1_30default_config_static_selectorELNS0_4arch9wavefront6targetE0EEEvT1_.numbered_sgpr, 0
	.set _ZN7rocprim17ROCPRIM_400000_NS6detail17trampoline_kernelINS0_14default_configENS1_25partition_config_selectorILNS1_17partition_subalgoE5ElNS0_10empty_typeEbEEZZNS1_14partition_implILS5_5ELb0ES3_mN6hipcub16HIPCUB_304000_NS21CountingInputIteratorIllEEPS6_NSA_22TransformInputIteratorIbN2at6native12_GLOBAL__N_19NonZeroOpIN3c107complexIdEEEEPKSL_lEENS0_5tupleIJPlS6_EEENSQ_IJSD_SD_EEES6_PiJS6_EEE10hipError_tPvRmT3_T4_T5_T6_T7_T9_mT8_P12ihipStream_tbDpT10_ENKUlT_T0_E_clISt17integral_constantIbLb1EES1D_IbLb0EEEEDaS19_S1A_EUlS19_E_NS1_11comp_targetILNS1_3genE4ELNS1_11target_archE910ELNS1_3gpuE8ELNS1_3repE0EEENS1_30default_config_static_selectorELNS0_4arch9wavefront6targetE0EEEvT1_.num_named_barrier, 0
	.set _ZN7rocprim17ROCPRIM_400000_NS6detail17trampoline_kernelINS0_14default_configENS1_25partition_config_selectorILNS1_17partition_subalgoE5ElNS0_10empty_typeEbEEZZNS1_14partition_implILS5_5ELb0ES3_mN6hipcub16HIPCUB_304000_NS21CountingInputIteratorIllEEPS6_NSA_22TransformInputIteratorIbN2at6native12_GLOBAL__N_19NonZeroOpIN3c107complexIdEEEEPKSL_lEENS0_5tupleIJPlS6_EEENSQ_IJSD_SD_EEES6_PiJS6_EEE10hipError_tPvRmT3_T4_T5_T6_T7_T9_mT8_P12ihipStream_tbDpT10_ENKUlT_T0_E_clISt17integral_constantIbLb1EES1D_IbLb0EEEEDaS19_S1A_EUlS19_E_NS1_11comp_targetILNS1_3genE4ELNS1_11target_archE910ELNS1_3gpuE8ELNS1_3repE0EEENS1_30default_config_static_selectorELNS0_4arch9wavefront6targetE0EEEvT1_.private_seg_size, 0
	.set _ZN7rocprim17ROCPRIM_400000_NS6detail17trampoline_kernelINS0_14default_configENS1_25partition_config_selectorILNS1_17partition_subalgoE5ElNS0_10empty_typeEbEEZZNS1_14partition_implILS5_5ELb0ES3_mN6hipcub16HIPCUB_304000_NS21CountingInputIteratorIllEEPS6_NSA_22TransformInputIteratorIbN2at6native12_GLOBAL__N_19NonZeroOpIN3c107complexIdEEEEPKSL_lEENS0_5tupleIJPlS6_EEENSQ_IJSD_SD_EEES6_PiJS6_EEE10hipError_tPvRmT3_T4_T5_T6_T7_T9_mT8_P12ihipStream_tbDpT10_ENKUlT_T0_E_clISt17integral_constantIbLb1EES1D_IbLb0EEEEDaS19_S1A_EUlS19_E_NS1_11comp_targetILNS1_3genE4ELNS1_11target_archE910ELNS1_3gpuE8ELNS1_3repE0EEENS1_30default_config_static_selectorELNS0_4arch9wavefront6targetE0EEEvT1_.uses_vcc, 0
	.set _ZN7rocprim17ROCPRIM_400000_NS6detail17trampoline_kernelINS0_14default_configENS1_25partition_config_selectorILNS1_17partition_subalgoE5ElNS0_10empty_typeEbEEZZNS1_14partition_implILS5_5ELb0ES3_mN6hipcub16HIPCUB_304000_NS21CountingInputIteratorIllEEPS6_NSA_22TransformInputIteratorIbN2at6native12_GLOBAL__N_19NonZeroOpIN3c107complexIdEEEEPKSL_lEENS0_5tupleIJPlS6_EEENSQ_IJSD_SD_EEES6_PiJS6_EEE10hipError_tPvRmT3_T4_T5_T6_T7_T9_mT8_P12ihipStream_tbDpT10_ENKUlT_T0_E_clISt17integral_constantIbLb1EES1D_IbLb0EEEEDaS19_S1A_EUlS19_E_NS1_11comp_targetILNS1_3genE4ELNS1_11target_archE910ELNS1_3gpuE8ELNS1_3repE0EEENS1_30default_config_static_selectorELNS0_4arch9wavefront6targetE0EEEvT1_.uses_flat_scratch, 0
	.set _ZN7rocprim17ROCPRIM_400000_NS6detail17trampoline_kernelINS0_14default_configENS1_25partition_config_selectorILNS1_17partition_subalgoE5ElNS0_10empty_typeEbEEZZNS1_14partition_implILS5_5ELb0ES3_mN6hipcub16HIPCUB_304000_NS21CountingInputIteratorIllEEPS6_NSA_22TransformInputIteratorIbN2at6native12_GLOBAL__N_19NonZeroOpIN3c107complexIdEEEEPKSL_lEENS0_5tupleIJPlS6_EEENSQ_IJSD_SD_EEES6_PiJS6_EEE10hipError_tPvRmT3_T4_T5_T6_T7_T9_mT8_P12ihipStream_tbDpT10_ENKUlT_T0_E_clISt17integral_constantIbLb1EES1D_IbLb0EEEEDaS19_S1A_EUlS19_E_NS1_11comp_targetILNS1_3genE4ELNS1_11target_archE910ELNS1_3gpuE8ELNS1_3repE0EEENS1_30default_config_static_selectorELNS0_4arch9wavefront6targetE0EEEvT1_.has_dyn_sized_stack, 0
	.set _ZN7rocprim17ROCPRIM_400000_NS6detail17trampoline_kernelINS0_14default_configENS1_25partition_config_selectorILNS1_17partition_subalgoE5ElNS0_10empty_typeEbEEZZNS1_14partition_implILS5_5ELb0ES3_mN6hipcub16HIPCUB_304000_NS21CountingInputIteratorIllEEPS6_NSA_22TransformInputIteratorIbN2at6native12_GLOBAL__N_19NonZeroOpIN3c107complexIdEEEEPKSL_lEENS0_5tupleIJPlS6_EEENSQ_IJSD_SD_EEES6_PiJS6_EEE10hipError_tPvRmT3_T4_T5_T6_T7_T9_mT8_P12ihipStream_tbDpT10_ENKUlT_T0_E_clISt17integral_constantIbLb1EES1D_IbLb0EEEEDaS19_S1A_EUlS19_E_NS1_11comp_targetILNS1_3genE4ELNS1_11target_archE910ELNS1_3gpuE8ELNS1_3repE0EEENS1_30default_config_static_selectorELNS0_4arch9wavefront6targetE0EEEvT1_.has_recursion, 0
	.set _ZN7rocprim17ROCPRIM_400000_NS6detail17trampoline_kernelINS0_14default_configENS1_25partition_config_selectorILNS1_17partition_subalgoE5ElNS0_10empty_typeEbEEZZNS1_14partition_implILS5_5ELb0ES3_mN6hipcub16HIPCUB_304000_NS21CountingInputIteratorIllEEPS6_NSA_22TransformInputIteratorIbN2at6native12_GLOBAL__N_19NonZeroOpIN3c107complexIdEEEEPKSL_lEENS0_5tupleIJPlS6_EEENSQ_IJSD_SD_EEES6_PiJS6_EEE10hipError_tPvRmT3_T4_T5_T6_T7_T9_mT8_P12ihipStream_tbDpT10_ENKUlT_T0_E_clISt17integral_constantIbLb1EES1D_IbLb0EEEEDaS19_S1A_EUlS19_E_NS1_11comp_targetILNS1_3genE4ELNS1_11target_archE910ELNS1_3gpuE8ELNS1_3repE0EEENS1_30default_config_static_selectorELNS0_4arch9wavefront6targetE0EEEvT1_.has_indirect_call, 0
	.section	.AMDGPU.csdata,"",@progbits
; Kernel info:
; codeLenInByte = 0
; TotalNumSgprs: 0
; NumVgprs: 0
; ScratchSize: 0
; MemoryBound: 0
; FloatMode: 240
; IeeeMode: 1
; LDSByteSize: 0 bytes/workgroup (compile time only)
; SGPRBlocks: 0
; VGPRBlocks: 0
; NumSGPRsForWavesPerEU: 1
; NumVGPRsForWavesPerEU: 1
; Occupancy: 16
; WaveLimiterHint : 0
; COMPUTE_PGM_RSRC2:SCRATCH_EN: 0
; COMPUTE_PGM_RSRC2:USER_SGPR: 2
; COMPUTE_PGM_RSRC2:TRAP_HANDLER: 0
; COMPUTE_PGM_RSRC2:TGID_X_EN: 1
; COMPUTE_PGM_RSRC2:TGID_Y_EN: 0
; COMPUTE_PGM_RSRC2:TGID_Z_EN: 0
; COMPUTE_PGM_RSRC2:TIDIG_COMP_CNT: 0
	.section	.text._ZN7rocprim17ROCPRIM_400000_NS6detail17trampoline_kernelINS0_14default_configENS1_25partition_config_selectorILNS1_17partition_subalgoE5ElNS0_10empty_typeEbEEZZNS1_14partition_implILS5_5ELb0ES3_mN6hipcub16HIPCUB_304000_NS21CountingInputIteratorIllEEPS6_NSA_22TransformInputIteratorIbN2at6native12_GLOBAL__N_19NonZeroOpIN3c107complexIdEEEEPKSL_lEENS0_5tupleIJPlS6_EEENSQ_IJSD_SD_EEES6_PiJS6_EEE10hipError_tPvRmT3_T4_T5_T6_T7_T9_mT8_P12ihipStream_tbDpT10_ENKUlT_T0_E_clISt17integral_constantIbLb1EES1D_IbLb0EEEEDaS19_S1A_EUlS19_E_NS1_11comp_targetILNS1_3genE3ELNS1_11target_archE908ELNS1_3gpuE7ELNS1_3repE0EEENS1_30default_config_static_selectorELNS0_4arch9wavefront6targetE0EEEvT1_,"axG",@progbits,_ZN7rocprim17ROCPRIM_400000_NS6detail17trampoline_kernelINS0_14default_configENS1_25partition_config_selectorILNS1_17partition_subalgoE5ElNS0_10empty_typeEbEEZZNS1_14partition_implILS5_5ELb0ES3_mN6hipcub16HIPCUB_304000_NS21CountingInputIteratorIllEEPS6_NSA_22TransformInputIteratorIbN2at6native12_GLOBAL__N_19NonZeroOpIN3c107complexIdEEEEPKSL_lEENS0_5tupleIJPlS6_EEENSQ_IJSD_SD_EEES6_PiJS6_EEE10hipError_tPvRmT3_T4_T5_T6_T7_T9_mT8_P12ihipStream_tbDpT10_ENKUlT_T0_E_clISt17integral_constantIbLb1EES1D_IbLb0EEEEDaS19_S1A_EUlS19_E_NS1_11comp_targetILNS1_3genE3ELNS1_11target_archE908ELNS1_3gpuE7ELNS1_3repE0EEENS1_30default_config_static_selectorELNS0_4arch9wavefront6targetE0EEEvT1_,comdat
	.globl	_ZN7rocprim17ROCPRIM_400000_NS6detail17trampoline_kernelINS0_14default_configENS1_25partition_config_selectorILNS1_17partition_subalgoE5ElNS0_10empty_typeEbEEZZNS1_14partition_implILS5_5ELb0ES3_mN6hipcub16HIPCUB_304000_NS21CountingInputIteratorIllEEPS6_NSA_22TransformInputIteratorIbN2at6native12_GLOBAL__N_19NonZeroOpIN3c107complexIdEEEEPKSL_lEENS0_5tupleIJPlS6_EEENSQ_IJSD_SD_EEES6_PiJS6_EEE10hipError_tPvRmT3_T4_T5_T6_T7_T9_mT8_P12ihipStream_tbDpT10_ENKUlT_T0_E_clISt17integral_constantIbLb1EES1D_IbLb0EEEEDaS19_S1A_EUlS19_E_NS1_11comp_targetILNS1_3genE3ELNS1_11target_archE908ELNS1_3gpuE7ELNS1_3repE0EEENS1_30default_config_static_selectorELNS0_4arch9wavefront6targetE0EEEvT1_ ; -- Begin function _ZN7rocprim17ROCPRIM_400000_NS6detail17trampoline_kernelINS0_14default_configENS1_25partition_config_selectorILNS1_17partition_subalgoE5ElNS0_10empty_typeEbEEZZNS1_14partition_implILS5_5ELb0ES3_mN6hipcub16HIPCUB_304000_NS21CountingInputIteratorIllEEPS6_NSA_22TransformInputIteratorIbN2at6native12_GLOBAL__N_19NonZeroOpIN3c107complexIdEEEEPKSL_lEENS0_5tupleIJPlS6_EEENSQ_IJSD_SD_EEES6_PiJS6_EEE10hipError_tPvRmT3_T4_T5_T6_T7_T9_mT8_P12ihipStream_tbDpT10_ENKUlT_T0_E_clISt17integral_constantIbLb1EES1D_IbLb0EEEEDaS19_S1A_EUlS19_E_NS1_11comp_targetILNS1_3genE3ELNS1_11target_archE908ELNS1_3gpuE7ELNS1_3repE0EEENS1_30default_config_static_selectorELNS0_4arch9wavefront6targetE0EEEvT1_
	.p2align	8
	.type	_ZN7rocprim17ROCPRIM_400000_NS6detail17trampoline_kernelINS0_14default_configENS1_25partition_config_selectorILNS1_17partition_subalgoE5ElNS0_10empty_typeEbEEZZNS1_14partition_implILS5_5ELb0ES3_mN6hipcub16HIPCUB_304000_NS21CountingInputIteratorIllEEPS6_NSA_22TransformInputIteratorIbN2at6native12_GLOBAL__N_19NonZeroOpIN3c107complexIdEEEEPKSL_lEENS0_5tupleIJPlS6_EEENSQ_IJSD_SD_EEES6_PiJS6_EEE10hipError_tPvRmT3_T4_T5_T6_T7_T9_mT8_P12ihipStream_tbDpT10_ENKUlT_T0_E_clISt17integral_constantIbLb1EES1D_IbLb0EEEEDaS19_S1A_EUlS19_E_NS1_11comp_targetILNS1_3genE3ELNS1_11target_archE908ELNS1_3gpuE7ELNS1_3repE0EEENS1_30default_config_static_selectorELNS0_4arch9wavefront6targetE0EEEvT1_,@function
_ZN7rocprim17ROCPRIM_400000_NS6detail17trampoline_kernelINS0_14default_configENS1_25partition_config_selectorILNS1_17partition_subalgoE5ElNS0_10empty_typeEbEEZZNS1_14partition_implILS5_5ELb0ES3_mN6hipcub16HIPCUB_304000_NS21CountingInputIteratorIllEEPS6_NSA_22TransformInputIteratorIbN2at6native12_GLOBAL__N_19NonZeroOpIN3c107complexIdEEEEPKSL_lEENS0_5tupleIJPlS6_EEENSQ_IJSD_SD_EEES6_PiJS6_EEE10hipError_tPvRmT3_T4_T5_T6_T7_T9_mT8_P12ihipStream_tbDpT10_ENKUlT_T0_E_clISt17integral_constantIbLb1EES1D_IbLb0EEEEDaS19_S1A_EUlS19_E_NS1_11comp_targetILNS1_3genE3ELNS1_11target_archE908ELNS1_3gpuE7ELNS1_3repE0EEENS1_30default_config_static_selectorELNS0_4arch9wavefront6targetE0EEEvT1_: ; @_ZN7rocprim17ROCPRIM_400000_NS6detail17trampoline_kernelINS0_14default_configENS1_25partition_config_selectorILNS1_17partition_subalgoE5ElNS0_10empty_typeEbEEZZNS1_14partition_implILS5_5ELb0ES3_mN6hipcub16HIPCUB_304000_NS21CountingInputIteratorIllEEPS6_NSA_22TransformInputIteratorIbN2at6native12_GLOBAL__N_19NonZeroOpIN3c107complexIdEEEEPKSL_lEENS0_5tupleIJPlS6_EEENSQ_IJSD_SD_EEES6_PiJS6_EEE10hipError_tPvRmT3_T4_T5_T6_T7_T9_mT8_P12ihipStream_tbDpT10_ENKUlT_T0_E_clISt17integral_constantIbLb1EES1D_IbLb0EEEEDaS19_S1A_EUlS19_E_NS1_11comp_targetILNS1_3genE3ELNS1_11target_archE908ELNS1_3gpuE7ELNS1_3repE0EEENS1_30default_config_static_selectorELNS0_4arch9wavefront6targetE0EEEvT1_
; %bb.0:
	.section	.rodata,"a",@progbits
	.p2align	6, 0x0
	.amdhsa_kernel _ZN7rocprim17ROCPRIM_400000_NS6detail17trampoline_kernelINS0_14default_configENS1_25partition_config_selectorILNS1_17partition_subalgoE5ElNS0_10empty_typeEbEEZZNS1_14partition_implILS5_5ELb0ES3_mN6hipcub16HIPCUB_304000_NS21CountingInputIteratorIllEEPS6_NSA_22TransformInputIteratorIbN2at6native12_GLOBAL__N_19NonZeroOpIN3c107complexIdEEEEPKSL_lEENS0_5tupleIJPlS6_EEENSQ_IJSD_SD_EEES6_PiJS6_EEE10hipError_tPvRmT3_T4_T5_T6_T7_T9_mT8_P12ihipStream_tbDpT10_ENKUlT_T0_E_clISt17integral_constantIbLb1EES1D_IbLb0EEEEDaS19_S1A_EUlS19_E_NS1_11comp_targetILNS1_3genE3ELNS1_11target_archE908ELNS1_3gpuE7ELNS1_3repE0EEENS1_30default_config_static_selectorELNS0_4arch9wavefront6targetE0EEEvT1_
		.amdhsa_group_segment_fixed_size 0
		.amdhsa_private_segment_fixed_size 0
		.amdhsa_kernarg_size 120
		.amdhsa_user_sgpr_count 2
		.amdhsa_user_sgpr_dispatch_ptr 0
		.amdhsa_user_sgpr_queue_ptr 0
		.amdhsa_user_sgpr_kernarg_segment_ptr 1
		.amdhsa_user_sgpr_dispatch_id 0
		.amdhsa_user_sgpr_private_segment_size 0
		.amdhsa_wavefront_size32 1
		.amdhsa_uses_dynamic_stack 0
		.amdhsa_enable_private_segment 0
		.amdhsa_system_sgpr_workgroup_id_x 1
		.amdhsa_system_sgpr_workgroup_id_y 0
		.amdhsa_system_sgpr_workgroup_id_z 0
		.amdhsa_system_sgpr_workgroup_info 0
		.amdhsa_system_vgpr_workitem_id 0
		.amdhsa_next_free_vgpr 1
		.amdhsa_next_free_sgpr 1
		.amdhsa_reserve_vcc 0
		.amdhsa_float_round_mode_32 0
		.amdhsa_float_round_mode_16_64 0
		.amdhsa_float_denorm_mode_32 3
		.amdhsa_float_denorm_mode_16_64 3
		.amdhsa_fp16_overflow 0
		.amdhsa_workgroup_processor_mode 1
		.amdhsa_memory_ordered 1
		.amdhsa_forward_progress 1
		.amdhsa_inst_pref_size 0
		.amdhsa_round_robin_scheduling 0
		.amdhsa_exception_fp_ieee_invalid_op 0
		.amdhsa_exception_fp_denorm_src 0
		.amdhsa_exception_fp_ieee_div_zero 0
		.amdhsa_exception_fp_ieee_overflow 0
		.amdhsa_exception_fp_ieee_underflow 0
		.amdhsa_exception_fp_ieee_inexact 0
		.amdhsa_exception_int_div_zero 0
	.end_amdhsa_kernel
	.section	.text._ZN7rocprim17ROCPRIM_400000_NS6detail17trampoline_kernelINS0_14default_configENS1_25partition_config_selectorILNS1_17partition_subalgoE5ElNS0_10empty_typeEbEEZZNS1_14partition_implILS5_5ELb0ES3_mN6hipcub16HIPCUB_304000_NS21CountingInputIteratorIllEEPS6_NSA_22TransformInputIteratorIbN2at6native12_GLOBAL__N_19NonZeroOpIN3c107complexIdEEEEPKSL_lEENS0_5tupleIJPlS6_EEENSQ_IJSD_SD_EEES6_PiJS6_EEE10hipError_tPvRmT3_T4_T5_T6_T7_T9_mT8_P12ihipStream_tbDpT10_ENKUlT_T0_E_clISt17integral_constantIbLb1EES1D_IbLb0EEEEDaS19_S1A_EUlS19_E_NS1_11comp_targetILNS1_3genE3ELNS1_11target_archE908ELNS1_3gpuE7ELNS1_3repE0EEENS1_30default_config_static_selectorELNS0_4arch9wavefront6targetE0EEEvT1_,"axG",@progbits,_ZN7rocprim17ROCPRIM_400000_NS6detail17trampoline_kernelINS0_14default_configENS1_25partition_config_selectorILNS1_17partition_subalgoE5ElNS0_10empty_typeEbEEZZNS1_14partition_implILS5_5ELb0ES3_mN6hipcub16HIPCUB_304000_NS21CountingInputIteratorIllEEPS6_NSA_22TransformInputIteratorIbN2at6native12_GLOBAL__N_19NonZeroOpIN3c107complexIdEEEEPKSL_lEENS0_5tupleIJPlS6_EEENSQ_IJSD_SD_EEES6_PiJS6_EEE10hipError_tPvRmT3_T4_T5_T6_T7_T9_mT8_P12ihipStream_tbDpT10_ENKUlT_T0_E_clISt17integral_constantIbLb1EES1D_IbLb0EEEEDaS19_S1A_EUlS19_E_NS1_11comp_targetILNS1_3genE3ELNS1_11target_archE908ELNS1_3gpuE7ELNS1_3repE0EEENS1_30default_config_static_selectorELNS0_4arch9wavefront6targetE0EEEvT1_,comdat
.Lfunc_end545:
	.size	_ZN7rocprim17ROCPRIM_400000_NS6detail17trampoline_kernelINS0_14default_configENS1_25partition_config_selectorILNS1_17partition_subalgoE5ElNS0_10empty_typeEbEEZZNS1_14partition_implILS5_5ELb0ES3_mN6hipcub16HIPCUB_304000_NS21CountingInputIteratorIllEEPS6_NSA_22TransformInputIteratorIbN2at6native12_GLOBAL__N_19NonZeroOpIN3c107complexIdEEEEPKSL_lEENS0_5tupleIJPlS6_EEENSQ_IJSD_SD_EEES6_PiJS6_EEE10hipError_tPvRmT3_T4_T5_T6_T7_T9_mT8_P12ihipStream_tbDpT10_ENKUlT_T0_E_clISt17integral_constantIbLb1EES1D_IbLb0EEEEDaS19_S1A_EUlS19_E_NS1_11comp_targetILNS1_3genE3ELNS1_11target_archE908ELNS1_3gpuE7ELNS1_3repE0EEENS1_30default_config_static_selectorELNS0_4arch9wavefront6targetE0EEEvT1_, .Lfunc_end545-_ZN7rocprim17ROCPRIM_400000_NS6detail17trampoline_kernelINS0_14default_configENS1_25partition_config_selectorILNS1_17partition_subalgoE5ElNS0_10empty_typeEbEEZZNS1_14partition_implILS5_5ELb0ES3_mN6hipcub16HIPCUB_304000_NS21CountingInputIteratorIllEEPS6_NSA_22TransformInputIteratorIbN2at6native12_GLOBAL__N_19NonZeroOpIN3c107complexIdEEEEPKSL_lEENS0_5tupleIJPlS6_EEENSQ_IJSD_SD_EEES6_PiJS6_EEE10hipError_tPvRmT3_T4_T5_T6_T7_T9_mT8_P12ihipStream_tbDpT10_ENKUlT_T0_E_clISt17integral_constantIbLb1EES1D_IbLb0EEEEDaS19_S1A_EUlS19_E_NS1_11comp_targetILNS1_3genE3ELNS1_11target_archE908ELNS1_3gpuE7ELNS1_3repE0EEENS1_30default_config_static_selectorELNS0_4arch9wavefront6targetE0EEEvT1_
                                        ; -- End function
	.set _ZN7rocprim17ROCPRIM_400000_NS6detail17trampoline_kernelINS0_14default_configENS1_25partition_config_selectorILNS1_17partition_subalgoE5ElNS0_10empty_typeEbEEZZNS1_14partition_implILS5_5ELb0ES3_mN6hipcub16HIPCUB_304000_NS21CountingInputIteratorIllEEPS6_NSA_22TransformInputIteratorIbN2at6native12_GLOBAL__N_19NonZeroOpIN3c107complexIdEEEEPKSL_lEENS0_5tupleIJPlS6_EEENSQ_IJSD_SD_EEES6_PiJS6_EEE10hipError_tPvRmT3_T4_T5_T6_T7_T9_mT8_P12ihipStream_tbDpT10_ENKUlT_T0_E_clISt17integral_constantIbLb1EES1D_IbLb0EEEEDaS19_S1A_EUlS19_E_NS1_11comp_targetILNS1_3genE3ELNS1_11target_archE908ELNS1_3gpuE7ELNS1_3repE0EEENS1_30default_config_static_selectorELNS0_4arch9wavefront6targetE0EEEvT1_.num_vgpr, 0
	.set _ZN7rocprim17ROCPRIM_400000_NS6detail17trampoline_kernelINS0_14default_configENS1_25partition_config_selectorILNS1_17partition_subalgoE5ElNS0_10empty_typeEbEEZZNS1_14partition_implILS5_5ELb0ES3_mN6hipcub16HIPCUB_304000_NS21CountingInputIteratorIllEEPS6_NSA_22TransformInputIteratorIbN2at6native12_GLOBAL__N_19NonZeroOpIN3c107complexIdEEEEPKSL_lEENS0_5tupleIJPlS6_EEENSQ_IJSD_SD_EEES6_PiJS6_EEE10hipError_tPvRmT3_T4_T5_T6_T7_T9_mT8_P12ihipStream_tbDpT10_ENKUlT_T0_E_clISt17integral_constantIbLb1EES1D_IbLb0EEEEDaS19_S1A_EUlS19_E_NS1_11comp_targetILNS1_3genE3ELNS1_11target_archE908ELNS1_3gpuE7ELNS1_3repE0EEENS1_30default_config_static_selectorELNS0_4arch9wavefront6targetE0EEEvT1_.num_agpr, 0
	.set _ZN7rocprim17ROCPRIM_400000_NS6detail17trampoline_kernelINS0_14default_configENS1_25partition_config_selectorILNS1_17partition_subalgoE5ElNS0_10empty_typeEbEEZZNS1_14partition_implILS5_5ELb0ES3_mN6hipcub16HIPCUB_304000_NS21CountingInputIteratorIllEEPS6_NSA_22TransformInputIteratorIbN2at6native12_GLOBAL__N_19NonZeroOpIN3c107complexIdEEEEPKSL_lEENS0_5tupleIJPlS6_EEENSQ_IJSD_SD_EEES6_PiJS6_EEE10hipError_tPvRmT3_T4_T5_T6_T7_T9_mT8_P12ihipStream_tbDpT10_ENKUlT_T0_E_clISt17integral_constantIbLb1EES1D_IbLb0EEEEDaS19_S1A_EUlS19_E_NS1_11comp_targetILNS1_3genE3ELNS1_11target_archE908ELNS1_3gpuE7ELNS1_3repE0EEENS1_30default_config_static_selectorELNS0_4arch9wavefront6targetE0EEEvT1_.numbered_sgpr, 0
	.set _ZN7rocprim17ROCPRIM_400000_NS6detail17trampoline_kernelINS0_14default_configENS1_25partition_config_selectorILNS1_17partition_subalgoE5ElNS0_10empty_typeEbEEZZNS1_14partition_implILS5_5ELb0ES3_mN6hipcub16HIPCUB_304000_NS21CountingInputIteratorIllEEPS6_NSA_22TransformInputIteratorIbN2at6native12_GLOBAL__N_19NonZeroOpIN3c107complexIdEEEEPKSL_lEENS0_5tupleIJPlS6_EEENSQ_IJSD_SD_EEES6_PiJS6_EEE10hipError_tPvRmT3_T4_T5_T6_T7_T9_mT8_P12ihipStream_tbDpT10_ENKUlT_T0_E_clISt17integral_constantIbLb1EES1D_IbLb0EEEEDaS19_S1A_EUlS19_E_NS1_11comp_targetILNS1_3genE3ELNS1_11target_archE908ELNS1_3gpuE7ELNS1_3repE0EEENS1_30default_config_static_selectorELNS0_4arch9wavefront6targetE0EEEvT1_.num_named_barrier, 0
	.set _ZN7rocprim17ROCPRIM_400000_NS6detail17trampoline_kernelINS0_14default_configENS1_25partition_config_selectorILNS1_17partition_subalgoE5ElNS0_10empty_typeEbEEZZNS1_14partition_implILS5_5ELb0ES3_mN6hipcub16HIPCUB_304000_NS21CountingInputIteratorIllEEPS6_NSA_22TransformInputIteratorIbN2at6native12_GLOBAL__N_19NonZeroOpIN3c107complexIdEEEEPKSL_lEENS0_5tupleIJPlS6_EEENSQ_IJSD_SD_EEES6_PiJS6_EEE10hipError_tPvRmT3_T4_T5_T6_T7_T9_mT8_P12ihipStream_tbDpT10_ENKUlT_T0_E_clISt17integral_constantIbLb1EES1D_IbLb0EEEEDaS19_S1A_EUlS19_E_NS1_11comp_targetILNS1_3genE3ELNS1_11target_archE908ELNS1_3gpuE7ELNS1_3repE0EEENS1_30default_config_static_selectorELNS0_4arch9wavefront6targetE0EEEvT1_.private_seg_size, 0
	.set _ZN7rocprim17ROCPRIM_400000_NS6detail17trampoline_kernelINS0_14default_configENS1_25partition_config_selectorILNS1_17partition_subalgoE5ElNS0_10empty_typeEbEEZZNS1_14partition_implILS5_5ELb0ES3_mN6hipcub16HIPCUB_304000_NS21CountingInputIteratorIllEEPS6_NSA_22TransformInputIteratorIbN2at6native12_GLOBAL__N_19NonZeroOpIN3c107complexIdEEEEPKSL_lEENS0_5tupleIJPlS6_EEENSQ_IJSD_SD_EEES6_PiJS6_EEE10hipError_tPvRmT3_T4_T5_T6_T7_T9_mT8_P12ihipStream_tbDpT10_ENKUlT_T0_E_clISt17integral_constantIbLb1EES1D_IbLb0EEEEDaS19_S1A_EUlS19_E_NS1_11comp_targetILNS1_3genE3ELNS1_11target_archE908ELNS1_3gpuE7ELNS1_3repE0EEENS1_30default_config_static_selectorELNS0_4arch9wavefront6targetE0EEEvT1_.uses_vcc, 0
	.set _ZN7rocprim17ROCPRIM_400000_NS6detail17trampoline_kernelINS0_14default_configENS1_25partition_config_selectorILNS1_17partition_subalgoE5ElNS0_10empty_typeEbEEZZNS1_14partition_implILS5_5ELb0ES3_mN6hipcub16HIPCUB_304000_NS21CountingInputIteratorIllEEPS6_NSA_22TransformInputIteratorIbN2at6native12_GLOBAL__N_19NonZeroOpIN3c107complexIdEEEEPKSL_lEENS0_5tupleIJPlS6_EEENSQ_IJSD_SD_EEES6_PiJS6_EEE10hipError_tPvRmT3_T4_T5_T6_T7_T9_mT8_P12ihipStream_tbDpT10_ENKUlT_T0_E_clISt17integral_constantIbLb1EES1D_IbLb0EEEEDaS19_S1A_EUlS19_E_NS1_11comp_targetILNS1_3genE3ELNS1_11target_archE908ELNS1_3gpuE7ELNS1_3repE0EEENS1_30default_config_static_selectorELNS0_4arch9wavefront6targetE0EEEvT1_.uses_flat_scratch, 0
	.set _ZN7rocprim17ROCPRIM_400000_NS6detail17trampoline_kernelINS0_14default_configENS1_25partition_config_selectorILNS1_17partition_subalgoE5ElNS0_10empty_typeEbEEZZNS1_14partition_implILS5_5ELb0ES3_mN6hipcub16HIPCUB_304000_NS21CountingInputIteratorIllEEPS6_NSA_22TransformInputIteratorIbN2at6native12_GLOBAL__N_19NonZeroOpIN3c107complexIdEEEEPKSL_lEENS0_5tupleIJPlS6_EEENSQ_IJSD_SD_EEES6_PiJS6_EEE10hipError_tPvRmT3_T4_T5_T6_T7_T9_mT8_P12ihipStream_tbDpT10_ENKUlT_T0_E_clISt17integral_constantIbLb1EES1D_IbLb0EEEEDaS19_S1A_EUlS19_E_NS1_11comp_targetILNS1_3genE3ELNS1_11target_archE908ELNS1_3gpuE7ELNS1_3repE0EEENS1_30default_config_static_selectorELNS0_4arch9wavefront6targetE0EEEvT1_.has_dyn_sized_stack, 0
	.set _ZN7rocprim17ROCPRIM_400000_NS6detail17trampoline_kernelINS0_14default_configENS1_25partition_config_selectorILNS1_17partition_subalgoE5ElNS0_10empty_typeEbEEZZNS1_14partition_implILS5_5ELb0ES3_mN6hipcub16HIPCUB_304000_NS21CountingInputIteratorIllEEPS6_NSA_22TransformInputIteratorIbN2at6native12_GLOBAL__N_19NonZeroOpIN3c107complexIdEEEEPKSL_lEENS0_5tupleIJPlS6_EEENSQ_IJSD_SD_EEES6_PiJS6_EEE10hipError_tPvRmT3_T4_T5_T6_T7_T9_mT8_P12ihipStream_tbDpT10_ENKUlT_T0_E_clISt17integral_constantIbLb1EES1D_IbLb0EEEEDaS19_S1A_EUlS19_E_NS1_11comp_targetILNS1_3genE3ELNS1_11target_archE908ELNS1_3gpuE7ELNS1_3repE0EEENS1_30default_config_static_selectorELNS0_4arch9wavefront6targetE0EEEvT1_.has_recursion, 0
	.set _ZN7rocprim17ROCPRIM_400000_NS6detail17trampoline_kernelINS0_14default_configENS1_25partition_config_selectorILNS1_17partition_subalgoE5ElNS0_10empty_typeEbEEZZNS1_14partition_implILS5_5ELb0ES3_mN6hipcub16HIPCUB_304000_NS21CountingInputIteratorIllEEPS6_NSA_22TransformInputIteratorIbN2at6native12_GLOBAL__N_19NonZeroOpIN3c107complexIdEEEEPKSL_lEENS0_5tupleIJPlS6_EEENSQ_IJSD_SD_EEES6_PiJS6_EEE10hipError_tPvRmT3_T4_T5_T6_T7_T9_mT8_P12ihipStream_tbDpT10_ENKUlT_T0_E_clISt17integral_constantIbLb1EES1D_IbLb0EEEEDaS19_S1A_EUlS19_E_NS1_11comp_targetILNS1_3genE3ELNS1_11target_archE908ELNS1_3gpuE7ELNS1_3repE0EEENS1_30default_config_static_selectorELNS0_4arch9wavefront6targetE0EEEvT1_.has_indirect_call, 0
	.section	.AMDGPU.csdata,"",@progbits
; Kernel info:
; codeLenInByte = 0
; TotalNumSgprs: 0
; NumVgprs: 0
; ScratchSize: 0
; MemoryBound: 0
; FloatMode: 240
; IeeeMode: 1
; LDSByteSize: 0 bytes/workgroup (compile time only)
; SGPRBlocks: 0
; VGPRBlocks: 0
; NumSGPRsForWavesPerEU: 1
; NumVGPRsForWavesPerEU: 1
; Occupancy: 16
; WaveLimiterHint : 0
; COMPUTE_PGM_RSRC2:SCRATCH_EN: 0
; COMPUTE_PGM_RSRC2:USER_SGPR: 2
; COMPUTE_PGM_RSRC2:TRAP_HANDLER: 0
; COMPUTE_PGM_RSRC2:TGID_X_EN: 1
; COMPUTE_PGM_RSRC2:TGID_Y_EN: 0
; COMPUTE_PGM_RSRC2:TGID_Z_EN: 0
; COMPUTE_PGM_RSRC2:TIDIG_COMP_CNT: 0
	.section	.text._ZN7rocprim17ROCPRIM_400000_NS6detail17trampoline_kernelINS0_14default_configENS1_25partition_config_selectorILNS1_17partition_subalgoE5ElNS0_10empty_typeEbEEZZNS1_14partition_implILS5_5ELb0ES3_mN6hipcub16HIPCUB_304000_NS21CountingInputIteratorIllEEPS6_NSA_22TransformInputIteratorIbN2at6native12_GLOBAL__N_19NonZeroOpIN3c107complexIdEEEEPKSL_lEENS0_5tupleIJPlS6_EEENSQ_IJSD_SD_EEES6_PiJS6_EEE10hipError_tPvRmT3_T4_T5_T6_T7_T9_mT8_P12ihipStream_tbDpT10_ENKUlT_T0_E_clISt17integral_constantIbLb1EES1D_IbLb0EEEEDaS19_S1A_EUlS19_E_NS1_11comp_targetILNS1_3genE2ELNS1_11target_archE906ELNS1_3gpuE6ELNS1_3repE0EEENS1_30default_config_static_selectorELNS0_4arch9wavefront6targetE0EEEvT1_,"axG",@progbits,_ZN7rocprim17ROCPRIM_400000_NS6detail17trampoline_kernelINS0_14default_configENS1_25partition_config_selectorILNS1_17partition_subalgoE5ElNS0_10empty_typeEbEEZZNS1_14partition_implILS5_5ELb0ES3_mN6hipcub16HIPCUB_304000_NS21CountingInputIteratorIllEEPS6_NSA_22TransformInputIteratorIbN2at6native12_GLOBAL__N_19NonZeroOpIN3c107complexIdEEEEPKSL_lEENS0_5tupleIJPlS6_EEENSQ_IJSD_SD_EEES6_PiJS6_EEE10hipError_tPvRmT3_T4_T5_T6_T7_T9_mT8_P12ihipStream_tbDpT10_ENKUlT_T0_E_clISt17integral_constantIbLb1EES1D_IbLb0EEEEDaS19_S1A_EUlS19_E_NS1_11comp_targetILNS1_3genE2ELNS1_11target_archE906ELNS1_3gpuE6ELNS1_3repE0EEENS1_30default_config_static_selectorELNS0_4arch9wavefront6targetE0EEEvT1_,comdat
	.globl	_ZN7rocprim17ROCPRIM_400000_NS6detail17trampoline_kernelINS0_14default_configENS1_25partition_config_selectorILNS1_17partition_subalgoE5ElNS0_10empty_typeEbEEZZNS1_14partition_implILS5_5ELb0ES3_mN6hipcub16HIPCUB_304000_NS21CountingInputIteratorIllEEPS6_NSA_22TransformInputIteratorIbN2at6native12_GLOBAL__N_19NonZeroOpIN3c107complexIdEEEEPKSL_lEENS0_5tupleIJPlS6_EEENSQ_IJSD_SD_EEES6_PiJS6_EEE10hipError_tPvRmT3_T4_T5_T6_T7_T9_mT8_P12ihipStream_tbDpT10_ENKUlT_T0_E_clISt17integral_constantIbLb1EES1D_IbLb0EEEEDaS19_S1A_EUlS19_E_NS1_11comp_targetILNS1_3genE2ELNS1_11target_archE906ELNS1_3gpuE6ELNS1_3repE0EEENS1_30default_config_static_selectorELNS0_4arch9wavefront6targetE0EEEvT1_ ; -- Begin function _ZN7rocprim17ROCPRIM_400000_NS6detail17trampoline_kernelINS0_14default_configENS1_25partition_config_selectorILNS1_17partition_subalgoE5ElNS0_10empty_typeEbEEZZNS1_14partition_implILS5_5ELb0ES3_mN6hipcub16HIPCUB_304000_NS21CountingInputIteratorIllEEPS6_NSA_22TransformInputIteratorIbN2at6native12_GLOBAL__N_19NonZeroOpIN3c107complexIdEEEEPKSL_lEENS0_5tupleIJPlS6_EEENSQ_IJSD_SD_EEES6_PiJS6_EEE10hipError_tPvRmT3_T4_T5_T6_T7_T9_mT8_P12ihipStream_tbDpT10_ENKUlT_T0_E_clISt17integral_constantIbLb1EES1D_IbLb0EEEEDaS19_S1A_EUlS19_E_NS1_11comp_targetILNS1_3genE2ELNS1_11target_archE906ELNS1_3gpuE6ELNS1_3repE0EEENS1_30default_config_static_selectorELNS0_4arch9wavefront6targetE0EEEvT1_
	.p2align	8
	.type	_ZN7rocprim17ROCPRIM_400000_NS6detail17trampoline_kernelINS0_14default_configENS1_25partition_config_selectorILNS1_17partition_subalgoE5ElNS0_10empty_typeEbEEZZNS1_14partition_implILS5_5ELb0ES3_mN6hipcub16HIPCUB_304000_NS21CountingInputIteratorIllEEPS6_NSA_22TransformInputIteratorIbN2at6native12_GLOBAL__N_19NonZeroOpIN3c107complexIdEEEEPKSL_lEENS0_5tupleIJPlS6_EEENSQ_IJSD_SD_EEES6_PiJS6_EEE10hipError_tPvRmT3_T4_T5_T6_T7_T9_mT8_P12ihipStream_tbDpT10_ENKUlT_T0_E_clISt17integral_constantIbLb1EES1D_IbLb0EEEEDaS19_S1A_EUlS19_E_NS1_11comp_targetILNS1_3genE2ELNS1_11target_archE906ELNS1_3gpuE6ELNS1_3repE0EEENS1_30default_config_static_selectorELNS0_4arch9wavefront6targetE0EEEvT1_,@function
_ZN7rocprim17ROCPRIM_400000_NS6detail17trampoline_kernelINS0_14default_configENS1_25partition_config_selectorILNS1_17partition_subalgoE5ElNS0_10empty_typeEbEEZZNS1_14partition_implILS5_5ELb0ES3_mN6hipcub16HIPCUB_304000_NS21CountingInputIteratorIllEEPS6_NSA_22TransformInputIteratorIbN2at6native12_GLOBAL__N_19NonZeroOpIN3c107complexIdEEEEPKSL_lEENS0_5tupleIJPlS6_EEENSQ_IJSD_SD_EEES6_PiJS6_EEE10hipError_tPvRmT3_T4_T5_T6_T7_T9_mT8_P12ihipStream_tbDpT10_ENKUlT_T0_E_clISt17integral_constantIbLb1EES1D_IbLb0EEEEDaS19_S1A_EUlS19_E_NS1_11comp_targetILNS1_3genE2ELNS1_11target_archE906ELNS1_3gpuE6ELNS1_3repE0EEENS1_30default_config_static_selectorELNS0_4arch9wavefront6targetE0EEEvT1_: ; @_ZN7rocprim17ROCPRIM_400000_NS6detail17trampoline_kernelINS0_14default_configENS1_25partition_config_selectorILNS1_17partition_subalgoE5ElNS0_10empty_typeEbEEZZNS1_14partition_implILS5_5ELb0ES3_mN6hipcub16HIPCUB_304000_NS21CountingInputIteratorIllEEPS6_NSA_22TransformInputIteratorIbN2at6native12_GLOBAL__N_19NonZeroOpIN3c107complexIdEEEEPKSL_lEENS0_5tupleIJPlS6_EEENSQ_IJSD_SD_EEES6_PiJS6_EEE10hipError_tPvRmT3_T4_T5_T6_T7_T9_mT8_P12ihipStream_tbDpT10_ENKUlT_T0_E_clISt17integral_constantIbLb1EES1D_IbLb0EEEEDaS19_S1A_EUlS19_E_NS1_11comp_targetILNS1_3genE2ELNS1_11target_archE906ELNS1_3gpuE6ELNS1_3repE0EEENS1_30default_config_static_selectorELNS0_4arch9wavefront6targetE0EEEvT1_
; %bb.0:
	.section	.rodata,"a",@progbits
	.p2align	6, 0x0
	.amdhsa_kernel _ZN7rocprim17ROCPRIM_400000_NS6detail17trampoline_kernelINS0_14default_configENS1_25partition_config_selectorILNS1_17partition_subalgoE5ElNS0_10empty_typeEbEEZZNS1_14partition_implILS5_5ELb0ES3_mN6hipcub16HIPCUB_304000_NS21CountingInputIteratorIllEEPS6_NSA_22TransformInputIteratorIbN2at6native12_GLOBAL__N_19NonZeroOpIN3c107complexIdEEEEPKSL_lEENS0_5tupleIJPlS6_EEENSQ_IJSD_SD_EEES6_PiJS6_EEE10hipError_tPvRmT3_T4_T5_T6_T7_T9_mT8_P12ihipStream_tbDpT10_ENKUlT_T0_E_clISt17integral_constantIbLb1EES1D_IbLb0EEEEDaS19_S1A_EUlS19_E_NS1_11comp_targetILNS1_3genE2ELNS1_11target_archE906ELNS1_3gpuE6ELNS1_3repE0EEENS1_30default_config_static_selectorELNS0_4arch9wavefront6targetE0EEEvT1_
		.amdhsa_group_segment_fixed_size 0
		.amdhsa_private_segment_fixed_size 0
		.amdhsa_kernarg_size 120
		.amdhsa_user_sgpr_count 2
		.amdhsa_user_sgpr_dispatch_ptr 0
		.amdhsa_user_sgpr_queue_ptr 0
		.amdhsa_user_sgpr_kernarg_segment_ptr 1
		.amdhsa_user_sgpr_dispatch_id 0
		.amdhsa_user_sgpr_private_segment_size 0
		.amdhsa_wavefront_size32 1
		.amdhsa_uses_dynamic_stack 0
		.amdhsa_enable_private_segment 0
		.amdhsa_system_sgpr_workgroup_id_x 1
		.amdhsa_system_sgpr_workgroup_id_y 0
		.amdhsa_system_sgpr_workgroup_id_z 0
		.amdhsa_system_sgpr_workgroup_info 0
		.amdhsa_system_vgpr_workitem_id 0
		.amdhsa_next_free_vgpr 1
		.amdhsa_next_free_sgpr 1
		.amdhsa_reserve_vcc 0
		.amdhsa_float_round_mode_32 0
		.amdhsa_float_round_mode_16_64 0
		.amdhsa_float_denorm_mode_32 3
		.amdhsa_float_denorm_mode_16_64 3
		.amdhsa_fp16_overflow 0
		.amdhsa_workgroup_processor_mode 1
		.amdhsa_memory_ordered 1
		.amdhsa_forward_progress 1
		.amdhsa_inst_pref_size 0
		.amdhsa_round_robin_scheduling 0
		.amdhsa_exception_fp_ieee_invalid_op 0
		.amdhsa_exception_fp_denorm_src 0
		.amdhsa_exception_fp_ieee_div_zero 0
		.amdhsa_exception_fp_ieee_overflow 0
		.amdhsa_exception_fp_ieee_underflow 0
		.amdhsa_exception_fp_ieee_inexact 0
		.amdhsa_exception_int_div_zero 0
	.end_amdhsa_kernel
	.section	.text._ZN7rocprim17ROCPRIM_400000_NS6detail17trampoline_kernelINS0_14default_configENS1_25partition_config_selectorILNS1_17partition_subalgoE5ElNS0_10empty_typeEbEEZZNS1_14partition_implILS5_5ELb0ES3_mN6hipcub16HIPCUB_304000_NS21CountingInputIteratorIllEEPS6_NSA_22TransformInputIteratorIbN2at6native12_GLOBAL__N_19NonZeroOpIN3c107complexIdEEEEPKSL_lEENS0_5tupleIJPlS6_EEENSQ_IJSD_SD_EEES6_PiJS6_EEE10hipError_tPvRmT3_T4_T5_T6_T7_T9_mT8_P12ihipStream_tbDpT10_ENKUlT_T0_E_clISt17integral_constantIbLb1EES1D_IbLb0EEEEDaS19_S1A_EUlS19_E_NS1_11comp_targetILNS1_3genE2ELNS1_11target_archE906ELNS1_3gpuE6ELNS1_3repE0EEENS1_30default_config_static_selectorELNS0_4arch9wavefront6targetE0EEEvT1_,"axG",@progbits,_ZN7rocprim17ROCPRIM_400000_NS6detail17trampoline_kernelINS0_14default_configENS1_25partition_config_selectorILNS1_17partition_subalgoE5ElNS0_10empty_typeEbEEZZNS1_14partition_implILS5_5ELb0ES3_mN6hipcub16HIPCUB_304000_NS21CountingInputIteratorIllEEPS6_NSA_22TransformInputIteratorIbN2at6native12_GLOBAL__N_19NonZeroOpIN3c107complexIdEEEEPKSL_lEENS0_5tupleIJPlS6_EEENSQ_IJSD_SD_EEES6_PiJS6_EEE10hipError_tPvRmT3_T4_T5_T6_T7_T9_mT8_P12ihipStream_tbDpT10_ENKUlT_T0_E_clISt17integral_constantIbLb1EES1D_IbLb0EEEEDaS19_S1A_EUlS19_E_NS1_11comp_targetILNS1_3genE2ELNS1_11target_archE906ELNS1_3gpuE6ELNS1_3repE0EEENS1_30default_config_static_selectorELNS0_4arch9wavefront6targetE0EEEvT1_,comdat
.Lfunc_end546:
	.size	_ZN7rocprim17ROCPRIM_400000_NS6detail17trampoline_kernelINS0_14default_configENS1_25partition_config_selectorILNS1_17partition_subalgoE5ElNS0_10empty_typeEbEEZZNS1_14partition_implILS5_5ELb0ES3_mN6hipcub16HIPCUB_304000_NS21CountingInputIteratorIllEEPS6_NSA_22TransformInputIteratorIbN2at6native12_GLOBAL__N_19NonZeroOpIN3c107complexIdEEEEPKSL_lEENS0_5tupleIJPlS6_EEENSQ_IJSD_SD_EEES6_PiJS6_EEE10hipError_tPvRmT3_T4_T5_T6_T7_T9_mT8_P12ihipStream_tbDpT10_ENKUlT_T0_E_clISt17integral_constantIbLb1EES1D_IbLb0EEEEDaS19_S1A_EUlS19_E_NS1_11comp_targetILNS1_3genE2ELNS1_11target_archE906ELNS1_3gpuE6ELNS1_3repE0EEENS1_30default_config_static_selectorELNS0_4arch9wavefront6targetE0EEEvT1_, .Lfunc_end546-_ZN7rocprim17ROCPRIM_400000_NS6detail17trampoline_kernelINS0_14default_configENS1_25partition_config_selectorILNS1_17partition_subalgoE5ElNS0_10empty_typeEbEEZZNS1_14partition_implILS5_5ELb0ES3_mN6hipcub16HIPCUB_304000_NS21CountingInputIteratorIllEEPS6_NSA_22TransformInputIteratorIbN2at6native12_GLOBAL__N_19NonZeroOpIN3c107complexIdEEEEPKSL_lEENS0_5tupleIJPlS6_EEENSQ_IJSD_SD_EEES6_PiJS6_EEE10hipError_tPvRmT3_T4_T5_T6_T7_T9_mT8_P12ihipStream_tbDpT10_ENKUlT_T0_E_clISt17integral_constantIbLb1EES1D_IbLb0EEEEDaS19_S1A_EUlS19_E_NS1_11comp_targetILNS1_3genE2ELNS1_11target_archE906ELNS1_3gpuE6ELNS1_3repE0EEENS1_30default_config_static_selectorELNS0_4arch9wavefront6targetE0EEEvT1_
                                        ; -- End function
	.set _ZN7rocprim17ROCPRIM_400000_NS6detail17trampoline_kernelINS0_14default_configENS1_25partition_config_selectorILNS1_17partition_subalgoE5ElNS0_10empty_typeEbEEZZNS1_14partition_implILS5_5ELb0ES3_mN6hipcub16HIPCUB_304000_NS21CountingInputIteratorIllEEPS6_NSA_22TransformInputIteratorIbN2at6native12_GLOBAL__N_19NonZeroOpIN3c107complexIdEEEEPKSL_lEENS0_5tupleIJPlS6_EEENSQ_IJSD_SD_EEES6_PiJS6_EEE10hipError_tPvRmT3_T4_T5_T6_T7_T9_mT8_P12ihipStream_tbDpT10_ENKUlT_T0_E_clISt17integral_constantIbLb1EES1D_IbLb0EEEEDaS19_S1A_EUlS19_E_NS1_11comp_targetILNS1_3genE2ELNS1_11target_archE906ELNS1_3gpuE6ELNS1_3repE0EEENS1_30default_config_static_selectorELNS0_4arch9wavefront6targetE0EEEvT1_.num_vgpr, 0
	.set _ZN7rocprim17ROCPRIM_400000_NS6detail17trampoline_kernelINS0_14default_configENS1_25partition_config_selectorILNS1_17partition_subalgoE5ElNS0_10empty_typeEbEEZZNS1_14partition_implILS5_5ELb0ES3_mN6hipcub16HIPCUB_304000_NS21CountingInputIteratorIllEEPS6_NSA_22TransformInputIteratorIbN2at6native12_GLOBAL__N_19NonZeroOpIN3c107complexIdEEEEPKSL_lEENS0_5tupleIJPlS6_EEENSQ_IJSD_SD_EEES6_PiJS6_EEE10hipError_tPvRmT3_T4_T5_T6_T7_T9_mT8_P12ihipStream_tbDpT10_ENKUlT_T0_E_clISt17integral_constantIbLb1EES1D_IbLb0EEEEDaS19_S1A_EUlS19_E_NS1_11comp_targetILNS1_3genE2ELNS1_11target_archE906ELNS1_3gpuE6ELNS1_3repE0EEENS1_30default_config_static_selectorELNS0_4arch9wavefront6targetE0EEEvT1_.num_agpr, 0
	.set _ZN7rocprim17ROCPRIM_400000_NS6detail17trampoline_kernelINS0_14default_configENS1_25partition_config_selectorILNS1_17partition_subalgoE5ElNS0_10empty_typeEbEEZZNS1_14partition_implILS5_5ELb0ES3_mN6hipcub16HIPCUB_304000_NS21CountingInputIteratorIllEEPS6_NSA_22TransformInputIteratorIbN2at6native12_GLOBAL__N_19NonZeroOpIN3c107complexIdEEEEPKSL_lEENS0_5tupleIJPlS6_EEENSQ_IJSD_SD_EEES6_PiJS6_EEE10hipError_tPvRmT3_T4_T5_T6_T7_T9_mT8_P12ihipStream_tbDpT10_ENKUlT_T0_E_clISt17integral_constantIbLb1EES1D_IbLb0EEEEDaS19_S1A_EUlS19_E_NS1_11comp_targetILNS1_3genE2ELNS1_11target_archE906ELNS1_3gpuE6ELNS1_3repE0EEENS1_30default_config_static_selectorELNS0_4arch9wavefront6targetE0EEEvT1_.numbered_sgpr, 0
	.set _ZN7rocprim17ROCPRIM_400000_NS6detail17trampoline_kernelINS0_14default_configENS1_25partition_config_selectorILNS1_17partition_subalgoE5ElNS0_10empty_typeEbEEZZNS1_14partition_implILS5_5ELb0ES3_mN6hipcub16HIPCUB_304000_NS21CountingInputIteratorIllEEPS6_NSA_22TransformInputIteratorIbN2at6native12_GLOBAL__N_19NonZeroOpIN3c107complexIdEEEEPKSL_lEENS0_5tupleIJPlS6_EEENSQ_IJSD_SD_EEES6_PiJS6_EEE10hipError_tPvRmT3_T4_T5_T6_T7_T9_mT8_P12ihipStream_tbDpT10_ENKUlT_T0_E_clISt17integral_constantIbLb1EES1D_IbLb0EEEEDaS19_S1A_EUlS19_E_NS1_11comp_targetILNS1_3genE2ELNS1_11target_archE906ELNS1_3gpuE6ELNS1_3repE0EEENS1_30default_config_static_selectorELNS0_4arch9wavefront6targetE0EEEvT1_.num_named_barrier, 0
	.set _ZN7rocprim17ROCPRIM_400000_NS6detail17trampoline_kernelINS0_14default_configENS1_25partition_config_selectorILNS1_17partition_subalgoE5ElNS0_10empty_typeEbEEZZNS1_14partition_implILS5_5ELb0ES3_mN6hipcub16HIPCUB_304000_NS21CountingInputIteratorIllEEPS6_NSA_22TransformInputIteratorIbN2at6native12_GLOBAL__N_19NonZeroOpIN3c107complexIdEEEEPKSL_lEENS0_5tupleIJPlS6_EEENSQ_IJSD_SD_EEES6_PiJS6_EEE10hipError_tPvRmT3_T4_T5_T6_T7_T9_mT8_P12ihipStream_tbDpT10_ENKUlT_T0_E_clISt17integral_constantIbLb1EES1D_IbLb0EEEEDaS19_S1A_EUlS19_E_NS1_11comp_targetILNS1_3genE2ELNS1_11target_archE906ELNS1_3gpuE6ELNS1_3repE0EEENS1_30default_config_static_selectorELNS0_4arch9wavefront6targetE0EEEvT1_.private_seg_size, 0
	.set _ZN7rocprim17ROCPRIM_400000_NS6detail17trampoline_kernelINS0_14default_configENS1_25partition_config_selectorILNS1_17partition_subalgoE5ElNS0_10empty_typeEbEEZZNS1_14partition_implILS5_5ELb0ES3_mN6hipcub16HIPCUB_304000_NS21CountingInputIteratorIllEEPS6_NSA_22TransformInputIteratorIbN2at6native12_GLOBAL__N_19NonZeroOpIN3c107complexIdEEEEPKSL_lEENS0_5tupleIJPlS6_EEENSQ_IJSD_SD_EEES6_PiJS6_EEE10hipError_tPvRmT3_T4_T5_T6_T7_T9_mT8_P12ihipStream_tbDpT10_ENKUlT_T0_E_clISt17integral_constantIbLb1EES1D_IbLb0EEEEDaS19_S1A_EUlS19_E_NS1_11comp_targetILNS1_3genE2ELNS1_11target_archE906ELNS1_3gpuE6ELNS1_3repE0EEENS1_30default_config_static_selectorELNS0_4arch9wavefront6targetE0EEEvT1_.uses_vcc, 0
	.set _ZN7rocprim17ROCPRIM_400000_NS6detail17trampoline_kernelINS0_14default_configENS1_25partition_config_selectorILNS1_17partition_subalgoE5ElNS0_10empty_typeEbEEZZNS1_14partition_implILS5_5ELb0ES3_mN6hipcub16HIPCUB_304000_NS21CountingInputIteratorIllEEPS6_NSA_22TransformInputIteratorIbN2at6native12_GLOBAL__N_19NonZeroOpIN3c107complexIdEEEEPKSL_lEENS0_5tupleIJPlS6_EEENSQ_IJSD_SD_EEES6_PiJS6_EEE10hipError_tPvRmT3_T4_T5_T6_T7_T9_mT8_P12ihipStream_tbDpT10_ENKUlT_T0_E_clISt17integral_constantIbLb1EES1D_IbLb0EEEEDaS19_S1A_EUlS19_E_NS1_11comp_targetILNS1_3genE2ELNS1_11target_archE906ELNS1_3gpuE6ELNS1_3repE0EEENS1_30default_config_static_selectorELNS0_4arch9wavefront6targetE0EEEvT1_.uses_flat_scratch, 0
	.set _ZN7rocprim17ROCPRIM_400000_NS6detail17trampoline_kernelINS0_14default_configENS1_25partition_config_selectorILNS1_17partition_subalgoE5ElNS0_10empty_typeEbEEZZNS1_14partition_implILS5_5ELb0ES3_mN6hipcub16HIPCUB_304000_NS21CountingInputIteratorIllEEPS6_NSA_22TransformInputIteratorIbN2at6native12_GLOBAL__N_19NonZeroOpIN3c107complexIdEEEEPKSL_lEENS0_5tupleIJPlS6_EEENSQ_IJSD_SD_EEES6_PiJS6_EEE10hipError_tPvRmT3_T4_T5_T6_T7_T9_mT8_P12ihipStream_tbDpT10_ENKUlT_T0_E_clISt17integral_constantIbLb1EES1D_IbLb0EEEEDaS19_S1A_EUlS19_E_NS1_11comp_targetILNS1_3genE2ELNS1_11target_archE906ELNS1_3gpuE6ELNS1_3repE0EEENS1_30default_config_static_selectorELNS0_4arch9wavefront6targetE0EEEvT1_.has_dyn_sized_stack, 0
	.set _ZN7rocprim17ROCPRIM_400000_NS6detail17trampoline_kernelINS0_14default_configENS1_25partition_config_selectorILNS1_17partition_subalgoE5ElNS0_10empty_typeEbEEZZNS1_14partition_implILS5_5ELb0ES3_mN6hipcub16HIPCUB_304000_NS21CountingInputIteratorIllEEPS6_NSA_22TransformInputIteratorIbN2at6native12_GLOBAL__N_19NonZeroOpIN3c107complexIdEEEEPKSL_lEENS0_5tupleIJPlS6_EEENSQ_IJSD_SD_EEES6_PiJS6_EEE10hipError_tPvRmT3_T4_T5_T6_T7_T9_mT8_P12ihipStream_tbDpT10_ENKUlT_T0_E_clISt17integral_constantIbLb1EES1D_IbLb0EEEEDaS19_S1A_EUlS19_E_NS1_11comp_targetILNS1_3genE2ELNS1_11target_archE906ELNS1_3gpuE6ELNS1_3repE0EEENS1_30default_config_static_selectorELNS0_4arch9wavefront6targetE0EEEvT1_.has_recursion, 0
	.set _ZN7rocprim17ROCPRIM_400000_NS6detail17trampoline_kernelINS0_14default_configENS1_25partition_config_selectorILNS1_17partition_subalgoE5ElNS0_10empty_typeEbEEZZNS1_14partition_implILS5_5ELb0ES3_mN6hipcub16HIPCUB_304000_NS21CountingInputIteratorIllEEPS6_NSA_22TransformInputIteratorIbN2at6native12_GLOBAL__N_19NonZeroOpIN3c107complexIdEEEEPKSL_lEENS0_5tupleIJPlS6_EEENSQ_IJSD_SD_EEES6_PiJS6_EEE10hipError_tPvRmT3_T4_T5_T6_T7_T9_mT8_P12ihipStream_tbDpT10_ENKUlT_T0_E_clISt17integral_constantIbLb1EES1D_IbLb0EEEEDaS19_S1A_EUlS19_E_NS1_11comp_targetILNS1_3genE2ELNS1_11target_archE906ELNS1_3gpuE6ELNS1_3repE0EEENS1_30default_config_static_selectorELNS0_4arch9wavefront6targetE0EEEvT1_.has_indirect_call, 0
	.section	.AMDGPU.csdata,"",@progbits
; Kernel info:
; codeLenInByte = 0
; TotalNumSgprs: 0
; NumVgprs: 0
; ScratchSize: 0
; MemoryBound: 0
; FloatMode: 240
; IeeeMode: 1
; LDSByteSize: 0 bytes/workgroup (compile time only)
; SGPRBlocks: 0
; VGPRBlocks: 0
; NumSGPRsForWavesPerEU: 1
; NumVGPRsForWavesPerEU: 1
; Occupancy: 16
; WaveLimiterHint : 0
; COMPUTE_PGM_RSRC2:SCRATCH_EN: 0
; COMPUTE_PGM_RSRC2:USER_SGPR: 2
; COMPUTE_PGM_RSRC2:TRAP_HANDLER: 0
; COMPUTE_PGM_RSRC2:TGID_X_EN: 1
; COMPUTE_PGM_RSRC2:TGID_Y_EN: 0
; COMPUTE_PGM_RSRC2:TGID_Z_EN: 0
; COMPUTE_PGM_RSRC2:TIDIG_COMP_CNT: 0
	.section	.text._ZN7rocprim17ROCPRIM_400000_NS6detail17trampoline_kernelINS0_14default_configENS1_25partition_config_selectorILNS1_17partition_subalgoE5ElNS0_10empty_typeEbEEZZNS1_14partition_implILS5_5ELb0ES3_mN6hipcub16HIPCUB_304000_NS21CountingInputIteratorIllEEPS6_NSA_22TransformInputIteratorIbN2at6native12_GLOBAL__N_19NonZeroOpIN3c107complexIdEEEEPKSL_lEENS0_5tupleIJPlS6_EEENSQ_IJSD_SD_EEES6_PiJS6_EEE10hipError_tPvRmT3_T4_T5_T6_T7_T9_mT8_P12ihipStream_tbDpT10_ENKUlT_T0_E_clISt17integral_constantIbLb1EES1D_IbLb0EEEEDaS19_S1A_EUlS19_E_NS1_11comp_targetILNS1_3genE10ELNS1_11target_archE1200ELNS1_3gpuE4ELNS1_3repE0EEENS1_30default_config_static_selectorELNS0_4arch9wavefront6targetE0EEEvT1_,"axG",@progbits,_ZN7rocprim17ROCPRIM_400000_NS6detail17trampoline_kernelINS0_14default_configENS1_25partition_config_selectorILNS1_17partition_subalgoE5ElNS0_10empty_typeEbEEZZNS1_14partition_implILS5_5ELb0ES3_mN6hipcub16HIPCUB_304000_NS21CountingInputIteratorIllEEPS6_NSA_22TransformInputIteratorIbN2at6native12_GLOBAL__N_19NonZeroOpIN3c107complexIdEEEEPKSL_lEENS0_5tupleIJPlS6_EEENSQ_IJSD_SD_EEES6_PiJS6_EEE10hipError_tPvRmT3_T4_T5_T6_T7_T9_mT8_P12ihipStream_tbDpT10_ENKUlT_T0_E_clISt17integral_constantIbLb1EES1D_IbLb0EEEEDaS19_S1A_EUlS19_E_NS1_11comp_targetILNS1_3genE10ELNS1_11target_archE1200ELNS1_3gpuE4ELNS1_3repE0EEENS1_30default_config_static_selectorELNS0_4arch9wavefront6targetE0EEEvT1_,comdat
	.globl	_ZN7rocprim17ROCPRIM_400000_NS6detail17trampoline_kernelINS0_14default_configENS1_25partition_config_selectorILNS1_17partition_subalgoE5ElNS0_10empty_typeEbEEZZNS1_14partition_implILS5_5ELb0ES3_mN6hipcub16HIPCUB_304000_NS21CountingInputIteratorIllEEPS6_NSA_22TransformInputIteratorIbN2at6native12_GLOBAL__N_19NonZeroOpIN3c107complexIdEEEEPKSL_lEENS0_5tupleIJPlS6_EEENSQ_IJSD_SD_EEES6_PiJS6_EEE10hipError_tPvRmT3_T4_T5_T6_T7_T9_mT8_P12ihipStream_tbDpT10_ENKUlT_T0_E_clISt17integral_constantIbLb1EES1D_IbLb0EEEEDaS19_S1A_EUlS19_E_NS1_11comp_targetILNS1_3genE10ELNS1_11target_archE1200ELNS1_3gpuE4ELNS1_3repE0EEENS1_30default_config_static_selectorELNS0_4arch9wavefront6targetE0EEEvT1_ ; -- Begin function _ZN7rocprim17ROCPRIM_400000_NS6detail17trampoline_kernelINS0_14default_configENS1_25partition_config_selectorILNS1_17partition_subalgoE5ElNS0_10empty_typeEbEEZZNS1_14partition_implILS5_5ELb0ES3_mN6hipcub16HIPCUB_304000_NS21CountingInputIteratorIllEEPS6_NSA_22TransformInputIteratorIbN2at6native12_GLOBAL__N_19NonZeroOpIN3c107complexIdEEEEPKSL_lEENS0_5tupleIJPlS6_EEENSQ_IJSD_SD_EEES6_PiJS6_EEE10hipError_tPvRmT3_T4_T5_T6_T7_T9_mT8_P12ihipStream_tbDpT10_ENKUlT_T0_E_clISt17integral_constantIbLb1EES1D_IbLb0EEEEDaS19_S1A_EUlS19_E_NS1_11comp_targetILNS1_3genE10ELNS1_11target_archE1200ELNS1_3gpuE4ELNS1_3repE0EEENS1_30default_config_static_selectorELNS0_4arch9wavefront6targetE0EEEvT1_
	.p2align	8
	.type	_ZN7rocprim17ROCPRIM_400000_NS6detail17trampoline_kernelINS0_14default_configENS1_25partition_config_selectorILNS1_17partition_subalgoE5ElNS0_10empty_typeEbEEZZNS1_14partition_implILS5_5ELb0ES3_mN6hipcub16HIPCUB_304000_NS21CountingInputIteratorIllEEPS6_NSA_22TransformInputIteratorIbN2at6native12_GLOBAL__N_19NonZeroOpIN3c107complexIdEEEEPKSL_lEENS0_5tupleIJPlS6_EEENSQ_IJSD_SD_EEES6_PiJS6_EEE10hipError_tPvRmT3_T4_T5_T6_T7_T9_mT8_P12ihipStream_tbDpT10_ENKUlT_T0_E_clISt17integral_constantIbLb1EES1D_IbLb0EEEEDaS19_S1A_EUlS19_E_NS1_11comp_targetILNS1_3genE10ELNS1_11target_archE1200ELNS1_3gpuE4ELNS1_3repE0EEENS1_30default_config_static_selectorELNS0_4arch9wavefront6targetE0EEEvT1_,@function
_ZN7rocprim17ROCPRIM_400000_NS6detail17trampoline_kernelINS0_14default_configENS1_25partition_config_selectorILNS1_17partition_subalgoE5ElNS0_10empty_typeEbEEZZNS1_14partition_implILS5_5ELb0ES3_mN6hipcub16HIPCUB_304000_NS21CountingInputIteratorIllEEPS6_NSA_22TransformInputIteratorIbN2at6native12_GLOBAL__N_19NonZeroOpIN3c107complexIdEEEEPKSL_lEENS0_5tupleIJPlS6_EEENSQ_IJSD_SD_EEES6_PiJS6_EEE10hipError_tPvRmT3_T4_T5_T6_T7_T9_mT8_P12ihipStream_tbDpT10_ENKUlT_T0_E_clISt17integral_constantIbLb1EES1D_IbLb0EEEEDaS19_S1A_EUlS19_E_NS1_11comp_targetILNS1_3genE10ELNS1_11target_archE1200ELNS1_3gpuE4ELNS1_3repE0EEENS1_30default_config_static_selectorELNS0_4arch9wavefront6targetE0EEEvT1_: ; @_ZN7rocprim17ROCPRIM_400000_NS6detail17trampoline_kernelINS0_14default_configENS1_25partition_config_selectorILNS1_17partition_subalgoE5ElNS0_10empty_typeEbEEZZNS1_14partition_implILS5_5ELb0ES3_mN6hipcub16HIPCUB_304000_NS21CountingInputIteratorIllEEPS6_NSA_22TransformInputIteratorIbN2at6native12_GLOBAL__N_19NonZeroOpIN3c107complexIdEEEEPKSL_lEENS0_5tupleIJPlS6_EEENSQ_IJSD_SD_EEES6_PiJS6_EEE10hipError_tPvRmT3_T4_T5_T6_T7_T9_mT8_P12ihipStream_tbDpT10_ENKUlT_T0_E_clISt17integral_constantIbLb1EES1D_IbLb0EEEEDaS19_S1A_EUlS19_E_NS1_11comp_targetILNS1_3genE10ELNS1_11target_archE1200ELNS1_3gpuE4ELNS1_3repE0EEENS1_30default_config_static_selectorELNS0_4arch9wavefront6targetE0EEEvT1_
; %bb.0:
	s_endpgm
	.section	.rodata,"a",@progbits
	.p2align	6, 0x0
	.amdhsa_kernel _ZN7rocprim17ROCPRIM_400000_NS6detail17trampoline_kernelINS0_14default_configENS1_25partition_config_selectorILNS1_17partition_subalgoE5ElNS0_10empty_typeEbEEZZNS1_14partition_implILS5_5ELb0ES3_mN6hipcub16HIPCUB_304000_NS21CountingInputIteratorIllEEPS6_NSA_22TransformInputIteratorIbN2at6native12_GLOBAL__N_19NonZeroOpIN3c107complexIdEEEEPKSL_lEENS0_5tupleIJPlS6_EEENSQ_IJSD_SD_EEES6_PiJS6_EEE10hipError_tPvRmT3_T4_T5_T6_T7_T9_mT8_P12ihipStream_tbDpT10_ENKUlT_T0_E_clISt17integral_constantIbLb1EES1D_IbLb0EEEEDaS19_S1A_EUlS19_E_NS1_11comp_targetILNS1_3genE10ELNS1_11target_archE1200ELNS1_3gpuE4ELNS1_3repE0EEENS1_30default_config_static_selectorELNS0_4arch9wavefront6targetE0EEEvT1_
		.amdhsa_group_segment_fixed_size 0
		.amdhsa_private_segment_fixed_size 0
		.amdhsa_kernarg_size 120
		.amdhsa_user_sgpr_count 2
		.amdhsa_user_sgpr_dispatch_ptr 0
		.amdhsa_user_sgpr_queue_ptr 0
		.amdhsa_user_sgpr_kernarg_segment_ptr 1
		.amdhsa_user_sgpr_dispatch_id 0
		.amdhsa_user_sgpr_private_segment_size 0
		.amdhsa_wavefront_size32 1
		.amdhsa_uses_dynamic_stack 0
		.amdhsa_enable_private_segment 0
		.amdhsa_system_sgpr_workgroup_id_x 1
		.amdhsa_system_sgpr_workgroup_id_y 0
		.amdhsa_system_sgpr_workgroup_id_z 0
		.amdhsa_system_sgpr_workgroup_info 0
		.amdhsa_system_vgpr_workitem_id 0
		.amdhsa_next_free_vgpr 1
		.amdhsa_next_free_sgpr 1
		.amdhsa_reserve_vcc 0
		.amdhsa_float_round_mode_32 0
		.amdhsa_float_round_mode_16_64 0
		.amdhsa_float_denorm_mode_32 3
		.amdhsa_float_denorm_mode_16_64 3
		.amdhsa_fp16_overflow 0
		.amdhsa_workgroup_processor_mode 1
		.amdhsa_memory_ordered 1
		.amdhsa_forward_progress 1
		.amdhsa_inst_pref_size 1
		.amdhsa_round_robin_scheduling 0
		.amdhsa_exception_fp_ieee_invalid_op 0
		.amdhsa_exception_fp_denorm_src 0
		.amdhsa_exception_fp_ieee_div_zero 0
		.amdhsa_exception_fp_ieee_overflow 0
		.amdhsa_exception_fp_ieee_underflow 0
		.amdhsa_exception_fp_ieee_inexact 0
		.amdhsa_exception_int_div_zero 0
	.end_amdhsa_kernel
	.section	.text._ZN7rocprim17ROCPRIM_400000_NS6detail17trampoline_kernelINS0_14default_configENS1_25partition_config_selectorILNS1_17partition_subalgoE5ElNS0_10empty_typeEbEEZZNS1_14partition_implILS5_5ELb0ES3_mN6hipcub16HIPCUB_304000_NS21CountingInputIteratorIllEEPS6_NSA_22TransformInputIteratorIbN2at6native12_GLOBAL__N_19NonZeroOpIN3c107complexIdEEEEPKSL_lEENS0_5tupleIJPlS6_EEENSQ_IJSD_SD_EEES6_PiJS6_EEE10hipError_tPvRmT3_T4_T5_T6_T7_T9_mT8_P12ihipStream_tbDpT10_ENKUlT_T0_E_clISt17integral_constantIbLb1EES1D_IbLb0EEEEDaS19_S1A_EUlS19_E_NS1_11comp_targetILNS1_3genE10ELNS1_11target_archE1200ELNS1_3gpuE4ELNS1_3repE0EEENS1_30default_config_static_selectorELNS0_4arch9wavefront6targetE0EEEvT1_,"axG",@progbits,_ZN7rocprim17ROCPRIM_400000_NS6detail17trampoline_kernelINS0_14default_configENS1_25partition_config_selectorILNS1_17partition_subalgoE5ElNS0_10empty_typeEbEEZZNS1_14partition_implILS5_5ELb0ES3_mN6hipcub16HIPCUB_304000_NS21CountingInputIteratorIllEEPS6_NSA_22TransformInputIteratorIbN2at6native12_GLOBAL__N_19NonZeroOpIN3c107complexIdEEEEPKSL_lEENS0_5tupleIJPlS6_EEENSQ_IJSD_SD_EEES6_PiJS6_EEE10hipError_tPvRmT3_T4_T5_T6_T7_T9_mT8_P12ihipStream_tbDpT10_ENKUlT_T0_E_clISt17integral_constantIbLb1EES1D_IbLb0EEEEDaS19_S1A_EUlS19_E_NS1_11comp_targetILNS1_3genE10ELNS1_11target_archE1200ELNS1_3gpuE4ELNS1_3repE0EEENS1_30default_config_static_selectorELNS0_4arch9wavefront6targetE0EEEvT1_,comdat
.Lfunc_end547:
	.size	_ZN7rocprim17ROCPRIM_400000_NS6detail17trampoline_kernelINS0_14default_configENS1_25partition_config_selectorILNS1_17partition_subalgoE5ElNS0_10empty_typeEbEEZZNS1_14partition_implILS5_5ELb0ES3_mN6hipcub16HIPCUB_304000_NS21CountingInputIteratorIllEEPS6_NSA_22TransformInputIteratorIbN2at6native12_GLOBAL__N_19NonZeroOpIN3c107complexIdEEEEPKSL_lEENS0_5tupleIJPlS6_EEENSQ_IJSD_SD_EEES6_PiJS6_EEE10hipError_tPvRmT3_T4_T5_T6_T7_T9_mT8_P12ihipStream_tbDpT10_ENKUlT_T0_E_clISt17integral_constantIbLb1EES1D_IbLb0EEEEDaS19_S1A_EUlS19_E_NS1_11comp_targetILNS1_3genE10ELNS1_11target_archE1200ELNS1_3gpuE4ELNS1_3repE0EEENS1_30default_config_static_selectorELNS0_4arch9wavefront6targetE0EEEvT1_, .Lfunc_end547-_ZN7rocprim17ROCPRIM_400000_NS6detail17trampoline_kernelINS0_14default_configENS1_25partition_config_selectorILNS1_17partition_subalgoE5ElNS0_10empty_typeEbEEZZNS1_14partition_implILS5_5ELb0ES3_mN6hipcub16HIPCUB_304000_NS21CountingInputIteratorIllEEPS6_NSA_22TransformInputIteratorIbN2at6native12_GLOBAL__N_19NonZeroOpIN3c107complexIdEEEEPKSL_lEENS0_5tupleIJPlS6_EEENSQ_IJSD_SD_EEES6_PiJS6_EEE10hipError_tPvRmT3_T4_T5_T6_T7_T9_mT8_P12ihipStream_tbDpT10_ENKUlT_T0_E_clISt17integral_constantIbLb1EES1D_IbLb0EEEEDaS19_S1A_EUlS19_E_NS1_11comp_targetILNS1_3genE10ELNS1_11target_archE1200ELNS1_3gpuE4ELNS1_3repE0EEENS1_30default_config_static_selectorELNS0_4arch9wavefront6targetE0EEEvT1_
                                        ; -- End function
	.set _ZN7rocprim17ROCPRIM_400000_NS6detail17trampoline_kernelINS0_14default_configENS1_25partition_config_selectorILNS1_17partition_subalgoE5ElNS0_10empty_typeEbEEZZNS1_14partition_implILS5_5ELb0ES3_mN6hipcub16HIPCUB_304000_NS21CountingInputIteratorIllEEPS6_NSA_22TransformInputIteratorIbN2at6native12_GLOBAL__N_19NonZeroOpIN3c107complexIdEEEEPKSL_lEENS0_5tupleIJPlS6_EEENSQ_IJSD_SD_EEES6_PiJS6_EEE10hipError_tPvRmT3_T4_T5_T6_T7_T9_mT8_P12ihipStream_tbDpT10_ENKUlT_T0_E_clISt17integral_constantIbLb1EES1D_IbLb0EEEEDaS19_S1A_EUlS19_E_NS1_11comp_targetILNS1_3genE10ELNS1_11target_archE1200ELNS1_3gpuE4ELNS1_3repE0EEENS1_30default_config_static_selectorELNS0_4arch9wavefront6targetE0EEEvT1_.num_vgpr, 0
	.set _ZN7rocprim17ROCPRIM_400000_NS6detail17trampoline_kernelINS0_14default_configENS1_25partition_config_selectorILNS1_17partition_subalgoE5ElNS0_10empty_typeEbEEZZNS1_14partition_implILS5_5ELb0ES3_mN6hipcub16HIPCUB_304000_NS21CountingInputIteratorIllEEPS6_NSA_22TransformInputIteratorIbN2at6native12_GLOBAL__N_19NonZeroOpIN3c107complexIdEEEEPKSL_lEENS0_5tupleIJPlS6_EEENSQ_IJSD_SD_EEES6_PiJS6_EEE10hipError_tPvRmT3_T4_T5_T6_T7_T9_mT8_P12ihipStream_tbDpT10_ENKUlT_T0_E_clISt17integral_constantIbLb1EES1D_IbLb0EEEEDaS19_S1A_EUlS19_E_NS1_11comp_targetILNS1_3genE10ELNS1_11target_archE1200ELNS1_3gpuE4ELNS1_3repE0EEENS1_30default_config_static_selectorELNS0_4arch9wavefront6targetE0EEEvT1_.num_agpr, 0
	.set _ZN7rocprim17ROCPRIM_400000_NS6detail17trampoline_kernelINS0_14default_configENS1_25partition_config_selectorILNS1_17partition_subalgoE5ElNS0_10empty_typeEbEEZZNS1_14partition_implILS5_5ELb0ES3_mN6hipcub16HIPCUB_304000_NS21CountingInputIteratorIllEEPS6_NSA_22TransformInputIteratorIbN2at6native12_GLOBAL__N_19NonZeroOpIN3c107complexIdEEEEPKSL_lEENS0_5tupleIJPlS6_EEENSQ_IJSD_SD_EEES6_PiJS6_EEE10hipError_tPvRmT3_T4_T5_T6_T7_T9_mT8_P12ihipStream_tbDpT10_ENKUlT_T0_E_clISt17integral_constantIbLb1EES1D_IbLb0EEEEDaS19_S1A_EUlS19_E_NS1_11comp_targetILNS1_3genE10ELNS1_11target_archE1200ELNS1_3gpuE4ELNS1_3repE0EEENS1_30default_config_static_selectorELNS0_4arch9wavefront6targetE0EEEvT1_.numbered_sgpr, 0
	.set _ZN7rocprim17ROCPRIM_400000_NS6detail17trampoline_kernelINS0_14default_configENS1_25partition_config_selectorILNS1_17partition_subalgoE5ElNS0_10empty_typeEbEEZZNS1_14partition_implILS5_5ELb0ES3_mN6hipcub16HIPCUB_304000_NS21CountingInputIteratorIllEEPS6_NSA_22TransformInputIteratorIbN2at6native12_GLOBAL__N_19NonZeroOpIN3c107complexIdEEEEPKSL_lEENS0_5tupleIJPlS6_EEENSQ_IJSD_SD_EEES6_PiJS6_EEE10hipError_tPvRmT3_T4_T5_T6_T7_T9_mT8_P12ihipStream_tbDpT10_ENKUlT_T0_E_clISt17integral_constantIbLb1EES1D_IbLb0EEEEDaS19_S1A_EUlS19_E_NS1_11comp_targetILNS1_3genE10ELNS1_11target_archE1200ELNS1_3gpuE4ELNS1_3repE0EEENS1_30default_config_static_selectorELNS0_4arch9wavefront6targetE0EEEvT1_.num_named_barrier, 0
	.set _ZN7rocprim17ROCPRIM_400000_NS6detail17trampoline_kernelINS0_14default_configENS1_25partition_config_selectorILNS1_17partition_subalgoE5ElNS0_10empty_typeEbEEZZNS1_14partition_implILS5_5ELb0ES3_mN6hipcub16HIPCUB_304000_NS21CountingInputIteratorIllEEPS6_NSA_22TransformInputIteratorIbN2at6native12_GLOBAL__N_19NonZeroOpIN3c107complexIdEEEEPKSL_lEENS0_5tupleIJPlS6_EEENSQ_IJSD_SD_EEES6_PiJS6_EEE10hipError_tPvRmT3_T4_T5_T6_T7_T9_mT8_P12ihipStream_tbDpT10_ENKUlT_T0_E_clISt17integral_constantIbLb1EES1D_IbLb0EEEEDaS19_S1A_EUlS19_E_NS1_11comp_targetILNS1_3genE10ELNS1_11target_archE1200ELNS1_3gpuE4ELNS1_3repE0EEENS1_30default_config_static_selectorELNS0_4arch9wavefront6targetE0EEEvT1_.private_seg_size, 0
	.set _ZN7rocprim17ROCPRIM_400000_NS6detail17trampoline_kernelINS0_14default_configENS1_25partition_config_selectorILNS1_17partition_subalgoE5ElNS0_10empty_typeEbEEZZNS1_14partition_implILS5_5ELb0ES3_mN6hipcub16HIPCUB_304000_NS21CountingInputIteratorIllEEPS6_NSA_22TransformInputIteratorIbN2at6native12_GLOBAL__N_19NonZeroOpIN3c107complexIdEEEEPKSL_lEENS0_5tupleIJPlS6_EEENSQ_IJSD_SD_EEES6_PiJS6_EEE10hipError_tPvRmT3_T4_T5_T6_T7_T9_mT8_P12ihipStream_tbDpT10_ENKUlT_T0_E_clISt17integral_constantIbLb1EES1D_IbLb0EEEEDaS19_S1A_EUlS19_E_NS1_11comp_targetILNS1_3genE10ELNS1_11target_archE1200ELNS1_3gpuE4ELNS1_3repE0EEENS1_30default_config_static_selectorELNS0_4arch9wavefront6targetE0EEEvT1_.uses_vcc, 0
	.set _ZN7rocprim17ROCPRIM_400000_NS6detail17trampoline_kernelINS0_14default_configENS1_25partition_config_selectorILNS1_17partition_subalgoE5ElNS0_10empty_typeEbEEZZNS1_14partition_implILS5_5ELb0ES3_mN6hipcub16HIPCUB_304000_NS21CountingInputIteratorIllEEPS6_NSA_22TransformInputIteratorIbN2at6native12_GLOBAL__N_19NonZeroOpIN3c107complexIdEEEEPKSL_lEENS0_5tupleIJPlS6_EEENSQ_IJSD_SD_EEES6_PiJS6_EEE10hipError_tPvRmT3_T4_T5_T6_T7_T9_mT8_P12ihipStream_tbDpT10_ENKUlT_T0_E_clISt17integral_constantIbLb1EES1D_IbLb0EEEEDaS19_S1A_EUlS19_E_NS1_11comp_targetILNS1_3genE10ELNS1_11target_archE1200ELNS1_3gpuE4ELNS1_3repE0EEENS1_30default_config_static_selectorELNS0_4arch9wavefront6targetE0EEEvT1_.uses_flat_scratch, 0
	.set _ZN7rocprim17ROCPRIM_400000_NS6detail17trampoline_kernelINS0_14default_configENS1_25partition_config_selectorILNS1_17partition_subalgoE5ElNS0_10empty_typeEbEEZZNS1_14partition_implILS5_5ELb0ES3_mN6hipcub16HIPCUB_304000_NS21CountingInputIteratorIllEEPS6_NSA_22TransformInputIteratorIbN2at6native12_GLOBAL__N_19NonZeroOpIN3c107complexIdEEEEPKSL_lEENS0_5tupleIJPlS6_EEENSQ_IJSD_SD_EEES6_PiJS6_EEE10hipError_tPvRmT3_T4_T5_T6_T7_T9_mT8_P12ihipStream_tbDpT10_ENKUlT_T0_E_clISt17integral_constantIbLb1EES1D_IbLb0EEEEDaS19_S1A_EUlS19_E_NS1_11comp_targetILNS1_3genE10ELNS1_11target_archE1200ELNS1_3gpuE4ELNS1_3repE0EEENS1_30default_config_static_selectorELNS0_4arch9wavefront6targetE0EEEvT1_.has_dyn_sized_stack, 0
	.set _ZN7rocprim17ROCPRIM_400000_NS6detail17trampoline_kernelINS0_14default_configENS1_25partition_config_selectorILNS1_17partition_subalgoE5ElNS0_10empty_typeEbEEZZNS1_14partition_implILS5_5ELb0ES3_mN6hipcub16HIPCUB_304000_NS21CountingInputIteratorIllEEPS6_NSA_22TransformInputIteratorIbN2at6native12_GLOBAL__N_19NonZeroOpIN3c107complexIdEEEEPKSL_lEENS0_5tupleIJPlS6_EEENSQ_IJSD_SD_EEES6_PiJS6_EEE10hipError_tPvRmT3_T4_T5_T6_T7_T9_mT8_P12ihipStream_tbDpT10_ENKUlT_T0_E_clISt17integral_constantIbLb1EES1D_IbLb0EEEEDaS19_S1A_EUlS19_E_NS1_11comp_targetILNS1_3genE10ELNS1_11target_archE1200ELNS1_3gpuE4ELNS1_3repE0EEENS1_30default_config_static_selectorELNS0_4arch9wavefront6targetE0EEEvT1_.has_recursion, 0
	.set _ZN7rocprim17ROCPRIM_400000_NS6detail17trampoline_kernelINS0_14default_configENS1_25partition_config_selectorILNS1_17partition_subalgoE5ElNS0_10empty_typeEbEEZZNS1_14partition_implILS5_5ELb0ES3_mN6hipcub16HIPCUB_304000_NS21CountingInputIteratorIllEEPS6_NSA_22TransformInputIteratorIbN2at6native12_GLOBAL__N_19NonZeroOpIN3c107complexIdEEEEPKSL_lEENS0_5tupleIJPlS6_EEENSQ_IJSD_SD_EEES6_PiJS6_EEE10hipError_tPvRmT3_T4_T5_T6_T7_T9_mT8_P12ihipStream_tbDpT10_ENKUlT_T0_E_clISt17integral_constantIbLb1EES1D_IbLb0EEEEDaS19_S1A_EUlS19_E_NS1_11comp_targetILNS1_3genE10ELNS1_11target_archE1200ELNS1_3gpuE4ELNS1_3repE0EEENS1_30default_config_static_selectorELNS0_4arch9wavefront6targetE0EEEvT1_.has_indirect_call, 0
	.section	.AMDGPU.csdata,"",@progbits
; Kernel info:
; codeLenInByte = 4
; TotalNumSgprs: 0
; NumVgprs: 0
; ScratchSize: 0
; MemoryBound: 0
; FloatMode: 240
; IeeeMode: 1
; LDSByteSize: 0 bytes/workgroup (compile time only)
; SGPRBlocks: 0
; VGPRBlocks: 0
; NumSGPRsForWavesPerEU: 1
; NumVGPRsForWavesPerEU: 1
; Occupancy: 16
; WaveLimiterHint : 0
; COMPUTE_PGM_RSRC2:SCRATCH_EN: 0
; COMPUTE_PGM_RSRC2:USER_SGPR: 2
; COMPUTE_PGM_RSRC2:TRAP_HANDLER: 0
; COMPUTE_PGM_RSRC2:TGID_X_EN: 1
; COMPUTE_PGM_RSRC2:TGID_Y_EN: 0
; COMPUTE_PGM_RSRC2:TGID_Z_EN: 0
; COMPUTE_PGM_RSRC2:TIDIG_COMP_CNT: 0
	.section	.text._ZN7rocprim17ROCPRIM_400000_NS6detail17trampoline_kernelINS0_14default_configENS1_25partition_config_selectorILNS1_17partition_subalgoE5ElNS0_10empty_typeEbEEZZNS1_14partition_implILS5_5ELb0ES3_mN6hipcub16HIPCUB_304000_NS21CountingInputIteratorIllEEPS6_NSA_22TransformInputIteratorIbN2at6native12_GLOBAL__N_19NonZeroOpIN3c107complexIdEEEEPKSL_lEENS0_5tupleIJPlS6_EEENSQ_IJSD_SD_EEES6_PiJS6_EEE10hipError_tPvRmT3_T4_T5_T6_T7_T9_mT8_P12ihipStream_tbDpT10_ENKUlT_T0_E_clISt17integral_constantIbLb1EES1D_IbLb0EEEEDaS19_S1A_EUlS19_E_NS1_11comp_targetILNS1_3genE9ELNS1_11target_archE1100ELNS1_3gpuE3ELNS1_3repE0EEENS1_30default_config_static_selectorELNS0_4arch9wavefront6targetE0EEEvT1_,"axG",@progbits,_ZN7rocprim17ROCPRIM_400000_NS6detail17trampoline_kernelINS0_14default_configENS1_25partition_config_selectorILNS1_17partition_subalgoE5ElNS0_10empty_typeEbEEZZNS1_14partition_implILS5_5ELb0ES3_mN6hipcub16HIPCUB_304000_NS21CountingInputIteratorIllEEPS6_NSA_22TransformInputIteratorIbN2at6native12_GLOBAL__N_19NonZeroOpIN3c107complexIdEEEEPKSL_lEENS0_5tupleIJPlS6_EEENSQ_IJSD_SD_EEES6_PiJS6_EEE10hipError_tPvRmT3_T4_T5_T6_T7_T9_mT8_P12ihipStream_tbDpT10_ENKUlT_T0_E_clISt17integral_constantIbLb1EES1D_IbLb0EEEEDaS19_S1A_EUlS19_E_NS1_11comp_targetILNS1_3genE9ELNS1_11target_archE1100ELNS1_3gpuE3ELNS1_3repE0EEENS1_30default_config_static_selectorELNS0_4arch9wavefront6targetE0EEEvT1_,comdat
	.globl	_ZN7rocprim17ROCPRIM_400000_NS6detail17trampoline_kernelINS0_14default_configENS1_25partition_config_selectorILNS1_17partition_subalgoE5ElNS0_10empty_typeEbEEZZNS1_14partition_implILS5_5ELb0ES3_mN6hipcub16HIPCUB_304000_NS21CountingInputIteratorIllEEPS6_NSA_22TransformInputIteratorIbN2at6native12_GLOBAL__N_19NonZeroOpIN3c107complexIdEEEEPKSL_lEENS0_5tupleIJPlS6_EEENSQ_IJSD_SD_EEES6_PiJS6_EEE10hipError_tPvRmT3_T4_T5_T6_T7_T9_mT8_P12ihipStream_tbDpT10_ENKUlT_T0_E_clISt17integral_constantIbLb1EES1D_IbLb0EEEEDaS19_S1A_EUlS19_E_NS1_11comp_targetILNS1_3genE9ELNS1_11target_archE1100ELNS1_3gpuE3ELNS1_3repE0EEENS1_30default_config_static_selectorELNS0_4arch9wavefront6targetE0EEEvT1_ ; -- Begin function _ZN7rocprim17ROCPRIM_400000_NS6detail17trampoline_kernelINS0_14default_configENS1_25partition_config_selectorILNS1_17partition_subalgoE5ElNS0_10empty_typeEbEEZZNS1_14partition_implILS5_5ELb0ES3_mN6hipcub16HIPCUB_304000_NS21CountingInputIteratorIllEEPS6_NSA_22TransformInputIteratorIbN2at6native12_GLOBAL__N_19NonZeroOpIN3c107complexIdEEEEPKSL_lEENS0_5tupleIJPlS6_EEENSQ_IJSD_SD_EEES6_PiJS6_EEE10hipError_tPvRmT3_T4_T5_T6_T7_T9_mT8_P12ihipStream_tbDpT10_ENKUlT_T0_E_clISt17integral_constantIbLb1EES1D_IbLb0EEEEDaS19_S1A_EUlS19_E_NS1_11comp_targetILNS1_3genE9ELNS1_11target_archE1100ELNS1_3gpuE3ELNS1_3repE0EEENS1_30default_config_static_selectorELNS0_4arch9wavefront6targetE0EEEvT1_
	.p2align	8
	.type	_ZN7rocprim17ROCPRIM_400000_NS6detail17trampoline_kernelINS0_14default_configENS1_25partition_config_selectorILNS1_17partition_subalgoE5ElNS0_10empty_typeEbEEZZNS1_14partition_implILS5_5ELb0ES3_mN6hipcub16HIPCUB_304000_NS21CountingInputIteratorIllEEPS6_NSA_22TransformInputIteratorIbN2at6native12_GLOBAL__N_19NonZeroOpIN3c107complexIdEEEEPKSL_lEENS0_5tupleIJPlS6_EEENSQ_IJSD_SD_EEES6_PiJS6_EEE10hipError_tPvRmT3_T4_T5_T6_T7_T9_mT8_P12ihipStream_tbDpT10_ENKUlT_T0_E_clISt17integral_constantIbLb1EES1D_IbLb0EEEEDaS19_S1A_EUlS19_E_NS1_11comp_targetILNS1_3genE9ELNS1_11target_archE1100ELNS1_3gpuE3ELNS1_3repE0EEENS1_30default_config_static_selectorELNS0_4arch9wavefront6targetE0EEEvT1_,@function
_ZN7rocprim17ROCPRIM_400000_NS6detail17trampoline_kernelINS0_14default_configENS1_25partition_config_selectorILNS1_17partition_subalgoE5ElNS0_10empty_typeEbEEZZNS1_14partition_implILS5_5ELb0ES3_mN6hipcub16HIPCUB_304000_NS21CountingInputIteratorIllEEPS6_NSA_22TransformInputIteratorIbN2at6native12_GLOBAL__N_19NonZeroOpIN3c107complexIdEEEEPKSL_lEENS0_5tupleIJPlS6_EEENSQ_IJSD_SD_EEES6_PiJS6_EEE10hipError_tPvRmT3_T4_T5_T6_T7_T9_mT8_P12ihipStream_tbDpT10_ENKUlT_T0_E_clISt17integral_constantIbLb1EES1D_IbLb0EEEEDaS19_S1A_EUlS19_E_NS1_11comp_targetILNS1_3genE9ELNS1_11target_archE1100ELNS1_3gpuE3ELNS1_3repE0EEENS1_30default_config_static_selectorELNS0_4arch9wavefront6targetE0EEEvT1_: ; @_ZN7rocprim17ROCPRIM_400000_NS6detail17trampoline_kernelINS0_14default_configENS1_25partition_config_selectorILNS1_17partition_subalgoE5ElNS0_10empty_typeEbEEZZNS1_14partition_implILS5_5ELb0ES3_mN6hipcub16HIPCUB_304000_NS21CountingInputIteratorIllEEPS6_NSA_22TransformInputIteratorIbN2at6native12_GLOBAL__N_19NonZeroOpIN3c107complexIdEEEEPKSL_lEENS0_5tupleIJPlS6_EEENSQ_IJSD_SD_EEES6_PiJS6_EEE10hipError_tPvRmT3_T4_T5_T6_T7_T9_mT8_P12ihipStream_tbDpT10_ENKUlT_T0_E_clISt17integral_constantIbLb1EES1D_IbLb0EEEEDaS19_S1A_EUlS19_E_NS1_11comp_targetILNS1_3genE9ELNS1_11target_archE1100ELNS1_3gpuE3ELNS1_3repE0EEENS1_30default_config_static_selectorELNS0_4arch9wavefront6targetE0EEEvT1_
; %bb.0:
	.section	.rodata,"a",@progbits
	.p2align	6, 0x0
	.amdhsa_kernel _ZN7rocprim17ROCPRIM_400000_NS6detail17trampoline_kernelINS0_14default_configENS1_25partition_config_selectorILNS1_17partition_subalgoE5ElNS0_10empty_typeEbEEZZNS1_14partition_implILS5_5ELb0ES3_mN6hipcub16HIPCUB_304000_NS21CountingInputIteratorIllEEPS6_NSA_22TransformInputIteratorIbN2at6native12_GLOBAL__N_19NonZeroOpIN3c107complexIdEEEEPKSL_lEENS0_5tupleIJPlS6_EEENSQ_IJSD_SD_EEES6_PiJS6_EEE10hipError_tPvRmT3_T4_T5_T6_T7_T9_mT8_P12ihipStream_tbDpT10_ENKUlT_T0_E_clISt17integral_constantIbLb1EES1D_IbLb0EEEEDaS19_S1A_EUlS19_E_NS1_11comp_targetILNS1_3genE9ELNS1_11target_archE1100ELNS1_3gpuE3ELNS1_3repE0EEENS1_30default_config_static_selectorELNS0_4arch9wavefront6targetE0EEEvT1_
		.amdhsa_group_segment_fixed_size 0
		.amdhsa_private_segment_fixed_size 0
		.amdhsa_kernarg_size 120
		.amdhsa_user_sgpr_count 2
		.amdhsa_user_sgpr_dispatch_ptr 0
		.amdhsa_user_sgpr_queue_ptr 0
		.amdhsa_user_sgpr_kernarg_segment_ptr 1
		.amdhsa_user_sgpr_dispatch_id 0
		.amdhsa_user_sgpr_private_segment_size 0
		.amdhsa_wavefront_size32 1
		.amdhsa_uses_dynamic_stack 0
		.amdhsa_enable_private_segment 0
		.amdhsa_system_sgpr_workgroup_id_x 1
		.amdhsa_system_sgpr_workgroup_id_y 0
		.amdhsa_system_sgpr_workgroup_id_z 0
		.amdhsa_system_sgpr_workgroup_info 0
		.amdhsa_system_vgpr_workitem_id 0
		.amdhsa_next_free_vgpr 1
		.amdhsa_next_free_sgpr 1
		.amdhsa_reserve_vcc 0
		.amdhsa_float_round_mode_32 0
		.amdhsa_float_round_mode_16_64 0
		.amdhsa_float_denorm_mode_32 3
		.amdhsa_float_denorm_mode_16_64 3
		.amdhsa_fp16_overflow 0
		.amdhsa_workgroup_processor_mode 1
		.amdhsa_memory_ordered 1
		.amdhsa_forward_progress 1
		.amdhsa_inst_pref_size 0
		.amdhsa_round_robin_scheduling 0
		.amdhsa_exception_fp_ieee_invalid_op 0
		.amdhsa_exception_fp_denorm_src 0
		.amdhsa_exception_fp_ieee_div_zero 0
		.amdhsa_exception_fp_ieee_overflow 0
		.amdhsa_exception_fp_ieee_underflow 0
		.amdhsa_exception_fp_ieee_inexact 0
		.amdhsa_exception_int_div_zero 0
	.end_amdhsa_kernel
	.section	.text._ZN7rocprim17ROCPRIM_400000_NS6detail17trampoline_kernelINS0_14default_configENS1_25partition_config_selectorILNS1_17partition_subalgoE5ElNS0_10empty_typeEbEEZZNS1_14partition_implILS5_5ELb0ES3_mN6hipcub16HIPCUB_304000_NS21CountingInputIteratorIllEEPS6_NSA_22TransformInputIteratorIbN2at6native12_GLOBAL__N_19NonZeroOpIN3c107complexIdEEEEPKSL_lEENS0_5tupleIJPlS6_EEENSQ_IJSD_SD_EEES6_PiJS6_EEE10hipError_tPvRmT3_T4_T5_T6_T7_T9_mT8_P12ihipStream_tbDpT10_ENKUlT_T0_E_clISt17integral_constantIbLb1EES1D_IbLb0EEEEDaS19_S1A_EUlS19_E_NS1_11comp_targetILNS1_3genE9ELNS1_11target_archE1100ELNS1_3gpuE3ELNS1_3repE0EEENS1_30default_config_static_selectorELNS0_4arch9wavefront6targetE0EEEvT1_,"axG",@progbits,_ZN7rocprim17ROCPRIM_400000_NS6detail17trampoline_kernelINS0_14default_configENS1_25partition_config_selectorILNS1_17partition_subalgoE5ElNS0_10empty_typeEbEEZZNS1_14partition_implILS5_5ELb0ES3_mN6hipcub16HIPCUB_304000_NS21CountingInputIteratorIllEEPS6_NSA_22TransformInputIteratorIbN2at6native12_GLOBAL__N_19NonZeroOpIN3c107complexIdEEEEPKSL_lEENS0_5tupleIJPlS6_EEENSQ_IJSD_SD_EEES6_PiJS6_EEE10hipError_tPvRmT3_T4_T5_T6_T7_T9_mT8_P12ihipStream_tbDpT10_ENKUlT_T0_E_clISt17integral_constantIbLb1EES1D_IbLb0EEEEDaS19_S1A_EUlS19_E_NS1_11comp_targetILNS1_3genE9ELNS1_11target_archE1100ELNS1_3gpuE3ELNS1_3repE0EEENS1_30default_config_static_selectorELNS0_4arch9wavefront6targetE0EEEvT1_,comdat
.Lfunc_end548:
	.size	_ZN7rocprim17ROCPRIM_400000_NS6detail17trampoline_kernelINS0_14default_configENS1_25partition_config_selectorILNS1_17partition_subalgoE5ElNS0_10empty_typeEbEEZZNS1_14partition_implILS5_5ELb0ES3_mN6hipcub16HIPCUB_304000_NS21CountingInputIteratorIllEEPS6_NSA_22TransformInputIteratorIbN2at6native12_GLOBAL__N_19NonZeroOpIN3c107complexIdEEEEPKSL_lEENS0_5tupleIJPlS6_EEENSQ_IJSD_SD_EEES6_PiJS6_EEE10hipError_tPvRmT3_T4_T5_T6_T7_T9_mT8_P12ihipStream_tbDpT10_ENKUlT_T0_E_clISt17integral_constantIbLb1EES1D_IbLb0EEEEDaS19_S1A_EUlS19_E_NS1_11comp_targetILNS1_3genE9ELNS1_11target_archE1100ELNS1_3gpuE3ELNS1_3repE0EEENS1_30default_config_static_selectorELNS0_4arch9wavefront6targetE0EEEvT1_, .Lfunc_end548-_ZN7rocprim17ROCPRIM_400000_NS6detail17trampoline_kernelINS0_14default_configENS1_25partition_config_selectorILNS1_17partition_subalgoE5ElNS0_10empty_typeEbEEZZNS1_14partition_implILS5_5ELb0ES3_mN6hipcub16HIPCUB_304000_NS21CountingInputIteratorIllEEPS6_NSA_22TransformInputIteratorIbN2at6native12_GLOBAL__N_19NonZeroOpIN3c107complexIdEEEEPKSL_lEENS0_5tupleIJPlS6_EEENSQ_IJSD_SD_EEES6_PiJS6_EEE10hipError_tPvRmT3_T4_T5_T6_T7_T9_mT8_P12ihipStream_tbDpT10_ENKUlT_T0_E_clISt17integral_constantIbLb1EES1D_IbLb0EEEEDaS19_S1A_EUlS19_E_NS1_11comp_targetILNS1_3genE9ELNS1_11target_archE1100ELNS1_3gpuE3ELNS1_3repE0EEENS1_30default_config_static_selectorELNS0_4arch9wavefront6targetE0EEEvT1_
                                        ; -- End function
	.set _ZN7rocprim17ROCPRIM_400000_NS6detail17trampoline_kernelINS0_14default_configENS1_25partition_config_selectorILNS1_17partition_subalgoE5ElNS0_10empty_typeEbEEZZNS1_14partition_implILS5_5ELb0ES3_mN6hipcub16HIPCUB_304000_NS21CountingInputIteratorIllEEPS6_NSA_22TransformInputIteratorIbN2at6native12_GLOBAL__N_19NonZeroOpIN3c107complexIdEEEEPKSL_lEENS0_5tupleIJPlS6_EEENSQ_IJSD_SD_EEES6_PiJS6_EEE10hipError_tPvRmT3_T4_T5_T6_T7_T9_mT8_P12ihipStream_tbDpT10_ENKUlT_T0_E_clISt17integral_constantIbLb1EES1D_IbLb0EEEEDaS19_S1A_EUlS19_E_NS1_11comp_targetILNS1_3genE9ELNS1_11target_archE1100ELNS1_3gpuE3ELNS1_3repE0EEENS1_30default_config_static_selectorELNS0_4arch9wavefront6targetE0EEEvT1_.num_vgpr, 0
	.set _ZN7rocprim17ROCPRIM_400000_NS6detail17trampoline_kernelINS0_14default_configENS1_25partition_config_selectorILNS1_17partition_subalgoE5ElNS0_10empty_typeEbEEZZNS1_14partition_implILS5_5ELb0ES3_mN6hipcub16HIPCUB_304000_NS21CountingInputIteratorIllEEPS6_NSA_22TransformInputIteratorIbN2at6native12_GLOBAL__N_19NonZeroOpIN3c107complexIdEEEEPKSL_lEENS0_5tupleIJPlS6_EEENSQ_IJSD_SD_EEES6_PiJS6_EEE10hipError_tPvRmT3_T4_T5_T6_T7_T9_mT8_P12ihipStream_tbDpT10_ENKUlT_T0_E_clISt17integral_constantIbLb1EES1D_IbLb0EEEEDaS19_S1A_EUlS19_E_NS1_11comp_targetILNS1_3genE9ELNS1_11target_archE1100ELNS1_3gpuE3ELNS1_3repE0EEENS1_30default_config_static_selectorELNS0_4arch9wavefront6targetE0EEEvT1_.num_agpr, 0
	.set _ZN7rocprim17ROCPRIM_400000_NS6detail17trampoline_kernelINS0_14default_configENS1_25partition_config_selectorILNS1_17partition_subalgoE5ElNS0_10empty_typeEbEEZZNS1_14partition_implILS5_5ELb0ES3_mN6hipcub16HIPCUB_304000_NS21CountingInputIteratorIllEEPS6_NSA_22TransformInputIteratorIbN2at6native12_GLOBAL__N_19NonZeroOpIN3c107complexIdEEEEPKSL_lEENS0_5tupleIJPlS6_EEENSQ_IJSD_SD_EEES6_PiJS6_EEE10hipError_tPvRmT3_T4_T5_T6_T7_T9_mT8_P12ihipStream_tbDpT10_ENKUlT_T0_E_clISt17integral_constantIbLb1EES1D_IbLb0EEEEDaS19_S1A_EUlS19_E_NS1_11comp_targetILNS1_3genE9ELNS1_11target_archE1100ELNS1_3gpuE3ELNS1_3repE0EEENS1_30default_config_static_selectorELNS0_4arch9wavefront6targetE0EEEvT1_.numbered_sgpr, 0
	.set _ZN7rocprim17ROCPRIM_400000_NS6detail17trampoline_kernelINS0_14default_configENS1_25partition_config_selectorILNS1_17partition_subalgoE5ElNS0_10empty_typeEbEEZZNS1_14partition_implILS5_5ELb0ES3_mN6hipcub16HIPCUB_304000_NS21CountingInputIteratorIllEEPS6_NSA_22TransformInputIteratorIbN2at6native12_GLOBAL__N_19NonZeroOpIN3c107complexIdEEEEPKSL_lEENS0_5tupleIJPlS6_EEENSQ_IJSD_SD_EEES6_PiJS6_EEE10hipError_tPvRmT3_T4_T5_T6_T7_T9_mT8_P12ihipStream_tbDpT10_ENKUlT_T0_E_clISt17integral_constantIbLb1EES1D_IbLb0EEEEDaS19_S1A_EUlS19_E_NS1_11comp_targetILNS1_3genE9ELNS1_11target_archE1100ELNS1_3gpuE3ELNS1_3repE0EEENS1_30default_config_static_selectorELNS0_4arch9wavefront6targetE0EEEvT1_.num_named_barrier, 0
	.set _ZN7rocprim17ROCPRIM_400000_NS6detail17trampoline_kernelINS0_14default_configENS1_25partition_config_selectorILNS1_17partition_subalgoE5ElNS0_10empty_typeEbEEZZNS1_14partition_implILS5_5ELb0ES3_mN6hipcub16HIPCUB_304000_NS21CountingInputIteratorIllEEPS6_NSA_22TransformInputIteratorIbN2at6native12_GLOBAL__N_19NonZeroOpIN3c107complexIdEEEEPKSL_lEENS0_5tupleIJPlS6_EEENSQ_IJSD_SD_EEES6_PiJS6_EEE10hipError_tPvRmT3_T4_T5_T6_T7_T9_mT8_P12ihipStream_tbDpT10_ENKUlT_T0_E_clISt17integral_constantIbLb1EES1D_IbLb0EEEEDaS19_S1A_EUlS19_E_NS1_11comp_targetILNS1_3genE9ELNS1_11target_archE1100ELNS1_3gpuE3ELNS1_3repE0EEENS1_30default_config_static_selectorELNS0_4arch9wavefront6targetE0EEEvT1_.private_seg_size, 0
	.set _ZN7rocprim17ROCPRIM_400000_NS6detail17trampoline_kernelINS0_14default_configENS1_25partition_config_selectorILNS1_17partition_subalgoE5ElNS0_10empty_typeEbEEZZNS1_14partition_implILS5_5ELb0ES3_mN6hipcub16HIPCUB_304000_NS21CountingInputIteratorIllEEPS6_NSA_22TransformInputIteratorIbN2at6native12_GLOBAL__N_19NonZeroOpIN3c107complexIdEEEEPKSL_lEENS0_5tupleIJPlS6_EEENSQ_IJSD_SD_EEES6_PiJS6_EEE10hipError_tPvRmT3_T4_T5_T6_T7_T9_mT8_P12ihipStream_tbDpT10_ENKUlT_T0_E_clISt17integral_constantIbLb1EES1D_IbLb0EEEEDaS19_S1A_EUlS19_E_NS1_11comp_targetILNS1_3genE9ELNS1_11target_archE1100ELNS1_3gpuE3ELNS1_3repE0EEENS1_30default_config_static_selectorELNS0_4arch9wavefront6targetE0EEEvT1_.uses_vcc, 0
	.set _ZN7rocprim17ROCPRIM_400000_NS6detail17trampoline_kernelINS0_14default_configENS1_25partition_config_selectorILNS1_17partition_subalgoE5ElNS0_10empty_typeEbEEZZNS1_14partition_implILS5_5ELb0ES3_mN6hipcub16HIPCUB_304000_NS21CountingInputIteratorIllEEPS6_NSA_22TransformInputIteratorIbN2at6native12_GLOBAL__N_19NonZeroOpIN3c107complexIdEEEEPKSL_lEENS0_5tupleIJPlS6_EEENSQ_IJSD_SD_EEES6_PiJS6_EEE10hipError_tPvRmT3_T4_T5_T6_T7_T9_mT8_P12ihipStream_tbDpT10_ENKUlT_T0_E_clISt17integral_constantIbLb1EES1D_IbLb0EEEEDaS19_S1A_EUlS19_E_NS1_11comp_targetILNS1_3genE9ELNS1_11target_archE1100ELNS1_3gpuE3ELNS1_3repE0EEENS1_30default_config_static_selectorELNS0_4arch9wavefront6targetE0EEEvT1_.uses_flat_scratch, 0
	.set _ZN7rocprim17ROCPRIM_400000_NS6detail17trampoline_kernelINS0_14default_configENS1_25partition_config_selectorILNS1_17partition_subalgoE5ElNS0_10empty_typeEbEEZZNS1_14partition_implILS5_5ELb0ES3_mN6hipcub16HIPCUB_304000_NS21CountingInputIteratorIllEEPS6_NSA_22TransformInputIteratorIbN2at6native12_GLOBAL__N_19NonZeroOpIN3c107complexIdEEEEPKSL_lEENS0_5tupleIJPlS6_EEENSQ_IJSD_SD_EEES6_PiJS6_EEE10hipError_tPvRmT3_T4_T5_T6_T7_T9_mT8_P12ihipStream_tbDpT10_ENKUlT_T0_E_clISt17integral_constantIbLb1EES1D_IbLb0EEEEDaS19_S1A_EUlS19_E_NS1_11comp_targetILNS1_3genE9ELNS1_11target_archE1100ELNS1_3gpuE3ELNS1_3repE0EEENS1_30default_config_static_selectorELNS0_4arch9wavefront6targetE0EEEvT1_.has_dyn_sized_stack, 0
	.set _ZN7rocprim17ROCPRIM_400000_NS6detail17trampoline_kernelINS0_14default_configENS1_25partition_config_selectorILNS1_17partition_subalgoE5ElNS0_10empty_typeEbEEZZNS1_14partition_implILS5_5ELb0ES3_mN6hipcub16HIPCUB_304000_NS21CountingInputIteratorIllEEPS6_NSA_22TransformInputIteratorIbN2at6native12_GLOBAL__N_19NonZeroOpIN3c107complexIdEEEEPKSL_lEENS0_5tupleIJPlS6_EEENSQ_IJSD_SD_EEES6_PiJS6_EEE10hipError_tPvRmT3_T4_T5_T6_T7_T9_mT8_P12ihipStream_tbDpT10_ENKUlT_T0_E_clISt17integral_constantIbLb1EES1D_IbLb0EEEEDaS19_S1A_EUlS19_E_NS1_11comp_targetILNS1_3genE9ELNS1_11target_archE1100ELNS1_3gpuE3ELNS1_3repE0EEENS1_30default_config_static_selectorELNS0_4arch9wavefront6targetE0EEEvT1_.has_recursion, 0
	.set _ZN7rocprim17ROCPRIM_400000_NS6detail17trampoline_kernelINS0_14default_configENS1_25partition_config_selectorILNS1_17partition_subalgoE5ElNS0_10empty_typeEbEEZZNS1_14partition_implILS5_5ELb0ES3_mN6hipcub16HIPCUB_304000_NS21CountingInputIteratorIllEEPS6_NSA_22TransformInputIteratorIbN2at6native12_GLOBAL__N_19NonZeroOpIN3c107complexIdEEEEPKSL_lEENS0_5tupleIJPlS6_EEENSQ_IJSD_SD_EEES6_PiJS6_EEE10hipError_tPvRmT3_T4_T5_T6_T7_T9_mT8_P12ihipStream_tbDpT10_ENKUlT_T0_E_clISt17integral_constantIbLb1EES1D_IbLb0EEEEDaS19_S1A_EUlS19_E_NS1_11comp_targetILNS1_3genE9ELNS1_11target_archE1100ELNS1_3gpuE3ELNS1_3repE0EEENS1_30default_config_static_selectorELNS0_4arch9wavefront6targetE0EEEvT1_.has_indirect_call, 0
	.section	.AMDGPU.csdata,"",@progbits
; Kernel info:
; codeLenInByte = 0
; TotalNumSgprs: 0
; NumVgprs: 0
; ScratchSize: 0
; MemoryBound: 0
; FloatMode: 240
; IeeeMode: 1
; LDSByteSize: 0 bytes/workgroup (compile time only)
; SGPRBlocks: 0
; VGPRBlocks: 0
; NumSGPRsForWavesPerEU: 1
; NumVGPRsForWavesPerEU: 1
; Occupancy: 16
; WaveLimiterHint : 0
; COMPUTE_PGM_RSRC2:SCRATCH_EN: 0
; COMPUTE_PGM_RSRC2:USER_SGPR: 2
; COMPUTE_PGM_RSRC2:TRAP_HANDLER: 0
; COMPUTE_PGM_RSRC2:TGID_X_EN: 1
; COMPUTE_PGM_RSRC2:TGID_Y_EN: 0
; COMPUTE_PGM_RSRC2:TGID_Z_EN: 0
; COMPUTE_PGM_RSRC2:TIDIG_COMP_CNT: 0
	.section	.text._ZN7rocprim17ROCPRIM_400000_NS6detail17trampoline_kernelINS0_14default_configENS1_25partition_config_selectorILNS1_17partition_subalgoE5ElNS0_10empty_typeEbEEZZNS1_14partition_implILS5_5ELb0ES3_mN6hipcub16HIPCUB_304000_NS21CountingInputIteratorIllEEPS6_NSA_22TransformInputIteratorIbN2at6native12_GLOBAL__N_19NonZeroOpIN3c107complexIdEEEEPKSL_lEENS0_5tupleIJPlS6_EEENSQ_IJSD_SD_EEES6_PiJS6_EEE10hipError_tPvRmT3_T4_T5_T6_T7_T9_mT8_P12ihipStream_tbDpT10_ENKUlT_T0_E_clISt17integral_constantIbLb1EES1D_IbLb0EEEEDaS19_S1A_EUlS19_E_NS1_11comp_targetILNS1_3genE8ELNS1_11target_archE1030ELNS1_3gpuE2ELNS1_3repE0EEENS1_30default_config_static_selectorELNS0_4arch9wavefront6targetE0EEEvT1_,"axG",@progbits,_ZN7rocprim17ROCPRIM_400000_NS6detail17trampoline_kernelINS0_14default_configENS1_25partition_config_selectorILNS1_17partition_subalgoE5ElNS0_10empty_typeEbEEZZNS1_14partition_implILS5_5ELb0ES3_mN6hipcub16HIPCUB_304000_NS21CountingInputIteratorIllEEPS6_NSA_22TransformInputIteratorIbN2at6native12_GLOBAL__N_19NonZeroOpIN3c107complexIdEEEEPKSL_lEENS0_5tupleIJPlS6_EEENSQ_IJSD_SD_EEES6_PiJS6_EEE10hipError_tPvRmT3_T4_T5_T6_T7_T9_mT8_P12ihipStream_tbDpT10_ENKUlT_T0_E_clISt17integral_constantIbLb1EES1D_IbLb0EEEEDaS19_S1A_EUlS19_E_NS1_11comp_targetILNS1_3genE8ELNS1_11target_archE1030ELNS1_3gpuE2ELNS1_3repE0EEENS1_30default_config_static_selectorELNS0_4arch9wavefront6targetE0EEEvT1_,comdat
	.globl	_ZN7rocprim17ROCPRIM_400000_NS6detail17trampoline_kernelINS0_14default_configENS1_25partition_config_selectorILNS1_17partition_subalgoE5ElNS0_10empty_typeEbEEZZNS1_14partition_implILS5_5ELb0ES3_mN6hipcub16HIPCUB_304000_NS21CountingInputIteratorIllEEPS6_NSA_22TransformInputIteratorIbN2at6native12_GLOBAL__N_19NonZeroOpIN3c107complexIdEEEEPKSL_lEENS0_5tupleIJPlS6_EEENSQ_IJSD_SD_EEES6_PiJS6_EEE10hipError_tPvRmT3_T4_T5_T6_T7_T9_mT8_P12ihipStream_tbDpT10_ENKUlT_T0_E_clISt17integral_constantIbLb1EES1D_IbLb0EEEEDaS19_S1A_EUlS19_E_NS1_11comp_targetILNS1_3genE8ELNS1_11target_archE1030ELNS1_3gpuE2ELNS1_3repE0EEENS1_30default_config_static_selectorELNS0_4arch9wavefront6targetE0EEEvT1_ ; -- Begin function _ZN7rocprim17ROCPRIM_400000_NS6detail17trampoline_kernelINS0_14default_configENS1_25partition_config_selectorILNS1_17partition_subalgoE5ElNS0_10empty_typeEbEEZZNS1_14partition_implILS5_5ELb0ES3_mN6hipcub16HIPCUB_304000_NS21CountingInputIteratorIllEEPS6_NSA_22TransformInputIteratorIbN2at6native12_GLOBAL__N_19NonZeroOpIN3c107complexIdEEEEPKSL_lEENS0_5tupleIJPlS6_EEENSQ_IJSD_SD_EEES6_PiJS6_EEE10hipError_tPvRmT3_T4_T5_T6_T7_T9_mT8_P12ihipStream_tbDpT10_ENKUlT_T0_E_clISt17integral_constantIbLb1EES1D_IbLb0EEEEDaS19_S1A_EUlS19_E_NS1_11comp_targetILNS1_3genE8ELNS1_11target_archE1030ELNS1_3gpuE2ELNS1_3repE0EEENS1_30default_config_static_selectorELNS0_4arch9wavefront6targetE0EEEvT1_
	.p2align	8
	.type	_ZN7rocprim17ROCPRIM_400000_NS6detail17trampoline_kernelINS0_14default_configENS1_25partition_config_selectorILNS1_17partition_subalgoE5ElNS0_10empty_typeEbEEZZNS1_14partition_implILS5_5ELb0ES3_mN6hipcub16HIPCUB_304000_NS21CountingInputIteratorIllEEPS6_NSA_22TransformInputIteratorIbN2at6native12_GLOBAL__N_19NonZeroOpIN3c107complexIdEEEEPKSL_lEENS0_5tupleIJPlS6_EEENSQ_IJSD_SD_EEES6_PiJS6_EEE10hipError_tPvRmT3_T4_T5_T6_T7_T9_mT8_P12ihipStream_tbDpT10_ENKUlT_T0_E_clISt17integral_constantIbLb1EES1D_IbLb0EEEEDaS19_S1A_EUlS19_E_NS1_11comp_targetILNS1_3genE8ELNS1_11target_archE1030ELNS1_3gpuE2ELNS1_3repE0EEENS1_30default_config_static_selectorELNS0_4arch9wavefront6targetE0EEEvT1_,@function
_ZN7rocprim17ROCPRIM_400000_NS6detail17trampoline_kernelINS0_14default_configENS1_25partition_config_selectorILNS1_17partition_subalgoE5ElNS0_10empty_typeEbEEZZNS1_14partition_implILS5_5ELb0ES3_mN6hipcub16HIPCUB_304000_NS21CountingInputIteratorIllEEPS6_NSA_22TransformInputIteratorIbN2at6native12_GLOBAL__N_19NonZeroOpIN3c107complexIdEEEEPKSL_lEENS0_5tupleIJPlS6_EEENSQ_IJSD_SD_EEES6_PiJS6_EEE10hipError_tPvRmT3_T4_T5_T6_T7_T9_mT8_P12ihipStream_tbDpT10_ENKUlT_T0_E_clISt17integral_constantIbLb1EES1D_IbLb0EEEEDaS19_S1A_EUlS19_E_NS1_11comp_targetILNS1_3genE8ELNS1_11target_archE1030ELNS1_3gpuE2ELNS1_3repE0EEENS1_30default_config_static_selectorELNS0_4arch9wavefront6targetE0EEEvT1_: ; @_ZN7rocprim17ROCPRIM_400000_NS6detail17trampoline_kernelINS0_14default_configENS1_25partition_config_selectorILNS1_17partition_subalgoE5ElNS0_10empty_typeEbEEZZNS1_14partition_implILS5_5ELb0ES3_mN6hipcub16HIPCUB_304000_NS21CountingInputIteratorIllEEPS6_NSA_22TransformInputIteratorIbN2at6native12_GLOBAL__N_19NonZeroOpIN3c107complexIdEEEEPKSL_lEENS0_5tupleIJPlS6_EEENSQ_IJSD_SD_EEES6_PiJS6_EEE10hipError_tPvRmT3_T4_T5_T6_T7_T9_mT8_P12ihipStream_tbDpT10_ENKUlT_T0_E_clISt17integral_constantIbLb1EES1D_IbLb0EEEEDaS19_S1A_EUlS19_E_NS1_11comp_targetILNS1_3genE8ELNS1_11target_archE1030ELNS1_3gpuE2ELNS1_3repE0EEENS1_30default_config_static_selectorELNS0_4arch9wavefront6targetE0EEEvT1_
; %bb.0:
	.section	.rodata,"a",@progbits
	.p2align	6, 0x0
	.amdhsa_kernel _ZN7rocprim17ROCPRIM_400000_NS6detail17trampoline_kernelINS0_14default_configENS1_25partition_config_selectorILNS1_17partition_subalgoE5ElNS0_10empty_typeEbEEZZNS1_14partition_implILS5_5ELb0ES3_mN6hipcub16HIPCUB_304000_NS21CountingInputIteratorIllEEPS6_NSA_22TransformInputIteratorIbN2at6native12_GLOBAL__N_19NonZeroOpIN3c107complexIdEEEEPKSL_lEENS0_5tupleIJPlS6_EEENSQ_IJSD_SD_EEES6_PiJS6_EEE10hipError_tPvRmT3_T4_T5_T6_T7_T9_mT8_P12ihipStream_tbDpT10_ENKUlT_T0_E_clISt17integral_constantIbLb1EES1D_IbLb0EEEEDaS19_S1A_EUlS19_E_NS1_11comp_targetILNS1_3genE8ELNS1_11target_archE1030ELNS1_3gpuE2ELNS1_3repE0EEENS1_30default_config_static_selectorELNS0_4arch9wavefront6targetE0EEEvT1_
		.amdhsa_group_segment_fixed_size 0
		.amdhsa_private_segment_fixed_size 0
		.amdhsa_kernarg_size 120
		.amdhsa_user_sgpr_count 2
		.amdhsa_user_sgpr_dispatch_ptr 0
		.amdhsa_user_sgpr_queue_ptr 0
		.amdhsa_user_sgpr_kernarg_segment_ptr 1
		.amdhsa_user_sgpr_dispatch_id 0
		.amdhsa_user_sgpr_private_segment_size 0
		.amdhsa_wavefront_size32 1
		.amdhsa_uses_dynamic_stack 0
		.amdhsa_enable_private_segment 0
		.amdhsa_system_sgpr_workgroup_id_x 1
		.amdhsa_system_sgpr_workgroup_id_y 0
		.amdhsa_system_sgpr_workgroup_id_z 0
		.amdhsa_system_sgpr_workgroup_info 0
		.amdhsa_system_vgpr_workitem_id 0
		.amdhsa_next_free_vgpr 1
		.amdhsa_next_free_sgpr 1
		.amdhsa_reserve_vcc 0
		.amdhsa_float_round_mode_32 0
		.amdhsa_float_round_mode_16_64 0
		.amdhsa_float_denorm_mode_32 3
		.amdhsa_float_denorm_mode_16_64 3
		.amdhsa_fp16_overflow 0
		.amdhsa_workgroup_processor_mode 1
		.amdhsa_memory_ordered 1
		.amdhsa_forward_progress 1
		.amdhsa_inst_pref_size 0
		.amdhsa_round_robin_scheduling 0
		.amdhsa_exception_fp_ieee_invalid_op 0
		.amdhsa_exception_fp_denorm_src 0
		.amdhsa_exception_fp_ieee_div_zero 0
		.amdhsa_exception_fp_ieee_overflow 0
		.amdhsa_exception_fp_ieee_underflow 0
		.amdhsa_exception_fp_ieee_inexact 0
		.amdhsa_exception_int_div_zero 0
	.end_amdhsa_kernel
	.section	.text._ZN7rocprim17ROCPRIM_400000_NS6detail17trampoline_kernelINS0_14default_configENS1_25partition_config_selectorILNS1_17partition_subalgoE5ElNS0_10empty_typeEbEEZZNS1_14partition_implILS5_5ELb0ES3_mN6hipcub16HIPCUB_304000_NS21CountingInputIteratorIllEEPS6_NSA_22TransformInputIteratorIbN2at6native12_GLOBAL__N_19NonZeroOpIN3c107complexIdEEEEPKSL_lEENS0_5tupleIJPlS6_EEENSQ_IJSD_SD_EEES6_PiJS6_EEE10hipError_tPvRmT3_T4_T5_T6_T7_T9_mT8_P12ihipStream_tbDpT10_ENKUlT_T0_E_clISt17integral_constantIbLb1EES1D_IbLb0EEEEDaS19_S1A_EUlS19_E_NS1_11comp_targetILNS1_3genE8ELNS1_11target_archE1030ELNS1_3gpuE2ELNS1_3repE0EEENS1_30default_config_static_selectorELNS0_4arch9wavefront6targetE0EEEvT1_,"axG",@progbits,_ZN7rocprim17ROCPRIM_400000_NS6detail17trampoline_kernelINS0_14default_configENS1_25partition_config_selectorILNS1_17partition_subalgoE5ElNS0_10empty_typeEbEEZZNS1_14partition_implILS5_5ELb0ES3_mN6hipcub16HIPCUB_304000_NS21CountingInputIteratorIllEEPS6_NSA_22TransformInputIteratorIbN2at6native12_GLOBAL__N_19NonZeroOpIN3c107complexIdEEEEPKSL_lEENS0_5tupleIJPlS6_EEENSQ_IJSD_SD_EEES6_PiJS6_EEE10hipError_tPvRmT3_T4_T5_T6_T7_T9_mT8_P12ihipStream_tbDpT10_ENKUlT_T0_E_clISt17integral_constantIbLb1EES1D_IbLb0EEEEDaS19_S1A_EUlS19_E_NS1_11comp_targetILNS1_3genE8ELNS1_11target_archE1030ELNS1_3gpuE2ELNS1_3repE0EEENS1_30default_config_static_selectorELNS0_4arch9wavefront6targetE0EEEvT1_,comdat
.Lfunc_end549:
	.size	_ZN7rocprim17ROCPRIM_400000_NS6detail17trampoline_kernelINS0_14default_configENS1_25partition_config_selectorILNS1_17partition_subalgoE5ElNS0_10empty_typeEbEEZZNS1_14partition_implILS5_5ELb0ES3_mN6hipcub16HIPCUB_304000_NS21CountingInputIteratorIllEEPS6_NSA_22TransformInputIteratorIbN2at6native12_GLOBAL__N_19NonZeroOpIN3c107complexIdEEEEPKSL_lEENS0_5tupleIJPlS6_EEENSQ_IJSD_SD_EEES6_PiJS6_EEE10hipError_tPvRmT3_T4_T5_T6_T7_T9_mT8_P12ihipStream_tbDpT10_ENKUlT_T0_E_clISt17integral_constantIbLb1EES1D_IbLb0EEEEDaS19_S1A_EUlS19_E_NS1_11comp_targetILNS1_3genE8ELNS1_11target_archE1030ELNS1_3gpuE2ELNS1_3repE0EEENS1_30default_config_static_selectorELNS0_4arch9wavefront6targetE0EEEvT1_, .Lfunc_end549-_ZN7rocprim17ROCPRIM_400000_NS6detail17trampoline_kernelINS0_14default_configENS1_25partition_config_selectorILNS1_17partition_subalgoE5ElNS0_10empty_typeEbEEZZNS1_14partition_implILS5_5ELb0ES3_mN6hipcub16HIPCUB_304000_NS21CountingInputIteratorIllEEPS6_NSA_22TransformInputIteratorIbN2at6native12_GLOBAL__N_19NonZeroOpIN3c107complexIdEEEEPKSL_lEENS0_5tupleIJPlS6_EEENSQ_IJSD_SD_EEES6_PiJS6_EEE10hipError_tPvRmT3_T4_T5_T6_T7_T9_mT8_P12ihipStream_tbDpT10_ENKUlT_T0_E_clISt17integral_constantIbLb1EES1D_IbLb0EEEEDaS19_S1A_EUlS19_E_NS1_11comp_targetILNS1_3genE8ELNS1_11target_archE1030ELNS1_3gpuE2ELNS1_3repE0EEENS1_30default_config_static_selectorELNS0_4arch9wavefront6targetE0EEEvT1_
                                        ; -- End function
	.set _ZN7rocprim17ROCPRIM_400000_NS6detail17trampoline_kernelINS0_14default_configENS1_25partition_config_selectorILNS1_17partition_subalgoE5ElNS0_10empty_typeEbEEZZNS1_14partition_implILS5_5ELb0ES3_mN6hipcub16HIPCUB_304000_NS21CountingInputIteratorIllEEPS6_NSA_22TransformInputIteratorIbN2at6native12_GLOBAL__N_19NonZeroOpIN3c107complexIdEEEEPKSL_lEENS0_5tupleIJPlS6_EEENSQ_IJSD_SD_EEES6_PiJS6_EEE10hipError_tPvRmT3_T4_T5_T6_T7_T9_mT8_P12ihipStream_tbDpT10_ENKUlT_T0_E_clISt17integral_constantIbLb1EES1D_IbLb0EEEEDaS19_S1A_EUlS19_E_NS1_11comp_targetILNS1_3genE8ELNS1_11target_archE1030ELNS1_3gpuE2ELNS1_3repE0EEENS1_30default_config_static_selectorELNS0_4arch9wavefront6targetE0EEEvT1_.num_vgpr, 0
	.set _ZN7rocprim17ROCPRIM_400000_NS6detail17trampoline_kernelINS0_14default_configENS1_25partition_config_selectorILNS1_17partition_subalgoE5ElNS0_10empty_typeEbEEZZNS1_14partition_implILS5_5ELb0ES3_mN6hipcub16HIPCUB_304000_NS21CountingInputIteratorIllEEPS6_NSA_22TransformInputIteratorIbN2at6native12_GLOBAL__N_19NonZeroOpIN3c107complexIdEEEEPKSL_lEENS0_5tupleIJPlS6_EEENSQ_IJSD_SD_EEES6_PiJS6_EEE10hipError_tPvRmT3_T4_T5_T6_T7_T9_mT8_P12ihipStream_tbDpT10_ENKUlT_T0_E_clISt17integral_constantIbLb1EES1D_IbLb0EEEEDaS19_S1A_EUlS19_E_NS1_11comp_targetILNS1_3genE8ELNS1_11target_archE1030ELNS1_3gpuE2ELNS1_3repE0EEENS1_30default_config_static_selectorELNS0_4arch9wavefront6targetE0EEEvT1_.num_agpr, 0
	.set _ZN7rocprim17ROCPRIM_400000_NS6detail17trampoline_kernelINS0_14default_configENS1_25partition_config_selectorILNS1_17partition_subalgoE5ElNS0_10empty_typeEbEEZZNS1_14partition_implILS5_5ELb0ES3_mN6hipcub16HIPCUB_304000_NS21CountingInputIteratorIllEEPS6_NSA_22TransformInputIteratorIbN2at6native12_GLOBAL__N_19NonZeroOpIN3c107complexIdEEEEPKSL_lEENS0_5tupleIJPlS6_EEENSQ_IJSD_SD_EEES6_PiJS6_EEE10hipError_tPvRmT3_T4_T5_T6_T7_T9_mT8_P12ihipStream_tbDpT10_ENKUlT_T0_E_clISt17integral_constantIbLb1EES1D_IbLb0EEEEDaS19_S1A_EUlS19_E_NS1_11comp_targetILNS1_3genE8ELNS1_11target_archE1030ELNS1_3gpuE2ELNS1_3repE0EEENS1_30default_config_static_selectorELNS0_4arch9wavefront6targetE0EEEvT1_.numbered_sgpr, 0
	.set _ZN7rocprim17ROCPRIM_400000_NS6detail17trampoline_kernelINS0_14default_configENS1_25partition_config_selectorILNS1_17partition_subalgoE5ElNS0_10empty_typeEbEEZZNS1_14partition_implILS5_5ELb0ES3_mN6hipcub16HIPCUB_304000_NS21CountingInputIteratorIllEEPS6_NSA_22TransformInputIteratorIbN2at6native12_GLOBAL__N_19NonZeroOpIN3c107complexIdEEEEPKSL_lEENS0_5tupleIJPlS6_EEENSQ_IJSD_SD_EEES6_PiJS6_EEE10hipError_tPvRmT3_T4_T5_T6_T7_T9_mT8_P12ihipStream_tbDpT10_ENKUlT_T0_E_clISt17integral_constantIbLb1EES1D_IbLb0EEEEDaS19_S1A_EUlS19_E_NS1_11comp_targetILNS1_3genE8ELNS1_11target_archE1030ELNS1_3gpuE2ELNS1_3repE0EEENS1_30default_config_static_selectorELNS0_4arch9wavefront6targetE0EEEvT1_.num_named_barrier, 0
	.set _ZN7rocprim17ROCPRIM_400000_NS6detail17trampoline_kernelINS0_14default_configENS1_25partition_config_selectorILNS1_17partition_subalgoE5ElNS0_10empty_typeEbEEZZNS1_14partition_implILS5_5ELb0ES3_mN6hipcub16HIPCUB_304000_NS21CountingInputIteratorIllEEPS6_NSA_22TransformInputIteratorIbN2at6native12_GLOBAL__N_19NonZeroOpIN3c107complexIdEEEEPKSL_lEENS0_5tupleIJPlS6_EEENSQ_IJSD_SD_EEES6_PiJS6_EEE10hipError_tPvRmT3_T4_T5_T6_T7_T9_mT8_P12ihipStream_tbDpT10_ENKUlT_T0_E_clISt17integral_constantIbLb1EES1D_IbLb0EEEEDaS19_S1A_EUlS19_E_NS1_11comp_targetILNS1_3genE8ELNS1_11target_archE1030ELNS1_3gpuE2ELNS1_3repE0EEENS1_30default_config_static_selectorELNS0_4arch9wavefront6targetE0EEEvT1_.private_seg_size, 0
	.set _ZN7rocprim17ROCPRIM_400000_NS6detail17trampoline_kernelINS0_14default_configENS1_25partition_config_selectorILNS1_17partition_subalgoE5ElNS0_10empty_typeEbEEZZNS1_14partition_implILS5_5ELb0ES3_mN6hipcub16HIPCUB_304000_NS21CountingInputIteratorIllEEPS6_NSA_22TransformInputIteratorIbN2at6native12_GLOBAL__N_19NonZeroOpIN3c107complexIdEEEEPKSL_lEENS0_5tupleIJPlS6_EEENSQ_IJSD_SD_EEES6_PiJS6_EEE10hipError_tPvRmT3_T4_T5_T6_T7_T9_mT8_P12ihipStream_tbDpT10_ENKUlT_T0_E_clISt17integral_constantIbLb1EES1D_IbLb0EEEEDaS19_S1A_EUlS19_E_NS1_11comp_targetILNS1_3genE8ELNS1_11target_archE1030ELNS1_3gpuE2ELNS1_3repE0EEENS1_30default_config_static_selectorELNS0_4arch9wavefront6targetE0EEEvT1_.uses_vcc, 0
	.set _ZN7rocprim17ROCPRIM_400000_NS6detail17trampoline_kernelINS0_14default_configENS1_25partition_config_selectorILNS1_17partition_subalgoE5ElNS0_10empty_typeEbEEZZNS1_14partition_implILS5_5ELb0ES3_mN6hipcub16HIPCUB_304000_NS21CountingInputIteratorIllEEPS6_NSA_22TransformInputIteratorIbN2at6native12_GLOBAL__N_19NonZeroOpIN3c107complexIdEEEEPKSL_lEENS0_5tupleIJPlS6_EEENSQ_IJSD_SD_EEES6_PiJS6_EEE10hipError_tPvRmT3_T4_T5_T6_T7_T9_mT8_P12ihipStream_tbDpT10_ENKUlT_T0_E_clISt17integral_constantIbLb1EES1D_IbLb0EEEEDaS19_S1A_EUlS19_E_NS1_11comp_targetILNS1_3genE8ELNS1_11target_archE1030ELNS1_3gpuE2ELNS1_3repE0EEENS1_30default_config_static_selectorELNS0_4arch9wavefront6targetE0EEEvT1_.uses_flat_scratch, 0
	.set _ZN7rocprim17ROCPRIM_400000_NS6detail17trampoline_kernelINS0_14default_configENS1_25partition_config_selectorILNS1_17partition_subalgoE5ElNS0_10empty_typeEbEEZZNS1_14partition_implILS5_5ELb0ES3_mN6hipcub16HIPCUB_304000_NS21CountingInputIteratorIllEEPS6_NSA_22TransformInputIteratorIbN2at6native12_GLOBAL__N_19NonZeroOpIN3c107complexIdEEEEPKSL_lEENS0_5tupleIJPlS6_EEENSQ_IJSD_SD_EEES6_PiJS6_EEE10hipError_tPvRmT3_T4_T5_T6_T7_T9_mT8_P12ihipStream_tbDpT10_ENKUlT_T0_E_clISt17integral_constantIbLb1EES1D_IbLb0EEEEDaS19_S1A_EUlS19_E_NS1_11comp_targetILNS1_3genE8ELNS1_11target_archE1030ELNS1_3gpuE2ELNS1_3repE0EEENS1_30default_config_static_selectorELNS0_4arch9wavefront6targetE0EEEvT1_.has_dyn_sized_stack, 0
	.set _ZN7rocprim17ROCPRIM_400000_NS6detail17trampoline_kernelINS0_14default_configENS1_25partition_config_selectorILNS1_17partition_subalgoE5ElNS0_10empty_typeEbEEZZNS1_14partition_implILS5_5ELb0ES3_mN6hipcub16HIPCUB_304000_NS21CountingInputIteratorIllEEPS6_NSA_22TransformInputIteratorIbN2at6native12_GLOBAL__N_19NonZeroOpIN3c107complexIdEEEEPKSL_lEENS0_5tupleIJPlS6_EEENSQ_IJSD_SD_EEES6_PiJS6_EEE10hipError_tPvRmT3_T4_T5_T6_T7_T9_mT8_P12ihipStream_tbDpT10_ENKUlT_T0_E_clISt17integral_constantIbLb1EES1D_IbLb0EEEEDaS19_S1A_EUlS19_E_NS1_11comp_targetILNS1_3genE8ELNS1_11target_archE1030ELNS1_3gpuE2ELNS1_3repE0EEENS1_30default_config_static_selectorELNS0_4arch9wavefront6targetE0EEEvT1_.has_recursion, 0
	.set _ZN7rocprim17ROCPRIM_400000_NS6detail17trampoline_kernelINS0_14default_configENS1_25partition_config_selectorILNS1_17partition_subalgoE5ElNS0_10empty_typeEbEEZZNS1_14partition_implILS5_5ELb0ES3_mN6hipcub16HIPCUB_304000_NS21CountingInputIteratorIllEEPS6_NSA_22TransformInputIteratorIbN2at6native12_GLOBAL__N_19NonZeroOpIN3c107complexIdEEEEPKSL_lEENS0_5tupleIJPlS6_EEENSQ_IJSD_SD_EEES6_PiJS6_EEE10hipError_tPvRmT3_T4_T5_T6_T7_T9_mT8_P12ihipStream_tbDpT10_ENKUlT_T0_E_clISt17integral_constantIbLb1EES1D_IbLb0EEEEDaS19_S1A_EUlS19_E_NS1_11comp_targetILNS1_3genE8ELNS1_11target_archE1030ELNS1_3gpuE2ELNS1_3repE0EEENS1_30default_config_static_selectorELNS0_4arch9wavefront6targetE0EEEvT1_.has_indirect_call, 0
	.section	.AMDGPU.csdata,"",@progbits
; Kernel info:
; codeLenInByte = 0
; TotalNumSgprs: 0
; NumVgprs: 0
; ScratchSize: 0
; MemoryBound: 0
; FloatMode: 240
; IeeeMode: 1
; LDSByteSize: 0 bytes/workgroup (compile time only)
; SGPRBlocks: 0
; VGPRBlocks: 0
; NumSGPRsForWavesPerEU: 1
; NumVGPRsForWavesPerEU: 1
; Occupancy: 16
; WaveLimiterHint : 0
; COMPUTE_PGM_RSRC2:SCRATCH_EN: 0
; COMPUTE_PGM_RSRC2:USER_SGPR: 2
; COMPUTE_PGM_RSRC2:TRAP_HANDLER: 0
; COMPUTE_PGM_RSRC2:TGID_X_EN: 1
; COMPUTE_PGM_RSRC2:TGID_Y_EN: 0
; COMPUTE_PGM_RSRC2:TGID_Z_EN: 0
; COMPUTE_PGM_RSRC2:TIDIG_COMP_CNT: 0
	.section	.text._ZN7rocprim17ROCPRIM_400000_NS6detail17trampoline_kernelINS0_14default_configENS1_25partition_config_selectorILNS1_17partition_subalgoE5ElNS0_10empty_typeEbEEZZNS1_14partition_implILS5_5ELb0ES3_mN6hipcub16HIPCUB_304000_NS21CountingInputIteratorIllEEPS6_NSA_22TransformInputIteratorIbN2at6native12_GLOBAL__N_19NonZeroOpIN3c107complexIdEEEEPKSL_lEENS0_5tupleIJPlS6_EEENSQ_IJSD_SD_EEES6_PiJS6_EEE10hipError_tPvRmT3_T4_T5_T6_T7_T9_mT8_P12ihipStream_tbDpT10_ENKUlT_T0_E_clISt17integral_constantIbLb0EES1D_IbLb1EEEEDaS19_S1A_EUlS19_E_NS1_11comp_targetILNS1_3genE0ELNS1_11target_archE4294967295ELNS1_3gpuE0ELNS1_3repE0EEENS1_30default_config_static_selectorELNS0_4arch9wavefront6targetE0EEEvT1_,"axG",@progbits,_ZN7rocprim17ROCPRIM_400000_NS6detail17trampoline_kernelINS0_14default_configENS1_25partition_config_selectorILNS1_17partition_subalgoE5ElNS0_10empty_typeEbEEZZNS1_14partition_implILS5_5ELb0ES3_mN6hipcub16HIPCUB_304000_NS21CountingInputIteratorIllEEPS6_NSA_22TransformInputIteratorIbN2at6native12_GLOBAL__N_19NonZeroOpIN3c107complexIdEEEEPKSL_lEENS0_5tupleIJPlS6_EEENSQ_IJSD_SD_EEES6_PiJS6_EEE10hipError_tPvRmT3_T4_T5_T6_T7_T9_mT8_P12ihipStream_tbDpT10_ENKUlT_T0_E_clISt17integral_constantIbLb0EES1D_IbLb1EEEEDaS19_S1A_EUlS19_E_NS1_11comp_targetILNS1_3genE0ELNS1_11target_archE4294967295ELNS1_3gpuE0ELNS1_3repE0EEENS1_30default_config_static_selectorELNS0_4arch9wavefront6targetE0EEEvT1_,comdat
	.globl	_ZN7rocprim17ROCPRIM_400000_NS6detail17trampoline_kernelINS0_14default_configENS1_25partition_config_selectorILNS1_17partition_subalgoE5ElNS0_10empty_typeEbEEZZNS1_14partition_implILS5_5ELb0ES3_mN6hipcub16HIPCUB_304000_NS21CountingInputIteratorIllEEPS6_NSA_22TransformInputIteratorIbN2at6native12_GLOBAL__N_19NonZeroOpIN3c107complexIdEEEEPKSL_lEENS0_5tupleIJPlS6_EEENSQ_IJSD_SD_EEES6_PiJS6_EEE10hipError_tPvRmT3_T4_T5_T6_T7_T9_mT8_P12ihipStream_tbDpT10_ENKUlT_T0_E_clISt17integral_constantIbLb0EES1D_IbLb1EEEEDaS19_S1A_EUlS19_E_NS1_11comp_targetILNS1_3genE0ELNS1_11target_archE4294967295ELNS1_3gpuE0ELNS1_3repE0EEENS1_30default_config_static_selectorELNS0_4arch9wavefront6targetE0EEEvT1_ ; -- Begin function _ZN7rocprim17ROCPRIM_400000_NS6detail17trampoline_kernelINS0_14default_configENS1_25partition_config_selectorILNS1_17partition_subalgoE5ElNS0_10empty_typeEbEEZZNS1_14partition_implILS5_5ELb0ES3_mN6hipcub16HIPCUB_304000_NS21CountingInputIteratorIllEEPS6_NSA_22TransformInputIteratorIbN2at6native12_GLOBAL__N_19NonZeroOpIN3c107complexIdEEEEPKSL_lEENS0_5tupleIJPlS6_EEENSQ_IJSD_SD_EEES6_PiJS6_EEE10hipError_tPvRmT3_T4_T5_T6_T7_T9_mT8_P12ihipStream_tbDpT10_ENKUlT_T0_E_clISt17integral_constantIbLb0EES1D_IbLb1EEEEDaS19_S1A_EUlS19_E_NS1_11comp_targetILNS1_3genE0ELNS1_11target_archE4294967295ELNS1_3gpuE0ELNS1_3repE0EEENS1_30default_config_static_selectorELNS0_4arch9wavefront6targetE0EEEvT1_
	.p2align	8
	.type	_ZN7rocprim17ROCPRIM_400000_NS6detail17trampoline_kernelINS0_14default_configENS1_25partition_config_selectorILNS1_17partition_subalgoE5ElNS0_10empty_typeEbEEZZNS1_14partition_implILS5_5ELb0ES3_mN6hipcub16HIPCUB_304000_NS21CountingInputIteratorIllEEPS6_NSA_22TransformInputIteratorIbN2at6native12_GLOBAL__N_19NonZeroOpIN3c107complexIdEEEEPKSL_lEENS0_5tupleIJPlS6_EEENSQ_IJSD_SD_EEES6_PiJS6_EEE10hipError_tPvRmT3_T4_T5_T6_T7_T9_mT8_P12ihipStream_tbDpT10_ENKUlT_T0_E_clISt17integral_constantIbLb0EES1D_IbLb1EEEEDaS19_S1A_EUlS19_E_NS1_11comp_targetILNS1_3genE0ELNS1_11target_archE4294967295ELNS1_3gpuE0ELNS1_3repE0EEENS1_30default_config_static_selectorELNS0_4arch9wavefront6targetE0EEEvT1_,@function
_ZN7rocprim17ROCPRIM_400000_NS6detail17trampoline_kernelINS0_14default_configENS1_25partition_config_selectorILNS1_17partition_subalgoE5ElNS0_10empty_typeEbEEZZNS1_14partition_implILS5_5ELb0ES3_mN6hipcub16HIPCUB_304000_NS21CountingInputIteratorIllEEPS6_NSA_22TransformInputIteratorIbN2at6native12_GLOBAL__N_19NonZeroOpIN3c107complexIdEEEEPKSL_lEENS0_5tupleIJPlS6_EEENSQ_IJSD_SD_EEES6_PiJS6_EEE10hipError_tPvRmT3_T4_T5_T6_T7_T9_mT8_P12ihipStream_tbDpT10_ENKUlT_T0_E_clISt17integral_constantIbLb0EES1D_IbLb1EEEEDaS19_S1A_EUlS19_E_NS1_11comp_targetILNS1_3genE0ELNS1_11target_archE4294967295ELNS1_3gpuE0ELNS1_3repE0EEENS1_30default_config_static_selectorELNS0_4arch9wavefront6targetE0EEEvT1_: ; @_ZN7rocprim17ROCPRIM_400000_NS6detail17trampoline_kernelINS0_14default_configENS1_25partition_config_selectorILNS1_17partition_subalgoE5ElNS0_10empty_typeEbEEZZNS1_14partition_implILS5_5ELb0ES3_mN6hipcub16HIPCUB_304000_NS21CountingInputIteratorIllEEPS6_NSA_22TransformInputIteratorIbN2at6native12_GLOBAL__N_19NonZeroOpIN3c107complexIdEEEEPKSL_lEENS0_5tupleIJPlS6_EEENSQ_IJSD_SD_EEES6_PiJS6_EEE10hipError_tPvRmT3_T4_T5_T6_T7_T9_mT8_P12ihipStream_tbDpT10_ENKUlT_T0_E_clISt17integral_constantIbLb0EES1D_IbLb1EEEEDaS19_S1A_EUlS19_E_NS1_11comp_targetILNS1_3genE0ELNS1_11target_archE4294967295ELNS1_3gpuE0ELNS1_3repE0EEENS1_30default_config_static_selectorELNS0_4arch9wavefront6targetE0EEEvT1_
; %bb.0:
	.section	.rodata,"a",@progbits
	.p2align	6, 0x0
	.amdhsa_kernel _ZN7rocprim17ROCPRIM_400000_NS6detail17trampoline_kernelINS0_14default_configENS1_25partition_config_selectorILNS1_17partition_subalgoE5ElNS0_10empty_typeEbEEZZNS1_14partition_implILS5_5ELb0ES3_mN6hipcub16HIPCUB_304000_NS21CountingInputIteratorIllEEPS6_NSA_22TransformInputIteratorIbN2at6native12_GLOBAL__N_19NonZeroOpIN3c107complexIdEEEEPKSL_lEENS0_5tupleIJPlS6_EEENSQ_IJSD_SD_EEES6_PiJS6_EEE10hipError_tPvRmT3_T4_T5_T6_T7_T9_mT8_P12ihipStream_tbDpT10_ENKUlT_T0_E_clISt17integral_constantIbLb0EES1D_IbLb1EEEEDaS19_S1A_EUlS19_E_NS1_11comp_targetILNS1_3genE0ELNS1_11target_archE4294967295ELNS1_3gpuE0ELNS1_3repE0EEENS1_30default_config_static_selectorELNS0_4arch9wavefront6targetE0EEEvT1_
		.amdhsa_group_segment_fixed_size 0
		.amdhsa_private_segment_fixed_size 0
		.amdhsa_kernarg_size 136
		.amdhsa_user_sgpr_count 2
		.amdhsa_user_sgpr_dispatch_ptr 0
		.amdhsa_user_sgpr_queue_ptr 0
		.amdhsa_user_sgpr_kernarg_segment_ptr 1
		.amdhsa_user_sgpr_dispatch_id 0
		.amdhsa_user_sgpr_private_segment_size 0
		.amdhsa_wavefront_size32 1
		.amdhsa_uses_dynamic_stack 0
		.amdhsa_enable_private_segment 0
		.amdhsa_system_sgpr_workgroup_id_x 1
		.amdhsa_system_sgpr_workgroup_id_y 0
		.amdhsa_system_sgpr_workgroup_id_z 0
		.amdhsa_system_sgpr_workgroup_info 0
		.amdhsa_system_vgpr_workitem_id 0
		.amdhsa_next_free_vgpr 1
		.amdhsa_next_free_sgpr 1
		.amdhsa_reserve_vcc 0
		.amdhsa_float_round_mode_32 0
		.amdhsa_float_round_mode_16_64 0
		.amdhsa_float_denorm_mode_32 3
		.amdhsa_float_denorm_mode_16_64 3
		.amdhsa_fp16_overflow 0
		.amdhsa_workgroup_processor_mode 1
		.amdhsa_memory_ordered 1
		.amdhsa_forward_progress 1
		.amdhsa_inst_pref_size 0
		.amdhsa_round_robin_scheduling 0
		.amdhsa_exception_fp_ieee_invalid_op 0
		.amdhsa_exception_fp_denorm_src 0
		.amdhsa_exception_fp_ieee_div_zero 0
		.amdhsa_exception_fp_ieee_overflow 0
		.amdhsa_exception_fp_ieee_underflow 0
		.amdhsa_exception_fp_ieee_inexact 0
		.amdhsa_exception_int_div_zero 0
	.end_amdhsa_kernel
	.section	.text._ZN7rocprim17ROCPRIM_400000_NS6detail17trampoline_kernelINS0_14default_configENS1_25partition_config_selectorILNS1_17partition_subalgoE5ElNS0_10empty_typeEbEEZZNS1_14partition_implILS5_5ELb0ES3_mN6hipcub16HIPCUB_304000_NS21CountingInputIteratorIllEEPS6_NSA_22TransformInputIteratorIbN2at6native12_GLOBAL__N_19NonZeroOpIN3c107complexIdEEEEPKSL_lEENS0_5tupleIJPlS6_EEENSQ_IJSD_SD_EEES6_PiJS6_EEE10hipError_tPvRmT3_T4_T5_T6_T7_T9_mT8_P12ihipStream_tbDpT10_ENKUlT_T0_E_clISt17integral_constantIbLb0EES1D_IbLb1EEEEDaS19_S1A_EUlS19_E_NS1_11comp_targetILNS1_3genE0ELNS1_11target_archE4294967295ELNS1_3gpuE0ELNS1_3repE0EEENS1_30default_config_static_selectorELNS0_4arch9wavefront6targetE0EEEvT1_,"axG",@progbits,_ZN7rocprim17ROCPRIM_400000_NS6detail17trampoline_kernelINS0_14default_configENS1_25partition_config_selectorILNS1_17partition_subalgoE5ElNS0_10empty_typeEbEEZZNS1_14partition_implILS5_5ELb0ES3_mN6hipcub16HIPCUB_304000_NS21CountingInputIteratorIllEEPS6_NSA_22TransformInputIteratorIbN2at6native12_GLOBAL__N_19NonZeroOpIN3c107complexIdEEEEPKSL_lEENS0_5tupleIJPlS6_EEENSQ_IJSD_SD_EEES6_PiJS6_EEE10hipError_tPvRmT3_T4_T5_T6_T7_T9_mT8_P12ihipStream_tbDpT10_ENKUlT_T0_E_clISt17integral_constantIbLb0EES1D_IbLb1EEEEDaS19_S1A_EUlS19_E_NS1_11comp_targetILNS1_3genE0ELNS1_11target_archE4294967295ELNS1_3gpuE0ELNS1_3repE0EEENS1_30default_config_static_selectorELNS0_4arch9wavefront6targetE0EEEvT1_,comdat
.Lfunc_end550:
	.size	_ZN7rocprim17ROCPRIM_400000_NS6detail17trampoline_kernelINS0_14default_configENS1_25partition_config_selectorILNS1_17partition_subalgoE5ElNS0_10empty_typeEbEEZZNS1_14partition_implILS5_5ELb0ES3_mN6hipcub16HIPCUB_304000_NS21CountingInputIteratorIllEEPS6_NSA_22TransformInputIteratorIbN2at6native12_GLOBAL__N_19NonZeroOpIN3c107complexIdEEEEPKSL_lEENS0_5tupleIJPlS6_EEENSQ_IJSD_SD_EEES6_PiJS6_EEE10hipError_tPvRmT3_T4_T5_T6_T7_T9_mT8_P12ihipStream_tbDpT10_ENKUlT_T0_E_clISt17integral_constantIbLb0EES1D_IbLb1EEEEDaS19_S1A_EUlS19_E_NS1_11comp_targetILNS1_3genE0ELNS1_11target_archE4294967295ELNS1_3gpuE0ELNS1_3repE0EEENS1_30default_config_static_selectorELNS0_4arch9wavefront6targetE0EEEvT1_, .Lfunc_end550-_ZN7rocprim17ROCPRIM_400000_NS6detail17trampoline_kernelINS0_14default_configENS1_25partition_config_selectorILNS1_17partition_subalgoE5ElNS0_10empty_typeEbEEZZNS1_14partition_implILS5_5ELb0ES3_mN6hipcub16HIPCUB_304000_NS21CountingInputIteratorIllEEPS6_NSA_22TransformInputIteratorIbN2at6native12_GLOBAL__N_19NonZeroOpIN3c107complexIdEEEEPKSL_lEENS0_5tupleIJPlS6_EEENSQ_IJSD_SD_EEES6_PiJS6_EEE10hipError_tPvRmT3_T4_T5_T6_T7_T9_mT8_P12ihipStream_tbDpT10_ENKUlT_T0_E_clISt17integral_constantIbLb0EES1D_IbLb1EEEEDaS19_S1A_EUlS19_E_NS1_11comp_targetILNS1_3genE0ELNS1_11target_archE4294967295ELNS1_3gpuE0ELNS1_3repE0EEENS1_30default_config_static_selectorELNS0_4arch9wavefront6targetE0EEEvT1_
                                        ; -- End function
	.set _ZN7rocprim17ROCPRIM_400000_NS6detail17trampoline_kernelINS0_14default_configENS1_25partition_config_selectorILNS1_17partition_subalgoE5ElNS0_10empty_typeEbEEZZNS1_14partition_implILS5_5ELb0ES3_mN6hipcub16HIPCUB_304000_NS21CountingInputIteratorIllEEPS6_NSA_22TransformInputIteratorIbN2at6native12_GLOBAL__N_19NonZeroOpIN3c107complexIdEEEEPKSL_lEENS0_5tupleIJPlS6_EEENSQ_IJSD_SD_EEES6_PiJS6_EEE10hipError_tPvRmT3_T4_T5_T6_T7_T9_mT8_P12ihipStream_tbDpT10_ENKUlT_T0_E_clISt17integral_constantIbLb0EES1D_IbLb1EEEEDaS19_S1A_EUlS19_E_NS1_11comp_targetILNS1_3genE0ELNS1_11target_archE4294967295ELNS1_3gpuE0ELNS1_3repE0EEENS1_30default_config_static_selectorELNS0_4arch9wavefront6targetE0EEEvT1_.num_vgpr, 0
	.set _ZN7rocprim17ROCPRIM_400000_NS6detail17trampoline_kernelINS0_14default_configENS1_25partition_config_selectorILNS1_17partition_subalgoE5ElNS0_10empty_typeEbEEZZNS1_14partition_implILS5_5ELb0ES3_mN6hipcub16HIPCUB_304000_NS21CountingInputIteratorIllEEPS6_NSA_22TransformInputIteratorIbN2at6native12_GLOBAL__N_19NonZeroOpIN3c107complexIdEEEEPKSL_lEENS0_5tupleIJPlS6_EEENSQ_IJSD_SD_EEES6_PiJS6_EEE10hipError_tPvRmT3_T4_T5_T6_T7_T9_mT8_P12ihipStream_tbDpT10_ENKUlT_T0_E_clISt17integral_constantIbLb0EES1D_IbLb1EEEEDaS19_S1A_EUlS19_E_NS1_11comp_targetILNS1_3genE0ELNS1_11target_archE4294967295ELNS1_3gpuE0ELNS1_3repE0EEENS1_30default_config_static_selectorELNS0_4arch9wavefront6targetE0EEEvT1_.num_agpr, 0
	.set _ZN7rocprim17ROCPRIM_400000_NS6detail17trampoline_kernelINS0_14default_configENS1_25partition_config_selectorILNS1_17partition_subalgoE5ElNS0_10empty_typeEbEEZZNS1_14partition_implILS5_5ELb0ES3_mN6hipcub16HIPCUB_304000_NS21CountingInputIteratorIllEEPS6_NSA_22TransformInputIteratorIbN2at6native12_GLOBAL__N_19NonZeroOpIN3c107complexIdEEEEPKSL_lEENS0_5tupleIJPlS6_EEENSQ_IJSD_SD_EEES6_PiJS6_EEE10hipError_tPvRmT3_T4_T5_T6_T7_T9_mT8_P12ihipStream_tbDpT10_ENKUlT_T0_E_clISt17integral_constantIbLb0EES1D_IbLb1EEEEDaS19_S1A_EUlS19_E_NS1_11comp_targetILNS1_3genE0ELNS1_11target_archE4294967295ELNS1_3gpuE0ELNS1_3repE0EEENS1_30default_config_static_selectorELNS0_4arch9wavefront6targetE0EEEvT1_.numbered_sgpr, 0
	.set _ZN7rocprim17ROCPRIM_400000_NS6detail17trampoline_kernelINS0_14default_configENS1_25partition_config_selectorILNS1_17partition_subalgoE5ElNS0_10empty_typeEbEEZZNS1_14partition_implILS5_5ELb0ES3_mN6hipcub16HIPCUB_304000_NS21CountingInputIteratorIllEEPS6_NSA_22TransformInputIteratorIbN2at6native12_GLOBAL__N_19NonZeroOpIN3c107complexIdEEEEPKSL_lEENS0_5tupleIJPlS6_EEENSQ_IJSD_SD_EEES6_PiJS6_EEE10hipError_tPvRmT3_T4_T5_T6_T7_T9_mT8_P12ihipStream_tbDpT10_ENKUlT_T0_E_clISt17integral_constantIbLb0EES1D_IbLb1EEEEDaS19_S1A_EUlS19_E_NS1_11comp_targetILNS1_3genE0ELNS1_11target_archE4294967295ELNS1_3gpuE0ELNS1_3repE0EEENS1_30default_config_static_selectorELNS0_4arch9wavefront6targetE0EEEvT1_.num_named_barrier, 0
	.set _ZN7rocprim17ROCPRIM_400000_NS6detail17trampoline_kernelINS0_14default_configENS1_25partition_config_selectorILNS1_17partition_subalgoE5ElNS0_10empty_typeEbEEZZNS1_14partition_implILS5_5ELb0ES3_mN6hipcub16HIPCUB_304000_NS21CountingInputIteratorIllEEPS6_NSA_22TransformInputIteratorIbN2at6native12_GLOBAL__N_19NonZeroOpIN3c107complexIdEEEEPKSL_lEENS0_5tupleIJPlS6_EEENSQ_IJSD_SD_EEES6_PiJS6_EEE10hipError_tPvRmT3_T4_T5_T6_T7_T9_mT8_P12ihipStream_tbDpT10_ENKUlT_T0_E_clISt17integral_constantIbLb0EES1D_IbLb1EEEEDaS19_S1A_EUlS19_E_NS1_11comp_targetILNS1_3genE0ELNS1_11target_archE4294967295ELNS1_3gpuE0ELNS1_3repE0EEENS1_30default_config_static_selectorELNS0_4arch9wavefront6targetE0EEEvT1_.private_seg_size, 0
	.set _ZN7rocprim17ROCPRIM_400000_NS6detail17trampoline_kernelINS0_14default_configENS1_25partition_config_selectorILNS1_17partition_subalgoE5ElNS0_10empty_typeEbEEZZNS1_14partition_implILS5_5ELb0ES3_mN6hipcub16HIPCUB_304000_NS21CountingInputIteratorIllEEPS6_NSA_22TransformInputIteratorIbN2at6native12_GLOBAL__N_19NonZeroOpIN3c107complexIdEEEEPKSL_lEENS0_5tupleIJPlS6_EEENSQ_IJSD_SD_EEES6_PiJS6_EEE10hipError_tPvRmT3_T4_T5_T6_T7_T9_mT8_P12ihipStream_tbDpT10_ENKUlT_T0_E_clISt17integral_constantIbLb0EES1D_IbLb1EEEEDaS19_S1A_EUlS19_E_NS1_11comp_targetILNS1_3genE0ELNS1_11target_archE4294967295ELNS1_3gpuE0ELNS1_3repE0EEENS1_30default_config_static_selectorELNS0_4arch9wavefront6targetE0EEEvT1_.uses_vcc, 0
	.set _ZN7rocprim17ROCPRIM_400000_NS6detail17trampoline_kernelINS0_14default_configENS1_25partition_config_selectorILNS1_17partition_subalgoE5ElNS0_10empty_typeEbEEZZNS1_14partition_implILS5_5ELb0ES3_mN6hipcub16HIPCUB_304000_NS21CountingInputIteratorIllEEPS6_NSA_22TransformInputIteratorIbN2at6native12_GLOBAL__N_19NonZeroOpIN3c107complexIdEEEEPKSL_lEENS0_5tupleIJPlS6_EEENSQ_IJSD_SD_EEES6_PiJS6_EEE10hipError_tPvRmT3_T4_T5_T6_T7_T9_mT8_P12ihipStream_tbDpT10_ENKUlT_T0_E_clISt17integral_constantIbLb0EES1D_IbLb1EEEEDaS19_S1A_EUlS19_E_NS1_11comp_targetILNS1_3genE0ELNS1_11target_archE4294967295ELNS1_3gpuE0ELNS1_3repE0EEENS1_30default_config_static_selectorELNS0_4arch9wavefront6targetE0EEEvT1_.uses_flat_scratch, 0
	.set _ZN7rocprim17ROCPRIM_400000_NS6detail17trampoline_kernelINS0_14default_configENS1_25partition_config_selectorILNS1_17partition_subalgoE5ElNS0_10empty_typeEbEEZZNS1_14partition_implILS5_5ELb0ES3_mN6hipcub16HIPCUB_304000_NS21CountingInputIteratorIllEEPS6_NSA_22TransformInputIteratorIbN2at6native12_GLOBAL__N_19NonZeroOpIN3c107complexIdEEEEPKSL_lEENS0_5tupleIJPlS6_EEENSQ_IJSD_SD_EEES6_PiJS6_EEE10hipError_tPvRmT3_T4_T5_T6_T7_T9_mT8_P12ihipStream_tbDpT10_ENKUlT_T0_E_clISt17integral_constantIbLb0EES1D_IbLb1EEEEDaS19_S1A_EUlS19_E_NS1_11comp_targetILNS1_3genE0ELNS1_11target_archE4294967295ELNS1_3gpuE0ELNS1_3repE0EEENS1_30default_config_static_selectorELNS0_4arch9wavefront6targetE0EEEvT1_.has_dyn_sized_stack, 0
	.set _ZN7rocprim17ROCPRIM_400000_NS6detail17trampoline_kernelINS0_14default_configENS1_25partition_config_selectorILNS1_17partition_subalgoE5ElNS0_10empty_typeEbEEZZNS1_14partition_implILS5_5ELb0ES3_mN6hipcub16HIPCUB_304000_NS21CountingInputIteratorIllEEPS6_NSA_22TransformInputIteratorIbN2at6native12_GLOBAL__N_19NonZeroOpIN3c107complexIdEEEEPKSL_lEENS0_5tupleIJPlS6_EEENSQ_IJSD_SD_EEES6_PiJS6_EEE10hipError_tPvRmT3_T4_T5_T6_T7_T9_mT8_P12ihipStream_tbDpT10_ENKUlT_T0_E_clISt17integral_constantIbLb0EES1D_IbLb1EEEEDaS19_S1A_EUlS19_E_NS1_11comp_targetILNS1_3genE0ELNS1_11target_archE4294967295ELNS1_3gpuE0ELNS1_3repE0EEENS1_30default_config_static_selectorELNS0_4arch9wavefront6targetE0EEEvT1_.has_recursion, 0
	.set _ZN7rocprim17ROCPRIM_400000_NS6detail17trampoline_kernelINS0_14default_configENS1_25partition_config_selectorILNS1_17partition_subalgoE5ElNS0_10empty_typeEbEEZZNS1_14partition_implILS5_5ELb0ES3_mN6hipcub16HIPCUB_304000_NS21CountingInputIteratorIllEEPS6_NSA_22TransformInputIteratorIbN2at6native12_GLOBAL__N_19NonZeroOpIN3c107complexIdEEEEPKSL_lEENS0_5tupleIJPlS6_EEENSQ_IJSD_SD_EEES6_PiJS6_EEE10hipError_tPvRmT3_T4_T5_T6_T7_T9_mT8_P12ihipStream_tbDpT10_ENKUlT_T0_E_clISt17integral_constantIbLb0EES1D_IbLb1EEEEDaS19_S1A_EUlS19_E_NS1_11comp_targetILNS1_3genE0ELNS1_11target_archE4294967295ELNS1_3gpuE0ELNS1_3repE0EEENS1_30default_config_static_selectorELNS0_4arch9wavefront6targetE0EEEvT1_.has_indirect_call, 0
	.section	.AMDGPU.csdata,"",@progbits
; Kernel info:
; codeLenInByte = 0
; TotalNumSgprs: 0
; NumVgprs: 0
; ScratchSize: 0
; MemoryBound: 0
; FloatMode: 240
; IeeeMode: 1
; LDSByteSize: 0 bytes/workgroup (compile time only)
; SGPRBlocks: 0
; VGPRBlocks: 0
; NumSGPRsForWavesPerEU: 1
; NumVGPRsForWavesPerEU: 1
; Occupancy: 16
; WaveLimiterHint : 0
; COMPUTE_PGM_RSRC2:SCRATCH_EN: 0
; COMPUTE_PGM_RSRC2:USER_SGPR: 2
; COMPUTE_PGM_RSRC2:TRAP_HANDLER: 0
; COMPUTE_PGM_RSRC2:TGID_X_EN: 1
; COMPUTE_PGM_RSRC2:TGID_Y_EN: 0
; COMPUTE_PGM_RSRC2:TGID_Z_EN: 0
; COMPUTE_PGM_RSRC2:TIDIG_COMP_CNT: 0
	.section	.text._ZN7rocprim17ROCPRIM_400000_NS6detail17trampoline_kernelINS0_14default_configENS1_25partition_config_selectorILNS1_17partition_subalgoE5ElNS0_10empty_typeEbEEZZNS1_14partition_implILS5_5ELb0ES3_mN6hipcub16HIPCUB_304000_NS21CountingInputIteratorIllEEPS6_NSA_22TransformInputIteratorIbN2at6native12_GLOBAL__N_19NonZeroOpIN3c107complexIdEEEEPKSL_lEENS0_5tupleIJPlS6_EEENSQ_IJSD_SD_EEES6_PiJS6_EEE10hipError_tPvRmT3_T4_T5_T6_T7_T9_mT8_P12ihipStream_tbDpT10_ENKUlT_T0_E_clISt17integral_constantIbLb0EES1D_IbLb1EEEEDaS19_S1A_EUlS19_E_NS1_11comp_targetILNS1_3genE5ELNS1_11target_archE942ELNS1_3gpuE9ELNS1_3repE0EEENS1_30default_config_static_selectorELNS0_4arch9wavefront6targetE0EEEvT1_,"axG",@progbits,_ZN7rocprim17ROCPRIM_400000_NS6detail17trampoline_kernelINS0_14default_configENS1_25partition_config_selectorILNS1_17partition_subalgoE5ElNS0_10empty_typeEbEEZZNS1_14partition_implILS5_5ELb0ES3_mN6hipcub16HIPCUB_304000_NS21CountingInputIteratorIllEEPS6_NSA_22TransformInputIteratorIbN2at6native12_GLOBAL__N_19NonZeroOpIN3c107complexIdEEEEPKSL_lEENS0_5tupleIJPlS6_EEENSQ_IJSD_SD_EEES6_PiJS6_EEE10hipError_tPvRmT3_T4_T5_T6_T7_T9_mT8_P12ihipStream_tbDpT10_ENKUlT_T0_E_clISt17integral_constantIbLb0EES1D_IbLb1EEEEDaS19_S1A_EUlS19_E_NS1_11comp_targetILNS1_3genE5ELNS1_11target_archE942ELNS1_3gpuE9ELNS1_3repE0EEENS1_30default_config_static_selectorELNS0_4arch9wavefront6targetE0EEEvT1_,comdat
	.globl	_ZN7rocprim17ROCPRIM_400000_NS6detail17trampoline_kernelINS0_14default_configENS1_25partition_config_selectorILNS1_17partition_subalgoE5ElNS0_10empty_typeEbEEZZNS1_14partition_implILS5_5ELb0ES3_mN6hipcub16HIPCUB_304000_NS21CountingInputIteratorIllEEPS6_NSA_22TransformInputIteratorIbN2at6native12_GLOBAL__N_19NonZeroOpIN3c107complexIdEEEEPKSL_lEENS0_5tupleIJPlS6_EEENSQ_IJSD_SD_EEES6_PiJS6_EEE10hipError_tPvRmT3_T4_T5_T6_T7_T9_mT8_P12ihipStream_tbDpT10_ENKUlT_T0_E_clISt17integral_constantIbLb0EES1D_IbLb1EEEEDaS19_S1A_EUlS19_E_NS1_11comp_targetILNS1_3genE5ELNS1_11target_archE942ELNS1_3gpuE9ELNS1_3repE0EEENS1_30default_config_static_selectorELNS0_4arch9wavefront6targetE0EEEvT1_ ; -- Begin function _ZN7rocprim17ROCPRIM_400000_NS6detail17trampoline_kernelINS0_14default_configENS1_25partition_config_selectorILNS1_17partition_subalgoE5ElNS0_10empty_typeEbEEZZNS1_14partition_implILS5_5ELb0ES3_mN6hipcub16HIPCUB_304000_NS21CountingInputIteratorIllEEPS6_NSA_22TransformInputIteratorIbN2at6native12_GLOBAL__N_19NonZeroOpIN3c107complexIdEEEEPKSL_lEENS0_5tupleIJPlS6_EEENSQ_IJSD_SD_EEES6_PiJS6_EEE10hipError_tPvRmT3_T4_T5_T6_T7_T9_mT8_P12ihipStream_tbDpT10_ENKUlT_T0_E_clISt17integral_constantIbLb0EES1D_IbLb1EEEEDaS19_S1A_EUlS19_E_NS1_11comp_targetILNS1_3genE5ELNS1_11target_archE942ELNS1_3gpuE9ELNS1_3repE0EEENS1_30default_config_static_selectorELNS0_4arch9wavefront6targetE0EEEvT1_
	.p2align	8
	.type	_ZN7rocprim17ROCPRIM_400000_NS6detail17trampoline_kernelINS0_14default_configENS1_25partition_config_selectorILNS1_17partition_subalgoE5ElNS0_10empty_typeEbEEZZNS1_14partition_implILS5_5ELb0ES3_mN6hipcub16HIPCUB_304000_NS21CountingInputIteratorIllEEPS6_NSA_22TransformInputIteratorIbN2at6native12_GLOBAL__N_19NonZeroOpIN3c107complexIdEEEEPKSL_lEENS0_5tupleIJPlS6_EEENSQ_IJSD_SD_EEES6_PiJS6_EEE10hipError_tPvRmT3_T4_T5_T6_T7_T9_mT8_P12ihipStream_tbDpT10_ENKUlT_T0_E_clISt17integral_constantIbLb0EES1D_IbLb1EEEEDaS19_S1A_EUlS19_E_NS1_11comp_targetILNS1_3genE5ELNS1_11target_archE942ELNS1_3gpuE9ELNS1_3repE0EEENS1_30default_config_static_selectorELNS0_4arch9wavefront6targetE0EEEvT1_,@function
_ZN7rocprim17ROCPRIM_400000_NS6detail17trampoline_kernelINS0_14default_configENS1_25partition_config_selectorILNS1_17partition_subalgoE5ElNS0_10empty_typeEbEEZZNS1_14partition_implILS5_5ELb0ES3_mN6hipcub16HIPCUB_304000_NS21CountingInputIteratorIllEEPS6_NSA_22TransformInputIteratorIbN2at6native12_GLOBAL__N_19NonZeroOpIN3c107complexIdEEEEPKSL_lEENS0_5tupleIJPlS6_EEENSQ_IJSD_SD_EEES6_PiJS6_EEE10hipError_tPvRmT3_T4_T5_T6_T7_T9_mT8_P12ihipStream_tbDpT10_ENKUlT_T0_E_clISt17integral_constantIbLb0EES1D_IbLb1EEEEDaS19_S1A_EUlS19_E_NS1_11comp_targetILNS1_3genE5ELNS1_11target_archE942ELNS1_3gpuE9ELNS1_3repE0EEENS1_30default_config_static_selectorELNS0_4arch9wavefront6targetE0EEEvT1_: ; @_ZN7rocprim17ROCPRIM_400000_NS6detail17trampoline_kernelINS0_14default_configENS1_25partition_config_selectorILNS1_17partition_subalgoE5ElNS0_10empty_typeEbEEZZNS1_14partition_implILS5_5ELb0ES3_mN6hipcub16HIPCUB_304000_NS21CountingInputIteratorIllEEPS6_NSA_22TransformInputIteratorIbN2at6native12_GLOBAL__N_19NonZeroOpIN3c107complexIdEEEEPKSL_lEENS0_5tupleIJPlS6_EEENSQ_IJSD_SD_EEES6_PiJS6_EEE10hipError_tPvRmT3_T4_T5_T6_T7_T9_mT8_P12ihipStream_tbDpT10_ENKUlT_T0_E_clISt17integral_constantIbLb0EES1D_IbLb1EEEEDaS19_S1A_EUlS19_E_NS1_11comp_targetILNS1_3genE5ELNS1_11target_archE942ELNS1_3gpuE9ELNS1_3repE0EEENS1_30default_config_static_selectorELNS0_4arch9wavefront6targetE0EEEvT1_
; %bb.0:
	.section	.rodata,"a",@progbits
	.p2align	6, 0x0
	.amdhsa_kernel _ZN7rocprim17ROCPRIM_400000_NS6detail17trampoline_kernelINS0_14default_configENS1_25partition_config_selectorILNS1_17partition_subalgoE5ElNS0_10empty_typeEbEEZZNS1_14partition_implILS5_5ELb0ES3_mN6hipcub16HIPCUB_304000_NS21CountingInputIteratorIllEEPS6_NSA_22TransformInputIteratorIbN2at6native12_GLOBAL__N_19NonZeroOpIN3c107complexIdEEEEPKSL_lEENS0_5tupleIJPlS6_EEENSQ_IJSD_SD_EEES6_PiJS6_EEE10hipError_tPvRmT3_T4_T5_T6_T7_T9_mT8_P12ihipStream_tbDpT10_ENKUlT_T0_E_clISt17integral_constantIbLb0EES1D_IbLb1EEEEDaS19_S1A_EUlS19_E_NS1_11comp_targetILNS1_3genE5ELNS1_11target_archE942ELNS1_3gpuE9ELNS1_3repE0EEENS1_30default_config_static_selectorELNS0_4arch9wavefront6targetE0EEEvT1_
		.amdhsa_group_segment_fixed_size 0
		.amdhsa_private_segment_fixed_size 0
		.amdhsa_kernarg_size 136
		.amdhsa_user_sgpr_count 2
		.amdhsa_user_sgpr_dispatch_ptr 0
		.amdhsa_user_sgpr_queue_ptr 0
		.amdhsa_user_sgpr_kernarg_segment_ptr 1
		.amdhsa_user_sgpr_dispatch_id 0
		.amdhsa_user_sgpr_private_segment_size 0
		.amdhsa_wavefront_size32 1
		.amdhsa_uses_dynamic_stack 0
		.amdhsa_enable_private_segment 0
		.amdhsa_system_sgpr_workgroup_id_x 1
		.amdhsa_system_sgpr_workgroup_id_y 0
		.amdhsa_system_sgpr_workgroup_id_z 0
		.amdhsa_system_sgpr_workgroup_info 0
		.amdhsa_system_vgpr_workitem_id 0
		.amdhsa_next_free_vgpr 1
		.amdhsa_next_free_sgpr 1
		.amdhsa_reserve_vcc 0
		.amdhsa_float_round_mode_32 0
		.amdhsa_float_round_mode_16_64 0
		.amdhsa_float_denorm_mode_32 3
		.amdhsa_float_denorm_mode_16_64 3
		.amdhsa_fp16_overflow 0
		.amdhsa_workgroup_processor_mode 1
		.amdhsa_memory_ordered 1
		.amdhsa_forward_progress 1
		.amdhsa_inst_pref_size 0
		.amdhsa_round_robin_scheduling 0
		.amdhsa_exception_fp_ieee_invalid_op 0
		.amdhsa_exception_fp_denorm_src 0
		.amdhsa_exception_fp_ieee_div_zero 0
		.amdhsa_exception_fp_ieee_overflow 0
		.amdhsa_exception_fp_ieee_underflow 0
		.amdhsa_exception_fp_ieee_inexact 0
		.amdhsa_exception_int_div_zero 0
	.end_amdhsa_kernel
	.section	.text._ZN7rocprim17ROCPRIM_400000_NS6detail17trampoline_kernelINS0_14default_configENS1_25partition_config_selectorILNS1_17partition_subalgoE5ElNS0_10empty_typeEbEEZZNS1_14partition_implILS5_5ELb0ES3_mN6hipcub16HIPCUB_304000_NS21CountingInputIteratorIllEEPS6_NSA_22TransformInputIteratorIbN2at6native12_GLOBAL__N_19NonZeroOpIN3c107complexIdEEEEPKSL_lEENS0_5tupleIJPlS6_EEENSQ_IJSD_SD_EEES6_PiJS6_EEE10hipError_tPvRmT3_T4_T5_T6_T7_T9_mT8_P12ihipStream_tbDpT10_ENKUlT_T0_E_clISt17integral_constantIbLb0EES1D_IbLb1EEEEDaS19_S1A_EUlS19_E_NS1_11comp_targetILNS1_3genE5ELNS1_11target_archE942ELNS1_3gpuE9ELNS1_3repE0EEENS1_30default_config_static_selectorELNS0_4arch9wavefront6targetE0EEEvT1_,"axG",@progbits,_ZN7rocprim17ROCPRIM_400000_NS6detail17trampoline_kernelINS0_14default_configENS1_25partition_config_selectorILNS1_17partition_subalgoE5ElNS0_10empty_typeEbEEZZNS1_14partition_implILS5_5ELb0ES3_mN6hipcub16HIPCUB_304000_NS21CountingInputIteratorIllEEPS6_NSA_22TransformInputIteratorIbN2at6native12_GLOBAL__N_19NonZeroOpIN3c107complexIdEEEEPKSL_lEENS0_5tupleIJPlS6_EEENSQ_IJSD_SD_EEES6_PiJS6_EEE10hipError_tPvRmT3_T4_T5_T6_T7_T9_mT8_P12ihipStream_tbDpT10_ENKUlT_T0_E_clISt17integral_constantIbLb0EES1D_IbLb1EEEEDaS19_S1A_EUlS19_E_NS1_11comp_targetILNS1_3genE5ELNS1_11target_archE942ELNS1_3gpuE9ELNS1_3repE0EEENS1_30default_config_static_selectorELNS0_4arch9wavefront6targetE0EEEvT1_,comdat
.Lfunc_end551:
	.size	_ZN7rocprim17ROCPRIM_400000_NS6detail17trampoline_kernelINS0_14default_configENS1_25partition_config_selectorILNS1_17partition_subalgoE5ElNS0_10empty_typeEbEEZZNS1_14partition_implILS5_5ELb0ES3_mN6hipcub16HIPCUB_304000_NS21CountingInputIteratorIllEEPS6_NSA_22TransformInputIteratorIbN2at6native12_GLOBAL__N_19NonZeroOpIN3c107complexIdEEEEPKSL_lEENS0_5tupleIJPlS6_EEENSQ_IJSD_SD_EEES6_PiJS6_EEE10hipError_tPvRmT3_T4_T5_T6_T7_T9_mT8_P12ihipStream_tbDpT10_ENKUlT_T0_E_clISt17integral_constantIbLb0EES1D_IbLb1EEEEDaS19_S1A_EUlS19_E_NS1_11comp_targetILNS1_3genE5ELNS1_11target_archE942ELNS1_3gpuE9ELNS1_3repE0EEENS1_30default_config_static_selectorELNS0_4arch9wavefront6targetE0EEEvT1_, .Lfunc_end551-_ZN7rocprim17ROCPRIM_400000_NS6detail17trampoline_kernelINS0_14default_configENS1_25partition_config_selectorILNS1_17partition_subalgoE5ElNS0_10empty_typeEbEEZZNS1_14partition_implILS5_5ELb0ES3_mN6hipcub16HIPCUB_304000_NS21CountingInputIteratorIllEEPS6_NSA_22TransformInputIteratorIbN2at6native12_GLOBAL__N_19NonZeroOpIN3c107complexIdEEEEPKSL_lEENS0_5tupleIJPlS6_EEENSQ_IJSD_SD_EEES6_PiJS6_EEE10hipError_tPvRmT3_T4_T5_T6_T7_T9_mT8_P12ihipStream_tbDpT10_ENKUlT_T0_E_clISt17integral_constantIbLb0EES1D_IbLb1EEEEDaS19_S1A_EUlS19_E_NS1_11comp_targetILNS1_3genE5ELNS1_11target_archE942ELNS1_3gpuE9ELNS1_3repE0EEENS1_30default_config_static_selectorELNS0_4arch9wavefront6targetE0EEEvT1_
                                        ; -- End function
	.set _ZN7rocprim17ROCPRIM_400000_NS6detail17trampoline_kernelINS0_14default_configENS1_25partition_config_selectorILNS1_17partition_subalgoE5ElNS0_10empty_typeEbEEZZNS1_14partition_implILS5_5ELb0ES3_mN6hipcub16HIPCUB_304000_NS21CountingInputIteratorIllEEPS6_NSA_22TransformInputIteratorIbN2at6native12_GLOBAL__N_19NonZeroOpIN3c107complexIdEEEEPKSL_lEENS0_5tupleIJPlS6_EEENSQ_IJSD_SD_EEES6_PiJS6_EEE10hipError_tPvRmT3_T4_T5_T6_T7_T9_mT8_P12ihipStream_tbDpT10_ENKUlT_T0_E_clISt17integral_constantIbLb0EES1D_IbLb1EEEEDaS19_S1A_EUlS19_E_NS1_11comp_targetILNS1_3genE5ELNS1_11target_archE942ELNS1_3gpuE9ELNS1_3repE0EEENS1_30default_config_static_selectorELNS0_4arch9wavefront6targetE0EEEvT1_.num_vgpr, 0
	.set _ZN7rocprim17ROCPRIM_400000_NS6detail17trampoline_kernelINS0_14default_configENS1_25partition_config_selectorILNS1_17partition_subalgoE5ElNS0_10empty_typeEbEEZZNS1_14partition_implILS5_5ELb0ES3_mN6hipcub16HIPCUB_304000_NS21CountingInputIteratorIllEEPS6_NSA_22TransformInputIteratorIbN2at6native12_GLOBAL__N_19NonZeroOpIN3c107complexIdEEEEPKSL_lEENS0_5tupleIJPlS6_EEENSQ_IJSD_SD_EEES6_PiJS6_EEE10hipError_tPvRmT3_T4_T5_T6_T7_T9_mT8_P12ihipStream_tbDpT10_ENKUlT_T0_E_clISt17integral_constantIbLb0EES1D_IbLb1EEEEDaS19_S1A_EUlS19_E_NS1_11comp_targetILNS1_3genE5ELNS1_11target_archE942ELNS1_3gpuE9ELNS1_3repE0EEENS1_30default_config_static_selectorELNS0_4arch9wavefront6targetE0EEEvT1_.num_agpr, 0
	.set _ZN7rocprim17ROCPRIM_400000_NS6detail17trampoline_kernelINS0_14default_configENS1_25partition_config_selectorILNS1_17partition_subalgoE5ElNS0_10empty_typeEbEEZZNS1_14partition_implILS5_5ELb0ES3_mN6hipcub16HIPCUB_304000_NS21CountingInputIteratorIllEEPS6_NSA_22TransformInputIteratorIbN2at6native12_GLOBAL__N_19NonZeroOpIN3c107complexIdEEEEPKSL_lEENS0_5tupleIJPlS6_EEENSQ_IJSD_SD_EEES6_PiJS6_EEE10hipError_tPvRmT3_T4_T5_T6_T7_T9_mT8_P12ihipStream_tbDpT10_ENKUlT_T0_E_clISt17integral_constantIbLb0EES1D_IbLb1EEEEDaS19_S1A_EUlS19_E_NS1_11comp_targetILNS1_3genE5ELNS1_11target_archE942ELNS1_3gpuE9ELNS1_3repE0EEENS1_30default_config_static_selectorELNS0_4arch9wavefront6targetE0EEEvT1_.numbered_sgpr, 0
	.set _ZN7rocprim17ROCPRIM_400000_NS6detail17trampoline_kernelINS0_14default_configENS1_25partition_config_selectorILNS1_17partition_subalgoE5ElNS0_10empty_typeEbEEZZNS1_14partition_implILS5_5ELb0ES3_mN6hipcub16HIPCUB_304000_NS21CountingInputIteratorIllEEPS6_NSA_22TransformInputIteratorIbN2at6native12_GLOBAL__N_19NonZeroOpIN3c107complexIdEEEEPKSL_lEENS0_5tupleIJPlS6_EEENSQ_IJSD_SD_EEES6_PiJS6_EEE10hipError_tPvRmT3_T4_T5_T6_T7_T9_mT8_P12ihipStream_tbDpT10_ENKUlT_T0_E_clISt17integral_constantIbLb0EES1D_IbLb1EEEEDaS19_S1A_EUlS19_E_NS1_11comp_targetILNS1_3genE5ELNS1_11target_archE942ELNS1_3gpuE9ELNS1_3repE0EEENS1_30default_config_static_selectorELNS0_4arch9wavefront6targetE0EEEvT1_.num_named_barrier, 0
	.set _ZN7rocprim17ROCPRIM_400000_NS6detail17trampoline_kernelINS0_14default_configENS1_25partition_config_selectorILNS1_17partition_subalgoE5ElNS0_10empty_typeEbEEZZNS1_14partition_implILS5_5ELb0ES3_mN6hipcub16HIPCUB_304000_NS21CountingInputIteratorIllEEPS6_NSA_22TransformInputIteratorIbN2at6native12_GLOBAL__N_19NonZeroOpIN3c107complexIdEEEEPKSL_lEENS0_5tupleIJPlS6_EEENSQ_IJSD_SD_EEES6_PiJS6_EEE10hipError_tPvRmT3_T4_T5_T6_T7_T9_mT8_P12ihipStream_tbDpT10_ENKUlT_T0_E_clISt17integral_constantIbLb0EES1D_IbLb1EEEEDaS19_S1A_EUlS19_E_NS1_11comp_targetILNS1_3genE5ELNS1_11target_archE942ELNS1_3gpuE9ELNS1_3repE0EEENS1_30default_config_static_selectorELNS0_4arch9wavefront6targetE0EEEvT1_.private_seg_size, 0
	.set _ZN7rocprim17ROCPRIM_400000_NS6detail17trampoline_kernelINS0_14default_configENS1_25partition_config_selectorILNS1_17partition_subalgoE5ElNS0_10empty_typeEbEEZZNS1_14partition_implILS5_5ELb0ES3_mN6hipcub16HIPCUB_304000_NS21CountingInputIteratorIllEEPS6_NSA_22TransformInputIteratorIbN2at6native12_GLOBAL__N_19NonZeroOpIN3c107complexIdEEEEPKSL_lEENS0_5tupleIJPlS6_EEENSQ_IJSD_SD_EEES6_PiJS6_EEE10hipError_tPvRmT3_T4_T5_T6_T7_T9_mT8_P12ihipStream_tbDpT10_ENKUlT_T0_E_clISt17integral_constantIbLb0EES1D_IbLb1EEEEDaS19_S1A_EUlS19_E_NS1_11comp_targetILNS1_3genE5ELNS1_11target_archE942ELNS1_3gpuE9ELNS1_3repE0EEENS1_30default_config_static_selectorELNS0_4arch9wavefront6targetE0EEEvT1_.uses_vcc, 0
	.set _ZN7rocprim17ROCPRIM_400000_NS6detail17trampoline_kernelINS0_14default_configENS1_25partition_config_selectorILNS1_17partition_subalgoE5ElNS0_10empty_typeEbEEZZNS1_14partition_implILS5_5ELb0ES3_mN6hipcub16HIPCUB_304000_NS21CountingInputIteratorIllEEPS6_NSA_22TransformInputIteratorIbN2at6native12_GLOBAL__N_19NonZeroOpIN3c107complexIdEEEEPKSL_lEENS0_5tupleIJPlS6_EEENSQ_IJSD_SD_EEES6_PiJS6_EEE10hipError_tPvRmT3_T4_T5_T6_T7_T9_mT8_P12ihipStream_tbDpT10_ENKUlT_T0_E_clISt17integral_constantIbLb0EES1D_IbLb1EEEEDaS19_S1A_EUlS19_E_NS1_11comp_targetILNS1_3genE5ELNS1_11target_archE942ELNS1_3gpuE9ELNS1_3repE0EEENS1_30default_config_static_selectorELNS0_4arch9wavefront6targetE0EEEvT1_.uses_flat_scratch, 0
	.set _ZN7rocprim17ROCPRIM_400000_NS6detail17trampoline_kernelINS0_14default_configENS1_25partition_config_selectorILNS1_17partition_subalgoE5ElNS0_10empty_typeEbEEZZNS1_14partition_implILS5_5ELb0ES3_mN6hipcub16HIPCUB_304000_NS21CountingInputIteratorIllEEPS6_NSA_22TransformInputIteratorIbN2at6native12_GLOBAL__N_19NonZeroOpIN3c107complexIdEEEEPKSL_lEENS0_5tupleIJPlS6_EEENSQ_IJSD_SD_EEES6_PiJS6_EEE10hipError_tPvRmT3_T4_T5_T6_T7_T9_mT8_P12ihipStream_tbDpT10_ENKUlT_T0_E_clISt17integral_constantIbLb0EES1D_IbLb1EEEEDaS19_S1A_EUlS19_E_NS1_11comp_targetILNS1_3genE5ELNS1_11target_archE942ELNS1_3gpuE9ELNS1_3repE0EEENS1_30default_config_static_selectorELNS0_4arch9wavefront6targetE0EEEvT1_.has_dyn_sized_stack, 0
	.set _ZN7rocprim17ROCPRIM_400000_NS6detail17trampoline_kernelINS0_14default_configENS1_25partition_config_selectorILNS1_17partition_subalgoE5ElNS0_10empty_typeEbEEZZNS1_14partition_implILS5_5ELb0ES3_mN6hipcub16HIPCUB_304000_NS21CountingInputIteratorIllEEPS6_NSA_22TransformInputIteratorIbN2at6native12_GLOBAL__N_19NonZeroOpIN3c107complexIdEEEEPKSL_lEENS0_5tupleIJPlS6_EEENSQ_IJSD_SD_EEES6_PiJS6_EEE10hipError_tPvRmT3_T4_T5_T6_T7_T9_mT8_P12ihipStream_tbDpT10_ENKUlT_T0_E_clISt17integral_constantIbLb0EES1D_IbLb1EEEEDaS19_S1A_EUlS19_E_NS1_11comp_targetILNS1_3genE5ELNS1_11target_archE942ELNS1_3gpuE9ELNS1_3repE0EEENS1_30default_config_static_selectorELNS0_4arch9wavefront6targetE0EEEvT1_.has_recursion, 0
	.set _ZN7rocprim17ROCPRIM_400000_NS6detail17trampoline_kernelINS0_14default_configENS1_25partition_config_selectorILNS1_17partition_subalgoE5ElNS0_10empty_typeEbEEZZNS1_14partition_implILS5_5ELb0ES3_mN6hipcub16HIPCUB_304000_NS21CountingInputIteratorIllEEPS6_NSA_22TransformInputIteratorIbN2at6native12_GLOBAL__N_19NonZeroOpIN3c107complexIdEEEEPKSL_lEENS0_5tupleIJPlS6_EEENSQ_IJSD_SD_EEES6_PiJS6_EEE10hipError_tPvRmT3_T4_T5_T6_T7_T9_mT8_P12ihipStream_tbDpT10_ENKUlT_T0_E_clISt17integral_constantIbLb0EES1D_IbLb1EEEEDaS19_S1A_EUlS19_E_NS1_11comp_targetILNS1_3genE5ELNS1_11target_archE942ELNS1_3gpuE9ELNS1_3repE0EEENS1_30default_config_static_selectorELNS0_4arch9wavefront6targetE0EEEvT1_.has_indirect_call, 0
	.section	.AMDGPU.csdata,"",@progbits
; Kernel info:
; codeLenInByte = 0
; TotalNumSgprs: 0
; NumVgprs: 0
; ScratchSize: 0
; MemoryBound: 0
; FloatMode: 240
; IeeeMode: 1
; LDSByteSize: 0 bytes/workgroup (compile time only)
; SGPRBlocks: 0
; VGPRBlocks: 0
; NumSGPRsForWavesPerEU: 1
; NumVGPRsForWavesPerEU: 1
; Occupancy: 16
; WaveLimiterHint : 0
; COMPUTE_PGM_RSRC2:SCRATCH_EN: 0
; COMPUTE_PGM_RSRC2:USER_SGPR: 2
; COMPUTE_PGM_RSRC2:TRAP_HANDLER: 0
; COMPUTE_PGM_RSRC2:TGID_X_EN: 1
; COMPUTE_PGM_RSRC2:TGID_Y_EN: 0
; COMPUTE_PGM_RSRC2:TGID_Z_EN: 0
; COMPUTE_PGM_RSRC2:TIDIG_COMP_CNT: 0
	.section	.text._ZN7rocprim17ROCPRIM_400000_NS6detail17trampoline_kernelINS0_14default_configENS1_25partition_config_selectorILNS1_17partition_subalgoE5ElNS0_10empty_typeEbEEZZNS1_14partition_implILS5_5ELb0ES3_mN6hipcub16HIPCUB_304000_NS21CountingInputIteratorIllEEPS6_NSA_22TransformInputIteratorIbN2at6native12_GLOBAL__N_19NonZeroOpIN3c107complexIdEEEEPKSL_lEENS0_5tupleIJPlS6_EEENSQ_IJSD_SD_EEES6_PiJS6_EEE10hipError_tPvRmT3_T4_T5_T6_T7_T9_mT8_P12ihipStream_tbDpT10_ENKUlT_T0_E_clISt17integral_constantIbLb0EES1D_IbLb1EEEEDaS19_S1A_EUlS19_E_NS1_11comp_targetILNS1_3genE4ELNS1_11target_archE910ELNS1_3gpuE8ELNS1_3repE0EEENS1_30default_config_static_selectorELNS0_4arch9wavefront6targetE0EEEvT1_,"axG",@progbits,_ZN7rocprim17ROCPRIM_400000_NS6detail17trampoline_kernelINS0_14default_configENS1_25partition_config_selectorILNS1_17partition_subalgoE5ElNS0_10empty_typeEbEEZZNS1_14partition_implILS5_5ELb0ES3_mN6hipcub16HIPCUB_304000_NS21CountingInputIteratorIllEEPS6_NSA_22TransformInputIteratorIbN2at6native12_GLOBAL__N_19NonZeroOpIN3c107complexIdEEEEPKSL_lEENS0_5tupleIJPlS6_EEENSQ_IJSD_SD_EEES6_PiJS6_EEE10hipError_tPvRmT3_T4_T5_T6_T7_T9_mT8_P12ihipStream_tbDpT10_ENKUlT_T0_E_clISt17integral_constantIbLb0EES1D_IbLb1EEEEDaS19_S1A_EUlS19_E_NS1_11comp_targetILNS1_3genE4ELNS1_11target_archE910ELNS1_3gpuE8ELNS1_3repE0EEENS1_30default_config_static_selectorELNS0_4arch9wavefront6targetE0EEEvT1_,comdat
	.globl	_ZN7rocprim17ROCPRIM_400000_NS6detail17trampoline_kernelINS0_14default_configENS1_25partition_config_selectorILNS1_17partition_subalgoE5ElNS0_10empty_typeEbEEZZNS1_14partition_implILS5_5ELb0ES3_mN6hipcub16HIPCUB_304000_NS21CountingInputIteratorIllEEPS6_NSA_22TransformInputIteratorIbN2at6native12_GLOBAL__N_19NonZeroOpIN3c107complexIdEEEEPKSL_lEENS0_5tupleIJPlS6_EEENSQ_IJSD_SD_EEES6_PiJS6_EEE10hipError_tPvRmT3_T4_T5_T6_T7_T9_mT8_P12ihipStream_tbDpT10_ENKUlT_T0_E_clISt17integral_constantIbLb0EES1D_IbLb1EEEEDaS19_S1A_EUlS19_E_NS1_11comp_targetILNS1_3genE4ELNS1_11target_archE910ELNS1_3gpuE8ELNS1_3repE0EEENS1_30default_config_static_selectorELNS0_4arch9wavefront6targetE0EEEvT1_ ; -- Begin function _ZN7rocprim17ROCPRIM_400000_NS6detail17trampoline_kernelINS0_14default_configENS1_25partition_config_selectorILNS1_17partition_subalgoE5ElNS0_10empty_typeEbEEZZNS1_14partition_implILS5_5ELb0ES3_mN6hipcub16HIPCUB_304000_NS21CountingInputIteratorIllEEPS6_NSA_22TransformInputIteratorIbN2at6native12_GLOBAL__N_19NonZeroOpIN3c107complexIdEEEEPKSL_lEENS0_5tupleIJPlS6_EEENSQ_IJSD_SD_EEES6_PiJS6_EEE10hipError_tPvRmT3_T4_T5_T6_T7_T9_mT8_P12ihipStream_tbDpT10_ENKUlT_T0_E_clISt17integral_constantIbLb0EES1D_IbLb1EEEEDaS19_S1A_EUlS19_E_NS1_11comp_targetILNS1_3genE4ELNS1_11target_archE910ELNS1_3gpuE8ELNS1_3repE0EEENS1_30default_config_static_selectorELNS0_4arch9wavefront6targetE0EEEvT1_
	.p2align	8
	.type	_ZN7rocprim17ROCPRIM_400000_NS6detail17trampoline_kernelINS0_14default_configENS1_25partition_config_selectorILNS1_17partition_subalgoE5ElNS0_10empty_typeEbEEZZNS1_14partition_implILS5_5ELb0ES3_mN6hipcub16HIPCUB_304000_NS21CountingInputIteratorIllEEPS6_NSA_22TransformInputIteratorIbN2at6native12_GLOBAL__N_19NonZeroOpIN3c107complexIdEEEEPKSL_lEENS0_5tupleIJPlS6_EEENSQ_IJSD_SD_EEES6_PiJS6_EEE10hipError_tPvRmT3_T4_T5_T6_T7_T9_mT8_P12ihipStream_tbDpT10_ENKUlT_T0_E_clISt17integral_constantIbLb0EES1D_IbLb1EEEEDaS19_S1A_EUlS19_E_NS1_11comp_targetILNS1_3genE4ELNS1_11target_archE910ELNS1_3gpuE8ELNS1_3repE0EEENS1_30default_config_static_selectorELNS0_4arch9wavefront6targetE0EEEvT1_,@function
_ZN7rocprim17ROCPRIM_400000_NS6detail17trampoline_kernelINS0_14default_configENS1_25partition_config_selectorILNS1_17partition_subalgoE5ElNS0_10empty_typeEbEEZZNS1_14partition_implILS5_5ELb0ES3_mN6hipcub16HIPCUB_304000_NS21CountingInputIteratorIllEEPS6_NSA_22TransformInputIteratorIbN2at6native12_GLOBAL__N_19NonZeroOpIN3c107complexIdEEEEPKSL_lEENS0_5tupleIJPlS6_EEENSQ_IJSD_SD_EEES6_PiJS6_EEE10hipError_tPvRmT3_T4_T5_T6_T7_T9_mT8_P12ihipStream_tbDpT10_ENKUlT_T0_E_clISt17integral_constantIbLb0EES1D_IbLb1EEEEDaS19_S1A_EUlS19_E_NS1_11comp_targetILNS1_3genE4ELNS1_11target_archE910ELNS1_3gpuE8ELNS1_3repE0EEENS1_30default_config_static_selectorELNS0_4arch9wavefront6targetE0EEEvT1_: ; @_ZN7rocprim17ROCPRIM_400000_NS6detail17trampoline_kernelINS0_14default_configENS1_25partition_config_selectorILNS1_17partition_subalgoE5ElNS0_10empty_typeEbEEZZNS1_14partition_implILS5_5ELb0ES3_mN6hipcub16HIPCUB_304000_NS21CountingInputIteratorIllEEPS6_NSA_22TransformInputIteratorIbN2at6native12_GLOBAL__N_19NonZeroOpIN3c107complexIdEEEEPKSL_lEENS0_5tupleIJPlS6_EEENSQ_IJSD_SD_EEES6_PiJS6_EEE10hipError_tPvRmT3_T4_T5_T6_T7_T9_mT8_P12ihipStream_tbDpT10_ENKUlT_T0_E_clISt17integral_constantIbLb0EES1D_IbLb1EEEEDaS19_S1A_EUlS19_E_NS1_11comp_targetILNS1_3genE4ELNS1_11target_archE910ELNS1_3gpuE8ELNS1_3repE0EEENS1_30default_config_static_selectorELNS0_4arch9wavefront6targetE0EEEvT1_
; %bb.0:
	.section	.rodata,"a",@progbits
	.p2align	6, 0x0
	.amdhsa_kernel _ZN7rocprim17ROCPRIM_400000_NS6detail17trampoline_kernelINS0_14default_configENS1_25partition_config_selectorILNS1_17partition_subalgoE5ElNS0_10empty_typeEbEEZZNS1_14partition_implILS5_5ELb0ES3_mN6hipcub16HIPCUB_304000_NS21CountingInputIteratorIllEEPS6_NSA_22TransformInputIteratorIbN2at6native12_GLOBAL__N_19NonZeroOpIN3c107complexIdEEEEPKSL_lEENS0_5tupleIJPlS6_EEENSQ_IJSD_SD_EEES6_PiJS6_EEE10hipError_tPvRmT3_T4_T5_T6_T7_T9_mT8_P12ihipStream_tbDpT10_ENKUlT_T0_E_clISt17integral_constantIbLb0EES1D_IbLb1EEEEDaS19_S1A_EUlS19_E_NS1_11comp_targetILNS1_3genE4ELNS1_11target_archE910ELNS1_3gpuE8ELNS1_3repE0EEENS1_30default_config_static_selectorELNS0_4arch9wavefront6targetE0EEEvT1_
		.amdhsa_group_segment_fixed_size 0
		.amdhsa_private_segment_fixed_size 0
		.amdhsa_kernarg_size 136
		.amdhsa_user_sgpr_count 2
		.amdhsa_user_sgpr_dispatch_ptr 0
		.amdhsa_user_sgpr_queue_ptr 0
		.amdhsa_user_sgpr_kernarg_segment_ptr 1
		.amdhsa_user_sgpr_dispatch_id 0
		.amdhsa_user_sgpr_private_segment_size 0
		.amdhsa_wavefront_size32 1
		.amdhsa_uses_dynamic_stack 0
		.amdhsa_enable_private_segment 0
		.amdhsa_system_sgpr_workgroup_id_x 1
		.amdhsa_system_sgpr_workgroup_id_y 0
		.amdhsa_system_sgpr_workgroup_id_z 0
		.amdhsa_system_sgpr_workgroup_info 0
		.amdhsa_system_vgpr_workitem_id 0
		.amdhsa_next_free_vgpr 1
		.amdhsa_next_free_sgpr 1
		.amdhsa_reserve_vcc 0
		.amdhsa_float_round_mode_32 0
		.amdhsa_float_round_mode_16_64 0
		.amdhsa_float_denorm_mode_32 3
		.amdhsa_float_denorm_mode_16_64 3
		.amdhsa_fp16_overflow 0
		.amdhsa_workgroup_processor_mode 1
		.amdhsa_memory_ordered 1
		.amdhsa_forward_progress 1
		.amdhsa_inst_pref_size 0
		.amdhsa_round_robin_scheduling 0
		.amdhsa_exception_fp_ieee_invalid_op 0
		.amdhsa_exception_fp_denorm_src 0
		.amdhsa_exception_fp_ieee_div_zero 0
		.amdhsa_exception_fp_ieee_overflow 0
		.amdhsa_exception_fp_ieee_underflow 0
		.amdhsa_exception_fp_ieee_inexact 0
		.amdhsa_exception_int_div_zero 0
	.end_amdhsa_kernel
	.section	.text._ZN7rocprim17ROCPRIM_400000_NS6detail17trampoline_kernelINS0_14default_configENS1_25partition_config_selectorILNS1_17partition_subalgoE5ElNS0_10empty_typeEbEEZZNS1_14partition_implILS5_5ELb0ES3_mN6hipcub16HIPCUB_304000_NS21CountingInputIteratorIllEEPS6_NSA_22TransformInputIteratorIbN2at6native12_GLOBAL__N_19NonZeroOpIN3c107complexIdEEEEPKSL_lEENS0_5tupleIJPlS6_EEENSQ_IJSD_SD_EEES6_PiJS6_EEE10hipError_tPvRmT3_T4_T5_T6_T7_T9_mT8_P12ihipStream_tbDpT10_ENKUlT_T0_E_clISt17integral_constantIbLb0EES1D_IbLb1EEEEDaS19_S1A_EUlS19_E_NS1_11comp_targetILNS1_3genE4ELNS1_11target_archE910ELNS1_3gpuE8ELNS1_3repE0EEENS1_30default_config_static_selectorELNS0_4arch9wavefront6targetE0EEEvT1_,"axG",@progbits,_ZN7rocprim17ROCPRIM_400000_NS6detail17trampoline_kernelINS0_14default_configENS1_25partition_config_selectorILNS1_17partition_subalgoE5ElNS0_10empty_typeEbEEZZNS1_14partition_implILS5_5ELb0ES3_mN6hipcub16HIPCUB_304000_NS21CountingInputIteratorIllEEPS6_NSA_22TransformInputIteratorIbN2at6native12_GLOBAL__N_19NonZeroOpIN3c107complexIdEEEEPKSL_lEENS0_5tupleIJPlS6_EEENSQ_IJSD_SD_EEES6_PiJS6_EEE10hipError_tPvRmT3_T4_T5_T6_T7_T9_mT8_P12ihipStream_tbDpT10_ENKUlT_T0_E_clISt17integral_constantIbLb0EES1D_IbLb1EEEEDaS19_S1A_EUlS19_E_NS1_11comp_targetILNS1_3genE4ELNS1_11target_archE910ELNS1_3gpuE8ELNS1_3repE0EEENS1_30default_config_static_selectorELNS0_4arch9wavefront6targetE0EEEvT1_,comdat
.Lfunc_end552:
	.size	_ZN7rocprim17ROCPRIM_400000_NS6detail17trampoline_kernelINS0_14default_configENS1_25partition_config_selectorILNS1_17partition_subalgoE5ElNS0_10empty_typeEbEEZZNS1_14partition_implILS5_5ELb0ES3_mN6hipcub16HIPCUB_304000_NS21CountingInputIteratorIllEEPS6_NSA_22TransformInputIteratorIbN2at6native12_GLOBAL__N_19NonZeroOpIN3c107complexIdEEEEPKSL_lEENS0_5tupleIJPlS6_EEENSQ_IJSD_SD_EEES6_PiJS6_EEE10hipError_tPvRmT3_T4_T5_T6_T7_T9_mT8_P12ihipStream_tbDpT10_ENKUlT_T0_E_clISt17integral_constantIbLb0EES1D_IbLb1EEEEDaS19_S1A_EUlS19_E_NS1_11comp_targetILNS1_3genE4ELNS1_11target_archE910ELNS1_3gpuE8ELNS1_3repE0EEENS1_30default_config_static_selectorELNS0_4arch9wavefront6targetE0EEEvT1_, .Lfunc_end552-_ZN7rocprim17ROCPRIM_400000_NS6detail17trampoline_kernelINS0_14default_configENS1_25partition_config_selectorILNS1_17partition_subalgoE5ElNS0_10empty_typeEbEEZZNS1_14partition_implILS5_5ELb0ES3_mN6hipcub16HIPCUB_304000_NS21CountingInputIteratorIllEEPS6_NSA_22TransformInputIteratorIbN2at6native12_GLOBAL__N_19NonZeroOpIN3c107complexIdEEEEPKSL_lEENS0_5tupleIJPlS6_EEENSQ_IJSD_SD_EEES6_PiJS6_EEE10hipError_tPvRmT3_T4_T5_T6_T7_T9_mT8_P12ihipStream_tbDpT10_ENKUlT_T0_E_clISt17integral_constantIbLb0EES1D_IbLb1EEEEDaS19_S1A_EUlS19_E_NS1_11comp_targetILNS1_3genE4ELNS1_11target_archE910ELNS1_3gpuE8ELNS1_3repE0EEENS1_30default_config_static_selectorELNS0_4arch9wavefront6targetE0EEEvT1_
                                        ; -- End function
	.set _ZN7rocprim17ROCPRIM_400000_NS6detail17trampoline_kernelINS0_14default_configENS1_25partition_config_selectorILNS1_17partition_subalgoE5ElNS0_10empty_typeEbEEZZNS1_14partition_implILS5_5ELb0ES3_mN6hipcub16HIPCUB_304000_NS21CountingInputIteratorIllEEPS6_NSA_22TransformInputIteratorIbN2at6native12_GLOBAL__N_19NonZeroOpIN3c107complexIdEEEEPKSL_lEENS0_5tupleIJPlS6_EEENSQ_IJSD_SD_EEES6_PiJS6_EEE10hipError_tPvRmT3_T4_T5_T6_T7_T9_mT8_P12ihipStream_tbDpT10_ENKUlT_T0_E_clISt17integral_constantIbLb0EES1D_IbLb1EEEEDaS19_S1A_EUlS19_E_NS1_11comp_targetILNS1_3genE4ELNS1_11target_archE910ELNS1_3gpuE8ELNS1_3repE0EEENS1_30default_config_static_selectorELNS0_4arch9wavefront6targetE0EEEvT1_.num_vgpr, 0
	.set _ZN7rocprim17ROCPRIM_400000_NS6detail17trampoline_kernelINS0_14default_configENS1_25partition_config_selectorILNS1_17partition_subalgoE5ElNS0_10empty_typeEbEEZZNS1_14partition_implILS5_5ELb0ES3_mN6hipcub16HIPCUB_304000_NS21CountingInputIteratorIllEEPS6_NSA_22TransformInputIteratorIbN2at6native12_GLOBAL__N_19NonZeroOpIN3c107complexIdEEEEPKSL_lEENS0_5tupleIJPlS6_EEENSQ_IJSD_SD_EEES6_PiJS6_EEE10hipError_tPvRmT3_T4_T5_T6_T7_T9_mT8_P12ihipStream_tbDpT10_ENKUlT_T0_E_clISt17integral_constantIbLb0EES1D_IbLb1EEEEDaS19_S1A_EUlS19_E_NS1_11comp_targetILNS1_3genE4ELNS1_11target_archE910ELNS1_3gpuE8ELNS1_3repE0EEENS1_30default_config_static_selectorELNS0_4arch9wavefront6targetE0EEEvT1_.num_agpr, 0
	.set _ZN7rocprim17ROCPRIM_400000_NS6detail17trampoline_kernelINS0_14default_configENS1_25partition_config_selectorILNS1_17partition_subalgoE5ElNS0_10empty_typeEbEEZZNS1_14partition_implILS5_5ELb0ES3_mN6hipcub16HIPCUB_304000_NS21CountingInputIteratorIllEEPS6_NSA_22TransformInputIteratorIbN2at6native12_GLOBAL__N_19NonZeroOpIN3c107complexIdEEEEPKSL_lEENS0_5tupleIJPlS6_EEENSQ_IJSD_SD_EEES6_PiJS6_EEE10hipError_tPvRmT3_T4_T5_T6_T7_T9_mT8_P12ihipStream_tbDpT10_ENKUlT_T0_E_clISt17integral_constantIbLb0EES1D_IbLb1EEEEDaS19_S1A_EUlS19_E_NS1_11comp_targetILNS1_3genE4ELNS1_11target_archE910ELNS1_3gpuE8ELNS1_3repE0EEENS1_30default_config_static_selectorELNS0_4arch9wavefront6targetE0EEEvT1_.numbered_sgpr, 0
	.set _ZN7rocprim17ROCPRIM_400000_NS6detail17trampoline_kernelINS0_14default_configENS1_25partition_config_selectorILNS1_17partition_subalgoE5ElNS0_10empty_typeEbEEZZNS1_14partition_implILS5_5ELb0ES3_mN6hipcub16HIPCUB_304000_NS21CountingInputIteratorIllEEPS6_NSA_22TransformInputIteratorIbN2at6native12_GLOBAL__N_19NonZeroOpIN3c107complexIdEEEEPKSL_lEENS0_5tupleIJPlS6_EEENSQ_IJSD_SD_EEES6_PiJS6_EEE10hipError_tPvRmT3_T4_T5_T6_T7_T9_mT8_P12ihipStream_tbDpT10_ENKUlT_T0_E_clISt17integral_constantIbLb0EES1D_IbLb1EEEEDaS19_S1A_EUlS19_E_NS1_11comp_targetILNS1_3genE4ELNS1_11target_archE910ELNS1_3gpuE8ELNS1_3repE0EEENS1_30default_config_static_selectorELNS0_4arch9wavefront6targetE0EEEvT1_.num_named_barrier, 0
	.set _ZN7rocprim17ROCPRIM_400000_NS6detail17trampoline_kernelINS0_14default_configENS1_25partition_config_selectorILNS1_17partition_subalgoE5ElNS0_10empty_typeEbEEZZNS1_14partition_implILS5_5ELb0ES3_mN6hipcub16HIPCUB_304000_NS21CountingInputIteratorIllEEPS6_NSA_22TransformInputIteratorIbN2at6native12_GLOBAL__N_19NonZeroOpIN3c107complexIdEEEEPKSL_lEENS0_5tupleIJPlS6_EEENSQ_IJSD_SD_EEES6_PiJS6_EEE10hipError_tPvRmT3_T4_T5_T6_T7_T9_mT8_P12ihipStream_tbDpT10_ENKUlT_T0_E_clISt17integral_constantIbLb0EES1D_IbLb1EEEEDaS19_S1A_EUlS19_E_NS1_11comp_targetILNS1_3genE4ELNS1_11target_archE910ELNS1_3gpuE8ELNS1_3repE0EEENS1_30default_config_static_selectorELNS0_4arch9wavefront6targetE0EEEvT1_.private_seg_size, 0
	.set _ZN7rocprim17ROCPRIM_400000_NS6detail17trampoline_kernelINS0_14default_configENS1_25partition_config_selectorILNS1_17partition_subalgoE5ElNS0_10empty_typeEbEEZZNS1_14partition_implILS5_5ELb0ES3_mN6hipcub16HIPCUB_304000_NS21CountingInputIteratorIllEEPS6_NSA_22TransformInputIteratorIbN2at6native12_GLOBAL__N_19NonZeroOpIN3c107complexIdEEEEPKSL_lEENS0_5tupleIJPlS6_EEENSQ_IJSD_SD_EEES6_PiJS6_EEE10hipError_tPvRmT3_T4_T5_T6_T7_T9_mT8_P12ihipStream_tbDpT10_ENKUlT_T0_E_clISt17integral_constantIbLb0EES1D_IbLb1EEEEDaS19_S1A_EUlS19_E_NS1_11comp_targetILNS1_3genE4ELNS1_11target_archE910ELNS1_3gpuE8ELNS1_3repE0EEENS1_30default_config_static_selectorELNS0_4arch9wavefront6targetE0EEEvT1_.uses_vcc, 0
	.set _ZN7rocprim17ROCPRIM_400000_NS6detail17trampoline_kernelINS0_14default_configENS1_25partition_config_selectorILNS1_17partition_subalgoE5ElNS0_10empty_typeEbEEZZNS1_14partition_implILS5_5ELb0ES3_mN6hipcub16HIPCUB_304000_NS21CountingInputIteratorIllEEPS6_NSA_22TransformInputIteratorIbN2at6native12_GLOBAL__N_19NonZeroOpIN3c107complexIdEEEEPKSL_lEENS0_5tupleIJPlS6_EEENSQ_IJSD_SD_EEES6_PiJS6_EEE10hipError_tPvRmT3_T4_T5_T6_T7_T9_mT8_P12ihipStream_tbDpT10_ENKUlT_T0_E_clISt17integral_constantIbLb0EES1D_IbLb1EEEEDaS19_S1A_EUlS19_E_NS1_11comp_targetILNS1_3genE4ELNS1_11target_archE910ELNS1_3gpuE8ELNS1_3repE0EEENS1_30default_config_static_selectorELNS0_4arch9wavefront6targetE0EEEvT1_.uses_flat_scratch, 0
	.set _ZN7rocprim17ROCPRIM_400000_NS6detail17trampoline_kernelINS0_14default_configENS1_25partition_config_selectorILNS1_17partition_subalgoE5ElNS0_10empty_typeEbEEZZNS1_14partition_implILS5_5ELb0ES3_mN6hipcub16HIPCUB_304000_NS21CountingInputIteratorIllEEPS6_NSA_22TransformInputIteratorIbN2at6native12_GLOBAL__N_19NonZeroOpIN3c107complexIdEEEEPKSL_lEENS0_5tupleIJPlS6_EEENSQ_IJSD_SD_EEES6_PiJS6_EEE10hipError_tPvRmT3_T4_T5_T6_T7_T9_mT8_P12ihipStream_tbDpT10_ENKUlT_T0_E_clISt17integral_constantIbLb0EES1D_IbLb1EEEEDaS19_S1A_EUlS19_E_NS1_11comp_targetILNS1_3genE4ELNS1_11target_archE910ELNS1_3gpuE8ELNS1_3repE0EEENS1_30default_config_static_selectorELNS0_4arch9wavefront6targetE0EEEvT1_.has_dyn_sized_stack, 0
	.set _ZN7rocprim17ROCPRIM_400000_NS6detail17trampoline_kernelINS0_14default_configENS1_25partition_config_selectorILNS1_17partition_subalgoE5ElNS0_10empty_typeEbEEZZNS1_14partition_implILS5_5ELb0ES3_mN6hipcub16HIPCUB_304000_NS21CountingInputIteratorIllEEPS6_NSA_22TransformInputIteratorIbN2at6native12_GLOBAL__N_19NonZeroOpIN3c107complexIdEEEEPKSL_lEENS0_5tupleIJPlS6_EEENSQ_IJSD_SD_EEES6_PiJS6_EEE10hipError_tPvRmT3_T4_T5_T6_T7_T9_mT8_P12ihipStream_tbDpT10_ENKUlT_T0_E_clISt17integral_constantIbLb0EES1D_IbLb1EEEEDaS19_S1A_EUlS19_E_NS1_11comp_targetILNS1_3genE4ELNS1_11target_archE910ELNS1_3gpuE8ELNS1_3repE0EEENS1_30default_config_static_selectorELNS0_4arch9wavefront6targetE0EEEvT1_.has_recursion, 0
	.set _ZN7rocprim17ROCPRIM_400000_NS6detail17trampoline_kernelINS0_14default_configENS1_25partition_config_selectorILNS1_17partition_subalgoE5ElNS0_10empty_typeEbEEZZNS1_14partition_implILS5_5ELb0ES3_mN6hipcub16HIPCUB_304000_NS21CountingInputIteratorIllEEPS6_NSA_22TransformInputIteratorIbN2at6native12_GLOBAL__N_19NonZeroOpIN3c107complexIdEEEEPKSL_lEENS0_5tupleIJPlS6_EEENSQ_IJSD_SD_EEES6_PiJS6_EEE10hipError_tPvRmT3_T4_T5_T6_T7_T9_mT8_P12ihipStream_tbDpT10_ENKUlT_T0_E_clISt17integral_constantIbLb0EES1D_IbLb1EEEEDaS19_S1A_EUlS19_E_NS1_11comp_targetILNS1_3genE4ELNS1_11target_archE910ELNS1_3gpuE8ELNS1_3repE0EEENS1_30default_config_static_selectorELNS0_4arch9wavefront6targetE0EEEvT1_.has_indirect_call, 0
	.section	.AMDGPU.csdata,"",@progbits
; Kernel info:
; codeLenInByte = 0
; TotalNumSgprs: 0
; NumVgprs: 0
; ScratchSize: 0
; MemoryBound: 0
; FloatMode: 240
; IeeeMode: 1
; LDSByteSize: 0 bytes/workgroup (compile time only)
; SGPRBlocks: 0
; VGPRBlocks: 0
; NumSGPRsForWavesPerEU: 1
; NumVGPRsForWavesPerEU: 1
; Occupancy: 16
; WaveLimiterHint : 0
; COMPUTE_PGM_RSRC2:SCRATCH_EN: 0
; COMPUTE_PGM_RSRC2:USER_SGPR: 2
; COMPUTE_PGM_RSRC2:TRAP_HANDLER: 0
; COMPUTE_PGM_RSRC2:TGID_X_EN: 1
; COMPUTE_PGM_RSRC2:TGID_Y_EN: 0
; COMPUTE_PGM_RSRC2:TGID_Z_EN: 0
; COMPUTE_PGM_RSRC2:TIDIG_COMP_CNT: 0
	.section	.text._ZN7rocprim17ROCPRIM_400000_NS6detail17trampoline_kernelINS0_14default_configENS1_25partition_config_selectorILNS1_17partition_subalgoE5ElNS0_10empty_typeEbEEZZNS1_14partition_implILS5_5ELb0ES3_mN6hipcub16HIPCUB_304000_NS21CountingInputIteratorIllEEPS6_NSA_22TransformInputIteratorIbN2at6native12_GLOBAL__N_19NonZeroOpIN3c107complexIdEEEEPKSL_lEENS0_5tupleIJPlS6_EEENSQ_IJSD_SD_EEES6_PiJS6_EEE10hipError_tPvRmT3_T4_T5_T6_T7_T9_mT8_P12ihipStream_tbDpT10_ENKUlT_T0_E_clISt17integral_constantIbLb0EES1D_IbLb1EEEEDaS19_S1A_EUlS19_E_NS1_11comp_targetILNS1_3genE3ELNS1_11target_archE908ELNS1_3gpuE7ELNS1_3repE0EEENS1_30default_config_static_selectorELNS0_4arch9wavefront6targetE0EEEvT1_,"axG",@progbits,_ZN7rocprim17ROCPRIM_400000_NS6detail17trampoline_kernelINS0_14default_configENS1_25partition_config_selectorILNS1_17partition_subalgoE5ElNS0_10empty_typeEbEEZZNS1_14partition_implILS5_5ELb0ES3_mN6hipcub16HIPCUB_304000_NS21CountingInputIteratorIllEEPS6_NSA_22TransformInputIteratorIbN2at6native12_GLOBAL__N_19NonZeroOpIN3c107complexIdEEEEPKSL_lEENS0_5tupleIJPlS6_EEENSQ_IJSD_SD_EEES6_PiJS6_EEE10hipError_tPvRmT3_T4_T5_T6_T7_T9_mT8_P12ihipStream_tbDpT10_ENKUlT_T0_E_clISt17integral_constantIbLb0EES1D_IbLb1EEEEDaS19_S1A_EUlS19_E_NS1_11comp_targetILNS1_3genE3ELNS1_11target_archE908ELNS1_3gpuE7ELNS1_3repE0EEENS1_30default_config_static_selectorELNS0_4arch9wavefront6targetE0EEEvT1_,comdat
	.globl	_ZN7rocprim17ROCPRIM_400000_NS6detail17trampoline_kernelINS0_14default_configENS1_25partition_config_selectorILNS1_17partition_subalgoE5ElNS0_10empty_typeEbEEZZNS1_14partition_implILS5_5ELb0ES3_mN6hipcub16HIPCUB_304000_NS21CountingInputIteratorIllEEPS6_NSA_22TransformInputIteratorIbN2at6native12_GLOBAL__N_19NonZeroOpIN3c107complexIdEEEEPKSL_lEENS0_5tupleIJPlS6_EEENSQ_IJSD_SD_EEES6_PiJS6_EEE10hipError_tPvRmT3_T4_T5_T6_T7_T9_mT8_P12ihipStream_tbDpT10_ENKUlT_T0_E_clISt17integral_constantIbLb0EES1D_IbLb1EEEEDaS19_S1A_EUlS19_E_NS1_11comp_targetILNS1_3genE3ELNS1_11target_archE908ELNS1_3gpuE7ELNS1_3repE0EEENS1_30default_config_static_selectorELNS0_4arch9wavefront6targetE0EEEvT1_ ; -- Begin function _ZN7rocprim17ROCPRIM_400000_NS6detail17trampoline_kernelINS0_14default_configENS1_25partition_config_selectorILNS1_17partition_subalgoE5ElNS0_10empty_typeEbEEZZNS1_14partition_implILS5_5ELb0ES3_mN6hipcub16HIPCUB_304000_NS21CountingInputIteratorIllEEPS6_NSA_22TransformInputIteratorIbN2at6native12_GLOBAL__N_19NonZeroOpIN3c107complexIdEEEEPKSL_lEENS0_5tupleIJPlS6_EEENSQ_IJSD_SD_EEES6_PiJS6_EEE10hipError_tPvRmT3_T4_T5_T6_T7_T9_mT8_P12ihipStream_tbDpT10_ENKUlT_T0_E_clISt17integral_constantIbLb0EES1D_IbLb1EEEEDaS19_S1A_EUlS19_E_NS1_11comp_targetILNS1_3genE3ELNS1_11target_archE908ELNS1_3gpuE7ELNS1_3repE0EEENS1_30default_config_static_selectorELNS0_4arch9wavefront6targetE0EEEvT1_
	.p2align	8
	.type	_ZN7rocprim17ROCPRIM_400000_NS6detail17trampoline_kernelINS0_14default_configENS1_25partition_config_selectorILNS1_17partition_subalgoE5ElNS0_10empty_typeEbEEZZNS1_14partition_implILS5_5ELb0ES3_mN6hipcub16HIPCUB_304000_NS21CountingInputIteratorIllEEPS6_NSA_22TransformInputIteratorIbN2at6native12_GLOBAL__N_19NonZeroOpIN3c107complexIdEEEEPKSL_lEENS0_5tupleIJPlS6_EEENSQ_IJSD_SD_EEES6_PiJS6_EEE10hipError_tPvRmT3_T4_T5_T6_T7_T9_mT8_P12ihipStream_tbDpT10_ENKUlT_T0_E_clISt17integral_constantIbLb0EES1D_IbLb1EEEEDaS19_S1A_EUlS19_E_NS1_11comp_targetILNS1_3genE3ELNS1_11target_archE908ELNS1_3gpuE7ELNS1_3repE0EEENS1_30default_config_static_selectorELNS0_4arch9wavefront6targetE0EEEvT1_,@function
_ZN7rocprim17ROCPRIM_400000_NS6detail17trampoline_kernelINS0_14default_configENS1_25partition_config_selectorILNS1_17partition_subalgoE5ElNS0_10empty_typeEbEEZZNS1_14partition_implILS5_5ELb0ES3_mN6hipcub16HIPCUB_304000_NS21CountingInputIteratorIllEEPS6_NSA_22TransformInputIteratorIbN2at6native12_GLOBAL__N_19NonZeroOpIN3c107complexIdEEEEPKSL_lEENS0_5tupleIJPlS6_EEENSQ_IJSD_SD_EEES6_PiJS6_EEE10hipError_tPvRmT3_T4_T5_T6_T7_T9_mT8_P12ihipStream_tbDpT10_ENKUlT_T0_E_clISt17integral_constantIbLb0EES1D_IbLb1EEEEDaS19_S1A_EUlS19_E_NS1_11comp_targetILNS1_3genE3ELNS1_11target_archE908ELNS1_3gpuE7ELNS1_3repE0EEENS1_30default_config_static_selectorELNS0_4arch9wavefront6targetE0EEEvT1_: ; @_ZN7rocprim17ROCPRIM_400000_NS6detail17trampoline_kernelINS0_14default_configENS1_25partition_config_selectorILNS1_17partition_subalgoE5ElNS0_10empty_typeEbEEZZNS1_14partition_implILS5_5ELb0ES3_mN6hipcub16HIPCUB_304000_NS21CountingInputIteratorIllEEPS6_NSA_22TransformInputIteratorIbN2at6native12_GLOBAL__N_19NonZeroOpIN3c107complexIdEEEEPKSL_lEENS0_5tupleIJPlS6_EEENSQ_IJSD_SD_EEES6_PiJS6_EEE10hipError_tPvRmT3_T4_T5_T6_T7_T9_mT8_P12ihipStream_tbDpT10_ENKUlT_T0_E_clISt17integral_constantIbLb0EES1D_IbLb1EEEEDaS19_S1A_EUlS19_E_NS1_11comp_targetILNS1_3genE3ELNS1_11target_archE908ELNS1_3gpuE7ELNS1_3repE0EEENS1_30default_config_static_selectorELNS0_4arch9wavefront6targetE0EEEvT1_
; %bb.0:
	.section	.rodata,"a",@progbits
	.p2align	6, 0x0
	.amdhsa_kernel _ZN7rocprim17ROCPRIM_400000_NS6detail17trampoline_kernelINS0_14default_configENS1_25partition_config_selectorILNS1_17partition_subalgoE5ElNS0_10empty_typeEbEEZZNS1_14partition_implILS5_5ELb0ES3_mN6hipcub16HIPCUB_304000_NS21CountingInputIteratorIllEEPS6_NSA_22TransformInputIteratorIbN2at6native12_GLOBAL__N_19NonZeroOpIN3c107complexIdEEEEPKSL_lEENS0_5tupleIJPlS6_EEENSQ_IJSD_SD_EEES6_PiJS6_EEE10hipError_tPvRmT3_T4_T5_T6_T7_T9_mT8_P12ihipStream_tbDpT10_ENKUlT_T0_E_clISt17integral_constantIbLb0EES1D_IbLb1EEEEDaS19_S1A_EUlS19_E_NS1_11comp_targetILNS1_3genE3ELNS1_11target_archE908ELNS1_3gpuE7ELNS1_3repE0EEENS1_30default_config_static_selectorELNS0_4arch9wavefront6targetE0EEEvT1_
		.amdhsa_group_segment_fixed_size 0
		.amdhsa_private_segment_fixed_size 0
		.amdhsa_kernarg_size 136
		.amdhsa_user_sgpr_count 2
		.amdhsa_user_sgpr_dispatch_ptr 0
		.amdhsa_user_sgpr_queue_ptr 0
		.amdhsa_user_sgpr_kernarg_segment_ptr 1
		.amdhsa_user_sgpr_dispatch_id 0
		.amdhsa_user_sgpr_private_segment_size 0
		.amdhsa_wavefront_size32 1
		.amdhsa_uses_dynamic_stack 0
		.amdhsa_enable_private_segment 0
		.amdhsa_system_sgpr_workgroup_id_x 1
		.amdhsa_system_sgpr_workgroup_id_y 0
		.amdhsa_system_sgpr_workgroup_id_z 0
		.amdhsa_system_sgpr_workgroup_info 0
		.amdhsa_system_vgpr_workitem_id 0
		.amdhsa_next_free_vgpr 1
		.amdhsa_next_free_sgpr 1
		.amdhsa_reserve_vcc 0
		.amdhsa_float_round_mode_32 0
		.amdhsa_float_round_mode_16_64 0
		.amdhsa_float_denorm_mode_32 3
		.amdhsa_float_denorm_mode_16_64 3
		.amdhsa_fp16_overflow 0
		.amdhsa_workgroup_processor_mode 1
		.amdhsa_memory_ordered 1
		.amdhsa_forward_progress 1
		.amdhsa_inst_pref_size 0
		.amdhsa_round_robin_scheduling 0
		.amdhsa_exception_fp_ieee_invalid_op 0
		.amdhsa_exception_fp_denorm_src 0
		.amdhsa_exception_fp_ieee_div_zero 0
		.amdhsa_exception_fp_ieee_overflow 0
		.amdhsa_exception_fp_ieee_underflow 0
		.amdhsa_exception_fp_ieee_inexact 0
		.amdhsa_exception_int_div_zero 0
	.end_amdhsa_kernel
	.section	.text._ZN7rocprim17ROCPRIM_400000_NS6detail17trampoline_kernelINS0_14default_configENS1_25partition_config_selectorILNS1_17partition_subalgoE5ElNS0_10empty_typeEbEEZZNS1_14partition_implILS5_5ELb0ES3_mN6hipcub16HIPCUB_304000_NS21CountingInputIteratorIllEEPS6_NSA_22TransformInputIteratorIbN2at6native12_GLOBAL__N_19NonZeroOpIN3c107complexIdEEEEPKSL_lEENS0_5tupleIJPlS6_EEENSQ_IJSD_SD_EEES6_PiJS6_EEE10hipError_tPvRmT3_T4_T5_T6_T7_T9_mT8_P12ihipStream_tbDpT10_ENKUlT_T0_E_clISt17integral_constantIbLb0EES1D_IbLb1EEEEDaS19_S1A_EUlS19_E_NS1_11comp_targetILNS1_3genE3ELNS1_11target_archE908ELNS1_3gpuE7ELNS1_3repE0EEENS1_30default_config_static_selectorELNS0_4arch9wavefront6targetE0EEEvT1_,"axG",@progbits,_ZN7rocprim17ROCPRIM_400000_NS6detail17trampoline_kernelINS0_14default_configENS1_25partition_config_selectorILNS1_17partition_subalgoE5ElNS0_10empty_typeEbEEZZNS1_14partition_implILS5_5ELb0ES3_mN6hipcub16HIPCUB_304000_NS21CountingInputIteratorIllEEPS6_NSA_22TransformInputIteratorIbN2at6native12_GLOBAL__N_19NonZeroOpIN3c107complexIdEEEEPKSL_lEENS0_5tupleIJPlS6_EEENSQ_IJSD_SD_EEES6_PiJS6_EEE10hipError_tPvRmT3_T4_T5_T6_T7_T9_mT8_P12ihipStream_tbDpT10_ENKUlT_T0_E_clISt17integral_constantIbLb0EES1D_IbLb1EEEEDaS19_S1A_EUlS19_E_NS1_11comp_targetILNS1_3genE3ELNS1_11target_archE908ELNS1_3gpuE7ELNS1_3repE0EEENS1_30default_config_static_selectorELNS0_4arch9wavefront6targetE0EEEvT1_,comdat
.Lfunc_end553:
	.size	_ZN7rocprim17ROCPRIM_400000_NS6detail17trampoline_kernelINS0_14default_configENS1_25partition_config_selectorILNS1_17partition_subalgoE5ElNS0_10empty_typeEbEEZZNS1_14partition_implILS5_5ELb0ES3_mN6hipcub16HIPCUB_304000_NS21CountingInputIteratorIllEEPS6_NSA_22TransformInputIteratorIbN2at6native12_GLOBAL__N_19NonZeroOpIN3c107complexIdEEEEPKSL_lEENS0_5tupleIJPlS6_EEENSQ_IJSD_SD_EEES6_PiJS6_EEE10hipError_tPvRmT3_T4_T5_T6_T7_T9_mT8_P12ihipStream_tbDpT10_ENKUlT_T0_E_clISt17integral_constantIbLb0EES1D_IbLb1EEEEDaS19_S1A_EUlS19_E_NS1_11comp_targetILNS1_3genE3ELNS1_11target_archE908ELNS1_3gpuE7ELNS1_3repE0EEENS1_30default_config_static_selectorELNS0_4arch9wavefront6targetE0EEEvT1_, .Lfunc_end553-_ZN7rocprim17ROCPRIM_400000_NS6detail17trampoline_kernelINS0_14default_configENS1_25partition_config_selectorILNS1_17partition_subalgoE5ElNS0_10empty_typeEbEEZZNS1_14partition_implILS5_5ELb0ES3_mN6hipcub16HIPCUB_304000_NS21CountingInputIteratorIllEEPS6_NSA_22TransformInputIteratorIbN2at6native12_GLOBAL__N_19NonZeroOpIN3c107complexIdEEEEPKSL_lEENS0_5tupleIJPlS6_EEENSQ_IJSD_SD_EEES6_PiJS6_EEE10hipError_tPvRmT3_T4_T5_T6_T7_T9_mT8_P12ihipStream_tbDpT10_ENKUlT_T0_E_clISt17integral_constantIbLb0EES1D_IbLb1EEEEDaS19_S1A_EUlS19_E_NS1_11comp_targetILNS1_3genE3ELNS1_11target_archE908ELNS1_3gpuE7ELNS1_3repE0EEENS1_30default_config_static_selectorELNS0_4arch9wavefront6targetE0EEEvT1_
                                        ; -- End function
	.set _ZN7rocprim17ROCPRIM_400000_NS6detail17trampoline_kernelINS0_14default_configENS1_25partition_config_selectorILNS1_17partition_subalgoE5ElNS0_10empty_typeEbEEZZNS1_14partition_implILS5_5ELb0ES3_mN6hipcub16HIPCUB_304000_NS21CountingInputIteratorIllEEPS6_NSA_22TransformInputIteratorIbN2at6native12_GLOBAL__N_19NonZeroOpIN3c107complexIdEEEEPKSL_lEENS0_5tupleIJPlS6_EEENSQ_IJSD_SD_EEES6_PiJS6_EEE10hipError_tPvRmT3_T4_T5_T6_T7_T9_mT8_P12ihipStream_tbDpT10_ENKUlT_T0_E_clISt17integral_constantIbLb0EES1D_IbLb1EEEEDaS19_S1A_EUlS19_E_NS1_11comp_targetILNS1_3genE3ELNS1_11target_archE908ELNS1_3gpuE7ELNS1_3repE0EEENS1_30default_config_static_selectorELNS0_4arch9wavefront6targetE0EEEvT1_.num_vgpr, 0
	.set _ZN7rocprim17ROCPRIM_400000_NS6detail17trampoline_kernelINS0_14default_configENS1_25partition_config_selectorILNS1_17partition_subalgoE5ElNS0_10empty_typeEbEEZZNS1_14partition_implILS5_5ELb0ES3_mN6hipcub16HIPCUB_304000_NS21CountingInputIteratorIllEEPS6_NSA_22TransformInputIteratorIbN2at6native12_GLOBAL__N_19NonZeroOpIN3c107complexIdEEEEPKSL_lEENS0_5tupleIJPlS6_EEENSQ_IJSD_SD_EEES6_PiJS6_EEE10hipError_tPvRmT3_T4_T5_T6_T7_T9_mT8_P12ihipStream_tbDpT10_ENKUlT_T0_E_clISt17integral_constantIbLb0EES1D_IbLb1EEEEDaS19_S1A_EUlS19_E_NS1_11comp_targetILNS1_3genE3ELNS1_11target_archE908ELNS1_3gpuE7ELNS1_3repE0EEENS1_30default_config_static_selectorELNS0_4arch9wavefront6targetE0EEEvT1_.num_agpr, 0
	.set _ZN7rocprim17ROCPRIM_400000_NS6detail17trampoline_kernelINS0_14default_configENS1_25partition_config_selectorILNS1_17partition_subalgoE5ElNS0_10empty_typeEbEEZZNS1_14partition_implILS5_5ELb0ES3_mN6hipcub16HIPCUB_304000_NS21CountingInputIteratorIllEEPS6_NSA_22TransformInputIteratorIbN2at6native12_GLOBAL__N_19NonZeroOpIN3c107complexIdEEEEPKSL_lEENS0_5tupleIJPlS6_EEENSQ_IJSD_SD_EEES6_PiJS6_EEE10hipError_tPvRmT3_T4_T5_T6_T7_T9_mT8_P12ihipStream_tbDpT10_ENKUlT_T0_E_clISt17integral_constantIbLb0EES1D_IbLb1EEEEDaS19_S1A_EUlS19_E_NS1_11comp_targetILNS1_3genE3ELNS1_11target_archE908ELNS1_3gpuE7ELNS1_3repE0EEENS1_30default_config_static_selectorELNS0_4arch9wavefront6targetE0EEEvT1_.numbered_sgpr, 0
	.set _ZN7rocprim17ROCPRIM_400000_NS6detail17trampoline_kernelINS0_14default_configENS1_25partition_config_selectorILNS1_17partition_subalgoE5ElNS0_10empty_typeEbEEZZNS1_14partition_implILS5_5ELb0ES3_mN6hipcub16HIPCUB_304000_NS21CountingInputIteratorIllEEPS6_NSA_22TransformInputIteratorIbN2at6native12_GLOBAL__N_19NonZeroOpIN3c107complexIdEEEEPKSL_lEENS0_5tupleIJPlS6_EEENSQ_IJSD_SD_EEES6_PiJS6_EEE10hipError_tPvRmT3_T4_T5_T6_T7_T9_mT8_P12ihipStream_tbDpT10_ENKUlT_T0_E_clISt17integral_constantIbLb0EES1D_IbLb1EEEEDaS19_S1A_EUlS19_E_NS1_11comp_targetILNS1_3genE3ELNS1_11target_archE908ELNS1_3gpuE7ELNS1_3repE0EEENS1_30default_config_static_selectorELNS0_4arch9wavefront6targetE0EEEvT1_.num_named_barrier, 0
	.set _ZN7rocprim17ROCPRIM_400000_NS6detail17trampoline_kernelINS0_14default_configENS1_25partition_config_selectorILNS1_17partition_subalgoE5ElNS0_10empty_typeEbEEZZNS1_14partition_implILS5_5ELb0ES3_mN6hipcub16HIPCUB_304000_NS21CountingInputIteratorIllEEPS6_NSA_22TransformInputIteratorIbN2at6native12_GLOBAL__N_19NonZeroOpIN3c107complexIdEEEEPKSL_lEENS0_5tupleIJPlS6_EEENSQ_IJSD_SD_EEES6_PiJS6_EEE10hipError_tPvRmT3_T4_T5_T6_T7_T9_mT8_P12ihipStream_tbDpT10_ENKUlT_T0_E_clISt17integral_constantIbLb0EES1D_IbLb1EEEEDaS19_S1A_EUlS19_E_NS1_11comp_targetILNS1_3genE3ELNS1_11target_archE908ELNS1_3gpuE7ELNS1_3repE0EEENS1_30default_config_static_selectorELNS0_4arch9wavefront6targetE0EEEvT1_.private_seg_size, 0
	.set _ZN7rocprim17ROCPRIM_400000_NS6detail17trampoline_kernelINS0_14default_configENS1_25partition_config_selectorILNS1_17partition_subalgoE5ElNS0_10empty_typeEbEEZZNS1_14partition_implILS5_5ELb0ES3_mN6hipcub16HIPCUB_304000_NS21CountingInputIteratorIllEEPS6_NSA_22TransformInputIteratorIbN2at6native12_GLOBAL__N_19NonZeroOpIN3c107complexIdEEEEPKSL_lEENS0_5tupleIJPlS6_EEENSQ_IJSD_SD_EEES6_PiJS6_EEE10hipError_tPvRmT3_T4_T5_T6_T7_T9_mT8_P12ihipStream_tbDpT10_ENKUlT_T0_E_clISt17integral_constantIbLb0EES1D_IbLb1EEEEDaS19_S1A_EUlS19_E_NS1_11comp_targetILNS1_3genE3ELNS1_11target_archE908ELNS1_3gpuE7ELNS1_3repE0EEENS1_30default_config_static_selectorELNS0_4arch9wavefront6targetE0EEEvT1_.uses_vcc, 0
	.set _ZN7rocprim17ROCPRIM_400000_NS6detail17trampoline_kernelINS0_14default_configENS1_25partition_config_selectorILNS1_17partition_subalgoE5ElNS0_10empty_typeEbEEZZNS1_14partition_implILS5_5ELb0ES3_mN6hipcub16HIPCUB_304000_NS21CountingInputIteratorIllEEPS6_NSA_22TransformInputIteratorIbN2at6native12_GLOBAL__N_19NonZeroOpIN3c107complexIdEEEEPKSL_lEENS0_5tupleIJPlS6_EEENSQ_IJSD_SD_EEES6_PiJS6_EEE10hipError_tPvRmT3_T4_T5_T6_T7_T9_mT8_P12ihipStream_tbDpT10_ENKUlT_T0_E_clISt17integral_constantIbLb0EES1D_IbLb1EEEEDaS19_S1A_EUlS19_E_NS1_11comp_targetILNS1_3genE3ELNS1_11target_archE908ELNS1_3gpuE7ELNS1_3repE0EEENS1_30default_config_static_selectorELNS0_4arch9wavefront6targetE0EEEvT1_.uses_flat_scratch, 0
	.set _ZN7rocprim17ROCPRIM_400000_NS6detail17trampoline_kernelINS0_14default_configENS1_25partition_config_selectorILNS1_17partition_subalgoE5ElNS0_10empty_typeEbEEZZNS1_14partition_implILS5_5ELb0ES3_mN6hipcub16HIPCUB_304000_NS21CountingInputIteratorIllEEPS6_NSA_22TransformInputIteratorIbN2at6native12_GLOBAL__N_19NonZeroOpIN3c107complexIdEEEEPKSL_lEENS0_5tupleIJPlS6_EEENSQ_IJSD_SD_EEES6_PiJS6_EEE10hipError_tPvRmT3_T4_T5_T6_T7_T9_mT8_P12ihipStream_tbDpT10_ENKUlT_T0_E_clISt17integral_constantIbLb0EES1D_IbLb1EEEEDaS19_S1A_EUlS19_E_NS1_11comp_targetILNS1_3genE3ELNS1_11target_archE908ELNS1_3gpuE7ELNS1_3repE0EEENS1_30default_config_static_selectorELNS0_4arch9wavefront6targetE0EEEvT1_.has_dyn_sized_stack, 0
	.set _ZN7rocprim17ROCPRIM_400000_NS6detail17trampoline_kernelINS0_14default_configENS1_25partition_config_selectorILNS1_17partition_subalgoE5ElNS0_10empty_typeEbEEZZNS1_14partition_implILS5_5ELb0ES3_mN6hipcub16HIPCUB_304000_NS21CountingInputIteratorIllEEPS6_NSA_22TransformInputIteratorIbN2at6native12_GLOBAL__N_19NonZeroOpIN3c107complexIdEEEEPKSL_lEENS0_5tupleIJPlS6_EEENSQ_IJSD_SD_EEES6_PiJS6_EEE10hipError_tPvRmT3_T4_T5_T6_T7_T9_mT8_P12ihipStream_tbDpT10_ENKUlT_T0_E_clISt17integral_constantIbLb0EES1D_IbLb1EEEEDaS19_S1A_EUlS19_E_NS1_11comp_targetILNS1_3genE3ELNS1_11target_archE908ELNS1_3gpuE7ELNS1_3repE0EEENS1_30default_config_static_selectorELNS0_4arch9wavefront6targetE0EEEvT1_.has_recursion, 0
	.set _ZN7rocprim17ROCPRIM_400000_NS6detail17trampoline_kernelINS0_14default_configENS1_25partition_config_selectorILNS1_17partition_subalgoE5ElNS0_10empty_typeEbEEZZNS1_14partition_implILS5_5ELb0ES3_mN6hipcub16HIPCUB_304000_NS21CountingInputIteratorIllEEPS6_NSA_22TransformInputIteratorIbN2at6native12_GLOBAL__N_19NonZeroOpIN3c107complexIdEEEEPKSL_lEENS0_5tupleIJPlS6_EEENSQ_IJSD_SD_EEES6_PiJS6_EEE10hipError_tPvRmT3_T4_T5_T6_T7_T9_mT8_P12ihipStream_tbDpT10_ENKUlT_T0_E_clISt17integral_constantIbLb0EES1D_IbLb1EEEEDaS19_S1A_EUlS19_E_NS1_11comp_targetILNS1_3genE3ELNS1_11target_archE908ELNS1_3gpuE7ELNS1_3repE0EEENS1_30default_config_static_selectorELNS0_4arch9wavefront6targetE0EEEvT1_.has_indirect_call, 0
	.section	.AMDGPU.csdata,"",@progbits
; Kernel info:
; codeLenInByte = 0
; TotalNumSgprs: 0
; NumVgprs: 0
; ScratchSize: 0
; MemoryBound: 0
; FloatMode: 240
; IeeeMode: 1
; LDSByteSize: 0 bytes/workgroup (compile time only)
; SGPRBlocks: 0
; VGPRBlocks: 0
; NumSGPRsForWavesPerEU: 1
; NumVGPRsForWavesPerEU: 1
; Occupancy: 16
; WaveLimiterHint : 0
; COMPUTE_PGM_RSRC2:SCRATCH_EN: 0
; COMPUTE_PGM_RSRC2:USER_SGPR: 2
; COMPUTE_PGM_RSRC2:TRAP_HANDLER: 0
; COMPUTE_PGM_RSRC2:TGID_X_EN: 1
; COMPUTE_PGM_RSRC2:TGID_Y_EN: 0
; COMPUTE_PGM_RSRC2:TGID_Z_EN: 0
; COMPUTE_PGM_RSRC2:TIDIG_COMP_CNT: 0
	.section	.text._ZN7rocprim17ROCPRIM_400000_NS6detail17trampoline_kernelINS0_14default_configENS1_25partition_config_selectorILNS1_17partition_subalgoE5ElNS0_10empty_typeEbEEZZNS1_14partition_implILS5_5ELb0ES3_mN6hipcub16HIPCUB_304000_NS21CountingInputIteratorIllEEPS6_NSA_22TransformInputIteratorIbN2at6native12_GLOBAL__N_19NonZeroOpIN3c107complexIdEEEEPKSL_lEENS0_5tupleIJPlS6_EEENSQ_IJSD_SD_EEES6_PiJS6_EEE10hipError_tPvRmT3_T4_T5_T6_T7_T9_mT8_P12ihipStream_tbDpT10_ENKUlT_T0_E_clISt17integral_constantIbLb0EES1D_IbLb1EEEEDaS19_S1A_EUlS19_E_NS1_11comp_targetILNS1_3genE2ELNS1_11target_archE906ELNS1_3gpuE6ELNS1_3repE0EEENS1_30default_config_static_selectorELNS0_4arch9wavefront6targetE0EEEvT1_,"axG",@progbits,_ZN7rocprim17ROCPRIM_400000_NS6detail17trampoline_kernelINS0_14default_configENS1_25partition_config_selectorILNS1_17partition_subalgoE5ElNS0_10empty_typeEbEEZZNS1_14partition_implILS5_5ELb0ES3_mN6hipcub16HIPCUB_304000_NS21CountingInputIteratorIllEEPS6_NSA_22TransformInputIteratorIbN2at6native12_GLOBAL__N_19NonZeroOpIN3c107complexIdEEEEPKSL_lEENS0_5tupleIJPlS6_EEENSQ_IJSD_SD_EEES6_PiJS6_EEE10hipError_tPvRmT3_T4_T5_T6_T7_T9_mT8_P12ihipStream_tbDpT10_ENKUlT_T0_E_clISt17integral_constantIbLb0EES1D_IbLb1EEEEDaS19_S1A_EUlS19_E_NS1_11comp_targetILNS1_3genE2ELNS1_11target_archE906ELNS1_3gpuE6ELNS1_3repE0EEENS1_30default_config_static_selectorELNS0_4arch9wavefront6targetE0EEEvT1_,comdat
	.globl	_ZN7rocprim17ROCPRIM_400000_NS6detail17trampoline_kernelINS0_14default_configENS1_25partition_config_selectorILNS1_17partition_subalgoE5ElNS0_10empty_typeEbEEZZNS1_14partition_implILS5_5ELb0ES3_mN6hipcub16HIPCUB_304000_NS21CountingInputIteratorIllEEPS6_NSA_22TransformInputIteratorIbN2at6native12_GLOBAL__N_19NonZeroOpIN3c107complexIdEEEEPKSL_lEENS0_5tupleIJPlS6_EEENSQ_IJSD_SD_EEES6_PiJS6_EEE10hipError_tPvRmT3_T4_T5_T6_T7_T9_mT8_P12ihipStream_tbDpT10_ENKUlT_T0_E_clISt17integral_constantIbLb0EES1D_IbLb1EEEEDaS19_S1A_EUlS19_E_NS1_11comp_targetILNS1_3genE2ELNS1_11target_archE906ELNS1_3gpuE6ELNS1_3repE0EEENS1_30default_config_static_selectorELNS0_4arch9wavefront6targetE0EEEvT1_ ; -- Begin function _ZN7rocprim17ROCPRIM_400000_NS6detail17trampoline_kernelINS0_14default_configENS1_25partition_config_selectorILNS1_17partition_subalgoE5ElNS0_10empty_typeEbEEZZNS1_14partition_implILS5_5ELb0ES3_mN6hipcub16HIPCUB_304000_NS21CountingInputIteratorIllEEPS6_NSA_22TransformInputIteratorIbN2at6native12_GLOBAL__N_19NonZeroOpIN3c107complexIdEEEEPKSL_lEENS0_5tupleIJPlS6_EEENSQ_IJSD_SD_EEES6_PiJS6_EEE10hipError_tPvRmT3_T4_T5_T6_T7_T9_mT8_P12ihipStream_tbDpT10_ENKUlT_T0_E_clISt17integral_constantIbLb0EES1D_IbLb1EEEEDaS19_S1A_EUlS19_E_NS1_11comp_targetILNS1_3genE2ELNS1_11target_archE906ELNS1_3gpuE6ELNS1_3repE0EEENS1_30default_config_static_selectorELNS0_4arch9wavefront6targetE0EEEvT1_
	.p2align	8
	.type	_ZN7rocprim17ROCPRIM_400000_NS6detail17trampoline_kernelINS0_14default_configENS1_25partition_config_selectorILNS1_17partition_subalgoE5ElNS0_10empty_typeEbEEZZNS1_14partition_implILS5_5ELb0ES3_mN6hipcub16HIPCUB_304000_NS21CountingInputIteratorIllEEPS6_NSA_22TransformInputIteratorIbN2at6native12_GLOBAL__N_19NonZeroOpIN3c107complexIdEEEEPKSL_lEENS0_5tupleIJPlS6_EEENSQ_IJSD_SD_EEES6_PiJS6_EEE10hipError_tPvRmT3_T4_T5_T6_T7_T9_mT8_P12ihipStream_tbDpT10_ENKUlT_T0_E_clISt17integral_constantIbLb0EES1D_IbLb1EEEEDaS19_S1A_EUlS19_E_NS1_11comp_targetILNS1_3genE2ELNS1_11target_archE906ELNS1_3gpuE6ELNS1_3repE0EEENS1_30default_config_static_selectorELNS0_4arch9wavefront6targetE0EEEvT1_,@function
_ZN7rocprim17ROCPRIM_400000_NS6detail17trampoline_kernelINS0_14default_configENS1_25partition_config_selectorILNS1_17partition_subalgoE5ElNS0_10empty_typeEbEEZZNS1_14partition_implILS5_5ELb0ES3_mN6hipcub16HIPCUB_304000_NS21CountingInputIteratorIllEEPS6_NSA_22TransformInputIteratorIbN2at6native12_GLOBAL__N_19NonZeroOpIN3c107complexIdEEEEPKSL_lEENS0_5tupleIJPlS6_EEENSQ_IJSD_SD_EEES6_PiJS6_EEE10hipError_tPvRmT3_T4_T5_T6_T7_T9_mT8_P12ihipStream_tbDpT10_ENKUlT_T0_E_clISt17integral_constantIbLb0EES1D_IbLb1EEEEDaS19_S1A_EUlS19_E_NS1_11comp_targetILNS1_3genE2ELNS1_11target_archE906ELNS1_3gpuE6ELNS1_3repE0EEENS1_30default_config_static_selectorELNS0_4arch9wavefront6targetE0EEEvT1_: ; @_ZN7rocprim17ROCPRIM_400000_NS6detail17trampoline_kernelINS0_14default_configENS1_25partition_config_selectorILNS1_17partition_subalgoE5ElNS0_10empty_typeEbEEZZNS1_14partition_implILS5_5ELb0ES3_mN6hipcub16HIPCUB_304000_NS21CountingInputIteratorIllEEPS6_NSA_22TransformInputIteratorIbN2at6native12_GLOBAL__N_19NonZeroOpIN3c107complexIdEEEEPKSL_lEENS0_5tupleIJPlS6_EEENSQ_IJSD_SD_EEES6_PiJS6_EEE10hipError_tPvRmT3_T4_T5_T6_T7_T9_mT8_P12ihipStream_tbDpT10_ENKUlT_T0_E_clISt17integral_constantIbLb0EES1D_IbLb1EEEEDaS19_S1A_EUlS19_E_NS1_11comp_targetILNS1_3genE2ELNS1_11target_archE906ELNS1_3gpuE6ELNS1_3repE0EEENS1_30default_config_static_selectorELNS0_4arch9wavefront6targetE0EEEvT1_
; %bb.0:
	.section	.rodata,"a",@progbits
	.p2align	6, 0x0
	.amdhsa_kernel _ZN7rocprim17ROCPRIM_400000_NS6detail17trampoline_kernelINS0_14default_configENS1_25partition_config_selectorILNS1_17partition_subalgoE5ElNS0_10empty_typeEbEEZZNS1_14partition_implILS5_5ELb0ES3_mN6hipcub16HIPCUB_304000_NS21CountingInputIteratorIllEEPS6_NSA_22TransformInputIteratorIbN2at6native12_GLOBAL__N_19NonZeroOpIN3c107complexIdEEEEPKSL_lEENS0_5tupleIJPlS6_EEENSQ_IJSD_SD_EEES6_PiJS6_EEE10hipError_tPvRmT3_T4_T5_T6_T7_T9_mT8_P12ihipStream_tbDpT10_ENKUlT_T0_E_clISt17integral_constantIbLb0EES1D_IbLb1EEEEDaS19_S1A_EUlS19_E_NS1_11comp_targetILNS1_3genE2ELNS1_11target_archE906ELNS1_3gpuE6ELNS1_3repE0EEENS1_30default_config_static_selectorELNS0_4arch9wavefront6targetE0EEEvT1_
		.amdhsa_group_segment_fixed_size 0
		.amdhsa_private_segment_fixed_size 0
		.amdhsa_kernarg_size 136
		.amdhsa_user_sgpr_count 2
		.amdhsa_user_sgpr_dispatch_ptr 0
		.amdhsa_user_sgpr_queue_ptr 0
		.amdhsa_user_sgpr_kernarg_segment_ptr 1
		.amdhsa_user_sgpr_dispatch_id 0
		.amdhsa_user_sgpr_private_segment_size 0
		.amdhsa_wavefront_size32 1
		.amdhsa_uses_dynamic_stack 0
		.amdhsa_enable_private_segment 0
		.amdhsa_system_sgpr_workgroup_id_x 1
		.amdhsa_system_sgpr_workgroup_id_y 0
		.amdhsa_system_sgpr_workgroup_id_z 0
		.amdhsa_system_sgpr_workgroup_info 0
		.amdhsa_system_vgpr_workitem_id 0
		.amdhsa_next_free_vgpr 1
		.amdhsa_next_free_sgpr 1
		.amdhsa_reserve_vcc 0
		.amdhsa_float_round_mode_32 0
		.amdhsa_float_round_mode_16_64 0
		.amdhsa_float_denorm_mode_32 3
		.amdhsa_float_denorm_mode_16_64 3
		.amdhsa_fp16_overflow 0
		.amdhsa_workgroup_processor_mode 1
		.amdhsa_memory_ordered 1
		.amdhsa_forward_progress 1
		.amdhsa_inst_pref_size 0
		.amdhsa_round_robin_scheduling 0
		.amdhsa_exception_fp_ieee_invalid_op 0
		.amdhsa_exception_fp_denorm_src 0
		.amdhsa_exception_fp_ieee_div_zero 0
		.amdhsa_exception_fp_ieee_overflow 0
		.amdhsa_exception_fp_ieee_underflow 0
		.amdhsa_exception_fp_ieee_inexact 0
		.amdhsa_exception_int_div_zero 0
	.end_amdhsa_kernel
	.section	.text._ZN7rocprim17ROCPRIM_400000_NS6detail17trampoline_kernelINS0_14default_configENS1_25partition_config_selectorILNS1_17partition_subalgoE5ElNS0_10empty_typeEbEEZZNS1_14partition_implILS5_5ELb0ES3_mN6hipcub16HIPCUB_304000_NS21CountingInputIteratorIllEEPS6_NSA_22TransformInputIteratorIbN2at6native12_GLOBAL__N_19NonZeroOpIN3c107complexIdEEEEPKSL_lEENS0_5tupleIJPlS6_EEENSQ_IJSD_SD_EEES6_PiJS6_EEE10hipError_tPvRmT3_T4_T5_T6_T7_T9_mT8_P12ihipStream_tbDpT10_ENKUlT_T0_E_clISt17integral_constantIbLb0EES1D_IbLb1EEEEDaS19_S1A_EUlS19_E_NS1_11comp_targetILNS1_3genE2ELNS1_11target_archE906ELNS1_3gpuE6ELNS1_3repE0EEENS1_30default_config_static_selectorELNS0_4arch9wavefront6targetE0EEEvT1_,"axG",@progbits,_ZN7rocprim17ROCPRIM_400000_NS6detail17trampoline_kernelINS0_14default_configENS1_25partition_config_selectorILNS1_17partition_subalgoE5ElNS0_10empty_typeEbEEZZNS1_14partition_implILS5_5ELb0ES3_mN6hipcub16HIPCUB_304000_NS21CountingInputIteratorIllEEPS6_NSA_22TransformInputIteratorIbN2at6native12_GLOBAL__N_19NonZeroOpIN3c107complexIdEEEEPKSL_lEENS0_5tupleIJPlS6_EEENSQ_IJSD_SD_EEES6_PiJS6_EEE10hipError_tPvRmT3_T4_T5_T6_T7_T9_mT8_P12ihipStream_tbDpT10_ENKUlT_T0_E_clISt17integral_constantIbLb0EES1D_IbLb1EEEEDaS19_S1A_EUlS19_E_NS1_11comp_targetILNS1_3genE2ELNS1_11target_archE906ELNS1_3gpuE6ELNS1_3repE0EEENS1_30default_config_static_selectorELNS0_4arch9wavefront6targetE0EEEvT1_,comdat
.Lfunc_end554:
	.size	_ZN7rocprim17ROCPRIM_400000_NS6detail17trampoline_kernelINS0_14default_configENS1_25partition_config_selectorILNS1_17partition_subalgoE5ElNS0_10empty_typeEbEEZZNS1_14partition_implILS5_5ELb0ES3_mN6hipcub16HIPCUB_304000_NS21CountingInputIteratorIllEEPS6_NSA_22TransformInputIteratorIbN2at6native12_GLOBAL__N_19NonZeroOpIN3c107complexIdEEEEPKSL_lEENS0_5tupleIJPlS6_EEENSQ_IJSD_SD_EEES6_PiJS6_EEE10hipError_tPvRmT3_T4_T5_T6_T7_T9_mT8_P12ihipStream_tbDpT10_ENKUlT_T0_E_clISt17integral_constantIbLb0EES1D_IbLb1EEEEDaS19_S1A_EUlS19_E_NS1_11comp_targetILNS1_3genE2ELNS1_11target_archE906ELNS1_3gpuE6ELNS1_3repE0EEENS1_30default_config_static_selectorELNS0_4arch9wavefront6targetE0EEEvT1_, .Lfunc_end554-_ZN7rocprim17ROCPRIM_400000_NS6detail17trampoline_kernelINS0_14default_configENS1_25partition_config_selectorILNS1_17partition_subalgoE5ElNS0_10empty_typeEbEEZZNS1_14partition_implILS5_5ELb0ES3_mN6hipcub16HIPCUB_304000_NS21CountingInputIteratorIllEEPS6_NSA_22TransformInputIteratorIbN2at6native12_GLOBAL__N_19NonZeroOpIN3c107complexIdEEEEPKSL_lEENS0_5tupleIJPlS6_EEENSQ_IJSD_SD_EEES6_PiJS6_EEE10hipError_tPvRmT3_T4_T5_T6_T7_T9_mT8_P12ihipStream_tbDpT10_ENKUlT_T0_E_clISt17integral_constantIbLb0EES1D_IbLb1EEEEDaS19_S1A_EUlS19_E_NS1_11comp_targetILNS1_3genE2ELNS1_11target_archE906ELNS1_3gpuE6ELNS1_3repE0EEENS1_30default_config_static_selectorELNS0_4arch9wavefront6targetE0EEEvT1_
                                        ; -- End function
	.set _ZN7rocprim17ROCPRIM_400000_NS6detail17trampoline_kernelINS0_14default_configENS1_25partition_config_selectorILNS1_17partition_subalgoE5ElNS0_10empty_typeEbEEZZNS1_14partition_implILS5_5ELb0ES3_mN6hipcub16HIPCUB_304000_NS21CountingInputIteratorIllEEPS6_NSA_22TransformInputIteratorIbN2at6native12_GLOBAL__N_19NonZeroOpIN3c107complexIdEEEEPKSL_lEENS0_5tupleIJPlS6_EEENSQ_IJSD_SD_EEES6_PiJS6_EEE10hipError_tPvRmT3_T4_T5_T6_T7_T9_mT8_P12ihipStream_tbDpT10_ENKUlT_T0_E_clISt17integral_constantIbLb0EES1D_IbLb1EEEEDaS19_S1A_EUlS19_E_NS1_11comp_targetILNS1_3genE2ELNS1_11target_archE906ELNS1_3gpuE6ELNS1_3repE0EEENS1_30default_config_static_selectorELNS0_4arch9wavefront6targetE0EEEvT1_.num_vgpr, 0
	.set _ZN7rocprim17ROCPRIM_400000_NS6detail17trampoline_kernelINS0_14default_configENS1_25partition_config_selectorILNS1_17partition_subalgoE5ElNS0_10empty_typeEbEEZZNS1_14partition_implILS5_5ELb0ES3_mN6hipcub16HIPCUB_304000_NS21CountingInputIteratorIllEEPS6_NSA_22TransformInputIteratorIbN2at6native12_GLOBAL__N_19NonZeroOpIN3c107complexIdEEEEPKSL_lEENS0_5tupleIJPlS6_EEENSQ_IJSD_SD_EEES6_PiJS6_EEE10hipError_tPvRmT3_T4_T5_T6_T7_T9_mT8_P12ihipStream_tbDpT10_ENKUlT_T0_E_clISt17integral_constantIbLb0EES1D_IbLb1EEEEDaS19_S1A_EUlS19_E_NS1_11comp_targetILNS1_3genE2ELNS1_11target_archE906ELNS1_3gpuE6ELNS1_3repE0EEENS1_30default_config_static_selectorELNS0_4arch9wavefront6targetE0EEEvT1_.num_agpr, 0
	.set _ZN7rocprim17ROCPRIM_400000_NS6detail17trampoline_kernelINS0_14default_configENS1_25partition_config_selectorILNS1_17partition_subalgoE5ElNS0_10empty_typeEbEEZZNS1_14partition_implILS5_5ELb0ES3_mN6hipcub16HIPCUB_304000_NS21CountingInputIteratorIllEEPS6_NSA_22TransformInputIteratorIbN2at6native12_GLOBAL__N_19NonZeroOpIN3c107complexIdEEEEPKSL_lEENS0_5tupleIJPlS6_EEENSQ_IJSD_SD_EEES6_PiJS6_EEE10hipError_tPvRmT3_T4_T5_T6_T7_T9_mT8_P12ihipStream_tbDpT10_ENKUlT_T0_E_clISt17integral_constantIbLb0EES1D_IbLb1EEEEDaS19_S1A_EUlS19_E_NS1_11comp_targetILNS1_3genE2ELNS1_11target_archE906ELNS1_3gpuE6ELNS1_3repE0EEENS1_30default_config_static_selectorELNS0_4arch9wavefront6targetE0EEEvT1_.numbered_sgpr, 0
	.set _ZN7rocprim17ROCPRIM_400000_NS6detail17trampoline_kernelINS0_14default_configENS1_25partition_config_selectorILNS1_17partition_subalgoE5ElNS0_10empty_typeEbEEZZNS1_14partition_implILS5_5ELb0ES3_mN6hipcub16HIPCUB_304000_NS21CountingInputIteratorIllEEPS6_NSA_22TransformInputIteratorIbN2at6native12_GLOBAL__N_19NonZeroOpIN3c107complexIdEEEEPKSL_lEENS0_5tupleIJPlS6_EEENSQ_IJSD_SD_EEES6_PiJS6_EEE10hipError_tPvRmT3_T4_T5_T6_T7_T9_mT8_P12ihipStream_tbDpT10_ENKUlT_T0_E_clISt17integral_constantIbLb0EES1D_IbLb1EEEEDaS19_S1A_EUlS19_E_NS1_11comp_targetILNS1_3genE2ELNS1_11target_archE906ELNS1_3gpuE6ELNS1_3repE0EEENS1_30default_config_static_selectorELNS0_4arch9wavefront6targetE0EEEvT1_.num_named_barrier, 0
	.set _ZN7rocprim17ROCPRIM_400000_NS6detail17trampoline_kernelINS0_14default_configENS1_25partition_config_selectorILNS1_17partition_subalgoE5ElNS0_10empty_typeEbEEZZNS1_14partition_implILS5_5ELb0ES3_mN6hipcub16HIPCUB_304000_NS21CountingInputIteratorIllEEPS6_NSA_22TransformInputIteratorIbN2at6native12_GLOBAL__N_19NonZeroOpIN3c107complexIdEEEEPKSL_lEENS0_5tupleIJPlS6_EEENSQ_IJSD_SD_EEES6_PiJS6_EEE10hipError_tPvRmT3_T4_T5_T6_T7_T9_mT8_P12ihipStream_tbDpT10_ENKUlT_T0_E_clISt17integral_constantIbLb0EES1D_IbLb1EEEEDaS19_S1A_EUlS19_E_NS1_11comp_targetILNS1_3genE2ELNS1_11target_archE906ELNS1_3gpuE6ELNS1_3repE0EEENS1_30default_config_static_selectorELNS0_4arch9wavefront6targetE0EEEvT1_.private_seg_size, 0
	.set _ZN7rocprim17ROCPRIM_400000_NS6detail17trampoline_kernelINS0_14default_configENS1_25partition_config_selectorILNS1_17partition_subalgoE5ElNS0_10empty_typeEbEEZZNS1_14partition_implILS5_5ELb0ES3_mN6hipcub16HIPCUB_304000_NS21CountingInputIteratorIllEEPS6_NSA_22TransformInputIteratorIbN2at6native12_GLOBAL__N_19NonZeroOpIN3c107complexIdEEEEPKSL_lEENS0_5tupleIJPlS6_EEENSQ_IJSD_SD_EEES6_PiJS6_EEE10hipError_tPvRmT3_T4_T5_T6_T7_T9_mT8_P12ihipStream_tbDpT10_ENKUlT_T0_E_clISt17integral_constantIbLb0EES1D_IbLb1EEEEDaS19_S1A_EUlS19_E_NS1_11comp_targetILNS1_3genE2ELNS1_11target_archE906ELNS1_3gpuE6ELNS1_3repE0EEENS1_30default_config_static_selectorELNS0_4arch9wavefront6targetE0EEEvT1_.uses_vcc, 0
	.set _ZN7rocprim17ROCPRIM_400000_NS6detail17trampoline_kernelINS0_14default_configENS1_25partition_config_selectorILNS1_17partition_subalgoE5ElNS0_10empty_typeEbEEZZNS1_14partition_implILS5_5ELb0ES3_mN6hipcub16HIPCUB_304000_NS21CountingInputIteratorIllEEPS6_NSA_22TransformInputIteratorIbN2at6native12_GLOBAL__N_19NonZeroOpIN3c107complexIdEEEEPKSL_lEENS0_5tupleIJPlS6_EEENSQ_IJSD_SD_EEES6_PiJS6_EEE10hipError_tPvRmT3_T4_T5_T6_T7_T9_mT8_P12ihipStream_tbDpT10_ENKUlT_T0_E_clISt17integral_constantIbLb0EES1D_IbLb1EEEEDaS19_S1A_EUlS19_E_NS1_11comp_targetILNS1_3genE2ELNS1_11target_archE906ELNS1_3gpuE6ELNS1_3repE0EEENS1_30default_config_static_selectorELNS0_4arch9wavefront6targetE0EEEvT1_.uses_flat_scratch, 0
	.set _ZN7rocprim17ROCPRIM_400000_NS6detail17trampoline_kernelINS0_14default_configENS1_25partition_config_selectorILNS1_17partition_subalgoE5ElNS0_10empty_typeEbEEZZNS1_14partition_implILS5_5ELb0ES3_mN6hipcub16HIPCUB_304000_NS21CountingInputIteratorIllEEPS6_NSA_22TransformInputIteratorIbN2at6native12_GLOBAL__N_19NonZeroOpIN3c107complexIdEEEEPKSL_lEENS0_5tupleIJPlS6_EEENSQ_IJSD_SD_EEES6_PiJS6_EEE10hipError_tPvRmT3_T4_T5_T6_T7_T9_mT8_P12ihipStream_tbDpT10_ENKUlT_T0_E_clISt17integral_constantIbLb0EES1D_IbLb1EEEEDaS19_S1A_EUlS19_E_NS1_11comp_targetILNS1_3genE2ELNS1_11target_archE906ELNS1_3gpuE6ELNS1_3repE0EEENS1_30default_config_static_selectorELNS0_4arch9wavefront6targetE0EEEvT1_.has_dyn_sized_stack, 0
	.set _ZN7rocprim17ROCPRIM_400000_NS6detail17trampoline_kernelINS0_14default_configENS1_25partition_config_selectorILNS1_17partition_subalgoE5ElNS0_10empty_typeEbEEZZNS1_14partition_implILS5_5ELb0ES3_mN6hipcub16HIPCUB_304000_NS21CountingInputIteratorIllEEPS6_NSA_22TransformInputIteratorIbN2at6native12_GLOBAL__N_19NonZeroOpIN3c107complexIdEEEEPKSL_lEENS0_5tupleIJPlS6_EEENSQ_IJSD_SD_EEES6_PiJS6_EEE10hipError_tPvRmT3_T4_T5_T6_T7_T9_mT8_P12ihipStream_tbDpT10_ENKUlT_T0_E_clISt17integral_constantIbLb0EES1D_IbLb1EEEEDaS19_S1A_EUlS19_E_NS1_11comp_targetILNS1_3genE2ELNS1_11target_archE906ELNS1_3gpuE6ELNS1_3repE0EEENS1_30default_config_static_selectorELNS0_4arch9wavefront6targetE0EEEvT1_.has_recursion, 0
	.set _ZN7rocprim17ROCPRIM_400000_NS6detail17trampoline_kernelINS0_14default_configENS1_25partition_config_selectorILNS1_17partition_subalgoE5ElNS0_10empty_typeEbEEZZNS1_14partition_implILS5_5ELb0ES3_mN6hipcub16HIPCUB_304000_NS21CountingInputIteratorIllEEPS6_NSA_22TransformInputIteratorIbN2at6native12_GLOBAL__N_19NonZeroOpIN3c107complexIdEEEEPKSL_lEENS0_5tupleIJPlS6_EEENSQ_IJSD_SD_EEES6_PiJS6_EEE10hipError_tPvRmT3_T4_T5_T6_T7_T9_mT8_P12ihipStream_tbDpT10_ENKUlT_T0_E_clISt17integral_constantIbLb0EES1D_IbLb1EEEEDaS19_S1A_EUlS19_E_NS1_11comp_targetILNS1_3genE2ELNS1_11target_archE906ELNS1_3gpuE6ELNS1_3repE0EEENS1_30default_config_static_selectorELNS0_4arch9wavefront6targetE0EEEvT1_.has_indirect_call, 0
	.section	.AMDGPU.csdata,"",@progbits
; Kernel info:
; codeLenInByte = 0
; TotalNumSgprs: 0
; NumVgprs: 0
; ScratchSize: 0
; MemoryBound: 0
; FloatMode: 240
; IeeeMode: 1
; LDSByteSize: 0 bytes/workgroup (compile time only)
; SGPRBlocks: 0
; VGPRBlocks: 0
; NumSGPRsForWavesPerEU: 1
; NumVGPRsForWavesPerEU: 1
; Occupancy: 16
; WaveLimiterHint : 0
; COMPUTE_PGM_RSRC2:SCRATCH_EN: 0
; COMPUTE_PGM_RSRC2:USER_SGPR: 2
; COMPUTE_PGM_RSRC2:TRAP_HANDLER: 0
; COMPUTE_PGM_RSRC2:TGID_X_EN: 1
; COMPUTE_PGM_RSRC2:TGID_Y_EN: 0
; COMPUTE_PGM_RSRC2:TGID_Z_EN: 0
; COMPUTE_PGM_RSRC2:TIDIG_COMP_CNT: 0
	.section	.text._ZN7rocprim17ROCPRIM_400000_NS6detail17trampoline_kernelINS0_14default_configENS1_25partition_config_selectorILNS1_17partition_subalgoE5ElNS0_10empty_typeEbEEZZNS1_14partition_implILS5_5ELb0ES3_mN6hipcub16HIPCUB_304000_NS21CountingInputIteratorIllEEPS6_NSA_22TransformInputIteratorIbN2at6native12_GLOBAL__N_19NonZeroOpIN3c107complexIdEEEEPKSL_lEENS0_5tupleIJPlS6_EEENSQ_IJSD_SD_EEES6_PiJS6_EEE10hipError_tPvRmT3_T4_T5_T6_T7_T9_mT8_P12ihipStream_tbDpT10_ENKUlT_T0_E_clISt17integral_constantIbLb0EES1D_IbLb1EEEEDaS19_S1A_EUlS19_E_NS1_11comp_targetILNS1_3genE10ELNS1_11target_archE1200ELNS1_3gpuE4ELNS1_3repE0EEENS1_30default_config_static_selectorELNS0_4arch9wavefront6targetE0EEEvT1_,"axG",@progbits,_ZN7rocprim17ROCPRIM_400000_NS6detail17trampoline_kernelINS0_14default_configENS1_25partition_config_selectorILNS1_17partition_subalgoE5ElNS0_10empty_typeEbEEZZNS1_14partition_implILS5_5ELb0ES3_mN6hipcub16HIPCUB_304000_NS21CountingInputIteratorIllEEPS6_NSA_22TransformInputIteratorIbN2at6native12_GLOBAL__N_19NonZeroOpIN3c107complexIdEEEEPKSL_lEENS0_5tupleIJPlS6_EEENSQ_IJSD_SD_EEES6_PiJS6_EEE10hipError_tPvRmT3_T4_T5_T6_T7_T9_mT8_P12ihipStream_tbDpT10_ENKUlT_T0_E_clISt17integral_constantIbLb0EES1D_IbLb1EEEEDaS19_S1A_EUlS19_E_NS1_11comp_targetILNS1_3genE10ELNS1_11target_archE1200ELNS1_3gpuE4ELNS1_3repE0EEENS1_30default_config_static_selectorELNS0_4arch9wavefront6targetE0EEEvT1_,comdat
	.globl	_ZN7rocprim17ROCPRIM_400000_NS6detail17trampoline_kernelINS0_14default_configENS1_25partition_config_selectorILNS1_17partition_subalgoE5ElNS0_10empty_typeEbEEZZNS1_14partition_implILS5_5ELb0ES3_mN6hipcub16HIPCUB_304000_NS21CountingInputIteratorIllEEPS6_NSA_22TransformInputIteratorIbN2at6native12_GLOBAL__N_19NonZeroOpIN3c107complexIdEEEEPKSL_lEENS0_5tupleIJPlS6_EEENSQ_IJSD_SD_EEES6_PiJS6_EEE10hipError_tPvRmT3_T4_T5_T6_T7_T9_mT8_P12ihipStream_tbDpT10_ENKUlT_T0_E_clISt17integral_constantIbLb0EES1D_IbLb1EEEEDaS19_S1A_EUlS19_E_NS1_11comp_targetILNS1_3genE10ELNS1_11target_archE1200ELNS1_3gpuE4ELNS1_3repE0EEENS1_30default_config_static_selectorELNS0_4arch9wavefront6targetE0EEEvT1_ ; -- Begin function _ZN7rocprim17ROCPRIM_400000_NS6detail17trampoline_kernelINS0_14default_configENS1_25partition_config_selectorILNS1_17partition_subalgoE5ElNS0_10empty_typeEbEEZZNS1_14partition_implILS5_5ELb0ES3_mN6hipcub16HIPCUB_304000_NS21CountingInputIteratorIllEEPS6_NSA_22TransformInputIteratorIbN2at6native12_GLOBAL__N_19NonZeroOpIN3c107complexIdEEEEPKSL_lEENS0_5tupleIJPlS6_EEENSQ_IJSD_SD_EEES6_PiJS6_EEE10hipError_tPvRmT3_T4_T5_T6_T7_T9_mT8_P12ihipStream_tbDpT10_ENKUlT_T0_E_clISt17integral_constantIbLb0EES1D_IbLb1EEEEDaS19_S1A_EUlS19_E_NS1_11comp_targetILNS1_3genE10ELNS1_11target_archE1200ELNS1_3gpuE4ELNS1_3repE0EEENS1_30default_config_static_selectorELNS0_4arch9wavefront6targetE0EEEvT1_
	.p2align	8
	.type	_ZN7rocprim17ROCPRIM_400000_NS6detail17trampoline_kernelINS0_14default_configENS1_25partition_config_selectorILNS1_17partition_subalgoE5ElNS0_10empty_typeEbEEZZNS1_14partition_implILS5_5ELb0ES3_mN6hipcub16HIPCUB_304000_NS21CountingInputIteratorIllEEPS6_NSA_22TransformInputIteratorIbN2at6native12_GLOBAL__N_19NonZeroOpIN3c107complexIdEEEEPKSL_lEENS0_5tupleIJPlS6_EEENSQ_IJSD_SD_EEES6_PiJS6_EEE10hipError_tPvRmT3_T4_T5_T6_T7_T9_mT8_P12ihipStream_tbDpT10_ENKUlT_T0_E_clISt17integral_constantIbLb0EES1D_IbLb1EEEEDaS19_S1A_EUlS19_E_NS1_11comp_targetILNS1_3genE10ELNS1_11target_archE1200ELNS1_3gpuE4ELNS1_3repE0EEENS1_30default_config_static_selectorELNS0_4arch9wavefront6targetE0EEEvT1_,@function
_ZN7rocprim17ROCPRIM_400000_NS6detail17trampoline_kernelINS0_14default_configENS1_25partition_config_selectorILNS1_17partition_subalgoE5ElNS0_10empty_typeEbEEZZNS1_14partition_implILS5_5ELb0ES3_mN6hipcub16HIPCUB_304000_NS21CountingInputIteratorIllEEPS6_NSA_22TransformInputIteratorIbN2at6native12_GLOBAL__N_19NonZeroOpIN3c107complexIdEEEEPKSL_lEENS0_5tupleIJPlS6_EEENSQ_IJSD_SD_EEES6_PiJS6_EEE10hipError_tPvRmT3_T4_T5_T6_T7_T9_mT8_P12ihipStream_tbDpT10_ENKUlT_T0_E_clISt17integral_constantIbLb0EES1D_IbLb1EEEEDaS19_S1A_EUlS19_E_NS1_11comp_targetILNS1_3genE10ELNS1_11target_archE1200ELNS1_3gpuE4ELNS1_3repE0EEENS1_30default_config_static_selectorELNS0_4arch9wavefront6targetE0EEEvT1_: ; @_ZN7rocprim17ROCPRIM_400000_NS6detail17trampoline_kernelINS0_14default_configENS1_25partition_config_selectorILNS1_17partition_subalgoE5ElNS0_10empty_typeEbEEZZNS1_14partition_implILS5_5ELb0ES3_mN6hipcub16HIPCUB_304000_NS21CountingInputIteratorIllEEPS6_NSA_22TransformInputIteratorIbN2at6native12_GLOBAL__N_19NonZeroOpIN3c107complexIdEEEEPKSL_lEENS0_5tupleIJPlS6_EEENSQ_IJSD_SD_EEES6_PiJS6_EEE10hipError_tPvRmT3_T4_T5_T6_T7_T9_mT8_P12ihipStream_tbDpT10_ENKUlT_T0_E_clISt17integral_constantIbLb0EES1D_IbLb1EEEEDaS19_S1A_EUlS19_E_NS1_11comp_targetILNS1_3genE10ELNS1_11target_archE1200ELNS1_3gpuE4ELNS1_3repE0EEENS1_30default_config_static_selectorELNS0_4arch9wavefront6targetE0EEEvT1_
; %bb.0:
	s_clause 0x3
	s_load_b64 s[12:13], s[0:1], 0x30
	s_load_b128 s[8:11], s[0:1], 0x48
	s_load_b64 s[18:19], s[0:1], 0x58
	s_load_b64 s[14:15], s[0:1], 0x68
	v_cmp_eq_u32_e64 s2, 0, v0
	s_and_saveexec_b32 s3, s2
	s_cbranch_execz .LBB555_4
; %bb.1:
	s_mov_b32 s5, exec_lo
	s_mov_b32 s4, exec_lo
	v_mbcnt_lo_u32_b32 v1, s5, 0
                                        ; implicit-def: $vgpr2
	s_delay_alu instid0(VALU_DEP_1)
	v_cmpx_eq_u32_e32 0, v1
	s_cbranch_execz .LBB555_3
; %bb.2:
	s_load_b64 s[6:7], s[0:1], 0x78
	s_bcnt1_i32_b32 s5, s5
	s_wait_alu 0xfffe
	v_dual_mov_b32 v2, 0 :: v_dual_mov_b32 v3, s5
	s_wait_kmcnt 0x0
	global_atomic_add_u32 v2, v2, v3, s[6:7] th:TH_ATOMIC_RETURN scope:SCOPE_DEV
.LBB555_3:
	s_or_b32 exec_lo, exec_lo, s4
	s_wait_loadcnt 0x0
	v_readfirstlane_b32 s4, v2
	s_wait_alu 0xf1ff
	s_delay_alu instid0(VALU_DEP_1)
	v_dual_mov_b32 v2, 0 :: v_dual_add_nc_u32 v1, s4, v1
	ds_store_b32 v2, v1
.LBB555_4:
	s_or_b32 exec_lo, exec_lo, s3
	v_mov_b32_e32 v1, 0
	s_clause 0x2
	s_load_b128 s[4:7], s[0:1], 0x8
	s_load_b64 s[16:17], s[0:1], 0x20
	s_load_b32 s0, s[0:1], 0x70
	s_wait_dscnt 0x0
	s_barrier_signal -1
	s_barrier_wait -1
	global_inv scope:SCOPE_SE
	ds_load_b32 v2, v1
	s_wait_loadcnt_dscnt 0x0
	s_barrier_signal -1
	s_barrier_wait -1
	global_inv scope:SCOPE_SE
	s_wait_kmcnt 0x0
	global_load_b64 v[17:18], v1, s[10:11]
	s_mov_b32 s11, 0
	v_lshrrev_b32_e32 v1, 2, v0
	v_or_b32_e32 v10, 0x200, v0
	v_or_b32_e32 v9, 0x300, v0
	s_add_nc_u64 s[4:5], s[6:7], s[4:5]
	s_lshl_b32 s10, s0, 10
	s_add_co_i32 s20, s0, -1
	s_add_nc_u64 s[0:1], s[6:7], s[10:11]
	s_lshl_b32 s10, s20, 10
	v_cmp_le_u64_e64 s1, s[18:19], s[0:1]
	v_readfirstlane_b32 s21, v2
	s_add_co_i32 s0, s6, s10
	s_lshl_b32 s3, s21, 10
	s_cmp_eq_u32 s21, s20
	s_mov_b32 s10, s3
	s_cselect_b32 s19, -1, 0
	s_wait_alu 0xfffe
	s_and_b32 s1, s1, s19
	s_wait_alu 0xfffe
	s_xor_b32 s20, s1, -1
	s_mov_b32 s1, -1
	s_and_b32 vcc_lo, exec_lo, s20
	s_cbranch_vccz .LBB555_6
; %bb.5:
	v_or_b32_e32 v8, 0x100, v0
	s_add_nc_u64 s[22:23], s[10:11], s[4:5]
	v_lshrrev_b32_e32 v11, 2, v10
	v_add_co_u32 v2, s1, s22, v0
	s_delay_alu instid0(VALU_DEP_3)
	v_lshrrev_b32_e32 v8, 2, v8
	v_lshrrev_b32_e32 v12, 2, v9
	s_wait_alu 0xf1fe
	v_add_co_ci_u32_e64 v3, null, s23, 0, s1
	v_and_b32_e32 v13, 56, v1
	v_lshlrev_b32_e32 v14, 3, v0
	v_and_b32_e32 v8, 0x78, v8
	v_add_co_u32 v4, vcc_lo, 0x100, v2
	v_and_b32_e32 v15, 0xb8, v11
	v_and_b32_e32 v16, 0xf8, v12
	v_add_co_ci_u32_e64 v5, null, 0, v3, vcc_lo
	v_add_co_u32 v6, vcc_lo, 0x200, v2
	v_add_nc_u32_e32 v13, v13, v14
	s_wait_alu 0xfffd
	v_add_co_ci_u32_e64 v7, null, 0, v3, vcc_lo
	v_add_co_u32 v11, vcc_lo, 0x300, v2
	v_add_nc_u32_e32 v8, v8, v14
	v_add_nc_u32_e32 v15, v15, v14
	s_wait_alu 0xfffd
	v_add_co_ci_u32_e64 v12, null, 0, v3, vcc_lo
	v_add_nc_u32_e32 v14, v16, v14
	ds_store_b64 v13, v[2:3]
	ds_store_b64 v8, v[4:5] offset:2048
	ds_store_b64 v15, v[6:7] offset:4096
	;; [unrolled: 1-line block ×3, first 2 shown]
	s_wait_loadcnt_dscnt 0x0
	s_barrier_signal -1
	s_mov_b32 s1, s11
	s_barrier_wait -1
.LBB555_6:
	s_sub_co_i32 s18, s18, s0
	s_wait_alu 0xfffe
	s_and_not1_b32 vcc_lo, exec_lo, s1
	v_cmp_gt_u32_e64 s0, s18, v0
	s_wait_alu 0xfffe
	s_cbranch_vccnz .LBB555_8
; %bb.7:
	v_or_b32_e32 v8, 0x100, v0
	s_add_nc_u64 s[4:5], s[4:5], s[10:11]
	v_lshrrev_b32_e32 v13, 2, v10
	s_wait_alu 0xfffe
	v_add_co_u32 v2, s1, s4, v0
	s_wait_alu 0xf1ff
	v_add_co_ci_u32_e64 v3, null, s5, 0, s1
	v_add_co_u32 v4, s1, s4, v8
	s_wait_alu 0xf1ff
	v_add_co_ci_u32_e64 v5, null, s5, 0, s1
	v_cmp_gt_u32_e32 vcc_lo, s18, v8
	v_add_co_u32 v11, s1, s4, v9
	s_wait_alu 0xf1ff
	v_add_co_ci_u32_e64 v12, null, s5, 0, s1
	s_wait_alu 0xfffd
	v_dual_cndmask_b32 v5, 0, v5 :: v_dual_cndmask_b32 v4, 0, v4
	v_cmp_gt_u32_e32 vcc_lo, s18, v9
	v_lshrrev_b32_e32 v8, 2, v8
	v_lshrrev_b32_e32 v14, 2, v9
	v_cndmask_b32_e64 v3, 0, v3, s0
	v_cndmask_b32_e64 v2, 0, v2, s0
	v_add_co_u32 v6, s0, s4, v10
	s_wait_alu 0xfffd
	v_dual_cndmask_b32 v12, 0, v12 :: v_dual_and_b32 v1, 56, v1
	v_lshlrev_b32_e32 v15, 3, v0
	v_dual_cndmask_b32 v11, 0, v11 :: v_dual_and_b32 v8, 0x78, v8
	s_wait_alu 0xf1ff
	v_add_co_ci_u32_e64 v7, null, s5, 0, s0
	v_cmp_gt_u32_e64 s0, s18, v10
	v_and_b32_e32 v13, 0xb8, v13
	v_and_b32_e32 v14, 0xf8, v14
	v_add_nc_u32_e32 v1, v1, v15
	v_add_nc_u32_e32 v8, v8, v15
	s_wait_alu 0xf1ff
	v_cndmask_b32_e64 v7, 0, v7, s0
	v_cndmask_b32_e64 v6, 0, v6, s0
	v_add_nc_u32_e32 v13, v13, v15
	v_add_nc_u32_e32 v14, v14, v15
	ds_store_b64 v1, v[2:3]
	ds_store_b64 v8, v[4:5] offset:2048
	ds_store_b64 v13, v[6:7] offset:4096
	;; [unrolled: 1-line block ×3, first 2 shown]
	s_wait_loadcnt_dscnt 0x0
	s_barrier_signal -1
	s_barrier_wait -1
.LBB555_8:
	v_and_b32_e32 v1, 0xf8, v0
	s_wait_loadcnt 0x0
	global_inv scope:SCOPE_SE
	s_lshl_b64 s[0:1], s[6:7], 4
	v_lshlrev_b32_e32 v11, 4, v0
	v_lshrrev_b32_e32 v28, 5, v0
	v_lshl_add_u32 v1, v0, 5, v1
	s_wait_alu 0xfffe
	s_add_nc_u64 s[0:1], s[16:17], s[0:1]
	s_lshl_b64 s[4:5], s[10:11], 4
	s_and_b32 vcc_lo, exec_lo, s20
	s_wait_alu 0xfffe
	s_add_nc_u64 s[10:11], s[0:1], s[4:5]
	ds_load_2addr_b64 v[5:8], v1 offset1:1
	ds_load_2addr_b64 v[1:4], v1 offset0:2 offset1:3
	s_mov_b32 s0, -1
	s_wait_loadcnt_dscnt 0x0
	s_barrier_signal -1
	s_barrier_wait -1
	global_inv scope:SCOPE_SE
	s_cbranch_vccz .LBB555_10
; %bb.9:
	s_clause 0x3
	global_load_b128 v[12:15], v11, s[10:11]
	global_load_b128 v[19:22], v11, s[10:11] offset:4096
	global_load_b128 v[23:26], v11, s[10:11] offset:8192
	;; [unrolled: 1-line block ×3, first 2 shown]
	s_wait_loadcnt 0x3
	v_cmp_neq_f64_e32 vcc_lo, 0, v[12:13]
	v_cmp_neq_f64_e64 s0, 0, v[14:15]
	s_wait_loadcnt 0x2
	v_cmp_neq_f64_e64 s1, 0, v[19:20]
	v_cmp_neq_f64_e64 s3, 0, v[21:22]
	s_wait_loadcnt 0x1
	v_cmp_neq_f64_e64 s4, 0, v[23:24]
	;; [unrolled: 3-line block ×3, first 2 shown]
	v_cmp_neq_f64_e64 s7, 0, v[31:32]
	v_or_b32_e32 v12, 0x100, v0
	v_lshrrev_b32_e32 v13, 5, v10
	v_lshrrev_b32_e32 v14, 5, v9
	v_and_b32_e32 v15, 4, v28
	s_delay_alu instid0(VALU_DEP_4) | instskip(NEXT) | instid1(VALU_DEP_4)
	v_lshrrev_b32_e32 v12, 5, v12
	v_and_b32_e32 v13, 20, v13
	s_delay_alu instid0(VALU_DEP_4) | instskip(NEXT) | instid1(VALU_DEP_4)
	v_and_b32_e32 v14, 28, v14
	v_add_nc_u32_e32 v15, v15, v0
	s_delay_alu instid0(VALU_DEP_4) | instskip(NEXT) | instid1(VALU_DEP_4)
	v_and_b32_e32 v12, 12, v12
	v_add_nc_u32_e32 v13, v13, v0
	s_delay_alu instid0(VALU_DEP_4) | instskip(NEXT) | instid1(VALU_DEP_3)
	v_add_nc_u32_e32 v14, v14, v0
	v_add_nc_u32_e32 v12, v12, v0
	s_wait_alu 0xfffe
	s_or_b32 s0, vcc_lo, s0
	s_wait_alu 0xfffe
	v_cndmask_b32_e64 v16, 0, 1, s0
	s_or_b32 s0, s1, s3
	s_wait_alu 0xfffe
	v_cndmask_b32_e64 v19, 0, 1, s0
	s_or_b32 s0, s4, s5
	;; [unrolled: 3-line block ×3, first 2 shown]
	s_wait_alu 0xfffe
	v_cndmask_b32_e64 v21, 0, 1, s0
	s_mov_b32 s0, 0
	ds_store_b8 v15, v16
	ds_store_b8 v12, v19 offset:256
	ds_store_b8 v13, v20 offset:512
	;; [unrolled: 1-line block ×3, first 2 shown]
	s_wait_dscnt 0x0
	s_barrier_signal -1
	s_barrier_wait -1
.LBB555_10:
	v_lshlrev_b32_e32 v12, 2, v0
	v_lshrrev_b32_e32 v13, 3, v0
	s_wait_alu 0xfffe
	s_and_not1_b32 vcc_lo, exec_lo, s0
	s_wait_alu 0xfffe
	s_cbranch_vccnz .LBB555_18
; %bb.11:
	v_dual_mov_b32 v14, 0 :: v_dual_mov_b32 v15, 0
	s_mov_b32 s1, exec_lo
	v_cmpx_gt_u32_e64 s18, v0
	s_cbranch_execz .LBB555_13
; %bb.12:
	global_load_b128 v[19:22], v11, s[10:11]
	s_wait_loadcnt 0x0
	v_cmp_neq_f64_e32 vcc_lo, 0, v[19:20]
	v_cmp_neq_f64_e64 s0, 0, v[21:22]
	s_or_b32 s0, vcc_lo, s0
	s_wait_alu 0xfffe
	v_cndmask_b32_e64 v14, 0, 1, s0
	v_cndmask_b32_e64 v15, 0, 1, s0
.LBB555_13:
	s_wait_alu 0xfffe
	s_or_b32 exec_lo, exec_lo, s1
	v_or_b32_e32 v16, 0x100, v0
	s_mov_b32 s1, exec_lo
	s_delay_alu instid0(VALU_DEP_1)
	v_cmpx_gt_u32_e64 s18, v16
	s_cbranch_execnz .LBB555_132
; %bb.14:
	s_wait_alu 0xfffe
	s_or_b32 exec_lo, exec_lo, s1
	s_delay_alu instid0(SALU_CYCLE_1)
	s_mov_b32 s1, exec_lo
	v_cmpx_gt_u32_e64 s18, v10
	s_cbranch_execnz .LBB555_133
.LBB555_15:
	s_wait_alu 0xfffe
	s_or_b32 exec_lo, exec_lo, s1
	s_delay_alu instid0(SALU_CYCLE_1)
	s_mov_b32 s1, exec_lo
	v_cmpx_gt_u32_e64 s18, v9
	s_cbranch_execz .LBB555_17
.LBB555_16:
	global_load_b128 v[19:22], v11, s[10:11] offset:12288
	s_wait_loadcnt 0x0
	v_cmp_neq_f64_e32 vcc_lo, 0, v[19:20]
	v_cmp_neq_f64_e64 s0, 0, v[21:22]
	v_lshrrev_b32_e32 v19, 16, v15
	s_or_b32 s0, vcc_lo, s0
	s_wait_alu 0xfffe
	v_cndmask_b32_e64 v11, 0, 1, s0
	s_delay_alu instid0(VALU_DEP_1) | instskip(NEXT) | instid1(VALU_DEP_1)
	v_lshlrev_b16 v11, 8, v11
	v_or_b32_e32 v11, v19, v11
	s_delay_alu instid0(VALU_DEP_1) | instskip(NEXT) | instid1(VALU_DEP_1)
	v_lshlrev_b32_e32 v11, 16, v11
	v_and_or_b32 v15, 0xffff, v15, v11
.LBB555_17:
	s_wait_alu 0xfffe
	s_or_b32 exec_lo, exec_lo, s1
	v_lshrrev_b32_e32 v11, 5, v16
	v_lshrrev_b32_e32 v10, 5, v10
	;; [unrolled: 1-line block ×3, first 2 shown]
	v_and_b32_e32 v16, 4, v28
	v_lshrrev_b32_e32 v19, 8, v15
	v_and_b32_e32 v11, 12, v11
	v_and_b32_e32 v10, 28, v10
	;; [unrolled: 1-line block ×3, first 2 shown]
	v_add_nc_u32_e32 v16, v16, v0
	v_lshrrev_b32_e32 v20, 24, v15
	v_add_nc_u32_e32 v11, v11, v0
	v_add_nc_u32_e32 v10, v10, v0
	v_add_nc_u32_e32 v9, v9, v0
	ds_store_b8 v16, v14
	ds_store_b8 v11, v19 offset:256
	ds_store_b8_d16_hi v10, v15 offset:512
	ds_store_b8 v9, v20 offset:768
	s_wait_loadcnt_dscnt 0x0
	s_barrier_signal -1
	s_barrier_wait -1
.LBB555_18:
	v_dual_mov_b32 v10, 0 :: v_dual_and_b32 v9, 28, v13
	s_wait_loadcnt 0x0
	global_inv scope:SCOPE_SE
	v_mbcnt_lo_u32_b32 v33, -1, 0
	s_cmp_lg_u32 s21, 0
	v_add_nc_u32_e32 v9, v9, v12
	s_mov_b32 s1, -1
	s_delay_alu instid0(VALU_DEP_2)
	v_and_b32_e32 v34, 15, v33
	ds_load_b32 v29, v9
	s_wait_loadcnt_dscnt 0x0
	s_barrier_signal -1
	s_barrier_wait -1
	global_inv scope:SCOPE_SE
	v_and_b32_e32 v32, 0xff, v29
	v_bfe_u32 v31, v29, 8, 8
	v_bfe_u32 v30, v29, 16, 8
	v_lshrrev_b32_e32 v27, 24, v29
	s_delay_alu instid0(VALU_DEP_2) | instskip(NEXT) | instid1(VALU_DEP_1)
	v_add3_u32 v9, v31, v32, v30
	v_add_co_u32 v19, s0, v9, v27
	s_wait_alu 0xf1ff
	v_add_co_ci_u32_e64 v20, null, 0, 0, s0
	v_cmp_ne_u32_e64 s0, 0, v34
	s_cbranch_scc0 .LBB555_75
; %bb.19:
	v_mov_b32_e32 v11, v19
	v_mov_b32_dpp v9, v19 row_shr:1 row_mask:0xf bank_mask:0xf
	v_mov_b32_dpp v14, v10 row_shr:1 row_mask:0xf bank_mask:0xf
	v_dual_mov_b32 v13, v19 :: v_dual_mov_b32 v12, v20
	s_and_saveexec_b32 s1, s0
; %bb.20:
	s_delay_alu instid0(VALU_DEP_3) | instskip(SKIP_2) | instid1(VALU_DEP_2)
	v_add_co_u32 v13, vcc_lo, v19, v9
	s_wait_alu 0xfffd
	v_add_co_ci_u32_e64 v10, null, 0, v20, vcc_lo
	v_add_co_u32 v9, vcc_lo, 0, v13
	s_wait_alu 0xfffd
	s_delay_alu instid0(VALU_DEP_2) | instskip(NEXT) | instid1(VALU_DEP_1)
	v_add_co_ci_u32_e64 v10, null, v14, v10, vcc_lo
	v_dual_mov_b32 v12, v10 :: v_dual_mov_b32 v11, v9
; %bb.21:
	s_wait_alu 0xfffe
	s_or_b32 exec_lo, exec_lo, s1
	v_mov_b32_dpp v9, v13 row_shr:2 row_mask:0xf bank_mask:0xf
	v_mov_b32_dpp v14, v10 row_shr:2 row_mask:0xf bank_mask:0xf
	s_mov_b32 s1, exec_lo
	v_cmpx_lt_u32_e32 1, v34
; %bb.22:
	s_delay_alu instid0(VALU_DEP_3) | instskip(SKIP_2) | instid1(VALU_DEP_2)
	v_add_co_u32 v13, vcc_lo, v11, v9
	s_wait_alu 0xfffd
	v_add_co_ci_u32_e64 v10, null, 0, v12, vcc_lo
	v_add_co_u32 v9, vcc_lo, 0, v13
	s_wait_alu 0xfffd
	s_delay_alu instid0(VALU_DEP_2) | instskip(NEXT) | instid1(VALU_DEP_1)
	v_add_co_ci_u32_e64 v10, null, v14, v10, vcc_lo
	v_dual_mov_b32 v12, v10 :: v_dual_mov_b32 v11, v9
; %bb.23:
	s_wait_alu 0xfffe
	s_or_b32 exec_lo, exec_lo, s1
	v_mov_b32_dpp v9, v13 row_shr:4 row_mask:0xf bank_mask:0xf
	v_mov_b32_dpp v14, v10 row_shr:4 row_mask:0xf bank_mask:0xf
	s_mov_b32 s1, exec_lo
	v_cmpx_lt_u32_e32 3, v34
	;; [unrolled: 17-line block ×3, first 2 shown]
; %bb.26:
	s_delay_alu instid0(VALU_DEP_3) | instskip(SKIP_2) | instid1(VALU_DEP_2)
	v_add_co_u32 v13, vcc_lo, v11, v14
	s_wait_alu 0xfffd
	v_add_co_ci_u32_e64 v10, null, 0, v12, vcc_lo
	v_add_co_u32 v11, vcc_lo, 0, v13
	s_wait_alu 0xfffd
	s_delay_alu instid0(VALU_DEP_2) | instskip(NEXT) | instid1(VALU_DEP_1)
	v_add_co_ci_u32_e64 v12, null, v9, v10, vcc_lo
	v_mov_b32_e32 v10, v12
; %bb.27:
	s_wait_alu 0xfffe
	s_or_b32 exec_lo, exec_lo, s1
	ds_swizzle_b32 v9, v13 offset:swizzle(BROADCAST,32,15)
	ds_swizzle_b32 v14, v10 offset:swizzle(BROADCAST,32,15)
	v_and_b32_e32 v15, 16, v33
	s_mov_b32 s1, exec_lo
	s_delay_alu instid0(VALU_DEP_1)
	v_cmpx_ne_u32_e32 0, v15
	s_cbranch_execz .LBB555_29
; %bb.28:
	s_wait_dscnt 0x1
	v_add_co_u32 v13, vcc_lo, v11, v9
	s_wait_alu 0xfffd
	v_add_co_ci_u32_e64 v10, null, 0, v12, vcc_lo
	s_delay_alu instid0(VALU_DEP_2) | instskip(SKIP_2) | instid1(VALU_DEP_2)
	v_add_co_u32 v9, vcc_lo, 0, v13
	s_wait_dscnt 0x0
	s_wait_alu 0xfffd
	v_add_co_ci_u32_e64 v10, null, v14, v10, vcc_lo
	s_delay_alu instid0(VALU_DEP_1)
	v_dual_mov_b32 v12, v10 :: v_dual_mov_b32 v11, v9
.LBB555_29:
	s_wait_alu 0xfffe
	s_or_b32 exec_lo, exec_lo, s1
	s_wait_dscnt 0x1
	v_or_b32_e32 v9, 31, v0
	s_mov_b32 s1, exec_lo
	s_delay_alu instid0(VALU_DEP_1)
	v_cmpx_eq_u32_e64 v0, v9
; %bb.30:
	v_lshlrev_b32_e32 v9, 3, v28
	ds_store_b64 v9, v[11:12]
; %bb.31:
	s_wait_alu 0xfffe
	s_or_b32 exec_lo, exec_lo, s1
	s_delay_alu instid0(SALU_CYCLE_1)
	s_mov_b32 s1, exec_lo
	s_wait_loadcnt_dscnt 0x0
	s_barrier_signal -1
	s_barrier_wait -1
	global_inv scope:SCOPE_SE
	v_cmpx_gt_u32_e32 8, v0
	s_cbranch_execz .LBB555_39
; %bb.32:
	v_lshlrev_b32_e32 v9, 3, v0
	s_mov_b32 s3, exec_lo
	ds_load_b64 v[11:12], v9
	s_wait_dscnt 0x0
	v_dual_mov_b32 v15, v11 :: v_dual_and_b32 v14, 7, v33
	v_mov_b32_dpp v21, v11 row_shr:1 row_mask:0xf bank_mask:0xf
	v_mov_b32_dpp v16, v12 row_shr:1 row_mask:0xf bank_mask:0xf
	s_delay_alu instid0(VALU_DEP_3)
	v_cmpx_ne_u32_e32 0, v14
; %bb.33:
	s_delay_alu instid0(VALU_DEP_3) | instskip(SKIP_2) | instid1(VALU_DEP_2)
	v_add_co_u32 v15, vcc_lo, v11, v21
	s_wait_alu 0xfffd
	v_add_co_ci_u32_e64 v12, null, 0, v12, vcc_lo
	v_add_co_u32 v11, vcc_lo, 0, v15
	s_wait_alu 0xfffd
	s_delay_alu instid0(VALU_DEP_2)
	v_add_co_ci_u32_e64 v12, null, v16, v12, vcc_lo
; %bb.34:
	s_or_b32 exec_lo, exec_lo, s3
	v_mov_b32_dpp v21, v15 row_shr:2 row_mask:0xf bank_mask:0xf
	s_delay_alu instid0(VALU_DEP_2)
	v_mov_b32_dpp v16, v12 row_shr:2 row_mask:0xf bank_mask:0xf
	s_mov_b32 s3, exec_lo
	v_cmpx_lt_u32_e32 1, v14
; %bb.35:
	s_delay_alu instid0(VALU_DEP_3) | instskip(SKIP_2) | instid1(VALU_DEP_2)
	v_add_co_u32 v15, vcc_lo, v11, v21
	s_wait_alu 0xfffd
	v_add_co_ci_u32_e64 v12, null, 0, v12, vcc_lo
	v_add_co_u32 v11, vcc_lo, 0, v15
	s_wait_alu 0xfffd
	s_delay_alu instid0(VALU_DEP_2)
	v_add_co_ci_u32_e64 v12, null, v16, v12, vcc_lo
; %bb.36:
	s_or_b32 exec_lo, exec_lo, s3
	v_mov_b32_dpp v16, v15 row_shr:4 row_mask:0xf bank_mask:0xf
	s_delay_alu instid0(VALU_DEP_2)
	v_mov_b32_dpp v15, v12 row_shr:4 row_mask:0xf bank_mask:0xf
	s_mov_b32 s3, exec_lo
	v_cmpx_lt_u32_e32 3, v14
; %bb.37:
	s_delay_alu instid0(VALU_DEP_3) | instskip(SKIP_2) | instid1(VALU_DEP_2)
	v_add_co_u32 v11, vcc_lo, v11, v16
	s_wait_alu 0xfffd
	v_add_co_ci_u32_e64 v12, null, 0, v12, vcc_lo
	v_add_co_u32 v11, vcc_lo, v11, 0
	s_wait_alu 0xfffd
	s_delay_alu instid0(VALU_DEP_2)
	v_add_co_ci_u32_e64 v12, null, v12, v15, vcc_lo
; %bb.38:
	s_or_b32 exec_lo, exec_lo, s3
	ds_store_b64 v9, v[11:12]
.LBB555_39:
	s_wait_alu 0xfffe
	s_or_b32 exec_lo, exec_lo, s1
	s_delay_alu instid0(SALU_CYCLE_1)
	s_mov_b32 s3, exec_lo
	v_cmp_gt_u32_e32 vcc_lo, 32, v0
	s_wait_loadcnt_dscnt 0x0
	s_barrier_signal -1
	s_barrier_wait -1
	global_inv scope:SCOPE_SE
                                        ; implicit-def: $vgpr21_vgpr22
	v_cmpx_lt_u32_e32 31, v0
	s_cbranch_execz .LBB555_41
; %bb.40:
	v_lshl_add_u32 v9, v28, 3, -8
	ds_load_b64 v[21:22], v9
	s_wait_dscnt 0x0
	v_add_co_u32 v13, s1, v13, v21
	s_wait_alu 0xf1ff
	v_add_co_ci_u32_e64 v10, null, v10, v22, s1
.LBB555_41:
	s_or_b32 exec_lo, exec_lo, s3
	v_sub_co_u32 v9, s1, v33, 1
	s_delay_alu instid0(VALU_DEP_1) | instskip(NEXT) | instid1(VALU_DEP_1)
	v_cmp_gt_i32_e64 s3, 0, v9
	v_cndmask_b32_e64 v9, v9, v33, s3
	s_delay_alu instid0(VALU_DEP_1)
	v_lshlrev_b32_e32 v9, 2, v9
	ds_bpermute_b32 v35, v9, v13
	ds_bpermute_b32 v36, v9, v10
	s_and_saveexec_b32 s3, vcc_lo
	s_cbranch_execz .LBB555_80
; %bb.42:
	v_mov_b32_e32 v12, 0
	ds_load_b64 v[9:10], v12 offset:56
	s_and_saveexec_b32 s4, s1
	s_cbranch_execz .LBB555_44
; %bb.43:
	s_add_co_i32 s6, s21, 32
	s_mov_b32 s7, 0
	s_delay_alu instid0(SALU_CYCLE_1) | instskip(NEXT) | instid1(SALU_CYCLE_1)
	s_lshl_b64 s[6:7], s[6:7], 4
	s_add_nc_u64 s[6:7], s[14:15], s[6:7]
	s_delay_alu instid0(SALU_CYCLE_1)
	v_dual_mov_b32 v11, 1 :: v_dual_mov_b32 v14, s7
	v_mov_b32_e32 v13, s6
	s_wait_dscnt 0x0
	;;#ASMSTART
	global_store_b128 v[13:14], v[9:12] off scope:SCOPE_DEV	
s_wait_storecnt 0x0
	;;#ASMEND
.LBB555_44:
	s_wait_alu 0xfffe
	s_or_b32 exec_lo, exec_lo, s4
	v_xad_u32 v23, v33, -1, s21
	s_mov_b32 s5, 0
	s_mov_b32 s4, exec_lo
	s_delay_alu instid0(VALU_DEP_1) | instskip(NEXT) | instid1(VALU_DEP_1)
	v_add_nc_u32_e32 v11, 32, v23
	v_lshlrev_b64_e32 v[11:12], 4, v[11:12]
	s_delay_alu instid0(VALU_DEP_1) | instskip(SKIP_1) | instid1(VALU_DEP_2)
	v_add_co_u32 v11, vcc_lo, s14, v11
	s_wait_alu 0xfffd
	v_add_co_ci_u32_e64 v12, null, s15, v12, vcc_lo
	;;#ASMSTART
	global_load_b128 v[13:16], v[11:12] off scope:SCOPE_DEV	
s_wait_loadcnt 0x0
	;;#ASMEND
	v_and_b32_e32 v16, 0xff, v15
	s_delay_alu instid0(VALU_DEP_1)
	v_cmpx_eq_u16_e32 0, v16
	s_cbranch_execz .LBB555_47
.LBB555_45:                             ; =>This Inner Loop Header: Depth=1
	;;#ASMSTART
	global_load_b128 v[13:16], v[11:12] off scope:SCOPE_DEV	
s_wait_loadcnt 0x0
	;;#ASMEND
	v_and_b32_e32 v16, 0xff, v15
	s_delay_alu instid0(VALU_DEP_1)
	v_cmp_ne_u16_e32 vcc_lo, 0, v16
	s_wait_alu 0xfffe
	s_or_b32 s5, vcc_lo, s5
	s_wait_alu 0xfffe
	s_and_not1_b32 exec_lo, exec_lo, s5
	s_cbranch_execnz .LBB555_45
; %bb.46:
	s_or_b32 exec_lo, exec_lo, s5
.LBB555_47:
	s_wait_alu 0xfffe
	s_or_b32 exec_lo, exec_lo, s4
	v_cmp_ne_u32_e32 vcc_lo, 31, v33
	v_and_b32_e32 v12, 0xff, v15
	v_lshlrev_b32_e64 v38, v33, -1
	s_mov_b32 s4, exec_lo
	s_wait_alu 0xfffd
	v_add_co_ci_u32_e64 v11, null, 0, v33, vcc_lo
	v_cmp_eq_u16_e32 vcc_lo, 2, v12
	s_delay_alu instid0(VALU_DEP_2)
	v_dual_mov_b32 v12, v13 :: v_dual_lshlrev_b32 v37, 2, v11
	s_wait_alu 0xfffd
	v_and_or_b32 v11, vcc_lo, v38, 0x80000000
	ds_bpermute_b32 v24, v37, v13
	ds_bpermute_b32 v16, v37, v14
	v_ctz_i32_b32_e32 v11, v11
	s_delay_alu instid0(VALU_DEP_1)
	v_cmpx_lt_u32_e64 v33, v11
	s_cbranch_execz .LBB555_49
; %bb.48:
	s_wait_dscnt 0x1
	v_add_co_u32 v12, vcc_lo, v13, v24
	s_wait_alu 0xfffd
	v_add_co_ci_u32_e64 v14, null, 0, v14, vcc_lo
	s_delay_alu instid0(VALU_DEP_2) | instskip(SKIP_2) | instid1(VALU_DEP_2)
	v_add_co_u32 v13, vcc_lo, 0, v12
	s_wait_dscnt 0x0
	s_wait_alu 0xfffd
	v_add_co_ci_u32_e64 v14, null, v16, v14, vcc_lo
.LBB555_49:
	s_wait_alu 0xfffe
	s_or_b32 exec_lo, exec_lo, s4
	v_cmp_gt_u32_e32 vcc_lo, 30, v33
	v_add_nc_u32_e32 v40, 2, v33
	s_mov_b32 s4, exec_lo
	s_wait_dscnt 0x0
	s_wait_alu 0xfffd
	v_cndmask_b32_e64 v16, 0, 2, vcc_lo
	s_delay_alu instid0(VALU_DEP_1)
	v_add_lshl_u32 v39, v16, v33, 2
	ds_bpermute_b32 v24, v39, v12
	ds_bpermute_b32 v16, v39, v14
	v_cmpx_le_u32_e64 v40, v11
	s_cbranch_execz .LBB555_51
; %bb.50:
	s_wait_dscnt 0x1
	v_add_co_u32 v12, vcc_lo, v13, v24
	s_wait_alu 0xfffd
	v_add_co_ci_u32_e64 v14, null, 0, v14, vcc_lo
	s_delay_alu instid0(VALU_DEP_2) | instskip(SKIP_2) | instid1(VALU_DEP_2)
	v_add_co_u32 v13, vcc_lo, 0, v12
	s_wait_dscnt 0x0
	s_wait_alu 0xfffd
	v_add_co_ci_u32_e64 v14, null, v16, v14, vcc_lo
.LBB555_51:
	s_wait_alu 0xfffe
	s_or_b32 exec_lo, exec_lo, s4
	v_cmp_gt_u32_e32 vcc_lo, 28, v33
	v_add_nc_u32_e32 v42, 4, v33
	s_mov_b32 s4, exec_lo
	s_wait_dscnt 0x0
	s_wait_alu 0xfffd
	v_cndmask_b32_e64 v16, 0, 4, vcc_lo
	s_delay_alu instid0(VALU_DEP_1)
	v_add_lshl_u32 v41, v16, v33, 2
	ds_bpermute_b32 v24, v41, v12
	ds_bpermute_b32 v16, v41, v14
	v_cmpx_le_u32_e64 v42, v11
	;; [unrolled: 25-line block ×3, first 2 shown]
	s_cbranch_execz .LBB555_55
; %bb.54:
	s_wait_dscnt 0x1
	v_add_co_u32 v12, vcc_lo, v13, v24
	s_wait_alu 0xfffd
	v_add_co_ci_u32_e64 v14, null, 0, v14, vcc_lo
	s_delay_alu instid0(VALU_DEP_2) | instskip(SKIP_2) | instid1(VALU_DEP_2)
	v_add_co_u32 v13, vcc_lo, 0, v12
	s_wait_dscnt 0x0
	s_wait_alu 0xfffd
	v_add_co_ci_u32_e64 v14, null, v16, v14, vcc_lo
.LBB555_55:
	s_wait_alu 0xfffe
	s_or_b32 exec_lo, exec_lo, s4
	v_lshl_or_b32 v45, v33, 2, 64
	v_add_nc_u32_e32 v46, 16, v33
	s_mov_b32 s4, exec_lo
	s_wait_dscnt 0x0
	ds_bpermute_b32 v16, v45, v12
	ds_bpermute_b32 v12, v45, v14
	v_cmpx_le_u32_e64 v46, v11
	s_cbranch_execz .LBB555_57
; %bb.56:
	s_wait_dscnt 0x1
	v_add_co_u32 v11, vcc_lo, v13, v16
	s_wait_alu 0xfffd
	v_add_co_ci_u32_e64 v14, null, 0, v14, vcc_lo
	s_delay_alu instid0(VALU_DEP_2) | instskip(SKIP_2) | instid1(VALU_DEP_2)
	v_add_co_u32 v13, vcc_lo, v11, 0
	s_wait_dscnt 0x0
	s_wait_alu 0xfffd
	v_add_co_ci_u32_e64 v14, null, v14, v12, vcc_lo
.LBB555_57:
	s_wait_alu 0xfffe
	s_or_b32 exec_lo, exec_lo, s4
	v_mov_b32_e32 v24, 0
	s_branch .LBB555_60
.LBB555_58:                             ;   in Loop: Header=BB555_60 Depth=1
	s_wait_alu 0xfffe
	s_or_b32 exec_lo, exec_lo, s4
	v_add_co_u32 v13, vcc_lo, v13, v11
	v_subrev_nc_u32_e32 v23, 32, v23
	s_wait_alu 0xfffd
	v_add_co_ci_u32_e64 v14, null, v14, v12, vcc_lo
	s_mov_b32 s4, 0
.LBB555_59:                             ;   in Loop: Header=BB555_60 Depth=1
	s_wait_alu 0xfffe
	s_and_b32 vcc_lo, exec_lo, s4
	s_wait_alu 0xfffe
	s_cbranch_vccnz .LBB555_76
.LBB555_60:                             ; =>This Loop Header: Depth=1
                                        ;     Child Loop BB555_63 Depth 2
	v_and_b32_e32 v11, 0xff, v15
	s_mov_b32 s4, -1
	s_delay_alu instid0(VALU_DEP_1)
	v_cmp_ne_u16_e32 vcc_lo, 2, v11
	s_wait_dscnt 0x0
	v_dual_mov_b32 v11, v13 :: v_dual_mov_b32 v12, v14
                                        ; implicit-def: $vgpr13_vgpr14
	s_cmp_lg_u32 vcc_lo, exec_lo
	s_cbranch_scc1 .LBB555_59
; %bb.61:                               ;   in Loop: Header=BB555_60 Depth=1
	v_lshlrev_b64_e32 v[13:14], 4, v[23:24]
	s_mov_b32 s4, exec_lo
	s_delay_alu instid0(VALU_DEP_1) | instskip(SKIP_1) | instid1(VALU_DEP_2)
	v_add_co_u32 v25, vcc_lo, s14, v13
	s_wait_alu 0xfffd
	v_add_co_ci_u32_e64 v26, null, s15, v14, vcc_lo
	;;#ASMSTART
	global_load_b128 v[13:16], v[25:26] off scope:SCOPE_DEV	
s_wait_loadcnt 0x0
	;;#ASMEND
	v_and_b32_e32 v16, 0xff, v15
	s_delay_alu instid0(VALU_DEP_1)
	v_cmpx_eq_u16_e32 0, v16
	s_cbranch_execz .LBB555_65
; %bb.62:                               ;   in Loop: Header=BB555_60 Depth=1
	s_mov_b32 s5, 0
.LBB555_63:                             ;   Parent Loop BB555_60 Depth=1
                                        ; =>  This Inner Loop Header: Depth=2
	;;#ASMSTART
	global_load_b128 v[13:16], v[25:26] off scope:SCOPE_DEV	
s_wait_loadcnt 0x0
	;;#ASMEND
	v_and_b32_e32 v16, 0xff, v15
	s_delay_alu instid0(VALU_DEP_1)
	v_cmp_ne_u16_e32 vcc_lo, 0, v16
	s_wait_alu 0xfffe
	s_or_b32 s5, vcc_lo, s5
	s_wait_alu 0xfffe
	s_and_not1_b32 exec_lo, exec_lo, s5
	s_cbranch_execnz .LBB555_63
; %bb.64:                               ;   in Loop: Header=BB555_60 Depth=1
	s_or_b32 exec_lo, exec_lo, s5
.LBB555_65:                             ;   in Loop: Header=BB555_60 Depth=1
	s_wait_alu 0xfffe
	s_or_b32 exec_lo, exec_lo, s4
	v_dual_mov_b32 v25, v13 :: v_dual_and_b32 v16, 0xff, v15
	ds_bpermute_b32 v47, v37, v13
	ds_bpermute_b32 v26, v37, v14
	s_mov_b32 s4, exec_lo
	v_cmp_eq_u16_e32 vcc_lo, 2, v16
	s_wait_alu 0xfffd
	v_and_or_b32 v16, vcc_lo, v38, 0x80000000
	s_delay_alu instid0(VALU_DEP_1) | instskip(NEXT) | instid1(VALU_DEP_1)
	v_ctz_i32_b32_e32 v16, v16
	v_cmpx_lt_u32_e64 v33, v16
	s_cbranch_execz .LBB555_67
; %bb.66:                               ;   in Loop: Header=BB555_60 Depth=1
	s_wait_dscnt 0x1
	v_add_co_u32 v25, vcc_lo, v13, v47
	s_wait_alu 0xfffd
	v_add_co_ci_u32_e64 v14, null, 0, v14, vcc_lo
	s_delay_alu instid0(VALU_DEP_2) | instskip(SKIP_2) | instid1(VALU_DEP_2)
	v_add_co_u32 v13, vcc_lo, 0, v25
	s_wait_dscnt 0x0
	s_wait_alu 0xfffd
	v_add_co_ci_u32_e64 v14, null, v26, v14, vcc_lo
.LBB555_67:                             ;   in Loop: Header=BB555_60 Depth=1
	s_wait_alu 0xfffe
	s_or_b32 exec_lo, exec_lo, s4
	s_wait_dscnt 0x1
	ds_bpermute_b32 v47, v39, v25
	s_wait_dscnt 0x1
	ds_bpermute_b32 v26, v39, v14
	s_mov_b32 s4, exec_lo
	v_cmpx_le_u32_e64 v40, v16
	s_cbranch_execz .LBB555_69
; %bb.68:                               ;   in Loop: Header=BB555_60 Depth=1
	s_wait_dscnt 0x1
	v_add_co_u32 v25, vcc_lo, v13, v47
	s_wait_alu 0xfffd
	v_add_co_ci_u32_e64 v14, null, 0, v14, vcc_lo
	s_delay_alu instid0(VALU_DEP_2) | instskip(SKIP_2) | instid1(VALU_DEP_2)
	v_add_co_u32 v13, vcc_lo, 0, v25
	s_wait_dscnt 0x0
	s_wait_alu 0xfffd
	v_add_co_ci_u32_e64 v14, null, v26, v14, vcc_lo
.LBB555_69:                             ;   in Loop: Header=BB555_60 Depth=1
	s_wait_alu 0xfffe
	s_or_b32 exec_lo, exec_lo, s4
	s_wait_dscnt 0x1
	ds_bpermute_b32 v47, v41, v25
	s_wait_dscnt 0x1
	ds_bpermute_b32 v26, v41, v14
	s_mov_b32 s4, exec_lo
	v_cmpx_le_u32_e64 v42, v16
	;; [unrolled: 20-line block ×3, first 2 shown]
	s_cbranch_execz .LBB555_73
; %bb.72:                               ;   in Loop: Header=BB555_60 Depth=1
	s_wait_dscnt 0x1
	v_add_co_u32 v25, vcc_lo, v13, v47
	s_wait_alu 0xfffd
	v_add_co_ci_u32_e64 v14, null, 0, v14, vcc_lo
	s_delay_alu instid0(VALU_DEP_2) | instskip(SKIP_2) | instid1(VALU_DEP_2)
	v_add_co_u32 v13, vcc_lo, 0, v25
	s_wait_dscnt 0x0
	s_wait_alu 0xfffd
	v_add_co_ci_u32_e64 v14, null, v26, v14, vcc_lo
.LBB555_73:                             ;   in Loop: Header=BB555_60 Depth=1
	s_wait_alu 0xfffe
	s_or_b32 exec_lo, exec_lo, s4
	s_wait_dscnt 0x0
	ds_bpermute_b32 v26, v45, v25
	ds_bpermute_b32 v25, v45, v14
	s_mov_b32 s4, exec_lo
	v_cmpx_le_u32_e64 v46, v16
	s_cbranch_execz .LBB555_58
; %bb.74:                               ;   in Loop: Header=BB555_60 Depth=1
	s_wait_dscnt 0x1
	v_add_co_u32 v13, vcc_lo, v13, v26
	s_wait_alu 0xfffd
	v_add_co_ci_u32_e64 v14, null, 0, v14, vcc_lo
	s_delay_alu instid0(VALU_DEP_2) | instskip(SKIP_2) | instid1(VALU_DEP_2)
	v_add_co_u32 v13, vcc_lo, v13, 0
	s_wait_dscnt 0x0
	s_wait_alu 0xfffd
	v_add_co_ci_u32_e64 v14, null, v14, v25, vcc_lo
	s_branch .LBB555_58
.LBB555_75:
                                        ; implicit-def: $vgpr15_vgpr16
                                        ; implicit-def: $vgpr13_vgpr14
                                        ; implicit-def: $vgpr21_vgpr22
                                        ; implicit-def: $vgpr23_vgpr24
                                        ; implicit-def: $vgpr11_vgpr12
	s_wait_alu 0xfffe
	s_and_b32 vcc_lo, exec_lo, s1
	s_wait_alu 0xfffe
	s_cbranch_vccnz .LBB555_81
	s_branch .LBB555_106
.LBB555_76:
	s_and_saveexec_b32 s4, s1
	s_cbranch_execz .LBB555_78
; %bb.77:
	s_add_co_i32 s6, s21, 32
	s_mov_b32 s7, 0
	v_add_co_u32 v13, vcc_lo, v11, v9
	s_wait_alu 0xfffe
	s_lshl_b64 s[6:7], s[6:7], 4
	v_dual_mov_b32 v15, 2 :: v_dual_mov_b32 v16, 0
	s_wait_alu 0xfffe
	s_add_nc_u64 s[6:7], s[14:15], s[6:7]
	s_wait_alu 0xfffd
	v_add_co_ci_u32_e64 v14, null, v12, v10, vcc_lo
	s_wait_alu 0xfffe
	v_dual_mov_b32 v24, s7 :: v_dual_mov_b32 v23, s6
	;;#ASMSTART
	global_store_b128 v[23:24], v[13:16] off scope:SCOPE_DEV	
s_wait_storecnt 0x0
	;;#ASMEND
	ds_store_b128 v16, v[9:12] offset:8448
.LBB555_78:
	s_wait_alu 0xfffe
	s_or_b32 exec_lo, exec_lo, s4
	s_delay_alu instid0(SALU_CYCLE_1)
	s_and_b32 exec_lo, exec_lo, s2
; %bb.79:
	v_mov_b32_e32 v9, 0
	ds_store_b64 v9, v[11:12] offset:56
.LBB555_80:
	s_wait_alu 0xfffe
	s_or_b32 exec_lo, exec_lo, s3
	v_mov_b32_e32 v9, 0
	s_wait_loadcnt_dscnt 0x0
	s_barrier_signal -1
	s_barrier_wait -1
	global_inv scope:SCOPE_SE
	ds_load_b64 v[13:14], v9 offset:56
	v_cndmask_b32_e64 v11, v35, v21, s1
	v_cndmask_b32_e64 v10, v36, v22, s1
	s_wait_loadcnt_dscnt 0x0
	s_barrier_signal -1
	s_barrier_wait -1
	v_cndmask_b32_e64 v16, v11, 0, s2
	v_cndmask_b32_e64 v15, v10, 0, s2
	global_inv scope:SCOPE_SE
	ds_load_b128 v[9:12], v9 offset:8448
	v_add_co_u32 v23, vcc_lo, v13, v16
	s_wait_alu 0xfffd
	v_add_co_ci_u32_e64 v24, null, v14, v15, vcc_lo
	s_delay_alu instid0(VALU_DEP_2) | instskip(SKIP_1) | instid1(VALU_DEP_2)
	v_add_co_u32 v21, vcc_lo, v23, v32
	s_wait_alu 0xfffd
	v_add_co_ci_u32_e64 v22, null, 0, v24, vcc_lo
	s_delay_alu instid0(VALU_DEP_2) | instskip(SKIP_1) | instid1(VALU_DEP_2)
	;; [unrolled: 4-line block ×3, first 2 shown]
	v_add_co_u32 v15, vcc_lo, v13, v30
	s_wait_alu 0xfffd
	v_add_co_ci_u32_e64 v16, null, 0, v14, vcc_lo
	s_branch .LBB555_106
.LBB555_81:
	s_wait_dscnt 0x0
	v_dual_mov_b32 v10, 0 :: v_dual_mov_b32 v11, v19
	v_mov_b32_dpp v12, v19 row_shr:1 row_mask:0xf bank_mask:0xf
	s_delay_alu instid0(VALU_DEP_2)
	v_mov_b32_dpp v9, v10 row_shr:1 row_mask:0xf bank_mask:0xf
	s_and_saveexec_b32 s1, s0
; %bb.82:
	s_delay_alu instid0(VALU_DEP_2) | instskip(SKIP_2) | instid1(VALU_DEP_2)
	v_add_co_u32 v11, vcc_lo, v19, v12
	s_wait_alu 0xfffd
	v_add_co_ci_u32_e64 v10, null, 0, v20, vcc_lo
	v_add_co_u32 v19, vcc_lo, 0, v11
	s_wait_alu 0xfffd
	s_delay_alu instid0(VALU_DEP_2) | instskip(NEXT) | instid1(VALU_DEP_1)
	v_add_co_ci_u32_e64 v20, null, v9, v10, vcc_lo
	v_mov_b32_e32 v10, v20
; %bb.83:
	s_wait_alu 0xfffe
	s_or_b32 exec_lo, exec_lo, s1
	v_mov_b32_dpp v9, v11 row_shr:2 row_mask:0xf bank_mask:0xf
	s_delay_alu instid0(VALU_DEP_2)
	v_mov_b32_dpp v12, v10 row_shr:2 row_mask:0xf bank_mask:0xf
	s_mov_b32 s0, exec_lo
	v_cmpx_lt_u32_e32 1, v34
; %bb.84:
	s_delay_alu instid0(VALU_DEP_3) | instskip(SKIP_2) | instid1(VALU_DEP_2)
	v_add_co_u32 v11, vcc_lo, v19, v9
	s_wait_alu 0xfffd
	v_add_co_ci_u32_e64 v10, null, 0, v20, vcc_lo
	v_add_co_u32 v9, vcc_lo, 0, v11
	s_wait_alu 0xfffd
	s_delay_alu instid0(VALU_DEP_2) | instskip(NEXT) | instid1(VALU_DEP_1)
	v_add_co_ci_u32_e64 v10, null, v12, v10, vcc_lo
	v_dual_mov_b32 v20, v10 :: v_dual_mov_b32 v19, v9
; %bb.85:
	s_wait_alu 0xfffe
	s_or_b32 exec_lo, exec_lo, s0
	v_mov_b32_dpp v9, v11 row_shr:4 row_mask:0xf bank_mask:0xf
	v_mov_b32_dpp v12, v10 row_shr:4 row_mask:0xf bank_mask:0xf
	s_mov_b32 s0, exec_lo
	v_cmpx_lt_u32_e32 3, v34
; %bb.86:
	s_delay_alu instid0(VALU_DEP_3) | instskip(SKIP_2) | instid1(VALU_DEP_2)
	v_add_co_u32 v11, vcc_lo, v19, v9
	s_wait_alu 0xfffd
	v_add_co_ci_u32_e64 v10, null, 0, v20, vcc_lo
	v_add_co_u32 v9, vcc_lo, 0, v11
	s_wait_alu 0xfffd
	s_delay_alu instid0(VALU_DEP_2) | instskip(NEXT) | instid1(VALU_DEP_1)
	v_add_co_ci_u32_e64 v10, null, v12, v10, vcc_lo
	v_dual_mov_b32 v20, v10 :: v_dual_mov_b32 v19, v9
; %bb.87:
	s_wait_alu 0xfffe
	s_or_b32 exec_lo, exec_lo, s0
	v_mov_b32_dpp v12, v11 row_shr:8 row_mask:0xf bank_mask:0xf
	v_mov_b32_dpp v9, v10 row_shr:8 row_mask:0xf bank_mask:0xf
	s_mov_b32 s0, exec_lo
	v_cmpx_lt_u32_e32 7, v34
; %bb.88:
	s_delay_alu instid0(VALU_DEP_3) | instskip(SKIP_2) | instid1(VALU_DEP_2)
	v_add_co_u32 v11, vcc_lo, v19, v12
	s_wait_alu 0xfffd
	v_add_co_ci_u32_e64 v10, null, 0, v20, vcc_lo
	v_add_co_u32 v19, vcc_lo, 0, v11
	s_wait_alu 0xfffd
	s_delay_alu instid0(VALU_DEP_2) | instskip(NEXT) | instid1(VALU_DEP_1)
	v_add_co_ci_u32_e64 v20, null, v9, v10, vcc_lo
	v_mov_b32_e32 v10, v20
; %bb.89:
	s_wait_alu 0xfffe
	s_or_b32 exec_lo, exec_lo, s0
	ds_swizzle_b32 v11, v11 offset:swizzle(BROADCAST,32,15)
	ds_swizzle_b32 v9, v10 offset:swizzle(BROADCAST,32,15)
	v_and_b32_e32 v10, 16, v33
	s_mov_b32 s0, exec_lo
	s_delay_alu instid0(VALU_DEP_1)
	v_cmpx_ne_u32_e32 0, v10
	s_cbranch_execz .LBB555_91
; %bb.90:
	s_wait_dscnt 0x1
	v_add_co_u32 v10, vcc_lo, v19, v11
	s_wait_alu 0xfffd
	v_add_co_ci_u32_e64 v11, null, 0, v20, vcc_lo
	s_delay_alu instid0(VALU_DEP_2) | instskip(SKIP_2) | instid1(VALU_DEP_2)
	v_add_co_u32 v19, vcc_lo, v10, 0
	s_wait_dscnt 0x0
	s_wait_alu 0xfffd
	v_add_co_ci_u32_e64 v20, null, v11, v9, vcc_lo
.LBB555_91:
	s_wait_alu 0xfffe
	s_or_b32 exec_lo, exec_lo, s0
	s_wait_dscnt 0x0
	v_or_b32_e32 v9, 31, v0
	s_mov_b32 s0, exec_lo
	s_delay_alu instid0(VALU_DEP_1)
	v_cmpx_eq_u32_e64 v0, v9
; %bb.92:
	v_lshlrev_b32_e32 v9, 3, v28
	ds_store_b64 v9, v[19:20]
; %bb.93:
	s_wait_alu 0xfffe
	s_or_b32 exec_lo, exec_lo, s0
	s_delay_alu instid0(SALU_CYCLE_1)
	s_mov_b32 s0, exec_lo
	s_wait_loadcnt_dscnt 0x0
	s_barrier_signal -1
	s_barrier_wait -1
	global_inv scope:SCOPE_SE
	v_cmpx_gt_u32_e32 8, v0
	s_cbranch_execz .LBB555_101
; %bb.94:
	v_lshlrev_b32_e32 v11, 3, v0
	s_mov_b32 s1, exec_lo
	ds_load_b64 v[9:10], v11
	s_wait_dscnt 0x0
	v_dual_mov_b32 v13, v9 :: v_dual_and_b32 v12, 7, v33
	v_mov_b32_dpp v15, v9 row_shr:1 row_mask:0xf bank_mask:0xf
	v_mov_b32_dpp v14, v10 row_shr:1 row_mask:0xf bank_mask:0xf
	s_delay_alu instid0(VALU_DEP_3)
	v_cmpx_ne_u32_e32 0, v12
; %bb.95:
	s_delay_alu instid0(VALU_DEP_3) | instskip(SKIP_2) | instid1(VALU_DEP_2)
	v_add_co_u32 v13, vcc_lo, v9, v15
	s_wait_alu 0xfffd
	v_add_co_ci_u32_e64 v10, null, 0, v10, vcc_lo
	v_add_co_u32 v9, vcc_lo, 0, v13
	s_wait_alu 0xfffd
	s_delay_alu instid0(VALU_DEP_2)
	v_add_co_ci_u32_e64 v10, null, v14, v10, vcc_lo
; %bb.96:
	s_wait_alu 0xfffe
	s_or_b32 exec_lo, exec_lo, s1
	v_mov_b32_dpp v15, v13 row_shr:2 row_mask:0xf bank_mask:0xf
	s_delay_alu instid0(VALU_DEP_2)
	v_mov_b32_dpp v14, v10 row_shr:2 row_mask:0xf bank_mask:0xf
	s_mov_b32 s1, exec_lo
	v_cmpx_lt_u32_e32 1, v12
; %bb.97:
	s_delay_alu instid0(VALU_DEP_3) | instskip(SKIP_2) | instid1(VALU_DEP_2)
	v_add_co_u32 v13, vcc_lo, v9, v15
	s_wait_alu 0xfffd
	v_add_co_ci_u32_e64 v10, null, 0, v10, vcc_lo
	v_add_co_u32 v9, vcc_lo, 0, v13
	s_wait_alu 0xfffd
	s_delay_alu instid0(VALU_DEP_2)
	v_add_co_ci_u32_e64 v10, null, v14, v10, vcc_lo
; %bb.98:
	s_wait_alu 0xfffe
	s_or_b32 exec_lo, exec_lo, s1
	v_mov_b32_dpp v14, v13 row_shr:4 row_mask:0xf bank_mask:0xf
	s_delay_alu instid0(VALU_DEP_2)
	v_mov_b32_dpp v13, v10 row_shr:4 row_mask:0xf bank_mask:0xf
	s_mov_b32 s1, exec_lo
	v_cmpx_lt_u32_e32 3, v12
; %bb.99:
	s_delay_alu instid0(VALU_DEP_3) | instskip(SKIP_2) | instid1(VALU_DEP_2)
	v_add_co_u32 v9, vcc_lo, v9, v14
	s_wait_alu 0xfffd
	v_add_co_ci_u32_e64 v10, null, 0, v10, vcc_lo
	v_add_co_u32 v9, vcc_lo, v9, 0
	s_wait_alu 0xfffd
	s_delay_alu instid0(VALU_DEP_2)
	v_add_co_ci_u32_e64 v10, null, v10, v13, vcc_lo
; %bb.100:
	s_wait_alu 0xfffe
	s_or_b32 exec_lo, exec_lo, s1
	ds_store_b64 v11, v[9:10]
.LBB555_101:
	s_wait_alu 0xfffe
	s_or_b32 exec_lo, exec_lo, s0
	v_mov_b32_e32 v13, 0
	v_mov_b32_e32 v14, 0
	s_mov_b32 s0, exec_lo
	s_wait_loadcnt_dscnt 0x0
	s_barrier_signal -1
	s_barrier_wait -1
	global_inv scope:SCOPE_SE
	v_cmpx_lt_u32_e32 31, v0
; %bb.102:
	v_lshl_add_u32 v9, v28, 3, -8
	ds_load_b64 v[13:14], v9
; %bb.103:
	s_wait_alu 0xfffe
	s_or_b32 exec_lo, exec_lo, s0
	v_sub_co_u32 v9, vcc_lo, v33, 1
	v_mov_b32_e32 v12, 0
	s_delay_alu instid0(VALU_DEP_2) | instskip(SKIP_1) | instid1(VALU_DEP_1)
	v_cmp_gt_i32_e64 s0, 0, v9
	s_wait_alu 0xf1ff
	v_cndmask_b32_e64 v9, v9, v33, s0
	s_wait_dscnt 0x0
	v_add_co_u32 v10, s0, v13, v19
	s_wait_alu 0xf1ff
	v_add_co_ci_u32_e64 v11, null, v14, v20, s0
	v_lshlrev_b32_e32 v9, 2, v9
	ds_bpermute_b32 v15, v9, v10
	ds_bpermute_b32 v16, v9, v11
	ds_load_b64 v[9:10], v12 offset:56
	s_and_saveexec_b32 s0, s2
	s_cbranch_execz .LBB555_105
; %bb.104:
	s_add_nc_u64 s[4:5], s[14:15], 0x200
	s_wait_alu 0xfffe
	v_dual_mov_b32 v11, 2 :: v_dual_mov_b32 v20, s5
	v_mov_b32_e32 v19, s4
	s_wait_dscnt 0x0
	;;#ASMSTART
	global_store_b128 v[19:20], v[9:12] off scope:SCOPE_DEV	
s_wait_storecnt 0x0
	;;#ASMEND
.LBB555_105:
	s_wait_alu 0xfffe
	s_or_b32 exec_lo, exec_lo, s0
	s_wait_dscnt 0x1
	s_wait_alu 0xfffd
	v_dual_cndmask_b32 v11, v15, v13 :: v_dual_cndmask_b32 v12, v16, v14
	s_wait_loadcnt_dscnt 0x0
	s_barrier_signal -1
	s_barrier_wait -1
	s_delay_alu instid0(VALU_DEP_1)
	v_cndmask_b32_e64 v23, v11, 0, s2
	v_cndmask_b32_e64 v24, v12, 0, s2
	v_mov_b32_e32 v11, 0
	v_mov_b32_e32 v12, 0
	global_inv scope:SCOPE_SE
	v_add_co_u32 v21, vcc_lo, v23, v32
	s_wait_alu 0xfffd
	v_add_co_ci_u32_e64 v22, null, 0, v24, vcc_lo
	s_delay_alu instid0(VALU_DEP_2) | instskip(SKIP_1) | instid1(VALU_DEP_2)
	v_add_co_u32 v13, vcc_lo, v21, v31
	s_wait_alu 0xfffd
	v_add_co_ci_u32_e64 v14, null, 0, v22, vcc_lo
	s_delay_alu instid0(VALU_DEP_2) | instskip(SKIP_1) | instid1(VALU_DEP_2)
	v_add_co_u32 v15, vcc_lo, v13, v30
	s_wait_alu 0xfffd
	v_add_co_ci_u32_e64 v16, null, 0, v14, vcc_lo
.LBB555_106:
	v_and_b32_e32 v28, 1, v29
	s_wait_dscnt 0x0
	v_cmp_gt_u64_e32 vcc_lo, 0x101, v[9:10]
	v_lshrrev_b32_e32 v25, 16, v29
	v_lshrrev_b32_e32 v26, 8, v29
	s_mov_b32 s1, -1
	v_cmp_eq_u32_e64 s0, 1, v28
	s_cbranch_vccnz .LBB555_110
; %bb.107:
	s_wait_alu 0xfffe
	s_and_b32 vcc_lo, exec_lo, s1
	s_wait_alu 0xfffe
	s_cbranch_vccnz .LBB555_119
.LBB555_108:
	s_and_b32 s0, s2, s19
	s_wait_alu 0xfffe
	s_and_saveexec_b32 s1, s0
	s_cbranch_execnz .LBB555_131
.LBB555_109:
	s_endpgm
.LBB555_110:
	v_add_co_u32 v19, vcc_lo, v11, v9
	s_wait_alu 0xfffd
	v_add_co_ci_u32_e64 v20, null, v12, v10, vcc_lo
	s_delay_alu instid0(VALU_DEP_1)
	v_cmp_lt_u64_e32 vcc_lo, v[23:24], v[19:20]
	s_or_b32 s1, s20, vcc_lo
	s_wait_alu 0xfffe
	s_and_b32 s1, s1, s0
	s_wait_alu 0xfffe
	s_and_saveexec_b32 s0, s1
	s_cbranch_execz .LBB555_112
; %bb.111:
	v_lshlrev_b64_e32 v[29:30], 3, v[17:18]
	v_lshlrev_b64_e32 v[31:32], 3, v[23:24]
	s_delay_alu instid0(VALU_DEP_2) | instskip(SKIP_1) | instid1(VALU_DEP_3)
	v_add_co_u32 v24, vcc_lo, s12, v29
	s_wait_alu 0xfffd
	v_add_co_ci_u32_e64 v30, null, s13, v30, vcc_lo
	s_delay_alu instid0(VALU_DEP_2) | instskip(SKIP_1) | instid1(VALU_DEP_2)
	v_add_co_u32 v29, vcc_lo, v24, v31
	s_wait_alu 0xfffd
	v_add_co_ci_u32_e64 v30, null, v30, v32, vcc_lo
	global_store_b64 v[29:30], v[5:6], off
.LBB555_112:
	s_wait_alu 0xfffe
	s_or_b32 exec_lo, exec_lo, s0
	v_and_b32_e32 v24, 1, v26
	v_cmp_lt_u64_e32 vcc_lo, v[21:22], v[19:20]
	s_delay_alu instid0(VALU_DEP_2)
	v_cmp_eq_u32_e64 s0, 1, v24
	s_or_b32 s1, s20, vcc_lo
	s_wait_alu 0xfffe
	s_and_b32 s1, s1, s0
	s_wait_alu 0xfffe
	s_and_saveexec_b32 s0, s1
	s_cbranch_execz .LBB555_114
; %bb.113:
	v_lshlrev_b64_e32 v[29:30], 3, v[17:18]
	v_lshlrev_b64_e32 v[31:32], 3, v[21:22]
	s_delay_alu instid0(VALU_DEP_2) | instskip(SKIP_1) | instid1(VALU_DEP_3)
	v_add_co_u32 v22, vcc_lo, s12, v29
	s_wait_alu 0xfffd
	v_add_co_ci_u32_e64 v24, null, s13, v30, vcc_lo
	s_delay_alu instid0(VALU_DEP_2) | instskip(SKIP_1) | instid1(VALU_DEP_2)
	v_add_co_u32 v29, vcc_lo, v22, v31
	s_wait_alu 0xfffd
	v_add_co_ci_u32_e64 v30, null, v24, v32, vcc_lo
	global_store_b64 v[29:30], v[7:8], off
.LBB555_114:
	s_wait_alu 0xfffe
	s_or_b32 exec_lo, exec_lo, s0
	v_and_b32_e32 v22, 1, v25
	v_cmp_lt_u64_e32 vcc_lo, v[13:14], v[19:20]
	s_delay_alu instid0(VALU_DEP_2)
	v_cmp_eq_u32_e64 s0, 1, v22
	s_or_b32 s1, s20, vcc_lo
	s_wait_alu 0xfffe
	s_and_b32 s1, s1, s0
	s_wait_alu 0xfffe
	s_and_saveexec_b32 s0, s1
	s_cbranch_execz .LBB555_116
; %bb.115:
	v_lshlrev_b64_e32 v[29:30], 3, v[17:18]
	v_lshlrev_b64_e32 v[31:32], 3, v[13:14]
	s_delay_alu instid0(VALU_DEP_2) | instskip(SKIP_1) | instid1(VALU_DEP_3)
	v_add_co_u32 v14, vcc_lo, s12, v29
	s_wait_alu 0xfffd
	v_add_co_ci_u32_e64 v22, null, s13, v30, vcc_lo
	s_delay_alu instid0(VALU_DEP_2) | instskip(SKIP_1) | instid1(VALU_DEP_2)
	v_add_co_u32 v29, vcc_lo, v14, v31
	s_wait_alu 0xfffd
	v_add_co_ci_u32_e64 v30, null, v22, v32, vcc_lo
	global_store_b64 v[29:30], v[1:2], off
.LBB555_116:
	s_wait_alu 0xfffe
	s_or_b32 exec_lo, exec_lo, s0
	v_and_b32_e32 v14, 1, v27
	v_cmp_lt_u64_e32 vcc_lo, v[15:16], v[19:20]
	s_delay_alu instid0(VALU_DEP_2)
	v_cmp_eq_u32_e64 s0, 1, v14
	s_or_b32 s1, s20, vcc_lo
	s_wait_alu 0xfffe
	s_and_b32 s1, s1, s0
	s_wait_alu 0xfffe
	s_and_saveexec_b32 s0, s1
	s_cbranch_execz .LBB555_118
; %bb.117:
	v_lshlrev_b64_e32 v[19:20], 3, v[17:18]
	v_lshlrev_b64_e32 v[29:30], 3, v[15:16]
	s_delay_alu instid0(VALU_DEP_2) | instskip(SKIP_1) | instid1(VALU_DEP_3)
	v_add_co_u32 v14, vcc_lo, s12, v19
	s_wait_alu 0xfffd
	v_add_co_ci_u32_e64 v16, null, s13, v20, vcc_lo
	s_delay_alu instid0(VALU_DEP_2) | instskip(SKIP_1) | instid1(VALU_DEP_2)
	v_add_co_u32 v19, vcc_lo, v14, v29
	s_wait_alu 0xfffd
	v_add_co_ci_u32_e64 v20, null, v16, v30, vcc_lo
	global_store_b64 v[19:20], v[3:4], off
.LBB555_118:
	s_wait_alu 0xfffe
	s_or_b32 exec_lo, exec_lo, s0
	s_branch .LBB555_108
.LBB555_119:
	s_mov_b32 s0, exec_lo
	v_cmpx_eq_u32_e32 1, v28
; %bb.120:
	v_sub_nc_u32_e32 v14, v23, v11
	s_delay_alu instid0(VALU_DEP_1)
	v_lshlrev_b32_e32 v14, 3, v14
	ds_store_b64 v14, v[5:6]
; %bb.121:
	s_wait_alu 0xfffe
	s_or_b32 exec_lo, exec_lo, s0
	v_and_b32_e32 v5, 1, v26
	s_mov_b32 s0, exec_lo
	s_delay_alu instid0(VALU_DEP_1)
	v_cmpx_eq_u32_e32 1, v5
; %bb.122:
	v_sub_nc_u32_e32 v5, v21, v11
	s_delay_alu instid0(VALU_DEP_1)
	v_lshlrev_b32_e32 v5, 3, v5
	ds_store_b64 v5, v[7:8]
; %bb.123:
	s_wait_alu 0xfffe
	s_or_b32 exec_lo, exec_lo, s0
	v_and_b32_e32 v5, 1, v25
	s_mov_b32 s0, exec_lo
	s_delay_alu instid0(VALU_DEP_1)
	;; [unrolled: 12-line block ×3, first 2 shown]
	v_cmpx_eq_u32_e32 1, v1
; %bb.126:
	v_sub_nc_u32_e32 v1, v15, v11
	s_delay_alu instid0(VALU_DEP_1)
	v_lshlrev_b32_e32 v1, 3, v1
	ds_store_b64 v1, v[3:4]
; %bb.127:
	s_wait_alu 0xfffe
	s_or_b32 exec_lo, exec_lo, s0
	v_mov_b32_e32 v1, 0
	s_mov_b32 s1, exec_lo
	s_wait_storecnt 0x0
	s_wait_loadcnt_dscnt 0x0
	s_barrier_signal -1
	s_barrier_wait -1
	global_inv scope:SCOPE_SE
	v_cmpx_gt_u64_e64 v[9:10], v[0:1]
	s_cbranch_execz .LBB555_130
; %bb.128:
	v_lshlrev_b64_e32 v[2:3], 3, v[11:12]
	v_lshlrev_b64_e32 v[4:5], 3, v[17:18]
	s_mov_b32 s3, 0
	s_delay_alu instid0(VALU_DEP_2) | instskip(SKIP_1) | instid1(VALU_DEP_3)
	v_add_co_u32 v6, vcc_lo, s12, v2
	s_wait_alu 0xfffd
	v_add_co_ci_u32_e64 v7, null, s13, v3, vcc_lo
	v_dual_mov_b32 v3, v1 :: v_dual_mov_b32 v2, v0
	s_delay_alu instid0(VALU_DEP_3) | instskip(SKIP_1) | instid1(VALU_DEP_3)
	v_add_co_u32 v4, vcc_lo, v6, v4
	s_wait_alu 0xfffd
	v_add_co_ci_u32_e64 v5, null, v7, v5, vcc_lo
	v_or_b32_e32 v0, 0x100, v0
.LBB555_129:                            ; =>This Inner Loop Header: Depth=1
	v_lshlrev_b32_e32 v6, 3, v2
	v_lshlrev_b64_e32 v[13:14], 3, v[2:3]
	v_mov_b32_e32 v3, v1
	s_delay_alu instid0(VALU_DEP_4)
	v_cmp_le_u64_e32 vcc_lo, v[9:10], v[0:1]
	v_mov_b32_e32 v2, v0
	ds_load_b64 v[6:7], v6
	v_add_nc_u32_e32 v0, 0x100, v0
	v_add_co_u32 v13, s0, v4, v13
	s_wait_alu 0xf1ff
	v_add_co_ci_u32_e64 v14, null, v5, v14, s0
	s_wait_alu 0xfffe
	s_or_b32 s3, vcc_lo, s3
	s_wait_dscnt 0x0
	global_store_b64 v[13:14], v[6:7], off
	s_wait_alu 0xfffe
	s_and_not1_b32 exec_lo, exec_lo, s3
	s_cbranch_execnz .LBB555_129
.LBB555_130:
	s_wait_alu 0xfffe
	s_or_b32 exec_lo, exec_lo, s1
	s_and_b32 s0, s2, s19
	s_wait_alu 0xfffe
	s_and_saveexec_b32 s1, s0
	s_cbranch_execz .LBB555_109
.LBB555_131:
	v_add_co_u32 v0, vcc_lo, v11, v9
	s_wait_alu 0xfffd
	v_add_co_ci_u32_e64 v1, null, v12, v10, vcc_lo
	v_mov_b32_e32 v2, 0
	s_delay_alu instid0(VALU_DEP_3) | instskip(SKIP_1) | instid1(VALU_DEP_3)
	v_add_co_u32 v0, vcc_lo, v0, v17
	s_wait_alu 0xfffd
	v_add_co_ci_u32_e64 v1, null, v1, v18, vcc_lo
	global_store_b64 v2, v[0:1], s[8:9]
	s_endpgm
.LBB555_132:
	global_load_b128 v[19:22], v11, s[10:11] offset:4096
	s_wait_loadcnt 0x0
	v_cmp_neq_f64_e32 vcc_lo, 0, v[19:20]
	v_cmp_neq_f64_e64 s0, 0, v[21:22]
	s_or_b32 s0, vcc_lo, s0
	s_wait_alu 0xfffe
	v_cndmask_b32_e64 v19, 0, 1, s0
	s_delay_alu instid0(VALU_DEP_1) | instskip(NEXT) | instid1(VALU_DEP_1)
	v_lshlrev_b16 v19, 8, v19
	v_or_b32_e32 v15, v15, v19
	s_delay_alu instid0(VALU_DEP_1) | instskip(SKIP_1) | instid1(SALU_CYCLE_1)
	v_and_b32_e32 v15, 0xffff, v15
	s_or_b32 exec_lo, exec_lo, s1
	s_mov_b32 s1, exec_lo
	v_cmpx_gt_u32_e64 s18, v10
	s_cbranch_execz .LBB555_15
.LBB555_133:
	global_load_b128 v[19:22], v11, s[10:11] offset:8192
	s_wait_loadcnt 0x0
	v_cmp_neq_f64_e32 vcc_lo, 0, v[19:20]
	v_cmp_neq_f64_e64 s0, 0, v[21:22]
	s_or_b32 s0, vcc_lo, s0
	s_wait_alu 0xfffe
	v_cndmask_b32_e64 v19, 0, 1, s0
	s_delay_alu instid0(VALU_DEP_1) | instskip(SKIP_1) | instid1(SALU_CYCLE_1)
	v_lshl_or_b32 v15, v19, 16, v15
	s_or_b32 exec_lo, exec_lo, s1
	s_mov_b32 s1, exec_lo
	v_cmpx_gt_u32_e64 s18, v9
	s_cbranch_execnz .LBB555_16
	s_branch .LBB555_17
	.section	.rodata,"a",@progbits
	.p2align	6, 0x0
	.amdhsa_kernel _ZN7rocprim17ROCPRIM_400000_NS6detail17trampoline_kernelINS0_14default_configENS1_25partition_config_selectorILNS1_17partition_subalgoE5ElNS0_10empty_typeEbEEZZNS1_14partition_implILS5_5ELb0ES3_mN6hipcub16HIPCUB_304000_NS21CountingInputIteratorIllEEPS6_NSA_22TransformInputIteratorIbN2at6native12_GLOBAL__N_19NonZeroOpIN3c107complexIdEEEEPKSL_lEENS0_5tupleIJPlS6_EEENSQ_IJSD_SD_EEES6_PiJS6_EEE10hipError_tPvRmT3_T4_T5_T6_T7_T9_mT8_P12ihipStream_tbDpT10_ENKUlT_T0_E_clISt17integral_constantIbLb0EES1D_IbLb1EEEEDaS19_S1A_EUlS19_E_NS1_11comp_targetILNS1_3genE10ELNS1_11target_archE1200ELNS1_3gpuE4ELNS1_3repE0EEENS1_30default_config_static_selectorELNS0_4arch9wavefront6targetE0EEEvT1_
		.amdhsa_group_segment_fixed_size 8464
		.amdhsa_private_segment_fixed_size 0
		.amdhsa_kernarg_size 136
		.amdhsa_user_sgpr_count 2
		.amdhsa_user_sgpr_dispatch_ptr 0
		.amdhsa_user_sgpr_queue_ptr 0
		.amdhsa_user_sgpr_kernarg_segment_ptr 1
		.amdhsa_user_sgpr_dispatch_id 0
		.amdhsa_user_sgpr_private_segment_size 0
		.amdhsa_wavefront_size32 1
		.amdhsa_uses_dynamic_stack 0
		.amdhsa_enable_private_segment 0
		.amdhsa_system_sgpr_workgroup_id_x 1
		.amdhsa_system_sgpr_workgroup_id_y 0
		.amdhsa_system_sgpr_workgroup_id_z 0
		.amdhsa_system_sgpr_workgroup_info 0
		.amdhsa_system_vgpr_workitem_id 0
		.amdhsa_next_free_vgpr 48
		.amdhsa_next_free_sgpr 24
		.amdhsa_reserve_vcc 1
		.amdhsa_float_round_mode_32 0
		.amdhsa_float_round_mode_16_64 0
		.amdhsa_float_denorm_mode_32 3
		.amdhsa_float_denorm_mode_16_64 3
		.amdhsa_fp16_overflow 0
		.amdhsa_workgroup_processor_mode 1
		.amdhsa_memory_ordered 1
		.amdhsa_forward_progress 1
		.amdhsa_inst_pref_size 56
		.amdhsa_round_robin_scheduling 0
		.amdhsa_exception_fp_ieee_invalid_op 0
		.amdhsa_exception_fp_denorm_src 0
		.amdhsa_exception_fp_ieee_div_zero 0
		.amdhsa_exception_fp_ieee_overflow 0
		.amdhsa_exception_fp_ieee_underflow 0
		.amdhsa_exception_fp_ieee_inexact 0
		.amdhsa_exception_int_div_zero 0
	.end_amdhsa_kernel
	.section	.text._ZN7rocprim17ROCPRIM_400000_NS6detail17trampoline_kernelINS0_14default_configENS1_25partition_config_selectorILNS1_17partition_subalgoE5ElNS0_10empty_typeEbEEZZNS1_14partition_implILS5_5ELb0ES3_mN6hipcub16HIPCUB_304000_NS21CountingInputIteratorIllEEPS6_NSA_22TransformInputIteratorIbN2at6native12_GLOBAL__N_19NonZeroOpIN3c107complexIdEEEEPKSL_lEENS0_5tupleIJPlS6_EEENSQ_IJSD_SD_EEES6_PiJS6_EEE10hipError_tPvRmT3_T4_T5_T6_T7_T9_mT8_P12ihipStream_tbDpT10_ENKUlT_T0_E_clISt17integral_constantIbLb0EES1D_IbLb1EEEEDaS19_S1A_EUlS19_E_NS1_11comp_targetILNS1_3genE10ELNS1_11target_archE1200ELNS1_3gpuE4ELNS1_3repE0EEENS1_30default_config_static_selectorELNS0_4arch9wavefront6targetE0EEEvT1_,"axG",@progbits,_ZN7rocprim17ROCPRIM_400000_NS6detail17trampoline_kernelINS0_14default_configENS1_25partition_config_selectorILNS1_17partition_subalgoE5ElNS0_10empty_typeEbEEZZNS1_14partition_implILS5_5ELb0ES3_mN6hipcub16HIPCUB_304000_NS21CountingInputIteratorIllEEPS6_NSA_22TransformInputIteratorIbN2at6native12_GLOBAL__N_19NonZeroOpIN3c107complexIdEEEEPKSL_lEENS0_5tupleIJPlS6_EEENSQ_IJSD_SD_EEES6_PiJS6_EEE10hipError_tPvRmT3_T4_T5_T6_T7_T9_mT8_P12ihipStream_tbDpT10_ENKUlT_T0_E_clISt17integral_constantIbLb0EES1D_IbLb1EEEEDaS19_S1A_EUlS19_E_NS1_11comp_targetILNS1_3genE10ELNS1_11target_archE1200ELNS1_3gpuE4ELNS1_3repE0EEENS1_30default_config_static_selectorELNS0_4arch9wavefront6targetE0EEEvT1_,comdat
.Lfunc_end555:
	.size	_ZN7rocprim17ROCPRIM_400000_NS6detail17trampoline_kernelINS0_14default_configENS1_25partition_config_selectorILNS1_17partition_subalgoE5ElNS0_10empty_typeEbEEZZNS1_14partition_implILS5_5ELb0ES3_mN6hipcub16HIPCUB_304000_NS21CountingInputIteratorIllEEPS6_NSA_22TransformInputIteratorIbN2at6native12_GLOBAL__N_19NonZeroOpIN3c107complexIdEEEEPKSL_lEENS0_5tupleIJPlS6_EEENSQ_IJSD_SD_EEES6_PiJS6_EEE10hipError_tPvRmT3_T4_T5_T6_T7_T9_mT8_P12ihipStream_tbDpT10_ENKUlT_T0_E_clISt17integral_constantIbLb0EES1D_IbLb1EEEEDaS19_S1A_EUlS19_E_NS1_11comp_targetILNS1_3genE10ELNS1_11target_archE1200ELNS1_3gpuE4ELNS1_3repE0EEENS1_30default_config_static_selectorELNS0_4arch9wavefront6targetE0EEEvT1_, .Lfunc_end555-_ZN7rocprim17ROCPRIM_400000_NS6detail17trampoline_kernelINS0_14default_configENS1_25partition_config_selectorILNS1_17partition_subalgoE5ElNS0_10empty_typeEbEEZZNS1_14partition_implILS5_5ELb0ES3_mN6hipcub16HIPCUB_304000_NS21CountingInputIteratorIllEEPS6_NSA_22TransformInputIteratorIbN2at6native12_GLOBAL__N_19NonZeroOpIN3c107complexIdEEEEPKSL_lEENS0_5tupleIJPlS6_EEENSQ_IJSD_SD_EEES6_PiJS6_EEE10hipError_tPvRmT3_T4_T5_T6_T7_T9_mT8_P12ihipStream_tbDpT10_ENKUlT_T0_E_clISt17integral_constantIbLb0EES1D_IbLb1EEEEDaS19_S1A_EUlS19_E_NS1_11comp_targetILNS1_3genE10ELNS1_11target_archE1200ELNS1_3gpuE4ELNS1_3repE0EEENS1_30default_config_static_selectorELNS0_4arch9wavefront6targetE0EEEvT1_
                                        ; -- End function
	.set _ZN7rocprim17ROCPRIM_400000_NS6detail17trampoline_kernelINS0_14default_configENS1_25partition_config_selectorILNS1_17partition_subalgoE5ElNS0_10empty_typeEbEEZZNS1_14partition_implILS5_5ELb0ES3_mN6hipcub16HIPCUB_304000_NS21CountingInputIteratorIllEEPS6_NSA_22TransformInputIteratorIbN2at6native12_GLOBAL__N_19NonZeroOpIN3c107complexIdEEEEPKSL_lEENS0_5tupleIJPlS6_EEENSQ_IJSD_SD_EEES6_PiJS6_EEE10hipError_tPvRmT3_T4_T5_T6_T7_T9_mT8_P12ihipStream_tbDpT10_ENKUlT_T0_E_clISt17integral_constantIbLb0EES1D_IbLb1EEEEDaS19_S1A_EUlS19_E_NS1_11comp_targetILNS1_3genE10ELNS1_11target_archE1200ELNS1_3gpuE4ELNS1_3repE0EEENS1_30default_config_static_selectorELNS0_4arch9wavefront6targetE0EEEvT1_.num_vgpr, 48
	.set _ZN7rocprim17ROCPRIM_400000_NS6detail17trampoline_kernelINS0_14default_configENS1_25partition_config_selectorILNS1_17partition_subalgoE5ElNS0_10empty_typeEbEEZZNS1_14partition_implILS5_5ELb0ES3_mN6hipcub16HIPCUB_304000_NS21CountingInputIteratorIllEEPS6_NSA_22TransformInputIteratorIbN2at6native12_GLOBAL__N_19NonZeroOpIN3c107complexIdEEEEPKSL_lEENS0_5tupleIJPlS6_EEENSQ_IJSD_SD_EEES6_PiJS6_EEE10hipError_tPvRmT3_T4_T5_T6_T7_T9_mT8_P12ihipStream_tbDpT10_ENKUlT_T0_E_clISt17integral_constantIbLb0EES1D_IbLb1EEEEDaS19_S1A_EUlS19_E_NS1_11comp_targetILNS1_3genE10ELNS1_11target_archE1200ELNS1_3gpuE4ELNS1_3repE0EEENS1_30default_config_static_selectorELNS0_4arch9wavefront6targetE0EEEvT1_.num_agpr, 0
	.set _ZN7rocprim17ROCPRIM_400000_NS6detail17trampoline_kernelINS0_14default_configENS1_25partition_config_selectorILNS1_17partition_subalgoE5ElNS0_10empty_typeEbEEZZNS1_14partition_implILS5_5ELb0ES3_mN6hipcub16HIPCUB_304000_NS21CountingInputIteratorIllEEPS6_NSA_22TransformInputIteratorIbN2at6native12_GLOBAL__N_19NonZeroOpIN3c107complexIdEEEEPKSL_lEENS0_5tupleIJPlS6_EEENSQ_IJSD_SD_EEES6_PiJS6_EEE10hipError_tPvRmT3_T4_T5_T6_T7_T9_mT8_P12ihipStream_tbDpT10_ENKUlT_T0_E_clISt17integral_constantIbLb0EES1D_IbLb1EEEEDaS19_S1A_EUlS19_E_NS1_11comp_targetILNS1_3genE10ELNS1_11target_archE1200ELNS1_3gpuE4ELNS1_3repE0EEENS1_30default_config_static_selectorELNS0_4arch9wavefront6targetE0EEEvT1_.numbered_sgpr, 24
	.set _ZN7rocprim17ROCPRIM_400000_NS6detail17trampoline_kernelINS0_14default_configENS1_25partition_config_selectorILNS1_17partition_subalgoE5ElNS0_10empty_typeEbEEZZNS1_14partition_implILS5_5ELb0ES3_mN6hipcub16HIPCUB_304000_NS21CountingInputIteratorIllEEPS6_NSA_22TransformInputIteratorIbN2at6native12_GLOBAL__N_19NonZeroOpIN3c107complexIdEEEEPKSL_lEENS0_5tupleIJPlS6_EEENSQ_IJSD_SD_EEES6_PiJS6_EEE10hipError_tPvRmT3_T4_T5_T6_T7_T9_mT8_P12ihipStream_tbDpT10_ENKUlT_T0_E_clISt17integral_constantIbLb0EES1D_IbLb1EEEEDaS19_S1A_EUlS19_E_NS1_11comp_targetILNS1_3genE10ELNS1_11target_archE1200ELNS1_3gpuE4ELNS1_3repE0EEENS1_30default_config_static_selectorELNS0_4arch9wavefront6targetE0EEEvT1_.num_named_barrier, 0
	.set _ZN7rocprim17ROCPRIM_400000_NS6detail17trampoline_kernelINS0_14default_configENS1_25partition_config_selectorILNS1_17partition_subalgoE5ElNS0_10empty_typeEbEEZZNS1_14partition_implILS5_5ELb0ES3_mN6hipcub16HIPCUB_304000_NS21CountingInputIteratorIllEEPS6_NSA_22TransformInputIteratorIbN2at6native12_GLOBAL__N_19NonZeroOpIN3c107complexIdEEEEPKSL_lEENS0_5tupleIJPlS6_EEENSQ_IJSD_SD_EEES6_PiJS6_EEE10hipError_tPvRmT3_T4_T5_T6_T7_T9_mT8_P12ihipStream_tbDpT10_ENKUlT_T0_E_clISt17integral_constantIbLb0EES1D_IbLb1EEEEDaS19_S1A_EUlS19_E_NS1_11comp_targetILNS1_3genE10ELNS1_11target_archE1200ELNS1_3gpuE4ELNS1_3repE0EEENS1_30default_config_static_selectorELNS0_4arch9wavefront6targetE0EEEvT1_.private_seg_size, 0
	.set _ZN7rocprim17ROCPRIM_400000_NS6detail17trampoline_kernelINS0_14default_configENS1_25partition_config_selectorILNS1_17partition_subalgoE5ElNS0_10empty_typeEbEEZZNS1_14partition_implILS5_5ELb0ES3_mN6hipcub16HIPCUB_304000_NS21CountingInputIteratorIllEEPS6_NSA_22TransformInputIteratorIbN2at6native12_GLOBAL__N_19NonZeroOpIN3c107complexIdEEEEPKSL_lEENS0_5tupleIJPlS6_EEENSQ_IJSD_SD_EEES6_PiJS6_EEE10hipError_tPvRmT3_T4_T5_T6_T7_T9_mT8_P12ihipStream_tbDpT10_ENKUlT_T0_E_clISt17integral_constantIbLb0EES1D_IbLb1EEEEDaS19_S1A_EUlS19_E_NS1_11comp_targetILNS1_3genE10ELNS1_11target_archE1200ELNS1_3gpuE4ELNS1_3repE0EEENS1_30default_config_static_selectorELNS0_4arch9wavefront6targetE0EEEvT1_.uses_vcc, 1
	.set _ZN7rocprim17ROCPRIM_400000_NS6detail17trampoline_kernelINS0_14default_configENS1_25partition_config_selectorILNS1_17partition_subalgoE5ElNS0_10empty_typeEbEEZZNS1_14partition_implILS5_5ELb0ES3_mN6hipcub16HIPCUB_304000_NS21CountingInputIteratorIllEEPS6_NSA_22TransformInputIteratorIbN2at6native12_GLOBAL__N_19NonZeroOpIN3c107complexIdEEEEPKSL_lEENS0_5tupleIJPlS6_EEENSQ_IJSD_SD_EEES6_PiJS6_EEE10hipError_tPvRmT3_T4_T5_T6_T7_T9_mT8_P12ihipStream_tbDpT10_ENKUlT_T0_E_clISt17integral_constantIbLb0EES1D_IbLb1EEEEDaS19_S1A_EUlS19_E_NS1_11comp_targetILNS1_3genE10ELNS1_11target_archE1200ELNS1_3gpuE4ELNS1_3repE0EEENS1_30default_config_static_selectorELNS0_4arch9wavefront6targetE0EEEvT1_.uses_flat_scratch, 0
	.set _ZN7rocprim17ROCPRIM_400000_NS6detail17trampoline_kernelINS0_14default_configENS1_25partition_config_selectorILNS1_17partition_subalgoE5ElNS0_10empty_typeEbEEZZNS1_14partition_implILS5_5ELb0ES3_mN6hipcub16HIPCUB_304000_NS21CountingInputIteratorIllEEPS6_NSA_22TransformInputIteratorIbN2at6native12_GLOBAL__N_19NonZeroOpIN3c107complexIdEEEEPKSL_lEENS0_5tupleIJPlS6_EEENSQ_IJSD_SD_EEES6_PiJS6_EEE10hipError_tPvRmT3_T4_T5_T6_T7_T9_mT8_P12ihipStream_tbDpT10_ENKUlT_T0_E_clISt17integral_constantIbLb0EES1D_IbLb1EEEEDaS19_S1A_EUlS19_E_NS1_11comp_targetILNS1_3genE10ELNS1_11target_archE1200ELNS1_3gpuE4ELNS1_3repE0EEENS1_30default_config_static_selectorELNS0_4arch9wavefront6targetE0EEEvT1_.has_dyn_sized_stack, 0
	.set _ZN7rocprim17ROCPRIM_400000_NS6detail17trampoline_kernelINS0_14default_configENS1_25partition_config_selectorILNS1_17partition_subalgoE5ElNS0_10empty_typeEbEEZZNS1_14partition_implILS5_5ELb0ES3_mN6hipcub16HIPCUB_304000_NS21CountingInputIteratorIllEEPS6_NSA_22TransformInputIteratorIbN2at6native12_GLOBAL__N_19NonZeroOpIN3c107complexIdEEEEPKSL_lEENS0_5tupleIJPlS6_EEENSQ_IJSD_SD_EEES6_PiJS6_EEE10hipError_tPvRmT3_T4_T5_T6_T7_T9_mT8_P12ihipStream_tbDpT10_ENKUlT_T0_E_clISt17integral_constantIbLb0EES1D_IbLb1EEEEDaS19_S1A_EUlS19_E_NS1_11comp_targetILNS1_3genE10ELNS1_11target_archE1200ELNS1_3gpuE4ELNS1_3repE0EEENS1_30default_config_static_selectorELNS0_4arch9wavefront6targetE0EEEvT1_.has_recursion, 0
	.set _ZN7rocprim17ROCPRIM_400000_NS6detail17trampoline_kernelINS0_14default_configENS1_25partition_config_selectorILNS1_17partition_subalgoE5ElNS0_10empty_typeEbEEZZNS1_14partition_implILS5_5ELb0ES3_mN6hipcub16HIPCUB_304000_NS21CountingInputIteratorIllEEPS6_NSA_22TransformInputIteratorIbN2at6native12_GLOBAL__N_19NonZeroOpIN3c107complexIdEEEEPKSL_lEENS0_5tupleIJPlS6_EEENSQ_IJSD_SD_EEES6_PiJS6_EEE10hipError_tPvRmT3_T4_T5_T6_T7_T9_mT8_P12ihipStream_tbDpT10_ENKUlT_T0_E_clISt17integral_constantIbLb0EES1D_IbLb1EEEEDaS19_S1A_EUlS19_E_NS1_11comp_targetILNS1_3genE10ELNS1_11target_archE1200ELNS1_3gpuE4ELNS1_3repE0EEENS1_30default_config_static_selectorELNS0_4arch9wavefront6targetE0EEEvT1_.has_indirect_call, 0
	.section	.AMDGPU.csdata,"",@progbits
; Kernel info:
; codeLenInByte = 7108
; TotalNumSgprs: 26
; NumVgprs: 48
; ScratchSize: 0
; MemoryBound: 0
; FloatMode: 240
; IeeeMode: 1
; LDSByteSize: 8464 bytes/workgroup (compile time only)
; SGPRBlocks: 0
; VGPRBlocks: 5
; NumSGPRsForWavesPerEU: 26
; NumVGPRsForWavesPerEU: 48
; Occupancy: 16
; WaveLimiterHint : 1
; COMPUTE_PGM_RSRC2:SCRATCH_EN: 0
; COMPUTE_PGM_RSRC2:USER_SGPR: 2
; COMPUTE_PGM_RSRC2:TRAP_HANDLER: 0
; COMPUTE_PGM_RSRC2:TGID_X_EN: 1
; COMPUTE_PGM_RSRC2:TGID_Y_EN: 0
; COMPUTE_PGM_RSRC2:TGID_Z_EN: 0
; COMPUTE_PGM_RSRC2:TIDIG_COMP_CNT: 0
	.section	.text._ZN7rocprim17ROCPRIM_400000_NS6detail17trampoline_kernelINS0_14default_configENS1_25partition_config_selectorILNS1_17partition_subalgoE5ElNS0_10empty_typeEbEEZZNS1_14partition_implILS5_5ELb0ES3_mN6hipcub16HIPCUB_304000_NS21CountingInputIteratorIllEEPS6_NSA_22TransformInputIteratorIbN2at6native12_GLOBAL__N_19NonZeroOpIN3c107complexIdEEEEPKSL_lEENS0_5tupleIJPlS6_EEENSQ_IJSD_SD_EEES6_PiJS6_EEE10hipError_tPvRmT3_T4_T5_T6_T7_T9_mT8_P12ihipStream_tbDpT10_ENKUlT_T0_E_clISt17integral_constantIbLb0EES1D_IbLb1EEEEDaS19_S1A_EUlS19_E_NS1_11comp_targetILNS1_3genE9ELNS1_11target_archE1100ELNS1_3gpuE3ELNS1_3repE0EEENS1_30default_config_static_selectorELNS0_4arch9wavefront6targetE0EEEvT1_,"axG",@progbits,_ZN7rocprim17ROCPRIM_400000_NS6detail17trampoline_kernelINS0_14default_configENS1_25partition_config_selectorILNS1_17partition_subalgoE5ElNS0_10empty_typeEbEEZZNS1_14partition_implILS5_5ELb0ES3_mN6hipcub16HIPCUB_304000_NS21CountingInputIteratorIllEEPS6_NSA_22TransformInputIteratorIbN2at6native12_GLOBAL__N_19NonZeroOpIN3c107complexIdEEEEPKSL_lEENS0_5tupleIJPlS6_EEENSQ_IJSD_SD_EEES6_PiJS6_EEE10hipError_tPvRmT3_T4_T5_T6_T7_T9_mT8_P12ihipStream_tbDpT10_ENKUlT_T0_E_clISt17integral_constantIbLb0EES1D_IbLb1EEEEDaS19_S1A_EUlS19_E_NS1_11comp_targetILNS1_3genE9ELNS1_11target_archE1100ELNS1_3gpuE3ELNS1_3repE0EEENS1_30default_config_static_selectorELNS0_4arch9wavefront6targetE0EEEvT1_,comdat
	.globl	_ZN7rocprim17ROCPRIM_400000_NS6detail17trampoline_kernelINS0_14default_configENS1_25partition_config_selectorILNS1_17partition_subalgoE5ElNS0_10empty_typeEbEEZZNS1_14partition_implILS5_5ELb0ES3_mN6hipcub16HIPCUB_304000_NS21CountingInputIteratorIllEEPS6_NSA_22TransformInputIteratorIbN2at6native12_GLOBAL__N_19NonZeroOpIN3c107complexIdEEEEPKSL_lEENS0_5tupleIJPlS6_EEENSQ_IJSD_SD_EEES6_PiJS6_EEE10hipError_tPvRmT3_T4_T5_T6_T7_T9_mT8_P12ihipStream_tbDpT10_ENKUlT_T0_E_clISt17integral_constantIbLb0EES1D_IbLb1EEEEDaS19_S1A_EUlS19_E_NS1_11comp_targetILNS1_3genE9ELNS1_11target_archE1100ELNS1_3gpuE3ELNS1_3repE0EEENS1_30default_config_static_selectorELNS0_4arch9wavefront6targetE0EEEvT1_ ; -- Begin function _ZN7rocprim17ROCPRIM_400000_NS6detail17trampoline_kernelINS0_14default_configENS1_25partition_config_selectorILNS1_17partition_subalgoE5ElNS0_10empty_typeEbEEZZNS1_14partition_implILS5_5ELb0ES3_mN6hipcub16HIPCUB_304000_NS21CountingInputIteratorIllEEPS6_NSA_22TransformInputIteratorIbN2at6native12_GLOBAL__N_19NonZeroOpIN3c107complexIdEEEEPKSL_lEENS0_5tupleIJPlS6_EEENSQ_IJSD_SD_EEES6_PiJS6_EEE10hipError_tPvRmT3_T4_T5_T6_T7_T9_mT8_P12ihipStream_tbDpT10_ENKUlT_T0_E_clISt17integral_constantIbLb0EES1D_IbLb1EEEEDaS19_S1A_EUlS19_E_NS1_11comp_targetILNS1_3genE9ELNS1_11target_archE1100ELNS1_3gpuE3ELNS1_3repE0EEENS1_30default_config_static_selectorELNS0_4arch9wavefront6targetE0EEEvT1_
	.p2align	8
	.type	_ZN7rocprim17ROCPRIM_400000_NS6detail17trampoline_kernelINS0_14default_configENS1_25partition_config_selectorILNS1_17partition_subalgoE5ElNS0_10empty_typeEbEEZZNS1_14partition_implILS5_5ELb0ES3_mN6hipcub16HIPCUB_304000_NS21CountingInputIteratorIllEEPS6_NSA_22TransformInputIteratorIbN2at6native12_GLOBAL__N_19NonZeroOpIN3c107complexIdEEEEPKSL_lEENS0_5tupleIJPlS6_EEENSQ_IJSD_SD_EEES6_PiJS6_EEE10hipError_tPvRmT3_T4_T5_T6_T7_T9_mT8_P12ihipStream_tbDpT10_ENKUlT_T0_E_clISt17integral_constantIbLb0EES1D_IbLb1EEEEDaS19_S1A_EUlS19_E_NS1_11comp_targetILNS1_3genE9ELNS1_11target_archE1100ELNS1_3gpuE3ELNS1_3repE0EEENS1_30default_config_static_selectorELNS0_4arch9wavefront6targetE0EEEvT1_,@function
_ZN7rocprim17ROCPRIM_400000_NS6detail17trampoline_kernelINS0_14default_configENS1_25partition_config_selectorILNS1_17partition_subalgoE5ElNS0_10empty_typeEbEEZZNS1_14partition_implILS5_5ELb0ES3_mN6hipcub16HIPCUB_304000_NS21CountingInputIteratorIllEEPS6_NSA_22TransformInputIteratorIbN2at6native12_GLOBAL__N_19NonZeroOpIN3c107complexIdEEEEPKSL_lEENS0_5tupleIJPlS6_EEENSQ_IJSD_SD_EEES6_PiJS6_EEE10hipError_tPvRmT3_T4_T5_T6_T7_T9_mT8_P12ihipStream_tbDpT10_ENKUlT_T0_E_clISt17integral_constantIbLb0EES1D_IbLb1EEEEDaS19_S1A_EUlS19_E_NS1_11comp_targetILNS1_3genE9ELNS1_11target_archE1100ELNS1_3gpuE3ELNS1_3repE0EEENS1_30default_config_static_selectorELNS0_4arch9wavefront6targetE0EEEvT1_: ; @_ZN7rocprim17ROCPRIM_400000_NS6detail17trampoline_kernelINS0_14default_configENS1_25partition_config_selectorILNS1_17partition_subalgoE5ElNS0_10empty_typeEbEEZZNS1_14partition_implILS5_5ELb0ES3_mN6hipcub16HIPCUB_304000_NS21CountingInputIteratorIllEEPS6_NSA_22TransformInputIteratorIbN2at6native12_GLOBAL__N_19NonZeroOpIN3c107complexIdEEEEPKSL_lEENS0_5tupleIJPlS6_EEENSQ_IJSD_SD_EEES6_PiJS6_EEE10hipError_tPvRmT3_T4_T5_T6_T7_T9_mT8_P12ihipStream_tbDpT10_ENKUlT_T0_E_clISt17integral_constantIbLb0EES1D_IbLb1EEEEDaS19_S1A_EUlS19_E_NS1_11comp_targetILNS1_3genE9ELNS1_11target_archE1100ELNS1_3gpuE3ELNS1_3repE0EEENS1_30default_config_static_selectorELNS0_4arch9wavefront6targetE0EEEvT1_
; %bb.0:
	.section	.rodata,"a",@progbits
	.p2align	6, 0x0
	.amdhsa_kernel _ZN7rocprim17ROCPRIM_400000_NS6detail17trampoline_kernelINS0_14default_configENS1_25partition_config_selectorILNS1_17partition_subalgoE5ElNS0_10empty_typeEbEEZZNS1_14partition_implILS5_5ELb0ES3_mN6hipcub16HIPCUB_304000_NS21CountingInputIteratorIllEEPS6_NSA_22TransformInputIteratorIbN2at6native12_GLOBAL__N_19NonZeroOpIN3c107complexIdEEEEPKSL_lEENS0_5tupleIJPlS6_EEENSQ_IJSD_SD_EEES6_PiJS6_EEE10hipError_tPvRmT3_T4_T5_T6_T7_T9_mT8_P12ihipStream_tbDpT10_ENKUlT_T0_E_clISt17integral_constantIbLb0EES1D_IbLb1EEEEDaS19_S1A_EUlS19_E_NS1_11comp_targetILNS1_3genE9ELNS1_11target_archE1100ELNS1_3gpuE3ELNS1_3repE0EEENS1_30default_config_static_selectorELNS0_4arch9wavefront6targetE0EEEvT1_
		.amdhsa_group_segment_fixed_size 0
		.amdhsa_private_segment_fixed_size 0
		.amdhsa_kernarg_size 136
		.amdhsa_user_sgpr_count 2
		.amdhsa_user_sgpr_dispatch_ptr 0
		.amdhsa_user_sgpr_queue_ptr 0
		.amdhsa_user_sgpr_kernarg_segment_ptr 1
		.amdhsa_user_sgpr_dispatch_id 0
		.amdhsa_user_sgpr_private_segment_size 0
		.amdhsa_wavefront_size32 1
		.amdhsa_uses_dynamic_stack 0
		.amdhsa_enable_private_segment 0
		.amdhsa_system_sgpr_workgroup_id_x 1
		.amdhsa_system_sgpr_workgroup_id_y 0
		.amdhsa_system_sgpr_workgroup_id_z 0
		.amdhsa_system_sgpr_workgroup_info 0
		.amdhsa_system_vgpr_workitem_id 0
		.amdhsa_next_free_vgpr 1
		.amdhsa_next_free_sgpr 1
		.amdhsa_reserve_vcc 0
		.amdhsa_float_round_mode_32 0
		.amdhsa_float_round_mode_16_64 0
		.amdhsa_float_denorm_mode_32 3
		.amdhsa_float_denorm_mode_16_64 3
		.amdhsa_fp16_overflow 0
		.amdhsa_workgroup_processor_mode 1
		.amdhsa_memory_ordered 1
		.amdhsa_forward_progress 1
		.amdhsa_inst_pref_size 0
		.amdhsa_round_robin_scheduling 0
		.amdhsa_exception_fp_ieee_invalid_op 0
		.amdhsa_exception_fp_denorm_src 0
		.amdhsa_exception_fp_ieee_div_zero 0
		.amdhsa_exception_fp_ieee_overflow 0
		.amdhsa_exception_fp_ieee_underflow 0
		.amdhsa_exception_fp_ieee_inexact 0
		.amdhsa_exception_int_div_zero 0
	.end_amdhsa_kernel
	.section	.text._ZN7rocprim17ROCPRIM_400000_NS6detail17trampoline_kernelINS0_14default_configENS1_25partition_config_selectorILNS1_17partition_subalgoE5ElNS0_10empty_typeEbEEZZNS1_14partition_implILS5_5ELb0ES3_mN6hipcub16HIPCUB_304000_NS21CountingInputIteratorIllEEPS6_NSA_22TransformInputIteratorIbN2at6native12_GLOBAL__N_19NonZeroOpIN3c107complexIdEEEEPKSL_lEENS0_5tupleIJPlS6_EEENSQ_IJSD_SD_EEES6_PiJS6_EEE10hipError_tPvRmT3_T4_T5_T6_T7_T9_mT8_P12ihipStream_tbDpT10_ENKUlT_T0_E_clISt17integral_constantIbLb0EES1D_IbLb1EEEEDaS19_S1A_EUlS19_E_NS1_11comp_targetILNS1_3genE9ELNS1_11target_archE1100ELNS1_3gpuE3ELNS1_3repE0EEENS1_30default_config_static_selectorELNS0_4arch9wavefront6targetE0EEEvT1_,"axG",@progbits,_ZN7rocprim17ROCPRIM_400000_NS6detail17trampoline_kernelINS0_14default_configENS1_25partition_config_selectorILNS1_17partition_subalgoE5ElNS0_10empty_typeEbEEZZNS1_14partition_implILS5_5ELb0ES3_mN6hipcub16HIPCUB_304000_NS21CountingInputIteratorIllEEPS6_NSA_22TransformInputIteratorIbN2at6native12_GLOBAL__N_19NonZeroOpIN3c107complexIdEEEEPKSL_lEENS0_5tupleIJPlS6_EEENSQ_IJSD_SD_EEES6_PiJS6_EEE10hipError_tPvRmT3_T4_T5_T6_T7_T9_mT8_P12ihipStream_tbDpT10_ENKUlT_T0_E_clISt17integral_constantIbLb0EES1D_IbLb1EEEEDaS19_S1A_EUlS19_E_NS1_11comp_targetILNS1_3genE9ELNS1_11target_archE1100ELNS1_3gpuE3ELNS1_3repE0EEENS1_30default_config_static_selectorELNS0_4arch9wavefront6targetE0EEEvT1_,comdat
.Lfunc_end556:
	.size	_ZN7rocprim17ROCPRIM_400000_NS6detail17trampoline_kernelINS0_14default_configENS1_25partition_config_selectorILNS1_17partition_subalgoE5ElNS0_10empty_typeEbEEZZNS1_14partition_implILS5_5ELb0ES3_mN6hipcub16HIPCUB_304000_NS21CountingInputIteratorIllEEPS6_NSA_22TransformInputIteratorIbN2at6native12_GLOBAL__N_19NonZeroOpIN3c107complexIdEEEEPKSL_lEENS0_5tupleIJPlS6_EEENSQ_IJSD_SD_EEES6_PiJS6_EEE10hipError_tPvRmT3_T4_T5_T6_T7_T9_mT8_P12ihipStream_tbDpT10_ENKUlT_T0_E_clISt17integral_constantIbLb0EES1D_IbLb1EEEEDaS19_S1A_EUlS19_E_NS1_11comp_targetILNS1_3genE9ELNS1_11target_archE1100ELNS1_3gpuE3ELNS1_3repE0EEENS1_30default_config_static_selectorELNS0_4arch9wavefront6targetE0EEEvT1_, .Lfunc_end556-_ZN7rocprim17ROCPRIM_400000_NS6detail17trampoline_kernelINS0_14default_configENS1_25partition_config_selectorILNS1_17partition_subalgoE5ElNS0_10empty_typeEbEEZZNS1_14partition_implILS5_5ELb0ES3_mN6hipcub16HIPCUB_304000_NS21CountingInputIteratorIllEEPS6_NSA_22TransformInputIteratorIbN2at6native12_GLOBAL__N_19NonZeroOpIN3c107complexIdEEEEPKSL_lEENS0_5tupleIJPlS6_EEENSQ_IJSD_SD_EEES6_PiJS6_EEE10hipError_tPvRmT3_T4_T5_T6_T7_T9_mT8_P12ihipStream_tbDpT10_ENKUlT_T0_E_clISt17integral_constantIbLb0EES1D_IbLb1EEEEDaS19_S1A_EUlS19_E_NS1_11comp_targetILNS1_3genE9ELNS1_11target_archE1100ELNS1_3gpuE3ELNS1_3repE0EEENS1_30default_config_static_selectorELNS0_4arch9wavefront6targetE0EEEvT1_
                                        ; -- End function
	.set _ZN7rocprim17ROCPRIM_400000_NS6detail17trampoline_kernelINS0_14default_configENS1_25partition_config_selectorILNS1_17partition_subalgoE5ElNS0_10empty_typeEbEEZZNS1_14partition_implILS5_5ELb0ES3_mN6hipcub16HIPCUB_304000_NS21CountingInputIteratorIllEEPS6_NSA_22TransformInputIteratorIbN2at6native12_GLOBAL__N_19NonZeroOpIN3c107complexIdEEEEPKSL_lEENS0_5tupleIJPlS6_EEENSQ_IJSD_SD_EEES6_PiJS6_EEE10hipError_tPvRmT3_T4_T5_T6_T7_T9_mT8_P12ihipStream_tbDpT10_ENKUlT_T0_E_clISt17integral_constantIbLb0EES1D_IbLb1EEEEDaS19_S1A_EUlS19_E_NS1_11comp_targetILNS1_3genE9ELNS1_11target_archE1100ELNS1_3gpuE3ELNS1_3repE0EEENS1_30default_config_static_selectorELNS0_4arch9wavefront6targetE0EEEvT1_.num_vgpr, 0
	.set _ZN7rocprim17ROCPRIM_400000_NS6detail17trampoline_kernelINS0_14default_configENS1_25partition_config_selectorILNS1_17partition_subalgoE5ElNS0_10empty_typeEbEEZZNS1_14partition_implILS5_5ELb0ES3_mN6hipcub16HIPCUB_304000_NS21CountingInputIteratorIllEEPS6_NSA_22TransformInputIteratorIbN2at6native12_GLOBAL__N_19NonZeroOpIN3c107complexIdEEEEPKSL_lEENS0_5tupleIJPlS6_EEENSQ_IJSD_SD_EEES6_PiJS6_EEE10hipError_tPvRmT3_T4_T5_T6_T7_T9_mT8_P12ihipStream_tbDpT10_ENKUlT_T0_E_clISt17integral_constantIbLb0EES1D_IbLb1EEEEDaS19_S1A_EUlS19_E_NS1_11comp_targetILNS1_3genE9ELNS1_11target_archE1100ELNS1_3gpuE3ELNS1_3repE0EEENS1_30default_config_static_selectorELNS0_4arch9wavefront6targetE0EEEvT1_.num_agpr, 0
	.set _ZN7rocprim17ROCPRIM_400000_NS6detail17trampoline_kernelINS0_14default_configENS1_25partition_config_selectorILNS1_17partition_subalgoE5ElNS0_10empty_typeEbEEZZNS1_14partition_implILS5_5ELb0ES3_mN6hipcub16HIPCUB_304000_NS21CountingInputIteratorIllEEPS6_NSA_22TransformInputIteratorIbN2at6native12_GLOBAL__N_19NonZeroOpIN3c107complexIdEEEEPKSL_lEENS0_5tupleIJPlS6_EEENSQ_IJSD_SD_EEES6_PiJS6_EEE10hipError_tPvRmT3_T4_T5_T6_T7_T9_mT8_P12ihipStream_tbDpT10_ENKUlT_T0_E_clISt17integral_constantIbLb0EES1D_IbLb1EEEEDaS19_S1A_EUlS19_E_NS1_11comp_targetILNS1_3genE9ELNS1_11target_archE1100ELNS1_3gpuE3ELNS1_3repE0EEENS1_30default_config_static_selectorELNS0_4arch9wavefront6targetE0EEEvT1_.numbered_sgpr, 0
	.set _ZN7rocprim17ROCPRIM_400000_NS6detail17trampoline_kernelINS0_14default_configENS1_25partition_config_selectorILNS1_17partition_subalgoE5ElNS0_10empty_typeEbEEZZNS1_14partition_implILS5_5ELb0ES3_mN6hipcub16HIPCUB_304000_NS21CountingInputIteratorIllEEPS6_NSA_22TransformInputIteratorIbN2at6native12_GLOBAL__N_19NonZeroOpIN3c107complexIdEEEEPKSL_lEENS0_5tupleIJPlS6_EEENSQ_IJSD_SD_EEES6_PiJS6_EEE10hipError_tPvRmT3_T4_T5_T6_T7_T9_mT8_P12ihipStream_tbDpT10_ENKUlT_T0_E_clISt17integral_constantIbLb0EES1D_IbLb1EEEEDaS19_S1A_EUlS19_E_NS1_11comp_targetILNS1_3genE9ELNS1_11target_archE1100ELNS1_3gpuE3ELNS1_3repE0EEENS1_30default_config_static_selectorELNS0_4arch9wavefront6targetE0EEEvT1_.num_named_barrier, 0
	.set _ZN7rocprim17ROCPRIM_400000_NS6detail17trampoline_kernelINS0_14default_configENS1_25partition_config_selectorILNS1_17partition_subalgoE5ElNS0_10empty_typeEbEEZZNS1_14partition_implILS5_5ELb0ES3_mN6hipcub16HIPCUB_304000_NS21CountingInputIteratorIllEEPS6_NSA_22TransformInputIteratorIbN2at6native12_GLOBAL__N_19NonZeroOpIN3c107complexIdEEEEPKSL_lEENS0_5tupleIJPlS6_EEENSQ_IJSD_SD_EEES6_PiJS6_EEE10hipError_tPvRmT3_T4_T5_T6_T7_T9_mT8_P12ihipStream_tbDpT10_ENKUlT_T0_E_clISt17integral_constantIbLb0EES1D_IbLb1EEEEDaS19_S1A_EUlS19_E_NS1_11comp_targetILNS1_3genE9ELNS1_11target_archE1100ELNS1_3gpuE3ELNS1_3repE0EEENS1_30default_config_static_selectorELNS0_4arch9wavefront6targetE0EEEvT1_.private_seg_size, 0
	.set _ZN7rocprim17ROCPRIM_400000_NS6detail17trampoline_kernelINS0_14default_configENS1_25partition_config_selectorILNS1_17partition_subalgoE5ElNS0_10empty_typeEbEEZZNS1_14partition_implILS5_5ELb0ES3_mN6hipcub16HIPCUB_304000_NS21CountingInputIteratorIllEEPS6_NSA_22TransformInputIteratorIbN2at6native12_GLOBAL__N_19NonZeroOpIN3c107complexIdEEEEPKSL_lEENS0_5tupleIJPlS6_EEENSQ_IJSD_SD_EEES6_PiJS6_EEE10hipError_tPvRmT3_T4_T5_T6_T7_T9_mT8_P12ihipStream_tbDpT10_ENKUlT_T0_E_clISt17integral_constantIbLb0EES1D_IbLb1EEEEDaS19_S1A_EUlS19_E_NS1_11comp_targetILNS1_3genE9ELNS1_11target_archE1100ELNS1_3gpuE3ELNS1_3repE0EEENS1_30default_config_static_selectorELNS0_4arch9wavefront6targetE0EEEvT1_.uses_vcc, 0
	.set _ZN7rocprim17ROCPRIM_400000_NS6detail17trampoline_kernelINS0_14default_configENS1_25partition_config_selectorILNS1_17partition_subalgoE5ElNS0_10empty_typeEbEEZZNS1_14partition_implILS5_5ELb0ES3_mN6hipcub16HIPCUB_304000_NS21CountingInputIteratorIllEEPS6_NSA_22TransformInputIteratorIbN2at6native12_GLOBAL__N_19NonZeroOpIN3c107complexIdEEEEPKSL_lEENS0_5tupleIJPlS6_EEENSQ_IJSD_SD_EEES6_PiJS6_EEE10hipError_tPvRmT3_T4_T5_T6_T7_T9_mT8_P12ihipStream_tbDpT10_ENKUlT_T0_E_clISt17integral_constantIbLb0EES1D_IbLb1EEEEDaS19_S1A_EUlS19_E_NS1_11comp_targetILNS1_3genE9ELNS1_11target_archE1100ELNS1_3gpuE3ELNS1_3repE0EEENS1_30default_config_static_selectorELNS0_4arch9wavefront6targetE0EEEvT1_.uses_flat_scratch, 0
	.set _ZN7rocprim17ROCPRIM_400000_NS6detail17trampoline_kernelINS0_14default_configENS1_25partition_config_selectorILNS1_17partition_subalgoE5ElNS0_10empty_typeEbEEZZNS1_14partition_implILS5_5ELb0ES3_mN6hipcub16HIPCUB_304000_NS21CountingInputIteratorIllEEPS6_NSA_22TransformInputIteratorIbN2at6native12_GLOBAL__N_19NonZeroOpIN3c107complexIdEEEEPKSL_lEENS0_5tupleIJPlS6_EEENSQ_IJSD_SD_EEES6_PiJS6_EEE10hipError_tPvRmT3_T4_T5_T6_T7_T9_mT8_P12ihipStream_tbDpT10_ENKUlT_T0_E_clISt17integral_constantIbLb0EES1D_IbLb1EEEEDaS19_S1A_EUlS19_E_NS1_11comp_targetILNS1_3genE9ELNS1_11target_archE1100ELNS1_3gpuE3ELNS1_3repE0EEENS1_30default_config_static_selectorELNS0_4arch9wavefront6targetE0EEEvT1_.has_dyn_sized_stack, 0
	.set _ZN7rocprim17ROCPRIM_400000_NS6detail17trampoline_kernelINS0_14default_configENS1_25partition_config_selectorILNS1_17partition_subalgoE5ElNS0_10empty_typeEbEEZZNS1_14partition_implILS5_5ELb0ES3_mN6hipcub16HIPCUB_304000_NS21CountingInputIteratorIllEEPS6_NSA_22TransformInputIteratorIbN2at6native12_GLOBAL__N_19NonZeroOpIN3c107complexIdEEEEPKSL_lEENS0_5tupleIJPlS6_EEENSQ_IJSD_SD_EEES6_PiJS6_EEE10hipError_tPvRmT3_T4_T5_T6_T7_T9_mT8_P12ihipStream_tbDpT10_ENKUlT_T0_E_clISt17integral_constantIbLb0EES1D_IbLb1EEEEDaS19_S1A_EUlS19_E_NS1_11comp_targetILNS1_3genE9ELNS1_11target_archE1100ELNS1_3gpuE3ELNS1_3repE0EEENS1_30default_config_static_selectorELNS0_4arch9wavefront6targetE0EEEvT1_.has_recursion, 0
	.set _ZN7rocprim17ROCPRIM_400000_NS6detail17trampoline_kernelINS0_14default_configENS1_25partition_config_selectorILNS1_17partition_subalgoE5ElNS0_10empty_typeEbEEZZNS1_14partition_implILS5_5ELb0ES3_mN6hipcub16HIPCUB_304000_NS21CountingInputIteratorIllEEPS6_NSA_22TransformInputIteratorIbN2at6native12_GLOBAL__N_19NonZeroOpIN3c107complexIdEEEEPKSL_lEENS0_5tupleIJPlS6_EEENSQ_IJSD_SD_EEES6_PiJS6_EEE10hipError_tPvRmT3_T4_T5_T6_T7_T9_mT8_P12ihipStream_tbDpT10_ENKUlT_T0_E_clISt17integral_constantIbLb0EES1D_IbLb1EEEEDaS19_S1A_EUlS19_E_NS1_11comp_targetILNS1_3genE9ELNS1_11target_archE1100ELNS1_3gpuE3ELNS1_3repE0EEENS1_30default_config_static_selectorELNS0_4arch9wavefront6targetE0EEEvT1_.has_indirect_call, 0
	.section	.AMDGPU.csdata,"",@progbits
; Kernel info:
; codeLenInByte = 0
; TotalNumSgprs: 0
; NumVgprs: 0
; ScratchSize: 0
; MemoryBound: 0
; FloatMode: 240
; IeeeMode: 1
; LDSByteSize: 0 bytes/workgroup (compile time only)
; SGPRBlocks: 0
; VGPRBlocks: 0
; NumSGPRsForWavesPerEU: 1
; NumVGPRsForWavesPerEU: 1
; Occupancy: 16
; WaveLimiterHint : 0
; COMPUTE_PGM_RSRC2:SCRATCH_EN: 0
; COMPUTE_PGM_RSRC2:USER_SGPR: 2
; COMPUTE_PGM_RSRC2:TRAP_HANDLER: 0
; COMPUTE_PGM_RSRC2:TGID_X_EN: 1
; COMPUTE_PGM_RSRC2:TGID_Y_EN: 0
; COMPUTE_PGM_RSRC2:TGID_Z_EN: 0
; COMPUTE_PGM_RSRC2:TIDIG_COMP_CNT: 0
	.section	.text._ZN7rocprim17ROCPRIM_400000_NS6detail17trampoline_kernelINS0_14default_configENS1_25partition_config_selectorILNS1_17partition_subalgoE5ElNS0_10empty_typeEbEEZZNS1_14partition_implILS5_5ELb0ES3_mN6hipcub16HIPCUB_304000_NS21CountingInputIteratorIllEEPS6_NSA_22TransformInputIteratorIbN2at6native12_GLOBAL__N_19NonZeroOpIN3c107complexIdEEEEPKSL_lEENS0_5tupleIJPlS6_EEENSQ_IJSD_SD_EEES6_PiJS6_EEE10hipError_tPvRmT3_T4_T5_T6_T7_T9_mT8_P12ihipStream_tbDpT10_ENKUlT_T0_E_clISt17integral_constantIbLb0EES1D_IbLb1EEEEDaS19_S1A_EUlS19_E_NS1_11comp_targetILNS1_3genE8ELNS1_11target_archE1030ELNS1_3gpuE2ELNS1_3repE0EEENS1_30default_config_static_selectorELNS0_4arch9wavefront6targetE0EEEvT1_,"axG",@progbits,_ZN7rocprim17ROCPRIM_400000_NS6detail17trampoline_kernelINS0_14default_configENS1_25partition_config_selectorILNS1_17partition_subalgoE5ElNS0_10empty_typeEbEEZZNS1_14partition_implILS5_5ELb0ES3_mN6hipcub16HIPCUB_304000_NS21CountingInputIteratorIllEEPS6_NSA_22TransformInputIteratorIbN2at6native12_GLOBAL__N_19NonZeroOpIN3c107complexIdEEEEPKSL_lEENS0_5tupleIJPlS6_EEENSQ_IJSD_SD_EEES6_PiJS6_EEE10hipError_tPvRmT3_T4_T5_T6_T7_T9_mT8_P12ihipStream_tbDpT10_ENKUlT_T0_E_clISt17integral_constantIbLb0EES1D_IbLb1EEEEDaS19_S1A_EUlS19_E_NS1_11comp_targetILNS1_3genE8ELNS1_11target_archE1030ELNS1_3gpuE2ELNS1_3repE0EEENS1_30default_config_static_selectorELNS0_4arch9wavefront6targetE0EEEvT1_,comdat
	.globl	_ZN7rocprim17ROCPRIM_400000_NS6detail17trampoline_kernelINS0_14default_configENS1_25partition_config_selectorILNS1_17partition_subalgoE5ElNS0_10empty_typeEbEEZZNS1_14partition_implILS5_5ELb0ES3_mN6hipcub16HIPCUB_304000_NS21CountingInputIteratorIllEEPS6_NSA_22TransformInputIteratorIbN2at6native12_GLOBAL__N_19NonZeroOpIN3c107complexIdEEEEPKSL_lEENS0_5tupleIJPlS6_EEENSQ_IJSD_SD_EEES6_PiJS6_EEE10hipError_tPvRmT3_T4_T5_T6_T7_T9_mT8_P12ihipStream_tbDpT10_ENKUlT_T0_E_clISt17integral_constantIbLb0EES1D_IbLb1EEEEDaS19_S1A_EUlS19_E_NS1_11comp_targetILNS1_3genE8ELNS1_11target_archE1030ELNS1_3gpuE2ELNS1_3repE0EEENS1_30default_config_static_selectorELNS0_4arch9wavefront6targetE0EEEvT1_ ; -- Begin function _ZN7rocprim17ROCPRIM_400000_NS6detail17trampoline_kernelINS0_14default_configENS1_25partition_config_selectorILNS1_17partition_subalgoE5ElNS0_10empty_typeEbEEZZNS1_14partition_implILS5_5ELb0ES3_mN6hipcub16HIPCUB_304000_NS21CountingInputIteratorIllEEPS6_NSA_22TransformInputIteratorIbN2at6native12_GLOBAL__N_19NonZeroOpIN3c107complexIdEEEEPKSL_lEENS0_5tupleIJPlS6_EEENSQ_IJSD_SD_EEES6_PiJS6_EEE10hipError_tPvRmT3_T4_T5_T6_T7_T9_mT8_P12ihipStream_tbDpT10_ENKUlT_T0_E_clISt17integral_constantIbLb0EES1D_IbLb1EEEEDaS19_S1A_EUlS19_E_NS1_11comp_targetILNS1_3genE8ELNS1_11target_archE1030ELNS1_3gpuE2ELNS1_3repE0EEENS1_30default_config_static_selectorELNS0_4arch9wavefront6targetE0EEEvT1_
	.p2align	8
	.type	_ZN7rocprim17ROCPRIM_400000_NS6detail17trampoline_kernelINS0_14default_configENS1_25partition_config_selectorILNS1_17partition_subalgoE5ElNS0_10empty_typeEbEEZZNS1_14partition_implILS5_5ELb0ES3_mN6hipcub16HIPCUB_304000_NS21CountingInputIteratorIllEEPS6_NSA_22TransformInputIteratorIbN2at6native12_GLOBAL__N_19NonZeroOpIN3c107complexIdEEEEPKSL_lEENS0_5tupleIJPlS6_EEENSQ_IJSD_SD_EEES6_PiJS6_EEE10hipError_tPvRmT3_T4_T5_T6_T7_T9_mT8_P12ihipStream_tbDpT10_ENKUlT_T0_E_clISt17integral_constantIbLb0EES1D_IbLb1EEEEDaS19_S1A_EUlS19_E_NS1_11comp_targetILNS1_3genE8ELNS1_11target_archE1030ELNS1_3gpuE2ELNS1_3repE0EEENS1_30default_config_static_selectorELNS0_4arch9wavefront6targetE0EEEvT1_,@function
_ZN7rocprim17ROCPRIM_400000_NS6detail17trampoline_kernelINS0_14default_configENS1_25partition_config_selectorILNS1_17partition_subalgoE5ElNS0_10empty_typeEbEEZZNS1_14partition_implILS5_5ELb0ES3_mN6hipcub16HIPCUB_304000_NS21CountingInputIteratorIllEEPS6_NSA_22TransformInputIteratorIbN2at6native12_GLOBAL__N_19NonZeroOpIN3c107complexIdEEEEPKSL_lEENS0_5tupleIJPlS6_EEENSQ_IJSD_SD_EEES6_PiJS6_EEE10hipError_tPvRmT3_T4_T5_T6_T7_T9_mT8_P12ihipStream_tbDpT10_ENKUlT_T0_E_clISt17integral_constantIbLb0EES1D_IbLb1EEEEDaS19_S1A_EUlS19_E_NS1_11comp_targetILNS1_3genE8ELNS1_11target_archE1030ELNS1_3gpuE2ELNS1_3repE0EEENS1_30default_config_static_selectorELNS0_4arch9wavefront6targetE0EEEvT1_: ; @_ZN7rocprim17ROCPRIM_400000_NS6detail17trampoline_kernelINS0_14default_configENS1_25partition_config_selectorILNS1_17partition_subalgoE5ElNS0_10empty_typeEbEEZZNS1_14partition_implILS5_5ELb0ES3_mN6hipcub16HIPCUB_304000_NS21CountingInputIteratorIllEEPS6_NSA_22TransformInputIteratorIbN2at6native12_GLOBAL__N_19NonZeroOpIN3c107complexIdEEEEPKSL_lEENS0_5tupleIJPlS6_EEENSQ_IJSD_SD_EEES6_PiJS6_EEE10hipError_tPvRmT3_T4_T5_T6_T7_T9_mT8_P12ihipStream_tbDpT10_ENKUlT_T0_E_clISt17integral_constantIbLb0EES1D_IbLb1EEEEDaS19_S1A_EUlS19_E_NS1_11comp_targetILNS1_3genE8ELNS1_11target_archE1030ELNS1_3gpuE2ELNS1_3repE0EEENS1_30default_config_static_selectorELNS0_4arch9wavefront6targetE0EEEvT1_
; %bb.0:
	.section	.rodata,"a",@progbits
	.p2align	6, 0x0
	.amdhsa_kernel _ZN7rocprim17ROCPRIM_400000_NS6detail17trampoline_kernelINS0_14default_configENS1_25partition_config_selectorILNS1_17partition_subalgoE5ElNS0_10empty_typeEbEEZZNS1_14partition_implILS5_5ELb0ES3_mN6hipcub16HIPCUB_304000_NS21CountingInputIteratorIllEEPS6_NSA_22TransformInputIteratorIbN2at6native12_GLOBAL__N_19NonZeroOpIN3c107complexIdEEEEPKSL_lEENS0_5tupleIJPlS6_EEENSQ_IJSD_SD_EEES6_PiJS6_EEE10hipError_tPvRmT3_T4_T5_T6_T7_T9_mT8_P12ihipStream_tbDpT10_ENKUlT_T0_E_clISt17integral_constantIbLb0EES1D_IbLb1EEEEDaS19_S1A_EUlS19_E_NS1_11comp_targetILNS1_3genE8ELNS1_11target_archE1030ELNS1_3gpuE2ELNS1_3repE0EEENS1_30default_config_static_selectorELNS0_4arch9wavefront6targetE0EEEvT1_
		.amdhsa_group_segment_fixed_size 0
		.amdhsa_private_segment_fixed_size 0
		.amdhsa_kernarg_size 136
		.amdhsa_user_sgpr_count 2
		.amdhsa_user_sgpr_dispatch_ptr 0
		.amdhsa_user_sgpr_queue_ptr 0
		.amdhsa_user_sgpr_kernarg_segment_ptr 1
		.amdhsa_user_sgpr_dispatch_id 0
		.amdhsa_user_sgpr_private_segment_size 0
		.amdhsa_wavefront_size32 1
		.amdhsa_uses_dynamic_stack 0
		.amdhsa_enable_private_segment 0
		.amdhsa_system_sgpr_workgroup_id_x 1
		.amdhsa_system_sgpr_workgroup_id_y 0
		.amdhsa_system_sgpr_workgroup_id_z 0
		.amdhsa_system_sgpr_workgroup_info 0
		.amdhsa_system_vgpr_workitem_id 0
		.amdhsa_next_free_vgpr 1
		.amdhsa_next_free_sgpr 1
		.amdhsa_reserve_vcc 0
		.amdhsa_float_round_mode_32 0
		.amdhsa_float_round_mode_16_64 0
		.amdhsa_float_denorm_mode_32 3
		.amdhsa_float_denorm_mode_16_64 3
		.amdhsa_fp16_overflow 0
		.amdhsa_workgroup_processor_mode 1
		.amdhsa_memory_ordered 1
		.amdhsa_forward_progress 1
		.amdhsa_inst_pref_size 0
		.amdhsa_round_robin_scheduling 0
		.amdhsa_exception_fp_ieee_invalid_op 0
		.amdhsa_exception_fp_denorm_src 0
		.amdhsa_exception_fp_ieee_div_zero 0
		.amdhsa_exception_fp_ieee_overflow 0
		.amdhsa_exception_fp_ieee_underflow 0
		.amdhsa_exception_fp_ieee_inexact 0
		.amdhsa_exception_int_div_zero 0
	.end_amdhsa_kernel
	.section	.text._ZN7rocprim17ROCPRIM_400000_NS6detail17trampoline_kernelINS0_14default_configENS1_25partition_config_selectorILNS1_17partition_subalgoE5ElNS0_10empty_typeEbEEZZNS1_14partition_implILS5_5ELb0ES3_mN6hipcub16HIPCUB_304000_NS21CountingInputIteratorIllEEPS6_NSA_22TransformInputIteratorIbN2at6native12_GLOBAL__N_19NonZeroOpIN3c107complexIdEEEEPKSL_lEENS0_5tupleIJPlS6_EEENSQ_IJSD_SD_EEES6_PiJS6_EEE10hipError_tPvRmT3_T4_T5_T6_T7_T9_mT8_P12ihipStream_tbDpT10_ENKUlT_T0_E_clISt17integral_constantIbLb0EES1D_IbLb1EEEEDaS19_S1A_EUlS19_E_NS1_11comp_targetILNS1_3genE8ELNS1_11target_archE1030ELNS1_3gpuE2ELNS1_3repE0EEENS1_30default_config_static_selectorELNS0_4arch9wavefront6targetE0EEEvT1_,"axG",@progbits,_ZN7rocprim17ROCPRIM_400000_NS6detail17trampoline_kernelINS0_14default_configENS1_25partition_config_selectorILNS1_17partition_subalgoE5ElNS0_10empty_typeEbEEZZNS1_14partition_implILS5_5ELb0ES3_mN6hipcub16HIPCUB_304000_NS21CountingInputIteratorIllEEPS6_NSA_22TransformInputIteratorIbN2at6native12_GLOBAL__N_19NonZeroOpIN3c107complexIdEEEEPKSL_lEENS0_5tupleIJPlS6_EEENSQ_IJSD_SD_EEES6_PiJS6_EEE10hipError_tPvRmT3_T4_T5_T6_T7_T9_mT8_P12ihipStream_tbDpT10_ENKUlT_T0_E_clISt17integral_constantIbLb0EES1D_IbLb1EEEEDaS19_S1A_EUlS19_E_NS1_11comp_targetILNS1_3genE8ELNS1_11target_archE1030ELNS1_3gpuE2ELNS1_3repE0EEENS1_30default_config_static_selectorELNS0_4arch9wavefront6targetE0EEEvT1_,comdat
.Lfunc_end557:
	.size	_ZN7rocprim17ROCPRIM_400000_NS6detail17trampoline_kernelINS0_14default_configENS1_25partition_config_selectorILNS1_17partition_subalgoE5ElNS0_10empty_typeEbEEZZNS1_14partition_implILS5_5ELb0ES3_mN6hipcub16HIPCUB_304000_NS21CountingInputIteratorIllEEPS6_NSA_22TransformInputIteratorIbN2at6native12_GLOBAL__N_19NonZeroOpIN3c107complexIdEEEEPKSL_lEENS0_5tupleIJPlS6_EEENSQ_IJSD_SD_EEES6_PiJS6_EEE10hipError_tPvRmT3_T4_T5_T6_T7_T9_mT8_P12ihipStream_tbDpT10_ENKUlT_T0_E_clISt17integral_constantIbLb0EES1D_IbLb1EEEEDaS19_S1A_EUlS19_E_NS1_11comp_targetILNS1_3genE8ELNS1_11target_archE1030ELNS1_3gpuE2ELNS1_3repE0EEENS1_30default_config_static_selectorELNS0_4arch9wavefront6targetE0EEEvT1_, .Lfunc_end557-_ZN7rocprim17ROCPRIM_400000_NS6detail17trampoline_kernelINS0_14default_configENS1_25partition_config_selectorILNS1_17partition_subalgoE5ElNS0_10empty_typeEbEEZZNS1_14partition_implILS5_5ELb0ES3_mN6hipcub16HIPCUB_304000_NS21CountingInputIteratorIllEEPS6_NSA_22TransformInputIteratorIbN2at6native12_GLOBAL__N_19NonZeroOpIN3c107complexIdEEEEPKSL_lEENS0_5tupleIJPlS6_EEENSQ_IJSD_SD_EEES6_PiJS6_EEE10hipError_tPvRmT3_T4_T5_T6_T7_T9_mT8_P12ihipStream_tbDpT10_ENKUlT_T0_E_clISt17integral_constantIbLb0EES1D_IbLb1EEEEDaS19_S1A_EUlS19_E_NS1_11comp_targetILNS1_3genE8ELNS1_11target_archE1030ELNS1_3gpuE2ELNS1_3repE0EEENS1_30default_config_static_selectorELNS0_4arch9wavefront6targetE0EEEvT1_
                                        ; -- End function
	.set _ZN7rocprim17ROCPRIM_400000_NS6detail17trampoline_kernelINS0_14default_configENS1_25partition_config_selectorILNS1_17partition_subalgoE5ElNS0_10empty_typeEbEEZZNS1_14partition_implILS5_5ELb0ES3_mN6hipcub16HIPCUB_304000_NS21CountingInputIteratorIllEEPS6_NSA_22TransformInputIteratorIbN2at6native12_GLOBAL__N_19NonZeroOpIN3c107complexIdEEEEPKSL_lEENS0_5tupleIJPlS6_EEENSQ_IJSD_SD_EEES6_PiJS6_EEE10hipError_tPvRmT3_T4_T5_T6_T7_T9_mT8_P12ihipStream_tbDpT10_ENKUlT_T0_E_clISt17integral_constantIbLb0EES1D_IbLb1EEEEDaS19_S1A_EUlS19_E_NS1_11comp_targetILNS1_3genE8ELNS1_11target_archE1030ELNS1_3gpuE2ELNS1_3repE0EEENS1_30default_config_static_selectorELNS0_4arch9wavefront6targetE0EEEvT1_.num_vgpr, 0
	.set _ZN7rocprim17ROCPRIM_400000_NS6detail17trampoline_kernelINS0_14default_configENS1_25partition_config_selectorILNS1_17partition_subalgoE5ElNS0_10empty_typeEbEEZZNS1_14partition_implILS5_5ELb0ES3_mN6hipcub16HIPCUB_304000_NS21CountingInputIteratorIllEEPS6_NSA_22TransformInputIteratorIbN2at6native12_GLOBAL__N_19NonZeroOpIN3c107complexIdEEEEPKSL_lEENS0_5tupleIJPlS6_EEENSQ_IJSD_SD_EEES6_PiJS6_EEE10hipError_tPvRmT3_T4_T5_T6_T7_T9_mT8_P12ihipStream_tbDpT10_ENKUlT_T0_E_clISt17integral_constantIbLb0EES1D_IbLb1EEEEDaS19_S1A_EUlS19_E_NS1_11comp_targetILNS1_3genE8ELNS1_11target_archE1030ELNS1_3gpuE2ELNS1_3repE0EEENS1_30default_config_static_selectorELNS0_4arch9wavefront6targetE0EEEvT1_.num_agpr, 0
	.set _ZN7rocprim17ROCPRIM_400000_NS6detail17trampoline_kernelINS0_14default_configENS1_25partition_config_selectorILNS1_17partition_subalgoE5ElNS0_10empty_typeEbEEZZNS1_14partition_implILS5_5ELb0ES3_mN6hipcub16HIPCUB_304000_NS21CountingInputIteratorIllEEPS6_NSA_22TransformInputIteratorIbN2at6native12_GLOBAL__N_19NonZeroOpIN3c107complexIdEEEEPKSL_lEENS0_5tupleIJPlS6_EEENSQ_IJSD_SD_EEES6_PiJS6_EEE10hipError_tPvRmT3_T4_T5_T6_T7_T9_mT8_P12ihipStream_tbDpT10_ENKUlT_T0_E_clISt17integral_constantIbLb0EES1D_IbLb1EEEEDaS19_S1A_EUlS19_E_NS1_11comp_targetILNS1_3genE8ELNS1_11target_archE1030ELNS1_3gpuE2ELNS1_3repE0EEENS1_30default_config_static_selectorELNS0_4arch9wavefront6targetE0EEEvT1_.numbered_sgpr, 0
	.set _ZN7rocprim17ROCPRIM_400000_NS6detail17trampoline_kernelINS0_14default_configENS1_25partition_config_selectorILNS1_17partition_subalgoE5ElNS0_10empty_typeEbEEZZNS1_14partition_implILS5_5ELb0ES3_mN6hipcub16HIPCUB_304000_NS21CountingInputIteratorIllEEPS6_NSA_22TransformInputIteratorIbN2at6native12_GLOBAL__N_19NonZeroOpIN3c107complexIdEEEEPKSL_lEENS0_5tupleIJPlS6_EEENSQ_IJSD_SD_EEES6_PiJS6_EEE10hipError_tPvRmT3_T4_T5_T6_T7_T9_mT8_P12ihipStream_tbDpT10_ENKUlT_T0_E_clISt17integral_constantIbLb0EES1D_IbLb1EEEEDaS19_S1A_EUlS19_E_NS1_11comp_targetILNS1_3genE8ELNS1_11target_archE1030ELNS1_3gpuE2ELNS1_3repE0EEENS1_30default_config_static_selectorELNS0_4arch9wavefront6targetE0EEEvT1_.num_named_barrier, 0
	.set _ZN7rocprim17ROCPRIM_400000_NS6detail17trampoline_kernelINS0_14default_configENS1_25partition_config_selectorILNS1_17partition_subalgoE5ElNS0_10empty_typeEbEEZZNS1_14partition_implILS5_5ELb0ES3_mN6hipcub16HIPCUB_304000_NS21CountingInputIteratorIllEEPS6_NSA_22TransformInputIteratorIbN2at6native12_GLOBAL__N_19NonZeroOpIN3c107complexIdEEEEPKSL_lEENS0_5tupleIJPlS6_EEENSQ_IJSD_SD_EEES6_PiJS6_EEE10hipError_tPvRmT3_T4_T5_T6_T7_T9_mT8_P12ihipStream_tbDpT10_ENKUlT_T0_E_clISt17integral_constantIbLb0EES1D_IbLb1EEEEDaS19_S1A_EUlS19_E_NS1_11comp_targetILNS1_3genE8ELNS1_11target_archE1030ELNS1_3gpuE2ELNS1_3repE0EEENS1_30default_config_static_selectorELNS0_4arch9wavefront6targetE0EEEvT1_.private_seg_size, 0
	.set _ZN7rocprim17ROCPRIM_400000_NS6detail17trampoline_kernelINS0_14default_configENS1_25partition_config_selectorILNS1_17partition_subalgoE5ElNS0_10empty_typeEbEEZZNS1_14partition_implILS5_5ELb0ES3_mN6hipcub16HIPCUB_304000_NS21CountingInputIteratorIllEEPS6_NSA_22TransformInputIteratorIbN2at6native12_GLOBAL__N_19NonZeroOpIN3c107complexIdEEEEPKSL_lEENS0_5tupleIJPlS6_EEENSQ_IJSD_SD_EEES6_PiJS6_EEE10hipError_tPvRmT3_T4_T5_T6_T7_T9_mT8_P12ihipStream_tbDpT10_ENKUlT_T0_E_clISt17integral_constantIbLb0EES1D_IbLb1EEEEDaS19_S1A_EUlS19_E_NS1_11comp_targetILNS1_3genE8ELNS1_11target_archE1030ELNS1_3gpuE2ELNS1_3repE0EEENS1_30default_config_static_selectorELNS0_4arch9wavefront6targetE0EEEvT1_.uses_vcc, 0
	.set _ZN7rocprim17ROCPRIM_400000_NS6detail17trampoline_kernelINS0_14default_configENS1_25partition_config_selectorILNS1_17partition_subalgoE5ElNS0_10empty_typeEbEEZZNS1_14partition_implILS5_5ELb0ES3_mN6hipcub16HIPCUB_304000_NS21CountingInputIteratorIllEEPS6_NSA_22TransformInputIteratorIbN2at6native12_GLOBAL__N_19NonZeroOpIN3c107complexIdEEEEPKSL_lEENS0_5tupleIJPlS6_EEENSQ_IJSD_SD_EEES6_PiJS6_EEE10hipError_tPvRmT3_T4_T5_T6_T7_T9_mT8_P12ihipStream_tbDpT10_ENKUlT_T0_E_clISt17integral_constantIbLb0EES1D_IbLb1EEEEDaS19_S1A_EUlS19_E_NS1_11comp_targetILNS1_3genE8ELNS1_11target_archE1030ELNS1_3gpuE2ELNS1_3repE0EEENS1_30default_config_static_selectorELNS0_4arch9wavefront6targetE0EEEvT1_.uses_flat_scratch, 0
	.set _ZN7rocprim17ROCPRIM_400000_NS6detail17trampoline_kernelINS0_14default_configENS1_25partition_config_selectorILNS1_17partition_subalgoE5ElNS0_10empty_typeEbEEZZNS1_14partition_implILS5_5ELb0ES3_mN6hipcub16HIPCUB_304000_NS21CountingInputIteratorIllEEPS6_NSA_22TransformInputIteratorIbN2at6native12_GLOBAL__N_19NonZeroOpIN3c107complexIdEEEEPKSL_lEENS0_5tupleIJPlS6_EEENSQ_IJSD_SD_EEES6_PiJS6_EEE10hipError_tPvRmT3_T4_T5_T6_T7_T9_mT8_P12ihipStream_tbDpT10_ENKUlT_T0_E_clISt17integral_constantIbLb0EES1D_IbLb1EEEEDaS19_S1A_EUlS19_E_NS1_11comp_targetILNS1_3genE8ELNS1_11target_archE1030ELNS1_3gpuE2ELNS1_3repE0EEENS1_30default_config_static_selectorELNS0_4arch9wavefront6targetE0EEEvT1_.has_dyn_sized_stack, 0
	.set _ZN7rocprim17ROCPRIM_400000_NS6detail17trampoline_kernelINS0_14default_configENS1_25partition_config_selectorILNS1_17partition_subalgoE5ElNS0_10empty_typeEbEEZZNS1_14partition_implILS5_5ELb0ES3_mN6hipcub16HIPCUB_304000_NS21CountingInputIteratorIllEEPS6_NSA_22TransformInputIteratorIbN2at6native12_GLOBAL__N_19NonZeroOpIN3c107complexIdEEEEPKSL_lEENS0_5tupleIJPlS6_EEENSQ_IJSD_SD_EEES6_PiJS6_EEE10hipError_tPvRmT3_T4_T5_T6_T7_T9_mT8_P12ihipStream_tbDpT10_ENKUlT_T0_E_clISt17integral_constantIbLb0EES1D_IbLb1EEEEDaS19_S1A_EUlS19_E_NS1_11comp_targetILNS1_3genE8ELNS1_11target_archE1030ELNS1_3gpuE2ELNS1_3repE0EEENS1_30default_config_static_selectorELNS0_4arch9wavefront6targetE0EEEvT1_.has_recursion, 0
	.set _ZN7rocprim17ROCPRIM_400000_NS6detail17trampoline_kernelINS0_14default_configENS1_25partition_config_selectorILNS1_17partition_subalgoE5ElNS0_10empty_typeEbEEZZNS1_14partition_implILS5_5ELb0ES3_mN6hipcub16HIPCUB_304000_NS21CountingInputIteratorIllEEPS6_NSA_22TransformInputIteratorIbN2at6native12_GLOBAL__N_19NonZeroOpIN3c107complexIdEEEEPKSL_lEENS0_5tupleIJPlS6_EEENSQ_IJSD_SD_EEES6_PiJS6_EEE10hipError_tPvRmT3_T4_T5_T6_T7_T9_mT8_P12ihipStream_tbDpT10_ENKUlT_T0_E_clISt17integral_constantIbLb0EES1D_IbLb1EEEEDaS19_S1A_EUlS19_E_NS1_11comp_targetILNS1_3genE8ELNS1_11target_archE1030ELNS1_3gpuE2ELNS1_3repE0EEENS1_30default_config_static_selectorELNS0_4arch9wavefront6targetE0EEEvT1_.has_indirect_call, 0
	.section	.AMDGPU.csdata,"",@progbits
; Kernel info:
; codeLenInByte = 0
; TotalNumSgprs: 0
; NumVgprs: 0
; ScratchSize: 0
; MemoryBound: 0
; FloatMode: 240
; IeeeMode: 1
; LDSByteSize: 0 bytes/workgroup (compile time only)
; SGPRBlocks: 0
; VGPRBlocks: 0
; NumSGPRsForWavesPerEU: 1
; NumVGPRsForWavesPerEU: 1
; Occupancy: 16
; WaveLimiterHint : 0
; COMPUTE_PGM_RSRC2:SCRATCH_EN: 0
; COMPUTE_PGM_RSRC2:USER_SGPR: 2
; COMPUTE_PGM_RSRC2:TRAP_HANDLER: 0
; COMPUTE_PGM_RSRC2:TGID_X_EN: 1
; COMPUTE_PGM_RSRC2:TGID_Y_EN: 0
; COMPUTE_PGM_RSRC2:TGID_Z_EN: 0
; COMPUTE_PGM_RSRC2:TIDIG_COMP_CNT: 0
	.section	.text._ZN7rocprim17ROCPRIM_400000_NS6detail17trampoline_kernelINS0_14default_configENS1_22reduce_config_selectorIiEEZNS1_11reduce_implILb1ES3_PiS7_iN6hipcub16HIPCUB_304000_NS6detail34convert_binary_result_type_wrapperINS9_3SumENS9_22TransformInputIteratorIbN2at6native12_GLOBAL__N_19NonZeroOpIN3c107complexIfEEEEPKSK_lEEiEEEE10hipError_tPvRmT1_T2_T3_mT4_P12ihipStream_tbEUlT_E0_NS1_11comp_targetILNS1_3genE0ELNS1_11target_archE4294967295ELNS1_3gpuE0ELNS1_3repE0EEENS1_30default_config_static_selectorELNS0_4arch9wavefront6targetE0EEEvST_,"axG",@progbits,_ZN7rocprim17ROCPRIM_400000_NS6detail17trampoline_kernelINS0_14default_configENS1_22reduce_config_selectorIiEEZNS1_11reduce_implILb1ES3_PiS7_iN6hipcub16HIPCUB_304000_NS6detail34convert_binary_result_type_wrapperINS9_3SumENS9_22TransformInputIteratorIbN2at6native12_GLOBAL__N_19NonZeroOpIN3c107complexIfEEEEPKSK_lEEiEEEE10hipError_tPvRmT1_T2_T3_mT4_P12ihipStream_tbEUlT_E0_NS1_11comp_targetILNS1_3genE0ELNS1_11target_archE4294967295ELNS1_3gpuE0ELNS1_3repE0EEENS1_30default_config_static_selectorELNS0_4arch9wavefront6targetE0EEEvST_,comdat
	.globl	_ZN7rocprim17ROCPRIM_400000_NS6detail17trampoline_kernelINS0_14default_configENS1_22reduce_config_selectorIiEEZNS1_11reduce_implILb1ES3_PiS7_iN6hipcub16HIPCUB_304000_NS6detail34convert_binary_result_type_wrapperINS9_3SumENS9_22TransformInputIteratorIbN2at6native12_GLOBAL__N_19NonZeroOpIN3c107complexIfEEEEPKSK_lEEiEEEE10hipError_tPvRmT1_T2_T3_mT4_P12ihipStream_tbEUlT_E0_NS1_11comp_targetILNS1_3genE0ELNS1_11target_archE4294967295ELNS1_3gpuE0ELNS1_3repE0EEENS1_30default_config_static_selectorELNS0_4arch9wavefront6targetE0EEEvST_ ; -- Begin function _ZN7rocprim17ROCPRIM_400000_NS6detail17trampoline_kernelINS0_14default_configENS1_22reduce_config_selectorIiEEZNS1_11reduce_implILb1ES3_PiS7_iN6hipcub16HIPCUB_304000_NS6detail34convert_binary_result_type_wrapperINS9_3SumENS9_22TransformInputIteratorIbN2at6native12_GLOBAL__N_19NonZeroOpIN3c107complexIfEEEEPKSK_lEEiEEEE10hipError_tPvRmT1_T2_T3_mT4_P12ihipStream_tbEUlT_E0_NS1_11comp_targetILNS1_3genE0ELNS1_11target_archE4294967295ELNS1_3gpuE0ELNS1_3repE0EEENS1_30default_config_static_selectorELNS0_4arch9wavefront6targetE0EEEvST_
	.p2align	8
	.type	_ZN7rocprim17ROCPRIM_400000_NS6detail17trampoline_kernelINS0_14default_configENS1_22reduce_config_selectorIiEEZNS1_11reduce_implILb1ES3_PiS7_iN6hipcub16HIPCUB_304000_NS6detail34convert_binary_result_type_wrapperINS9_3SumENS9_22TransformInputIteratorIbN2at6native12_GLOBAL__N_19NonZeroOpIN3c107complexIfEEEEPKSK_lEEiEEEE10hipError_tPvRmT1_T2_T3_mT4_P12ihipStream_tbEUlT_E0_NS1_11comp_targetILNS1_3genE0ELNS1_11target_archE4294967295ELNS1_3gpuE0ELNS1_3repE0EEENS1_30default_config_static_selectorELNS0_4arch9wavefront6targetE0EEEvST_,@function
_ZN7rocprim17ROCPRIM_400000_NS6detail17trampoline_kernelINS0_14default_configENS1_22reduce_config_selectorIiEEZNS1_11reduce_implILb1ES3_PiS7_iN6hipcub16HIPCUB_304000_NS6detail34convert_binary_result_type_wrapperINS9_3SumENS9_22TransformInputIteratorIbN2at6native12_GLOBAL__N_19NonZeroOpIN3c107complexIfEEEEPKSK_lEEiEEEE10hipError_tPvRmT1_T2_T3_mT4_P12ihipStream_tbEUlT_E0_NS1_11comp_targetILNS1_3genE0ELNS1_11target_archE4294967295ELNS1_3gpuE0ELNS1_3repE0EEENS1_30default_config_static_selectorELNS0_4arch9wavefront6targetE0EEEvST_: ; @_ZN7rocprim17ROCPRIM_400000_NS6detail17trampoline_kernelINS0_14default_configENS1_22reduce_config_selectorIiEEZNS1_11reduce_implILb1ES3_PiS7_iN6hipcub16HIPCUB_304000_NS6detail34convert_binary_result_type_wrapperINS9_3SumENS9_22TransformInputIteratorIbN2at6native12_GLOBAL__N_19NonZeroOpIN3c107complexIfEEEEPKSK_lEEiEEEE10hipError_tPvRmT1_T2_T3_mT4_P12ihipStream_tbEUlT_E0_NS1_11comp_targetILNS1_3genE0ELNS1_11target_archE4294967295ELNS1_3gpuE0ELNS1_3repE0EEENS1_30default_config_static_selectorELNS0_4arch9wavefront6targetE0EEEvST_
; %bb.0:
	.section	.rodata,"a",@progbits
	.p2align	6, 0x0
	.amdhsa_kernel _ZN7rocprim17ROCPRIM_400000_NS6detail17trampoline_kernelINS0_14default_configENS1_22reduce_config_selectorIiEEZNS1_11reduce_implILb1ES3_PiS7_iN6hipcub16HIPCUB_304000_NS6detail34convert_binary_result_type_wrapperINS9_3SumENS9_22TransformInputIteratorIbN2at6native12_GLOBAL__N_19NonZeroOpIN3c107complexIfEEEEPKSK_lEEiEEEE10hipError_tPvRmT1_T2_T3_mT4_P12ihipStream_tbEUlT_E0_NS1_11comp_targetILNS1_3genE0ELNS1_11target_archE4294967295ELNS1_3gpuE0ELNS1_3repE0EEENS1_30default_config_static_selectorELNS0_4arch9wavefront6targetE0EEEvST_
		.amdhsa_group_segment_fixed_size 0
		.amdhsa_private_segment_fixed_size 0
		.amdhsa_kernarg_size 56
		.amdhsa_user_sgpr_count 2
		.amdhsa_user_sgpr_dispatch_ptr 0
		.amdhsa_user_sgpr_queue_ptr 0
		.amdhsa_user_sgpr_kernarg_segment_ptr 1
		.amdhsa_user_sgpr_dispatch_id 0
		.amdhsa_user_sgpr_private_segment_size 0
		.amdhsa_wavefront_size32 1
		.amdhsa_uses_dynamic_stack 0
		.amdhsa_enable_private_segment 0
		.amdhsa_system_sgpr_workgroup_id_x 1
		.amdhsa_system_sgpr_workgroup_id_y 0
		.amdhsa_system_sgpr_workgroup_id_z 0
		.amdhsa_system_sgpr_workgroup_info 0
		.amdhsa_system_vgpr_workitem_id 0
		.amdhsa_next_free_vgpr 1
		.amdhsa_next_free_sgpr 1
		.amdhsa_reserve_vcc 0
		.amdhsa_float_round_mode_32 0
		.amdhsa_float_round_mode_16_64 0
		.amdhsa_float_denorm_mode_32 3
		.amdhsa_float_denorm_mode_16_64 3
		.amdhsa_fp16_overflow 0
		.amdhsa_workgroup_processor_mode 1
		.amdhsa_memory_ordered 1
		.amdhsa_forward_progress 1
		.amdhsa_inst_pref_size 0
		.amdhsa_round_robin_scheduling 0
		.amdhsa_exception_fp_ieee_invalid_op 0
		.amdhsa_exception_fp_denorm_src 0
		.amdhsa_exception_fp_ieee_div_zero 0
		.amdhsa_exception_fp_ieee_overflow 0
		.amdhsa_exception_fp_ieee_underflow 0
		.amdhsa_exception_fp_ieee_inexact 0
		.amdhsa_exception_int_div_zero 0
	.end_amdhsa_kernel
	.section	.text._ZN7rocprim17ROCPRIM_400000_NS6detail17trampoline_kernelINS0_14default_configENS1_22reduce_config_selectorIiEEZNS1_11reduce_implILb1ES3_PiS7_iN6hipcub16HIPCUB_304000_NS6detail34convert_binary_result_type_wrapperINS9_3SumENS9_22TransformInputIteratorIbN2at6native12_GLOBAL__N_19NonZeroOpIN3c107complexIfEEEEPKSK_lEEiEEEE10hipError_tPvRmT1_T2_T3_mT4_P12ihipStream_tbEUlT_E0_NS1_11comp_targetILNS1_3genE0ELNS1_11target_archE4294967295ELNS1_3gpuE0ELNS1_3repE0EEENS1_30default_config_static_selectorELNS0_4arch9wavefront6targetE0EEEvST_,"axG",@progbits,_ZN7rocprim17ROCPRIM_400000_NS6detail17trampoline_kernelINS0_14default_configENS1_22reduce_config_selectorIiEEZNS1_11reduce_implILb1ES3_PiS7_iN6hipcub16HIPCUB_304000_NS6detail34convert_binary_result_type_wrapperINS9_3SumENS9_22TransformInputIteratorIbN2at6native12_GLOBAL__N_19NonZeroOpIN3c107complexIfEEEEPKSK_lEEiEEEE10hipError_tPvRmT1_T2_T3_mT4_P12ihipStream_tbEUlT_E0_NS1_11comp_targetILNS1_3genE0ELNS1_11target_archE4294967295ELNS1_3gpuE0ELNS1_3repE0EEENS1_30default_config_static_selectorELNS0_4arch9wavefront6targetE0EEEvST_,comdat
.Lfunc_end558:
	.size	_ZN7rocprim17ROCPRIM_400000_NS6detail17trampoline_kernelINS0_14default_configENS1_22reduce_config_selectorIiEEZNS1_11reduce_implILb1ES3_PiS7_iN6hipcub16HIPCUB_304000_NS6detail34convert_binary_result_type_wrapperINS9_3SumENS9_22TransformInputIteratorIbN2at6native12_GLOBAL__N_19NonZeroOpIN3c107complexIfEEEEPKSK_lEEiEEEE10hipError_tPvRmT1_T2_T3_mT4_P12ihipStream_tbEUlT_E0_NS1_11comp_targetILNS1_3genE0ELNS1_11target_archE4294967295ELNS1_3gpuE0ELNS1_3repE0EEENS1_30default_config_static_selectorELNS0_4arch9wavefront6targetE0EEEvST_, .Lfunc_end558-_ZN7rocprim17ROCPRIM_400000_NS6detail17trampoline_kernelINS0_14default_configENS1_22reduce_config_selectorIiEEZNS1_11reduce_implILb1ES3_PiS7_iN6hipcub16HIPCUB_304000_NS6detail34convert_binary_result_type_wrapperINS9_3SumENS9_22TransformInputIteratorIbN2at6native12_GLOBAL__N_19NonZeroOpIN3c107complexIfEEEEPKSK_lEEiEEEE10hipError_tPvRmT1_T2_T3_mT4_P12ihipStream_tbEUlT_E0_NS1_11comp_targetILNS1_3genE0ELNS1_11target_archE4294967295ELNS1_3gpuE0ELNS1_3repE0EEENS1_30default_config_static_selectorELNS0_4arch9wavefront6targetE0EEEvST_
                                        ; -- End function
	.set _ZN7rocprim17ROCPRIM_400000_NS6detail17trampoline_kernelINS0_14default_configENS1_22reduce_config_selectorIiEEZNS1_11reduce_implILb1ES3_PiS7_iN6hipcub16HIPCUB_304000_NS6detail34convert_binary_result_type_wrapperINS9_3SumENS9_22TransformInputIteratorIbN2at6native12_GLOBAL__N_19NonZeroOpIN3c107complexIfEEEEPKSK_lEEiEEEE10hipError_tPvRmT1_T2_T3_mT4_P12ihipStream_tbEUlT_E0_NS1_11comp_targetILNS1_3genE0ELNS1_11target_archE4294967295ELNS1_3gpuE0ELNS1_3repE0EEENS1_30default_config_static_selectorELNS0_4arch9wavefront6targetE0EEEvST_.num_vgpr, 0
	.set _ZN7rocprim17ROCPRIM_400000_NS6detail17trampoline_kernelINS0_14default_configENS1_22reduce_config_selectorIiEEZNS1_11reduce_implILb1ES3_PiS7_iN6hipcub16HIPCUB_304000_NS6detail34convert_binary_result_type_wrapperINS9_3SumENS9_22TransformInputIteratorIbN2at6native12_GLOBAL__N_19NonZeroOpIN3c107complexIfEEEEPKSK_lEEiEEEE10hipError_tPvRmT1_T2_T3_mT4_P12ihipStream_tbEUlT_E0_NS1_11comp_targetILNS1_3genE0ELNS1_11target_archE4294967295ELNS1_3gpuE0ELNS1_3repE0EEENS1_30default_config_static_selectorELNS0_4arch9wavefront6targetE0EEEvST_.num_agpr, 0
	.set _ZN7rocprim17ROCPRIM_400000_NS6detail17trampoline_kernelINS0_14default_configENS1_22reduce_config_selectorIiEEZNS1_11reduce_implILb1ES3_PiS7_iN6hipcub16HIPCUB_304000_NS6detail34convert_binary_result_type_wrapperINS9_3SumENS9_22TransformInputIteratorIbN2at6native12_GLOBAL__N_19NonZeroOpIN3c107complexIfEEEEPKSK_lEEiEEEE10hipError_tPvRmT1_T2_T3_mT4_P12ihipStream_tbEUlT_E0_NS1_11comp_targetILNS1_3genE0ELNS1_11target_archE4294967295ELNS1_3gpuE0ELNS1_3repE0EEENS1_30default_config_static_selectorELNS0_4arch9wavefront6targetE0EEEvST_.numbered_sgpr, 0
	.set _ZN7rocprim17ROCPRIM_400000_NS6detail17trampoline_kernelINS0_14default_configENS1_22reduce_config_selectorIiEEZNS1_11reduce_implILb1ES3_PiS7_iN6hipcub16HIPCUB_304000_NS6detail34convert_binary_result_type_wrapperINS9_3SumENS9_22TransformInputIteratorIbN2at6native12_GLOBAL__N_19NonZeroOpIN3c107complexIfEEEEPKSK_lEEiEEEE10hipError_tPvRmT1_T2_T3_mT4_P12ihipStream_tbEUlT_E0_NS1_11comp_targetILNS1_3genE0ELNS1_11target_archE4294967295ELNS1_3gpuE0ELNS1_3repE0EEENS1_30default_config_static_selectorELNS0_4arch9wavefront6targetE0EEEvST_.num_named_barrier, 0
	.set _ZN7rocprim17ROCPRIM_400000_NS6detail17trampoline_kernelINS0_14default_configENS1_22reduce_config_selectorIiEEZNS1_11reduce_implILb1ES3_PiS7_iN6hipcub16HIPCUB_304000_NS6detail34convert_binary_result_type_wrapperINS9_3SumENS9_22TransformInputIteratorIbN2at6native12_GLOBAL__N_19NonZeroOpIN3c107complexIfEEEEPKSK_lEEiEEEE10hipError_tPvRmT1_T2_T3_mT4_P12ihipStream_tbEUlT_E0_NS1_11comp_targetILNS1_3genE0ELNS1_11target_archE4294967295ELNS1_3gpuE0ELNS1_3repE0EEENS1_30default_config_static_selectorELNS0_4arch9wavefront6targetE0EEEvST_.private_seg_size, 0
	.set _ZN7rocprim17ROCPRIM_400000_NS6detail17trampoline_kernelINS0_14default_configENS1_22reduce_config_selectorIiEEZNS1_11reduce_implILb1ES3_PiS7_iN6hipcub16HIPCUB_304000_NS6detail34convert_binary_result_type_wrapperINS9_3SumENS9_22TransformInputIteratorIbN2at6native12_GLOBAL__N_19NonZeroOpIN3c107complexIfEEEEPKSK_lEEiEEEE10hipError_tPvRmT1_T2_T3_mT4_P12ihipStream_tbEUlT_E0_NS1_11comp_targetILNS1_3genE0ELNS1_11target_archE4294967295ELNS1_3gpuE0ELNS1_3repE0EEENS1_30default_config_static_selectorELNS0_4arch9wavefront6targetE0EEEvST_.uses_vcc, 0
	.set _ZN7rocprim17ROCPRIM_400000_NS6detail17trampoline_kernelINS0_14default_configENS1_22reduce_config_selectorIiEEZNS1_11reduce_implILb1ES3_PiS7_iN6hipcub16HIPCUB_304000_NS6detail34convert_binary_result_type_wrapperINS9_3SumENS9_22TransformInputIteratorIbN2at6native12_GLOBAL__N_19NonZeroOpIN3c107complexIfEEEEPKSK_lEEiEEEE10hipError_tPvRmT1_T2_T3_mT4_P12ihipStream_tbEUlT_E0_NS1_11comp_targetILNS1_3genE0ELNS1_11target_archE4294967295ELNS1_3gpuE0ELNS1_3repE0EEENS1_30default_config_static_selectorELNS0_4arch9wavefront6targetE0EEEvST_.uses_flat_scratch, 0
	.set _ZN7rocprim17ROCPRIM_400000_NS6detail17trampoline_kernelINS0_14default_configENS1_22reduce_config_selectorIiEEZNS1_11reduce_implILb1ES3_PiS7_iN6hipcub16HIPCUB_304000_NS6detail34convert_binary_result_type_wrapperINS9_3SumENS9_22TransformInputIteratorIbN2at6native12_GLOBAL__N_19NonZeroOpIN3c107complexIfEEEEPKSK_lEEiEEEE10hipError_tPvRmT1_T2_T3_mT4_P12ihipStream_tbEUlT_E0_NS1_11comp_targetILNS1_3genE0ELNS1_11target_archE4294967295ELNS1_3gpuE0ELNS1_3repE0EEENS1_30default_config_static_selectorELNS0_4arch9wavefront6targetE0EEEvST_.has_dyn_sized_stack, 0
	.set _ZN7rocprim17ROCPRIM_400000_NS6detail17trampoline_kernelINS0_14default_configENS1_22reduce_config_selectorIiEEZNS1_11reduce_implILb1ES3_PiS7_iN6hipcub16HIPCUB_304000_NS6detail34convert_binary_result_type_wrapperINS9_3SumENS9_22TransformInputIteratorIbN2at6native12_GLOBAL__N_19NonZeroOpIN3c107complexIfEEEEPKSK_lEEiEEEE10hipError_tPvRmT1_T2_T3_mT4_P12ihipStream_tbEUlT_E0_NS1_11comp_targetILNS1_3genE0ELNS1_11target_archE4294967295ELNS1_3gpuE0ELNS1_3repE0EEENS1_30default_config_static_selectorELNS0_4arch9wavefront6targetE0EEEvST_.has_recursion, 0
	.set _ZN7rocprim17ROCPRIM_400000_NS6detail17trampoline_kernelINS0_14default_configENS1_22reduce_config_selectorIiEEZNS1_11reduce_implILb1ES3_PiS7_iN6hipcub16HIPCUB_304000_NS6detail34convert_binary_result_type_wrapperINS9_3SumENS9_22TransformInputIteratorIbN2at6native12_GLOBAL__N_19NonZeroOpIN3c107complexIfEEEEPKSK_lEEiEEEE10hipError_tPvRmT1_T2_T3_mT4_P12ihipStream_tbEUlT_E0_NS1_11comp_targetILNS1_3genE0ELNS1_11target_archE4294967295ELNS1_3gpuE0ELNS1_3repE0EEENS1_30default_config_static_selectorELNS0_4arch9wavefront6targetE0EEEvST_.has_indirect_call, 0
	.section	.AMDGPU.csdata,"",@progbits
; Kernel info:
; codeLenInByte = 0
; TotalNumSgprs: 0
; NumVgprs: 0
; ScratchSize: 0
; MemoryBound: 0
; FloatMode: 240
; IeeeMode: 1
; LDSByteSize: 0 bytes/workgroup (compile time only)
; SGPRBlocks: 0
; VGPRBlocks: 0
; NumSGPRsForWavesPerEU: 1
; NumVGPRsForWavesPerEU: 1
; Occupancy: 16
; WaveLimiterHint : 0
; COMPUTE_PGM_RSRC2:SCRATCH_EN: 0
; COMPUTE_PGM_RSRC2:USER_SGPR: 2
; COMPUTE_PGM_RSRC2:TRAP_HANDLER: 0
; COMPUTE_PGM_RSRC2:TGID_X_EN: 1
; COMPUTE_PGM_RSRC2:TGID_Y_EN: 0
; COMPUTE_PGM_RSRC2:TGID_Z_EN: 0
; COMPUTE_PGM_RSRC2:TIDIG_COMP_CNT: 0
	.section	.text._ZN7rocprim17ROCPRIM_400000_NS6detail17trampoline_kernelINS0_14default_configENS1_22reduce_config_selectorIiEEZNS1_11reduce_implILb1ES3_PiS7_iN6hipcub16HIPCUB_304000_NS6detail34convert_binary_result_type_wrapperINS9_3SumENS9_22TransformInputIteratorIbN2at6native12_GLOBAL__N_19NonZeroOpIN3c107complexIfEEEEPKSK_lEEiEEEE10hipError_tPvRmT1_T2_T3_mT4_P12ihipStream_tbEUlT_E0_NS1_11comp_targetILNS1_3genE5ELNS1_11target_archE942ELNS1_3gpuE9ELNS1_3repE0EEENS1_30default_config_static_selectorELNS0_4arch9wavefront6targetE0EEEvST_,"axG",@progbits,_ZN7rocprim17ROCPRIM_400000_NS6detail17trampoline_kernelINS0_14default_configENS1_22reduce_config_selectorIiEEZNS1_11reduce_implILb1ES3_PiS7_iN6hipcub16HIPCUB_304000_NS6detail34convert_binary_result_type_wrapperINS9_3SumENS9_22TransformInputIteratorIbN2at6native12_GLOBAL__N_19NonZeroOpIN3c107complexIfEEEEPKSK_lEEiEEEE10hipError_tPvRmT1_T2_T3_mT4_P12ihipStream_tbEUlT_E0_NS1_11comp_targetILNS1_3genE5ELNS1_11target_archE942ELNS1_3gpuE9ELNS1_3repE0EEENS1_30default_config_static_selectorELNS0_4arch9wavefront6targetE0EEEvST_,comdat
	.globl	_ZN7rocprim17ROCPRIM_400000_NS6detail17trampoline_kernelINS0_14default_configENS1_22reduce_config_selectorIiEEZNS1_11reduce_implILb1ES3_PiS7_iN6hipcub16HIPCUB_304000_NS6detail34convert_binary_result_type_wrapperINS9_3SumENS9_22TransformInputIteratorIbN2at6native12_GLOBAL__N_19NonZeroOpIN3c107complexIfEEEEPKSK_lEEiEEEE10hipError_tPvRmT1_T2_T3_mT4_P12ihipStream_tbEUlT_E0_NS1_11comp_targetILNS1_3genE5ELNS1_11target_archE942ELNS1_3gpuE9ELNS1_3repE0EEENS1_30default_config_static_selectorELNS0_4arch9wavefront6targetE0EEEvST_ ; -- Begin function _ZN7rocprim17ROCPRIM_400000_NS6detail17trampoline_kernelINS0_14default_configENS1_22reduce_config_selectorIiEEZNS1_11reduce_implILb1ES3_PiS7_iN6hipcub16HIPCUB_304000_NS6detail34convert_binary_result_type_wrapperINS9_3SumENS9_22TransformInputIteratorIbN2at6native12_GLOBAL__N_19NonZeroOpIN3c107complexIfEEEEPKSK_lEEiEEEE10hipError_tPvRmT1_T2_T3_mT4_P12ihipStream_tbEUlT_E0_NS1_11comp_targetILNS1_3genE5ELNS1_11target_archE942ELNS1_3gpuE9ELNS1_3repE0EEENS1_30default_config_static_selectorELNS0_4arch9wavefront6targetE0EEEvST_
	.p2align	8
	.type	_ZN7rocprim17ROCPRIM_400000_NS6detail17trampoline_kernelINS0_14default_configENS1_22reduce_config_selectorIiEEZNS1_11reduce_implILb1ES3_PiS7_iN6hipcub16HIPCUB_304000_NS6detail34convert_binary_result_type_wrapperINS9_3SumENS9_22TransformInputIteratorIbN2at6native12_GLOBAL__N_19NonZeroOpIN3c107complexIfEEEEPKSK_lEEiEEEE10hipError_tPvRmT1_T2_T3_mT4_P12ihipStream_tbEUlT_E0_NS1_11comp_targetILNS1_3genE5ELNS1_11target_archE942ELNS1_3gpuE9ELNS1_3repE0EEENS1_30default_config_static_selectorELNS0_4arch9wavefront6targetE0EEEvST_,@function
_ZN7rocprim17ROCPRIM_400000_NS6detail17trampoline_kernelINS0_14default_configENS1_22reduce_config_selectorIiEEZNS1_11reduce_implILb1ES3_PiS7_iN6hipcub16HIPCUB_304000_NS6detail34convert_binary_result_type_wrapperINS9_3SumENS9_22TransformInputIteratorIbN2at6native12_GLOBAL__N_19NonZeroOpIN3c107complexIfEEEEPKSK_lEEiEEEE10hipError_tPvRmT1_T2_T3_mT4_P12ihipStream_tbEUlT_E0_NS1_11comp_targetILNS1_3genE5ELNS1_11target_archE942ELNS1_3gpuE9ELNS1_3repE0EEENS1_30default_config_static_selectorELNS0_4arch9wavefront6targetE0EEEvST_: ; @_ZN7rocprim17ROCPRIM_400000_NS6detail17trampoline_kernelINS0_14default_configENS1_22reduce_config_selectorIiEEZNS1_11reduce_implILb1ES3_PiS7_iN6hipcub16HIPCUB_304000_NS6detail34convert_binary_result_type_wrapperINS9_3SumENS9_22TransformInputIteratorIbN2at6native12_GLOBAL__N_19NonZeroOpIN3c107complexIfEEEEPKSK_lEEiEEEE10hipError_tPvRmT1_T2_T3_mT4_P12ihipStream_tbEUlT_E0_NS1_11comp_targetILNS1_3genE5ELNS1_11target_archE942ELNS1_3gpuE9ELNS1_3repE0EEENS1_30default_config_static_selectorELNS0_4arch9wavefront6targetE0EEEvST_
; %bb.0:
	.section	.rodata,"a",@progbits
	.p2align	6, 0x0
	.amdhsa_kernel _ZN7rocprim17ROCPRIM_400000_NS6detail17trampoline_kernelINS0_14default_configENS1_22reduce_config_selectorIiEEZNS1_11reduce_implILb1ES3_PiS7_iN6hipcub16HIPCUB_304000_NS6detail34convert_binary_result_type_wrapperINS9_3SumENS9_22TransformInputIteratorIbN2at6native12_GLOBAL__N_19NonZeroOpIN3c107complexIfEEEEPKSK_lEEiEEEE10hipError_tPvRmT1_T2_T3_mT4_P12ihipStream_tbEUlT_E0_NS1_11comp_targetILNS1_3genE5ELNS1_11target_archE942ELNS1_3gpuE9ELNS1_3repE0EEENS1_30default_config_static_selectorELNS0_4arch9wavefront6targetE0EEEvST_
		.amdhsa_group_segment_fixed_size 0
		.amdhsa_private_segment_fixed_size 0
		.amdhsa_kernarg_size 56
		.amdhsa_user_sgpr_count 2
		.amdhsa_user_sgpr_dispatch_ptr 0
		.amdhsa_user_sgpr_queue_ptr 0
		.amdhsa_user_sgpr_kernarg_segment_ptr 1
		.amdhsa_user_sgpr_dispatch_id 0
		.amdhsa_user_sgpr_private_segment_size 0
		.amdhsa_wavefront_size32 1
		.amdhsa_uses_dynamic_stack 0
		.amdhsa_enable_private_segment 0
		.amdhsa_system_sgpr_workgroup_id_x 1
		.amdhsa_system_sgpr_workgroup_id_y 0
		.amdhsa_system_sgpr_workgroup_id_z 0
		.amdhsa_system_sgpr_workgroup_info 0
		.amdhsa_system_vgpr_workitem_id 0
		.amdhsa_next_free_vgpr 1
		.amdhsa_next_free_sgpr 1
		.amdhsa_reserve_vcc 0
		.amdhsa_float_round_mode_32 0
		.amdhsa_float_round_mode_16_64 0
		.amdhsa_float_denorm_mode_32 3
		.amdhsa_float_denorm_mode_16_64 3
		.amdhsa_fp16_overflow 0
		.amdhsa_workgroup_processor_mode 1
		.amdhsa_memory_ordered 1
		.amdhsa_forward_progress 1
		.amdhsa_inst_pref_size 0
		.amdhsa_round_robin_scheduling 0
		.amdhsa_exception_fp_ieee_invalid_op 0
		.amdhsa_exception_fp_denorm_src 0
		.amdhsa_exception_fp_ieee_div_zero 0
		.amdhsa_exception_fp_ieee_overflow 0
		.amdhsa_exception_fp_ieee_underflow 0
		.amdhsa_exception_fp_ieee_inexact 0
		.amdhsa_exception_int_div_zero 0
	.end_amdhsa_kernel
	.section	.text._ZN7rocprim17ROCPRIM_400000_NS6detail17trampoline_kernelINS0_14default_configENS1_22reduce_config_selectorIiEEZNS1_11reduce_implILb1ES3_PiS7_iN6hipcub16HIPCUB_304000_NS6detail34convert_binary_result_type_wrapperINS9_3SumENS9_22TransformInputIteratorIbN2at6native12_GLOBAL__N_19NonZeroOpIN3c107complexIfEEEEPKSK_lEEiEEEE10hipError_tPvRmT1_T2_T3_mT4_P12ihipStream_tbEUlT_E0_NS1_11comp_targetILNS1_3genE5ELNS1_11target_archE942ELNS1_3gpuE9ELNS1_3repE0EEENS1_30default_config_static_selectorELNS0_4arch9wavefront6targetE0EEEvST_,"axG",@progbits,_ZN7rocprim17ROCPRIM_400000_NS6detail17trampoline_kernelINS0_14default_configENS1_22reduce_config_selectorIiEEZNS1_11reduce_implILb1ES3_PiS7_iN6hipcub16HIPCUB_304000_NS6detail34convert_binary_result_type_wrapperINS9_3SumENS9_22TransformInputIteratorIbN2at6native12_GLOBAL__N_19NonZeroOpIN3c107complexIfEEEEPKSK_lEEiEEEE10hipError_tPvRmT1_T2_T3_mT4_P12ihipStream_tbEUlT_E0_NS1_11comp_targetILNS1_3genE5ELNS1_11target_archE942ELNS1_3gpuE9ELNS1_3repE0EEENS1_30default_config_static_selectorELNS0_4arch9wavefront6targetE0EEEvST_,comdat
.Lfunc_end559:
	.size	_ZN7rocprim17ROCPRIM_400000_NS6detail17trampoline_kernelINS0_14default_configENS1_22reduce_config_selectorIiEEZNS1_11reduce_implILb1ES3_PiS7_iN6hipcub16HIPCUB_304000_NS6detail34convert_binary_result_type_wrapperINS9_3SumENS9_22TransformInputIteratorIbN2at6native12_GLOBAL__N_19NonZeroOpIN3c107complexIfEEEEPKSK_lEEiEEEE10hipError_tPvRmT1_T2_T3_mT4_P12ihipStream_tbEUlT_E0_NS1_11comp_targetILNS1_3genE5ELNS1_11target_archE942ELNS1_3gpuE9ELNS1_3repE0EEENS1_30default_config_static_selectorELNS0_4arch9wavefront6targetE0EEEvST_, .Lfunc_end559-_ZN7rocprim17ROCPRIM_400000_NS6detail17trampoline_kernelINS0_14default_configENS1_22reduce_config_selectorIiEEZNS1_11reduce_implILb1ES3_PiS7_iN6hipcub16HIPCUB_304000_NS6detail34convert_binary_result_type_wrapperINS9_3SumENS9_22TransformInputIteratorIbN2at6native12_GLOBAL__N_19NonZeroOpIN3c107complexIfEEEEPKSK_lEEiEEEE10hipError_tPvRmT1_T2_T3_mT4_P12ihipStream_tbEUlT_E0_NS1_11comp_targetILNS1_3genE5ELNS1_11target_archE942ELNS1_3gpuE9ELNS1_3repE0EEENS1_30default_config_static_selectorELNS0_4arch9wavefront6targetE0EEEvST_
                                        ; -- End function
	.set _ZN7rocprim17ROCPRIM_400000_NS6detail17trampoline_kernelINS0_14default_configENS1_22reduce_config_selectorIiEEZNS1_11reduce_implILb1ES3_PiS7_iN6hipcub16HIPCUB_304000_NS6detail34convert_binary_result_type_wrapperINS9_3SumENS9_22TransformInputIteratorIbN2at6native12_GLOBAL__N_19NonZeroOpIN3c107complexIfEEEEPKSK_lEEiEEEE10hipError_tPvRmT1_T2_T3_mT4_P12ihipStream_tbEUlT_E0_NS1_11comp_targetILNS1_3genE5ELNS1_11target_archE942ELNS1_3gpuE9ELNS1_3repE0EEENS1_30default_config_static_selectorELNS0_4arch9wavefront6targetE0EEEvST_.num_vgpr, 0
	.set _ZN7rocprim17ROCPRIM_400000_NS6detail17trampoline_kernelINS0_14default_configENS1_22reduce_config_selectorIiEEZNS1_11reduce_implILb1ES3_PiS7_iN6hipcub16HIPCUB_304000_NS6detail34convert_binary_result_type_wrapperINS9_3SumENS9_22TransformInputIteratorIbN2at6native12_GLOBAL__N_19NonZeroOpIN3c107complexIfEEEEPKSK_lEEiEEEE10hipError_tPvRmT1_T2_T3_mT4_P12ihipStream_tbEUlT_E0_NS1_11comp_targetILNS1_3genE5ELNS1_11target_archE942ELNS1_3gpuE9ELNS1_3repE0EEENS1_30default_config_static_selectorELNS0_4arch9wavefront6targetE0EEEvST_.num_agpr, 0
	.set _ZN7rocprim17ROCPRIM_400000_NS6detail17trampoline_kernelINS0_14default_configENS1_22reduce_config_selectorIiEEZNS1_11reduce_implILb1ES3_PiS7_iN6hipcub16HIPCUB_304000_NS6detail34convert_binary_result_type_wrapperINS9_3SumENS9_22TransformInputIteratorIbN2at6native12_GLOBAL__N_19NonZeroOpIN3c107complexIfEEEEPKSK_lEEiEEEE10hipError_tPvRmT1_T2_T3_mT4_P12ihipStream_tbEUlT_E0_NS1_11comp_targetILNS1_3genE5ELNS1_11target_archE942ELNS1_3gpuE9ELNS1_3repE0EEENS1_30default_config_static_selectorELNS0_4arch9wavefront6targetE0EEEvST_.numbered_sgpr, 0
	.set _ZN7rocprim17ROCPRIM_400000_NS6detail17trampoline_kernelINS0_14default_configENS1_22reduce_config_selectorIiEEZNS1_11reduce_implILb1ES3_PiS7_iN6hipcub16HIPCUB_304000_NS6detail34convert_binary_result_type_wrapperINS9_3SumENS9_22TransformInputIteratorIbN2at6native12_GLOBAL__N_19NonZeroOpIN3c107complexIfEEEEPKSK_lEEiEEEE10hipError_tPvRmT1_T2_T3_mT4_P12ihipStream_tbEUlT_E0_NS1_11comp_targetILNS1_3genE5ELNS1_11target_archE942ELNS1_3gpuE9ELNS1_3repE0EEENS1_30default_config_static_selectorELNS0_4arch9wavefront6targetE0EEEvST_.num_named_barrier, 0
	.set _ZN7rocprim17ROCPRIM_400000_NS6detail17trampoline_kernelINS0_14default_configENS1_22reduce_config_selectorIiEEZNS1_11reduce_implILb1ES3_PiS7_iN6hipcub16HIPCUB_304000_NS6detail34convert_binary_result_type_wrapperINS9_3SumENS9_22TransformInputIteratorIbN2at6native12_GLOBAL__N_19NonZeroOpIN3c107complexIfEEEEPKSK_lEEiEEEE10hipError_tPvRmT1_T2_T3_mT4_P12ihipStream_tbEUlT_E0_NS1_11comp_targetILNS1_3genE5ELNS1_11target_archE942ELNS1_3gpuE9ELNS1_3repE0EEENS1_30default_config_static_selectorELNS0_4arch9wavefront6targetE0EEEvST_.private_seg_size, 0
	.set _ZN7rocprim17ROCPRIM_400000_NS6detail17trampoline_kernelINS0_14default_configENS1_22reduce_config_selectorIiEEZNS1_11reduce_implILb1ES3_PiS7_iN6hipcub16HIPCUB_304000_NS6detail34convert_binary_result_type_wrapperINS9_3SumENS9_22TransformInputIteratorIbN2at6native12_GLOBAL__N_19NonZeroOpIN3c107complexIfEEEEPKSK_lEEiEEEE10hipError_tPvRmT1_T2_T3_mT4_P12ihipStream_tbEUlT_E0_NS1_11comp_targetILNS1_3genE5ELNS1_11target_archE942ELNS1_3gpuE9ELNS1_3repE0EEENS1_30default_config_static_selectorELNS0_4arch9wavefront6targetE0EEEvST_.uses_vcc, 0
	.set _ZN7rocprim17ROCPRIM_400000_NS6detail17trampoline_kernelINS0_14default_configENS1_22reduce_config_selectorIiEEZNS1_11reduce_implILb1ES3_PiS7_iN6hipcub16HIPCUB_304000_NS6detail34convert_binary_result_type_wrapperINS9_3SumENS9_22TransformInputIteratorIbN2at6native12_GLOBAL__N_19NonZeroOpIN3c107complexIfEEEEPKSK_lEEiEEEE10hipError_tPvRmT1_T2_T3_mT4_P12ihipStream_tbEUlT_E0_NS1_11comp_targetILNS1_3genE5ELNS1_11target_archE942ELNS1_3gpuE9ELNS1_3repE0EEENS1_30default_config_static_selectorELNS0_4arch9wavefront6targetE0EEEvST_.uses_flat_scratch, 0
	.set _ZN7rocprim17ROCPRIM_400000_NS6detail17trampoline_kernelINS0_14default_configENS1_22reduce_config_selectorIiEEZNS1_11reduce_implILb1ES3_PiS7_iN6hipcub16HIPCUB_304000_NS6detail34convert_binary_result_type_wrapperINS9_3SumENS9_22TransformInputIteratorIbN2at6native12_GLOBAL__N_19NonZeroOpIN3c107complexIfEEEEPKSK_lEEiEEEE10hipError_tPvRmT1_T2_T3_mT4_P12ihipStream_tbEUlT_E0_NS1_11comp_targetILNS1_3genE5ELNS1_11target_archE942ELNS1_3gpuE9ELNS1_3repE0EEENS1_30default_config_static_selectorELNS0_4arch9wavefront6targetE0EEEvST_.has_dyn_sized_stack, 0
	.set _ZN7rocprim17ROCPRIM_400000_NS6detail17trampoline_kernelINS0_14default_configENS1_22reduce_config_selectorIiEEZNS1_11reduce_implILb1ES3_PiS7_iN6hipcub16HIPCUB_304000_NS6detail34convert_binary_result_type_wrapperINS9_3SumENS9_22TransformInputIteratorIbN2at6native12_GLOBAL__N_19NonZeroOpIN3c107complexIfEEEEPKSK_lEEiEEEE10hipError_tPvRmT1_T2_T3_mT4_P12ihipStream_tbEUlT_E0_NS1_11comp_targetILNS1_3genE5ELNS1_11target_archE942ELNS1_3gpuE9ELNS1_3repE0EEENS1_30default_config_static_selectorELNS0_4arch9wavefront6targetE0EEEvST_.has_recursion, 0
	.set _ZN7rocprim17ROCPRIM_400000_NS6detail17trampoline_kernelINS0_14default_configENS1_22reduce_config_selectorIiEEZNS1_11reduce_implILb1ES3_PiS7_iN6hipcub16HIPCUB_304000_NS6detail34convert_binary_result_type_wrapperINS9_3SumENS9_22TransformInputIteratorIbN2at6native12_GLOBAL__N_19NonZeroOpIN3c107complexIfEEEEPKSK_lEEiEEEE10hipError_tPvRmT1_T2_T3_mT4_P12ihipStream_tbEUlT_E0_NS1_11comp_targetILNS1_3genE5ELNS1_11target_archE942ELNS1_3gpuE9ELNS1_3repE0EEENS1_30default_config_static_selectorELNS0_4arch9wavefront6targetE0EEEvST_.has_indirect_call, 0
	.section	.AMDGPU.csdata,"",@progbits
; Kernel info:
; codeLenInByte = 0
; TotalNumSgprs: 0
; NumVgprs: 0
; ScratchSize: 0
; MemoryBound: 0
; FloatMode: 240
; IeeeMode: 1
; LDSByteSize: 0 bytes/workgroup (compile time only)
; SGPRBlocks: 0
; VGPRBlocks: 0
; NumSGPRsForWavesPerEU: 1
; NumVGPRsForWavesPerEU: 1
; Occupancy: 16
; WaveLimiterHint : 0
; COMPUTE_PGM_RSRC2:SCRATCH_EN: 0
; COMPUTE_PGM_RSRC2:USER_SGPR: 2
; COMPUTE_PGM_RSRC2:TRAP_HANDLER: 0
; COMPUTE_PGM_RSRC2:TGID_X_EN: 1
; COMPUTE_PGM_RSRC2:TGID_Y_EN: 0
; COMPUTE_PGM_RSRC2:TGID_Z_EN: 0
; COMPUTE_PGM_RSRC2:TIDIG_COMP_CNT: 0
	.section	.text._ZN7rocprim17ROCPRIM_400000_NS6detail17trampoline_kernelINS0_14default_configENS1_22reduce_config_selectorIiEEZNS1_11reduce_implILb1ES3_PiS7_iN6hipcub16HIPCUB_304000_NS6detail34convert_binary_result_type_wrapperINS9_3SumENS9_22TransformInputIteratorIbN2at6native12_GLOBAL__N_19NonZeroOpIN3c107complexIfEEEEPKSK_lEEiEEEE10hipError_tPvRmT1_T2_T3_mT4_P12ihipStream_tbEUlT_E0_NS1_11comp_targetILNS1_3genE4ELNS1_11target_archE910ELNS1_3gpuE8ELNS1_3repE0EEENS1_30default_config_static_selectorELNS0_4arch9wavefront6targetE0EEEvST_,"axG",@progbits,_ZN7rocprim17ROCPRIM_400000_NS6detail17trampoline_kernelINS0_14default_configENS1_22reduce_config_selectorIiEEZNS1_11reduce_implILb1ES3_PiS7_iN6hipcub16HIPCUB_304000_NS6detail34convert_binary_result_type_wrapperINS9_3SumENS9_22TransformInputIteratorIbN2at6native12_GLOBAL__N_19NonZeroOpIN3c107complexIfEEEEPKSK_lEEiEEEE10hipError_tPvRmT1_T2_T3_mT4_P12ihipStream_tbEUlT_E0_NS1_11comp_targetILNS1_3genE4ELNS1_11target_archE910ELNS1_3gpuE8ELNS1_3repE0EEENS1_30default_config_static_selectorELNS0_4arch9wavefront6targetE0EEEvST_,comdat
	.globl	_ZN7rocprim17ROCPRIM_400000_NS6detail17trampoline_kernelINS0_14default_configENS1_22reduce_config_selectorIiEEZNS1_11reduce_implILb1ES3_PiS7_iN6hipcub16HIPCUB_304000_NS6detail34convert_binary_result_type_wrapperINS9_3SumENS9_22TransformInputIteratorIbN2at6native12_GLOBAL__N_19NonZeroOpIN3c107complexIfEEEEPKSK_lEEiEEEE10hipError_tPvRmT1_T2_T3_mT4_P12ihipStream_tbEUlT_E0_NS1_11comp_targetILNS1_3genE4ELNS1_11target_archE910ELNS1_3gpuE8ELNS1_3repE0EEENS1_30default_config_static_selectorELNS0_4arch9wavefront6targetE0EEEvST_ ; -- Begin function _ZN7rocprim17ROCPRIM_400000_NS6detail17trampoline_kernelINS0_14default_configENS1_22reduce_config_selectorIiEEZNS1_11reduce_implILb1ES3_PiS7_iN6hipcub16HIPCUB_304000_NS6detail34convert_binary_result_type_wrapperINS9_3SumENS9_22TransformInputIteratorIbN2at6native12_GLOBAL__N_19NonZeroOpIN3c107complexIfEEEEPKSK_lEEiEEEE10hipError_tPvRmT1_T2_T3_mT4_P12ihipStream_tbEUlT_E0_NS1_11comp_targetILNS1_3genE4ELNS1_11target_archE910ELNS1_3gpuE8ELNS1_3repE0EEENS1_30default_config_static_selectorELNS0_4arch9wavefront6targetE0EEEvST_
	.p2align	8
	.type	_ZN7rocprim17ROCPRIM_400000_NS6detail17trampoline_kernelINS0_14default_configENS1_22reduce_config_selectorIiEEZNS1_11reduce_implILb1ES3_PiS7_iN6hipcub16HIPCUB_304000_NS6detail34convert_binary_result_type_wrapperINS9_3SumENS9_22TransformInputIteratorIbN2at6native12_GLOBAL__N_19NonZeroOpIN3c107complexIfEEEEPKSK_lEEiEEEE10hipError_tPvRmT1_T2_T3_mT4_P12ihipStream_tbEUlT_E0_NS1_11comp_targetILNS1_3genE4ELNS1_11target_archE910ELNS1_3gpuE8ELNS1_3repE0EEENS1_30default_config_static_selectorELNS0_4arch9wavefront6targetE0EEEvST_,@function
_ZN7rocprim17ROCPRIM_400000_NS6detail17trampoline_kernelINS0_14default_configENS1_22reduce_config_selectorIiEEZNS1_11reduce_implILb1ES3_PiS7_iN6hipcub16HIPCUB_304000_NS6detail34convert_binary_result_type_wrapperINS9_3SumENS9_22TransformInputIteratorIbN2at6native12_GLOBAL__N_19NonZeroOpIN3c107complexIfEEEEPKSK_lEEiEEEE10hipError_tPvRmT1_T2_T3_mT4_P12ihipStream_tbEUlT_E0_NS1_11comp_targetILNS1_3genE4ELNS1_11target_archE910ELNS1_3gpuE8ELNS1_3repE0EEENS1_30default_config_static_selectorELNS0_4arch9wavefront6targetE0EEEvST_: ; @_ZN7rocprim17ROCPRIM_400000_NS6detail17trampoline_kernelINS0_14default_configENS1_22reduce_config_selectorIiEEZNS1_11reduce_implILb1ES3_PiS7_iN6hipcub16HIPCUB_304000_NS6detail34convert_binary_result_type_wrapperINS9_3SumENS9_22TransformInputIteratorIbN2at6native12_GLOBAL__N_19NonZeroOpIN3c107complexIfEEEEPKSK_lEEiEEEE10hipError_tPvRmT1_T2_T3_mT4_P12ihipStream_tbEUlT_E0_NS1_11comp_targetILNS1_3genE4ELNS1_11target_archE910ELNS1_3gpuE8ELNS1_3repE0EEENS1_30default_config_static_selectorELNS0_4arch9wavefront6targetE0EEEvST_
; %bb.0:
	.section	.rodata,"a",@progbits
	.p2align	6, 0x0
	.amdhsa_kernel _ZN7rocprim17ROCPRIM_400000_NS6detail17trampoline_kernelINS0_14default_configENS1_22reduce_config_selectorIiEEZNS1_11reduce_implILb1ES3_PiS7_iN6hipcub16HIPCUB_304000_NS6detail34convert_binary_result_type_wrapperINS9_3SumENS9_22TransformInputIteratorIbN2at6native12_GLOBAL__N_19NonZeroOpIN3c107complexIfEEEEPKSK_lEEiEEEE10hipError_tPvRmT1_T2_T3_mT4_P12ihipStream_tbEUlT_E0_NS1_11comp_targetILNS1_3genE4ELNS1_11target_archE910ELNS1_3gpuE8ELNS1_3repE0EEENS1_30default_config_static_selectorELNS0_4arch9wavefront6targetE0EEEvST_
		.amdhsa_group_segment_fixed_size 0
		.amdhsa_private_segment_fixed_size 0
		.amdhsa_kernarg_size 56
		.amdhsa_user_sgpr_count 2
		.amdhsa_user_sgpr_dispatch_ptr 0
		.amdhsa_user_sgpr_queue_ptr 0
		.amdhsa_user_sgpr_kernarg_segment_ptr 1
		.amdhsa_user_sgpr_dispatch_id 0
		.amdhsa_user_sgpr_private_segment_size 0
		.amdhsa_wavefront_size32 1
		.amdhsa_uses_dynamic_stack 0
		.amdhsa_enable_private_segment 0
		.amdhsa_system_sgpr_workgroup_id_x 1
		.amdhsa_system_sgpr_workgroup_id_y 0
		.amdhsa_system_sgpr_workgroup_id_z 0
		.amdhsa_system_sgpr_workgroup_info 0
		.amdhsa_system_vgpr_workitem_id 0
		.amdhsa_next_free_vgpr 1
		.amdhsa_next_free_sgpr 1
		.amdhsa_reserve_vcc 0
		.amdhsa_float_round_mode_32 0
		.amdhsa_float_round_mode_16_64 0
		.amdhsa_float_denorm_mode_32 3
		.amdhsa_float_denorm_mode_16_64 3
		.amdhsa_fp16_overflow 0
		.amdhsa_workgroup_processor_mode 1
		.amdhsa_memory_ordered 1
		.amdhsa_forward_progress 1
		.amdhsa_inst_pref_size 0
		.amdhsa_round_robin_scheduling 0
		.amdhsa_exception_fp_ieee_invalid_op 0
		.amdhsa_exception_fp_denorm_src 0
		.amdhsa_exception_fp_ieee_div_zero 0
		.amdhsa_exception_fp_ieee_overflow 0
		.amdhsa_exception_fp_ieee_underflow 0
		.amdhsa_exception_fp_ieee_inexact 0
		.amdhsa_exception_int_div_zero 0
	.end_amdhsa_kernel
	.section	.text._ZN7rocprim17ROCPRIM_400000_NS6detail17trampoline_kernelINS0_14default_configENS1_22reduce_config_selectorIiEEZNS1_11reduce_implILb1ES3_PiS7_iN6hipcub16HIPCUB_304000_NS6detail34convert_binary_result_type_wrapperINS9_3SumENS9_22TransformInputIteratorIbN2at6native12_GLOBAL__N_19NonZeroOpIN3c107complexIfEEEEPKSK_lEEiEEEE10hipError_tPvRmT1_T2_T3_mT4_P12ihipStream_tbEUlT_E0_NS1_11comp_targetILNS1_3genE4ELNS1_11target_archE910ELNS1_3gpuE8ELNS1_3repE0EEENS1_30default_config_static_selectorELNS0_4arch9wavefront6targetE0EEEvST_,"axG",@progbits,_ZN7rocprim17ROCPRIM_400000_NS6detail17trampoline_kernelINS0_14default_configENS1_22reduce_config_selectorIiEEZNS1_11reduce_implILb1ES3_PiS7_iN6hipcub16HIPCUB_304000_NS6detail34convert_binary_result_type_wrapperINS9_3SumENS9_22TransformInputIteratorIbN2at6native12_GLOBAL__N_19NonZeroOpIN3c107complexIfEEEEPKSK_lEEiEEEE10hipError_tPvRmT1_T2_T3_mT4_P12ihipStream_tbEUlT_E0_NS1_11comp_targetILNS1_3genE4ELNS1_11target_archE910ELNS1_3gpuE8ELNS1_3repE0EEENS1_30default_config_static_selectorELNS0_4arch9wavefront6targetE0EEEvST_,comdat
.Lfunc_end560:
	.size	_ZN7rocprim17ROCPRIM_400000_NS6detail17trampoline_kernelINS0_14default_configENS1_22reduce_config_selectorIiEEZNS1_11reduce_implILb1ES3_PiS7_iN6hipcub16HIPCUB_304000_NS6detail34convert_binary_result_type_wrapperINS9_3SumENS9_22TransformInputIteratorIbN2at6native12_GLOBAL__N_19NonZeroOpIN3c107complexIfEEEEPKSK_lEEiEEEE10hipError_tPvRmT1_T2_T3_mT4_P12ihipStream_tbEUlT_E0_NS1_11comp_targetILNS1_3genE4ELNS1_11target_archE910ELNS1_3gpuE8ELNS1_3repE0EEENS1_30default_config_static_selectorELNS0_4arch9wavefront6targetE0EEEvST_, .Lfunc_end560-_ZN7rocprim17ROCPRIM_400000_NS6detail17trampoline_kernelINS0_14default_configENS1_22reduce_config_selectorIiEEZNS1_11reduce_implILb1ES3_PiS7_iN6hipcub16HIPCUB_304000_NS6detail34convert_binary_result_type_wrapperINS9_3SumENS9_22TransformInputIteratorIbN2at6native12_GLOBAL__N_19NonZeroOpIN3c107complexIfEEEEPKSK_lEEiEEEE10hipError_tPvRmT1_T2_T3_mT4_P12ihipStream_tbEUlT_E0_NS1_11comp_targetILNS1_3genE4ELNS1_11target_archE910ELNS1_3gpuE8ELNS1_3repE0EEENS1_30default_config_static_selectorELNS0_4arch9wavefront6targetE0EEEvST_
                                        ; -- End function
	.set _ZN7rocprim17ROCPRIM_400000_NS6detail17trampoline_kernelINS0_14default_configENS1_22reduce_config_selectorIiEEZNS1_11reduce_implILb1ES3_PiS7_iN6hipcub16HIPCUB_304000_NS6detail34convert_binary_result_type_wrapperINS9_3SumENS9_22TransformInputIteratorIbN2at6native12_GLOBAL__N_19NonZeroOpIN3c107complexIfEEEEPKSK_lEEiEEEE10hipError_tPvRmT1_T2_T3_mT4_P12ihipStream_tbEUlT_E0_NS1_11comp_targetILNS1_3genE4ELNS1_11target_archE910ELNS1_3gpuE8ELNS1_3repE0EEENS1_30default_config_static_selectorELNS0_4arch9wavefront6targetE0EEEvST_.num_vgpr, 0
	.set _ZN7rocprim17ROCPRIM_400000_NS6detail17trampoline_kernelINS0_14default_configENS1_22reduce_config_selectorIiEEZNS1_11reduce_implILb1ES3_PiS7_iN6hipcub16HIPCUB_304000_NS6detail34convert_binary_result_type_wrapperINS9_3SumENS9_22TransformInputIteratorIbN2at6native12_GLOBAL__N_19NonZeroOpIN3c107complexIfEEEEPKSK_lEEiEEEE10hipError_tPvRmT1_T2_T3_mT4_P12ihipStream_tbEUlT_E0_NS1_11comp_targetILNS1_3genE4ELNS1_11target_archE910ELNS1_3gpuE8ELNS1_3repE0EEENS1_30default_config_static_selectorELNS0_4arch9wavefront6targetE0EEEvST_.num_agpr, 0
	.set _ZN7rocprim17ROCPRIM_400000_NS6detail17trampoline_kernelINS0_14default_configENS1_22reduce_config_selectorIiEEZNS1_11reduce_implILb1ES3_PiS7_iN6hipcub16HIPCUB_304000_NS6detail34convert_binary_result_type_wrapperINS9_3SumENS9_22TransformInputIteratorIbN2at6native12_GLOBAL__N_19NonZeroOpIN3c107complexIfEEEEPKSK_lEEiEEEE10hipError_tPvRmT1_T2_T3_mT4_P12ihipStream_tbEUlT_E0_NS1_11comp_targetILNS1_3genE4ELNS1_11target_archE910ELNS1_3gpuE8ELNS1_3repE0EEENS1_30default_config_static_selectorELNS0_4arch9wavefront6targetE0EEEvST_.numbered_sgpr, 0
	.set _ZN7rocprim17ROCPRIM_400000_NS6detail17trampoline_kernelINS0_14default_configENS1_22reduce_config_selectorIiEEZNS1_11reduce_implILb1ES3_PiS7_iN6hipcub16HIPCUB_304000_NS6detail34convert_binary_result_type_wrapperINS9_3SumENS9_22TransformInputIteratorIbN2at6native12_GLOBAL__N_19NonZeroOpIN3c107complexIfEEEEPKSK_lEEiEEEE10hipError_tPvRmT1_T2_T3_mT4_P12ihipStream_tbEUlT_E0_NS1_11comp_targetILNS1_3genE4ELNS1_11target_archE910ELNS1_3gpuE8ELNS1_3repE0EEENS1_30default_config_static_selectorELNS0_4arch9wavefront6targetE0EEEvST_.num_named_barrier, 0
	.set _ZN7rocprim17ROCPRIM_400000_NS6detail17trampoline_kernelINS0_14default_configENS1_22reduce_config_selectorIiEEZNS1_11reduce_implILb1ES3_PiS7_iN6hipcub16HIPCUB_304000_NS6detail34convert_binary_result_type_wrapperINS9_3SumENS9_22TransformInputIteratorIbN2at6native12_GLOBAL__N_19NonZeroOpIN3c107complexIfEEEEPKSK_lEEiEEEE10hipError_tPvRmT1_T2_T3_mT4_P12ihipStream_tbEUlT_E0_NS1_11comp_targetILNS1_3genE4ELNS1_11target_archE910ELNS1_3gpuE8ELNS1_3repE0EEENS1_30default_config_static_selectorELNS0_4arch9wavefront6targetE0EEEvST_.private_seg_size, 0
	.set _ZN7rocprim17ROCPRIM_400000_NS6detail17trampoline_kernelINS0_14default_configENS1_22reduce_config_selectorIiEEZNS1_11reduce_implILb1ES3_PiS7_iN6hipcub16HIPCUB_304000_NS6detail34convert_binary_result_type_wrapperINS9_3SumENS9_22TransformInputIteratorIbN2at6native12_GLOBAL__N_19NonZeroOpIN3c107complexIfEEEEPKSK_lEEiEEEE10hipError_tPvRmT1_T2_T3_mT4_P12ihipStream_tbEUlT_E0_NS1_11comp_targetILNS1_3genE4ELNS1_11target_archE910ELNS1_3gpuE8ELNS1_3repE0EEENS1_30default_config_static_selectorELNS0_4arch9wavefront6targetE0EEEvST_.uses_vcc, 0
	.set _ZN7rocprim17ROCPRIM_400000_NS6detail17trampoline_kernelINS0_14default_configENS1_22reduce_config_selectorIiEEZNS1_11reduce_implILb1ES3_PiS7_iN6hipcub16HIPCUB_304000_NS6detail34convert_binary_result_type_wrapperINS9_3SumENS9_22TransformInputIteratorIbN2at6native12_GLOBAL__N_19NonZeroOpIN3c107complexIfEEEEPKSK_lEEiEEEE10hipError_tPvRmT1_T2_T3_mT4_P12ihipStream_tbEUlT_E0_NS1_11comp_targetILNS1_3genE4ELNS1_11target_archE910ELNS1_3gpuE8ELNS1_3repE0EEENS1_30default_config_static_selectorELNS0_4arch9wavefront6targetE0EEEvST_.uses_flat_scratch, 0
	.set _ZN7rocprim17ROCPRIM_400000_NS6detail17trampoline_kernelINS0_14default_configENS1_22reduce_config_selectorIiEEZNS1_11reduce_implILb1ES3_PiS7_iN6hipcub16HIPCUB_304000_NS6detail34convert_binary_result_type_wrapperINS9_3SumENS9_22TransformInputIteratorIbN2at6native12_GLOBAL__N_19NonZeroOpIN3c107complexIfEEEEPKSK_lEEiEEEE10hipError_tPvRmT1_T2_T3_mT4_P12ihipStream_tbEUlT_E0_NS1_11comp_targetILNS1_3genE4ELNS1_11target_archE910ELNS1_3gpuE8ELNS1_3repE0EEENS1_30default_config_static_selectorELNS0_4arch9wavefront6targetE0EEEvST_.has_dyn_sized_stack, 0
	.set _ZN7rocprim17ROCPRIM_400000_NS6detail17trampoline_kernelINS0_14default_configENS1_22reduce_config_selectorIiEEZNS1_11reduce_implILb1ES3_PiS7_iN6hipcub16HIPCUB_304000_NS6detail34convert_binary_result_type_wrapperINS9_3SumENS9_22TransformInputIteratorIbN2at6native12_GLOBAL__N_19NonZeroOpIN3c107complexIfEEEEPKSK_lEEiEEEE10hipError_tPvRmT1_T2_T3_mT4_P12ihipStream_tbEUlT_E0_NS1_11comp_targetILNS1_3genE4ELNS1_11target_archE910ELNS1_3gpuE8ELNS1_3repE0EEENS1_30default_config_static_selectorELNS0_4arch9wavefront6targetE0EEEvST_.has_recursion, 0
	.set _ZN7rocprim17ROCPRIM_400000_NS6detail17trampoline_kernelINS0_14default_configENS1_22reduce_config_selectorIiEEZNS1_11reduce_implILb1ES3_PiS7_iN6hipcub16HIPCUB_304000_NS6detail34convert_binary_result_type_wrapperINS9_3SumENS9_22TransformInputIteratorIbN2at6native12_GLOBAL__N_19NonZeroOpIN3c107complexIfEEEEPKSK_lEEiEEEE10hipError_tPvRmT1_T2_T3_mT4_P12ihipStream_tbEUlT_E0_NS1_11comp_targetILNS1_3genE4ELNS1_11target_archE910ELNS1_3gpuE8ELNS1_3repE0EEENS1_30default_config_static_selectorELNS0_4arch9wavefront6targetE0EEEvST_.has_indirect_call, 0
	.section	.AMDGPU.csdata,"",@progbits
; Kernel info:
; codeLenInByte = 0
; TotalNumSgprs: 0
; NumVgprs: 0
; ScratchSize: 0
; MemoryBound: 0
; FloatMode: 240
; IeeeMode: 1
; LDSByteSize: 0 bytes/workgroup (compile time only)
; SGPRBlocks: 0
; VGPRBlocks: 0
; NumSGPRsForWavesPerEU: 1
; NumVGPRsForWavesPerEU: 1
; Occupancy: 16
; WaveLimiterHint : 0
; COMPUTE_PGM_RSRC2:SCRATCH_EN: 0
; COMPUTE_PGM_RSRC2:USER_SGPR: 2
; COMPUTE_PGM_RSRC2:TRAP_HANDLER: 0
; COMPUTE_PGM_RSRC2:TGID_X_EN: 1
; COMPUTE_PGM_RSRC2:TGID_Y_EN: 0
; COMPUTE_PGM_RSRC2:TGID_Z_EN: 0
; COMPUTE_PGM_RSRC2:TIDIG_COMP_CNT: 0
	.section	.text._ZN7rocprim17ROCPRIM_400000_NS6detail17trampoline_kernelINS0_14default_configENS1_22reduce_config_selectorIiEEZNS1_11reduce_implILb1ES3_PiS7_iN6hipcub16HIPCUB_304000_NS6detail34convert_binary_result_type_wrapperINS9_3SumENS9_22TransformInputIteratorIbN2at6native12_GLOBAL__N_19NonZeroOpIN3c107complexIfEEEEPKSK_lEEiEEEE10hipError_tPvRmT1_T2_T3_mT4_P12ihipStream_tbEUlT_E0_NS1_11comp_targetILNS1_3genE3ELNS1_11target_archE908ELNS1_3gpuE7ELNS1_3repE0EEENS1_30default_config_static_selectorELNS0_4arch9wavefront6targetE0EEEvST_,"axG",@progbits,_ZN7rocprim17ROCPRIM_400000_NS6detail17trampoline_kernelINS0_14default_configENS1_22reduce_config_selectorIiEEZNS1_11reduce_implILb1ES3_PiS7_iN6hipcub16HIPCUB_304000_NS6detail34convert_binary_result_type_wrapperINS9_3SumENS9_22TransformInputIteratorIbN2at6native12_GLOBAL__N_19NonZeroOpIN3c107complexIfEEEEPKSK_lEEiEEEE10hipError_tPvRmT1_T2_T3_mT4_P12ihipStream_tbEUlT_E0_NS1_11comp_targetILNS1_3genE3ELNS1_11target_archE908ELNS1_3gpuE7ELNS1_3repE0EEENS1_30default_config_static_selectorELNS0_4arch9wavefront6targetE0EEEvST_,comdat
	.globl	_ZN7rocprim17ROCPRIM_400000_NS6detail17trampoline_kernelINS0_14default_configENS1_22reduce_config_selectorIiEEZNS1_11reduce_implILb1ES3_PiS7_iN6hipcub16HIPCUB_304000_NS6detail34convert_binary_result_type_wrapperINS9_3SumENS9_22TransformInputIteratorIbN2at6native12_GLOBAL__N_19NonZeroOpIN3c107complexIfEEEEPKSK_lEEiEEEE10hipError_tPvRmT1_T2_T3_mT4_P12ihipStream_tbEUlT_E0_NS1_11comp_targetILNS1_3genE3ELNS1_11target_archE908ELNS1_3gpuE7ELNS1_3repE0EEENS1_30default_config_static_selectorELNS0_4arch9wavefront6targetE0EEEvST_ ; -- Begin function _ZN7rocprim17ROCPRIM_400000_NS6detail17trampoline_kernelINS0_14default_configENS1_22reduce_config_selectorIiEEZNS1_11reduce_implILb1ES3_PiS7_iN6hipcub16HIPCUB_304000_NS6detail34convert_binary_result_type_wrapperINS9_3SumENS9_22TransformInputIteratorIbN2at6native12_GLOBAL__N_19NonZeroOpIN3c107complexIfEEEEPKSK_lEEiEEEE10hipError_tPvRmT1_T2_T3_mT4_P12ihipStream_tbEUlT_E0_NS1_11comp_targetILNS1_3genE3ELNS1_11target_archE908ELNS1_3gpuE7ELNS1_3repE0EEENS1_30default_config_static_selectorELNS0_4arch9wavefront6targetE0EEEvST_
	.p2align	8
	.type	_ZN7rocprim17ROCPRIM_400000_NS6detail17trampoline_kernelINS0_14default_configENS1_22reduce_config_selectorIiEEZNS1_11reduce_implILb1ES3_PiS7_iN6hipcub16HIPCUB_304000_NS6detail34convert_binary_result_type_wrapperINS9_3SumENS9_22TransformInputIteratorIbN2at6native12_GLOBAL__N_19NonZeroOpIN3c107complexIfEEEEPKSK_lEEiEEEE10hipError_tPvRmT1_T2_T3_mT4_P12ihipStream_tbEUlT_E0_NS1_11comp_targetILNS1_3genE3ELNS1_11target_archE908ELNS1_3gpuE7ELNS1_3repE0EEENS1_30default_config_static_selectorELNS0_4arch9wavefront6targetE0EEEvST_,@function
_ZN7rocprim17ROCPRIM_400000_NS6detail17trampoline_kernelINS0_14default_configENS1_22reduce_config_selectorIiEEZNS1_11reduce_implILb1ES3_PiS7_iN6hipcub16HIPCUB_304000_NS6detail34convert_binary_result_type_wrapperINS9_3SumENS9_22TransformInputIteratorIbN2at6native12_GLOBAL__N_19NonZeroOpIN3c107complexIfEEEEPKSK_lEEiEEEE10hipError_tPvRmT1_T2_T3_mT4_P12ihipStream_tbEUlT_E0_NS1_11comp_targetILNS1_3genE3ELNS1_11target_archE908ELNS1_3gpuE7ELNS1_3repE0EEENS1_30default_config_static_selectorELNS0_4arch9wavefront6targetE0EEEvST_: ; @_ZN7rocprim17ROCPRIM_400000_NS6detail17trampoline_kernelINS0_14default_configENS1_22reduce_config_selectorIiEEZNS1_11reduce_implILb1ES3_PiS7_iN6hipcub16HIPCUB_304000_NS6detail34convert_binary_result_type_wrapperINS9_3SumENS9_22TransformInputIteratorIbN2at6native12_GLOBAL__N_19NonZeroOpIN3c107complexIfEEEEPKSK_lEEiEEEE10hipError_tPvRmT1_T2_T3_mT4_P12ihipStream_tbEUlT_E0_NS1_11comp_targetILNS1_3genE3ELNS1_11target_archE908ELNS1_3gpuE7ELNS1_3repE0EEENS1_30default_config_static_selectorELNS0_4arch9wavefront6targetE0EEEvST_
; %bb.0:
	.section	.rodata,"a",@progbits
	.p2align	6, 0x0
	.amdhsa_kernel _ZN7rocprim17ROCPRIM_400000_NS6detail17trampoline_kernelINS0_14default_configENS1_22reduce_config_selectorIiEEZNS1_11reduce_implILb1ES3_PiS7_iN6hipcub16HIPCUB_304000_NS6detail34convert_binary_result_type_wrapperINS9_3SumENS9_22TransformInputIteratorIbN2at6native12_GLOBAL__N_19NonZeroOpIN3c107complexIfEEEEPKSK_lEEiEEEE10hipError_tPvRmT1_T2_T3_mT4_P12ihipStream_tbEUlT_E0_NS1_11comp_targetILNS1_3genE3ELNS1_11target_archE908ELNS1_3gpuE7ELNS1_3repE0EEENS1_30default_config_static_selectorELNS0_4arch9wavefront6targetE0EEEvST_
		.amdhsa_group_segment_fixed_size 0
		.amdhsa_private_segment_fixed_size 0
		.amdhsa_kernarg_size 56
		.amdhsa_user_sgpr_count 2
		.amdhsa_user_sgpr_dispatch_ptr 0
		.amdhsa_user_sgpr_queue_ptr 0
		.amdhsa_user_sgpr_kernarg_segment_ptr 1
		.amdhsa_user_sgpr_dispatch_id 0
		.amdhsa_user_sgpr_private_segment_size 0
		.amdhsa_wavefront_size32 1
		.amdhsa_uses_dynamic_stack 0
		.amdhsa_enable_private_segment 0
		.amdhsa_system_sgpr_workgroup_id_x 1
		.amdhsa_system_sgpr_workgroup_id_y 0
		.amdhsa_system_sgpr_workgroup_id_z 0
		.amdhsa_system_sgpr_workgroup_info 0
		.amdhsa_system_vgpr_workitem_id 0
		.amdhsa_next_free_vgpr 1
		.amdhsa_next_free_sgpr 1
		.amdhsa_reserve_vcc 0
		.amdhsa_float_round_mode_32 0
		.amdhsa_float_round_mode_16_64 0
		.amdhsa_float_denorm_mode_32 3
		.amdhsa_float_denorm_mode_16_64 3
		.amdhsa_fp16_overflow 0
		.amdhsa_workgroup_processor_mode 1
		.amdhsa_memory_ordered 1
		.amdhsa_forward_progress 1
		.amdhsa_inst_pref_size 0
		.amdhsa_round_robin_scheduling 0
		.amdhsa_exception_fp_ieee_invalid_op 0
		.amdhsa_exception_fp_denorm_src 0
		.amdhsa_exception_fp_ieee_div_zero 0
		.amdhsa_exception_fp_ieee_overflow 0
		.amdhsa_exception_fp_ieee_underflow 0
		.amdhsa_exception_fp_ieee_inexact 0
		.amdhsa_exception_int_div_zero 0
	.end_amdhsa_kernel
	.section	.text._ZN7rocprim17ROCPRIM_400000_NS6detail17trampoline_kernelINS0_14default_configENS1_22reduce_config_selectorIiEEZNS1_11reduce_implILb1ES3_PiS7_iN6hipcub16HIPCUB_304000_NS6detail34convert_binary_result_type_wrapperINS9_3SumENS9_22TransformInputIteratorIbN2at6native12_GLOBAL__N_19NonZeroOpIN3c107complexIfEEEEPKSK_lEEiEEEE10hipError_tPvRmT1_T2_T3_mT4_P12ihipStream_tbEUlT_E0_NS1_11comp_targetILNS1_3genE3ELNS1_11target_archE908ELNS1_3gpuE7ELNS1_3repE0EEENS1_30default_config_static_selectorELNS0_4arch9wavefront6targetE0EEEvST_,"axG",@progbits,_ZN7rocprim17ROCPRIM_400000_NS6detail17trampoline_kernelINS0_14default_configENS1_22reduce_config_selectorIiEEZNS1_11reduce_implILb1ES3_PiS7_iN6hipcub16HIPCUB_304000_NS6detail34convert_binary_result_type_wrapperINS9_3SumENS9_22TransformInputIteratorIbN2at6native12_GLOBAL__N_19NonZeroOpIN3c107complexIfEEEEPKSK_lEEiEEEE10hipError_tPvRmT1_T2_T3_mT4_P12ihipStream_tbEUlT_E0_NS1_11comp_targetILNS1_3genE3ELNS1_11target_archE908ELNS1_3gpuE7ELNS1_3repE0EEENS1_30default_config_static_selectorELNS0_4arch9wavefront6targetE0EEEvST_,comdat
.Lfunc_end561:
	.size	_ZN7rocprim17ROCPRIM_400000_NS6detail17trampoline_kernelINS0_14default_configENS1_22reduce_config_selectorIiEEZNS1_11reduce_implILb1ES3_PiS7_iN6hipcub16HIPCUB_304000_NS6detail34convert_binary_result_type_wrapperINS9_3SumENS9_22TransformInputIteratorIbN2at6native12_GLOBAL__N_19NonZeroOpIN3c107complexIfEEEEPKSK_lEEiEEEE10hipError_tPvRmT1_T2_T3_mT4_P12ihipStream_tbEUlT_E0_NS1_11comp_targetILNS1_3genE3ELNS1_11target_archE908ELNS1_3gpuE7ELNS1_3repE0EEENS1_30default_config_static_selectorELNS0_4arch9wavefront6targetE0EEEvST_, .Lfunc_end561-_ZN7rocprim17ROCPRIM_400000_NS6detail17trampoline_kernelINS0_14default_configENS1_22reduce_config_selectorIiEEZNS1_11reduce_implILb1ES3_PiS7_iN6hipcub16HIPCUB_304000_NS6detail34convert_binary_result_type_wrapperINS9_3SumENS9_22TransformInputIteratorIbN2at6native12_GLOBAL__N_19NonZeroOpIN3c107complexIfEEEEPKSK_lEEiEEEE10hipError_tPvRmT1_T2_T3_mT4_P12ihipStream_tbEUlT_E0_NS1_11comp_targetILNS1_3genE3ELNS1_11target_archE908ELNS1_3gpuE7ELNS1_3repE0EEENS1_30default_config_static_selectorELNS0_4arch9wavefront6targetE0EEEvST_
                                        ; -- End function
	.set _ZN7rocprim17ROCPRIM_400000_NS6detail17trampoline_kernelINS0_14default_configENS1_22reduce_config_selectorIiEEZNS1_11reduce_implILb1ES3_PiS7_iN6hipcub16HIPCUB_304000_NS6detail34convert_binary_result_type_wrapperINS9_3SumENS9_22TransformInputIteratorIbN2at6native12_GLOBAL__N_19NonZeroOpIN3c107complexIfEEEEPKSK_lEEiEEEE10hipError_tPvRmT1_T2_T3_mT4_P12ihipStream_tbEUlT_E0_NS1_11comp_targetILNS1_3genE3ELNS1_11target_archE908ELNS1_3gpuE7ELNS1_3repE0EEENS1_30default_config_static_selectorELNS0_4arch9wavefront6targetE0EEEvST_.num_vgpr, 0
	.set _ZN7rocprim17ROCPRIM_400000_NS6detail17trampoline_kernelINS0_14default_configENS1_22reduce_config_selectorIiEEZNS1_11reduce_implILb1ES3_PiS7_iN6hipcub16HIPCUB_304000_NS6detail34convert_binary_result_type_wrapperINS9_3SumENS9_22TransformInputIteratorIbN2at6native12_GLOBAL__N_19NonZeroOpIN3c107complexIfEEEEPKSK_lEEiEEEE10hipError_tPvRmT1_T2_T3_mT4_P12ihipStream_tbEUlT_E0_NS1_11comp_targetILNS1_3genE3ELNS1_11target_archE908ELNS1_3gpuE7ELNS1_3repE0EEENS1_30default_config_static_selectorELNS0_4arch9wavefront6targetE0EEEvST_.num_agpr, 0
	.set _ZN7rocprim17ROCPRIM_400000_NS6detail17trampoline_kernelINS0_14default_configENS1_22reduce_config_selectorIiEEZNS1_11reduce_implILb1ES3_PiS7_iN6hipcub16HIPCUB_304000_NS6detail34convert_binary_result_type_wrapperINS9_3SumENS9_22TransformInputIteratorIbN2at6native12_GLOBAL__N_19NonZeroOpIN3c107complexIfEEEEPKSK_lEEiEEEE10hipError_tPvRmT1_T2_T3_mT4_P12ihipStream_tbEUlT_E0_NS1_11comp_targetILNS1_3genE3ELNS1_11target_archE908ELNS1_3gpuE7ELNS1_3repE0EEENS1_30default_config_static_selectorELNS0_4arch9wavefront6targetE0EEEvST_.numbered_sgpr, 0
	.set _ZN7rocprim17ROCPRIM_400000_NS6detail17trampoline_kernelINS0_14default_configENS1_22reduce_config_selectorIiEEZNS1_11reduce_implILb1ES3_PiS7_iN6hipcub16HIPCUB_304000_NS6detail34convert_binary_result_type_wrapperINS9_3SumENS9_22TransformInputIteratorIbN2at6native12_GLOBAL__N_19NonZeroOpIN3c107complexIfEEEEPKSK_lEEiEEEE10hipError_tPvRmT1_T2_T3_mT4_P12ihipStream_tbEUlT_E0_NS1_11comp_targetILNS1_3genE3ELNS1_11target_archE908ELNS1_3gpuE7ELNS1_3repE0EEENS1_30default_config_static_selectorELNS0_4arch9wavefront6targetE0EEEvST_.num_named_barrier, 0
	.set _ZN7rocprim17ROCPRIM_400000_NS6detail17trampoline_kernelINS0_14default_configENS1_22reduce_config_selectorIiEEZNS1_11reduce_implILb1ES3_PiS7_iN6hipcub16HIPCUB_304000_NS6detail34convert_binary_result_type_wrapperINS9_3SumENS9_22TransformInputIteratorIbN2at6native12_GLOBAL__N_19NonZeroOpIN3c107complexIfEEEEPKSK_lEEiEEEE10hipError_tPvRmT1_T2_T3_mT4_P12ihipStream_tbEUlT_E0_NS1_11comp_targetILNS1_3genE3ELNS1_11target_archE908ELNS1_3gpuE7ELNS1_3repE0EEENS1_30default_config_static_selectorELNS0_4arch9wavefront6targetE0EEEvST_.private_seg_size, 0
	.set _ZN7rocprim17ROCPRIM_400000_NS6detail17trampoline_kernelINS0_14default_configENS1_22reduce_config_selectorIiEEZNS1_11reduce_implILb1ES3_PiS7_iN6hipcub16HIPCUB_304000_NS6detail34convert_binary_result_type_wrapperINS9_3SumENS9_22TransformInputIteratorIbN2at6native12_GLOBAL__N_19NonZeroOpIN3c107complexIfEEEEPKSK_lEEiEEEE10hipError_tPvRmT1_T2_T3_mT4_P12ihipStream_tbEUlT_E0_NS1_11comp_targetILNS1_3genE3ELNS1_11target_archE908ELNS1_3gpuE7ELNS1_3repE0EEENS1_30default_config_static_selectorELNS0_4arch9wavefront6targetE0EEEvST_.uses_vcc, 0
	.set _ZN7rocprim17ROCPRIM_400000_NS6detail17trampoline_kernelINS0_14default_configENS1_22reduce_config_selectorIiEEZNS1_11reduce_implILb1ES3_PiS7_iN6hipcub16HIPCUB_304000_NS6detail34convert_binary_result_type_wrapperINS9_3SumENS9_22TransformInputIteratorIbN2at6native12_GLOBAL__N_19NonZeroOpIN3c107complexIfEEEEPKSK_lEEiEEEE10hipError_tPvRmT1_T2_T3_mT4_P12ihipStream_tbEUlT_E0_NS1_11comp_targetILNS1_3genE3ELNS1_11target_archE908ELNS1_3gpuE7ELNS1_3repE0EEENS1_30default_config_static_selectorELNS0_4arch9wavefront6targetE0EEEvST_.uses_flat_scratch, 0
	.set _ZN7rocprim17ROCPRIM_400000_NS6detail17trampoline_kernelINS0_14default_configENS1_22reduce_config_selectorIiEEZNS1_11reduce_implILb1ES3_PiS7_iN6hipcub16HIPCUB_304000_NS6detail34convert_binary_result_type_wrapperINS9_3SumENS9_22TransformInputIteratorIbN2at6native12_GLOBAL__N_19NonZeroOpIN3c107complexIfEEEEPKSK_lEEiEEEE10hipError_tPvRmT1_T2_T3_mT4_P12ihipStream_tbEUlT_E0_NS1_11comp_targetILNS1_3genE3ELNS1_11target_archE908ELNS1_3gpuE7ELNS1_3repE0EEENS1_30default_config_static_selectorELNS0_4arch9wavefront6targetE0EEEvST_.has_dyn_sized_stack, 0
	.set _ZN7rocprim17ROCPRIM_400000_NS6detail17trampoline_kernelINS0_14default_configENS1_22reduce_config_selectorIiEEZNS1_11reduce_implILb1ES3_PiS7_iN6hipcub16HIPCUB_304000_NS6detail34convert_binary_result_type_wrapperINS9_3SumENS9_22TransformInputIteratorIbN2at6native12_GLOBAL__N_19NonZeroOpIN3c107complexIfEEEEPKSK_lEEiEEEE10hipError_tPvRmT1_T2_T3_mT4_P12ihipStream_tbEUlT_E0_NS1_11comp_targetILNS1_3genE3ELNS1_11target_archE908ELNS1_3gpuE7ELNS1_3repE0EEENS1_30default_config_static_selectorELNS0_4arch9wavefront6targetE0EEEvST_.has_recursion, 0
	.set _ZN7rocprim17ROCPRIM_400000_NS6detail17trampoline_kernelINS0_14default_configENS1_22reduce_config_selectorIiEEZNS1_11reduce_implILb1ES3_PiS7_iN6hipcub16HIPCUB_304000_NS6detail34convert_binary_result_type_wrapperINS9_3SumENS9_22TransformInputIteratorIbN2at6native12_GLOBAL__N_19NonZeroOpIN3c107complexIfEEEEPKSK_lEEiEEEE10hipError_tPvRmT1_T2_T3_mT4_P12ihipStream_tbEUlT_E0_NS1_11comp_targetILNS1_3genE3ELNS1_11target_archE908ELNS1_3gpuE7ELNS1_3repE0EEENS1_30default_config_static_selectorELNS0_4arch9wavefront6targetE0EEEvST_.has_indirect_call, 0
	.section	.AMDGPU.csdata,"",@progbits
; Kernel info:
; codeLenInByte = 0
; TotalNumSgprs: 0
; NumVgprs: 0
; ScratchSize: 0
; MemoryBound: 0
; FloatMode: 240
; IeeeMode: 1
; LDSByteSize: 0 bytes/workgroup (compile time only)
; SGPRBlocks: 0
; VGPRBlocks: 0
; NumSGPRsForWavesPerEU: 1
; NumVGPRsForWavesPerEU: 1
; Occupancy: 16
; WaveLimiterHint : 0
; COMPUTE_PGM_RSRC2:SCRATCH_EN: 0
; COMPUTE_PGM_RSRC2:USER_SGPR: 2
; COMPUTE_PGM_RSRC2:TRAP_HANDLER: 0
; COMPUTE_PGM_RSRC2:TGID_X_EN: 1
; COMPUTE_PGM_RSRC2:TGID_Y_EN: 0
; COMPUTE_PGM_RSRC2:TGID_Z_EN: 0
; COMPUTE_PGM_RSRC2:TIDIG_COMP_CNT: 0
	.section	.text._ZN7rocprim17ROCPRIM_400000_NS6detail17trampoline_kernelINS0_14default_configENS1_22reduce_config_selectorIiEEZNS1_11reduce_implILb1ES3_PiS7_iN6hipcub16HIPCUB_304000_NS6detail34convert_binary_result_type_wrapperINS9_3SumENS9_22TransformInputIteratorIbN2at6native12_GLOBAL__N_19NonZeroOpIN3c107complexIfEEEEPKSK_lEEiEEEE10hipError_tPvRmT1_T2_T3_mT4_P12ihipStream_tbEUlT_E0_NS1_11comp_targetILNS1_3genE2ELNS1_11target_archE906ELNS1_3gpuE6ELNS1_3repE0EEENS1_30default_config_static_selectorELNS0_4arch9wavefront6targetE0EEEvST_,"axG",@progbits,_ZN7rocprim17ROCPRIM_400000_NS6detail17trampoline_kernelINS0_14default_configENS1_22reduce_config_selectorIiEEZNS1_11reduce_implILb1ES3_PiS7_iN6hipcub16HIPCUB_304000_NS6detail34convert_binary_result_type_wrapperINS9_3SumENS9_22TransformInputIteratorIbN2at6native12_GLOBAL__N_19NonZeroOpIN3c107complexIfEEEEPKSK_lEEiEEEE10hipError_tPvRmT1_T2_T3_mT4_P12ihipStream_tbEUlT_E0_NS1_11comp_targetILNS1_3genE2ELNS1_11target_archE906ELNS1_3gpuE6ELNS1_3repE0EEENS1_30default_config_static_selectorELNS0_4arch9wavefront6targetE0EEEvST_,comdat
	.globl	_ZN7rocprim17ROCPRIM_400000_NS6detail17trampoline_kernelINS0_14default_configENS1_22reduce_config_selectorIiEEZNS1_11reduce_implILb1ES3_PiS7_iN6hipcub16HIPCUB_304000_NS6detail34convert_binary_result_type_wrapperINS9_3SumENS9_22TransformInputIteratorIbN2at6native12_GLOBAL__N_19NonZeroOpIN3c107complexIfEEEEPKSK_lEEiEEEE10hipError_tPvRmT1_T2_T3_mT4_P12ihipStream_tbEUlT_E0_NS1_11comp_targetILNS1_3genE2ELNS1_11target_archE906ELNS1_3gpuE6ELNS1_3repE0EEENS1_30default_config_static_selectorELNS0_4arch9wavefront6targetE0EEEvST_ ; -- Begin function _ZN7rocprim17ROCPRIM_400000_NS6detail17trampoline_kernelINS0_14default_configENS1_22reduce_config_selectorIiEEZNS1_11reduce_implILb1ES3_PiS7_iN6hipcub16HIPCUB_304000_NS6detail34convert_binary_result_type_wrapperINS9_3SumENS9_22TransformInputIteratorIbN2at6native12_GLOBAL__N_19NonZeroOpIN3c107complexIfEEEEPKSK_lEEiEEEE10hipError_tPvRmT1_T2_T3_mT4_P12ihipStream_tbEUlT_E0_NS1_11comp_targetILNS1_3genE2ELNS1_11target_archE906ELNS1_3gpuE6ELNS1_3repE0EEENS1_30default_config_static_selectorELNS0_4arch9wavefront6targetE0EEEvST_
	.p2align	8
	.type	_ZN7rocprim17ROCPRIM_400000_NS6detail17trampoline_kernelINS0_14default_configENS1_22reduce_config_selectorIiEEZNS1_11reduce_implILb1ES3_PiS7_iN6hipcub16HIPCUB_304000_NS6detail34convert_binary_result_type_wrapperINS9_3SumENS9_22TransformInputIteratorIbN2at6native12_GLOBAL__N_19NonZeroOpIN3c107complexIfEEEEPKSK_lEEiEEEE10hipError_tPvRmT1_T2_T3_mT4_P12ihipStream_tbEUlT_E0_NS1_11comp_targetILNS1_3genE2ELNS1_11target_archE906ELNS1_3gpuE6ELNS1_3repE0EEENS1_30default_config_static_selectorELNS0_4arch9wavefront6targetE0EEEvST_,@function
_ZN7rocprim17ROCPRIM_400000_NS6detail17trampoline_kernelINS0_14default_configENS1_22reduce_config_selectorIiEEZNS1_11reduce_implILb1ES3_PiS7_iN6hipcub16HIPCUB_304000_NS6detail34convert_binary_result_type_wrapperINS9_3SumENS9_22TransformInputIteratorIbN2at6native12_GLOBAL__N_19NonZeroOpIN3c107complexIfEEEEPKSK_lEEiEEEE10hipError_tPvRmT1_T2_T3_mT4_P12ihipStream_tbEUlT_E0_NS1_11comp_targetILNS1_3genE2ELNS1_11target_archE906ELNS1_3gpuE6ELNS1_3repE0EEENS1_30default_config_static_selectorELNS0_4arch9wavefront6targetE0EEEvST_: ; @_ZN7rocprim17ROCPRIM_400000_NS6detail17trampoline_kernelINS0_14default_configENS1_22reduce_config_selectorIiEEZNS1_11reduce_implILb1ES3_PiS7_iN6hipcub16HIPCUB_304000_NS6detail34convert_binary_result_type_wrapperINS9_3SumENS9_22TransformInputIteratorIbN2at6native12_GLOBAL__N_19NonZeroOpIN3c107complexIfEEEEPKSK_lEEiEEEE10hipError_tPvRmT1_T2_T3_mT4_P12ihipStream_tbEUlT_E0_NS1_11comp_targetILNS1_3genE2ELNS1_11target_archE906ELNS1_3gpuE6ELNS1_3repE0EEENS1_30default_config_static_selectorELNS0_4arch9wavefront6targetE0EEEvST_
; %bb.0:
	.section	.rodata,"a",@progbits
	.p2align	6, 0x0
	.amdhsa_kernel _ZN7rocprim17ROCPRIM_400000_NS6detail17trampoline_kernelINS0_14default_configENS1_22reduce_config_selectorIiEEZNS1_11reduce_implILb1ES3_PiS7_iN6hipcub16HIPCUB_304000_NS6detail34convert_binary_result_type_wrapperINS9_3SumENS9_22TransformInputIteratorIbN2at6native12_GLOBAL__N_19NonZeroOpIN3c107complexIfEEEEPKSK_lEEiEEEE10hipError_tPvRmT1_T2_T3_mT4_P12ihipStream_tbEUlT_E0_NS1_11comp_targetILNS1_3genE2ELNS1_11target_archE906ELNS1_3gpuE6ELNS1_3repE0EEENS1_30default_config_static_selectorELNS0_4arch9wavefront6targetE0EEEvST_
		.amdhsa_group_segment_fixed_size 0
		.amdhsa_private_segment_fixed_size 0
		.amdhsa_kernarg_size 56
		.amdhsa_user_sgpr_count 2
		.amdhsa_user_sgpr_dispatch_ptr 0
		.amdhsa_user_sgpr_queue_ptr 0
		.amdhsa_user_sgpr_kernarg_segment_ptr 1
		.amdhsa_user_sgpr_dispatch_id 0
		.amdhsa_user_sgpr_private_segment_size 0
		.amdhsa_wavefront_size32 1
		.amdhsa_uses_dynamic_stack 0
		.amdhsa_enable_private_segment 0
		.amdhsa_system_sgpr_workgroup_id_x 1
		.amdhsa_system_sgpr_workgroup_id_y 0
		.amdhsa_system_sgpr_workgroup_id_z 0
		.amdhsa_system_sgpr_workgroup_info 0
		.amdhsa_system_vgpr_workitem_id 0
		.amdhsa_next_free_vgpr 1
		.amdhsa_next_free_sgpr 1
		.amdhsa_reserve_vcc 0
		.amdhsa_float_round_mode_32 0
		.amdhsa_float_round_mode_16_64 0
		.amdhsa_float_denorm_mode_32 3
		.amdhsa_float_denorm_mode_16_64 3
		.amdhsa_fp16_overflow 0
		.amdhsa_workgroup_processor_mode 1
		.amdhsa_memory_ordered 1
		.amdhsa_forward_progress 1
		.amdhsa_inst_pref_size 0
		.amdhsa_round_robin_scheduling 0
		.amdhsa_exception_fp_ieee_invalid_op 0
		.amdhsa_exception_fp_denorm_src 0
		.amdhsa_exception_fp_ieee_div_zero 0
		.amdhsa_exception_fp_ieee_overflow 0
		.amdhsa_exception_fp_ieee_underflow 0
		.amdhsa_exception_fp_ieee_inexact 0
		.amdhsa_exception_int_div_zero 0
	.end_amdhsa_kernel
	.section	.text._ZN7rocprim17ROCPRIM_400000_NS6detail17trampoline_kernelINS0_14default_configENS1_22reduce_config_selectorIiEEZNS1_11reduce_implILb1ES3_PiS7_iN6hipcub16HIPCUB_304000_NS6detail34convert_binary_result_type_wrapperINS9_3SumENS9_22TransformInputIteratorIbN2at6native12_GLOBAL__N_19NonZeroOpIN3c107complexIfEEEEPKSK_lEEiEEEE10hipError_tPvRmT1_T2_T3_mT4_P12ihipStream_tbEUlT_E0_NS1_11comp_targetILNS1_3genE2ELNS1_11target_archE906ELNS1_3gpuE6ELNS1_3repE0EEENS1_30default_config_static_selectorELNS0_4arch9wavefront6targetE0EEEvST_,"axG",@progbits,_ZN7rocprim17ROCPRIM_400000_NS6detail17trampoline_kernelINS0_14default_configENS1_22reduce_config_selectorIiEEZNS1_11reduce_implILb1ES3_PiS7_iN6hipcub16HIPCUB_304000_NS6detail34convert_binary_result_type_wrapperINS9_3SumENS9_22TransformInputIteratorIbN2at6native12_GLOBAL__N_19NonZeroOpIN3c107complexIfEEEEPKSK_lEEiEEEE10hipError_tPvRmT1_T2_T3_mT4_P12ihipStream_tbEUlT_E0_NS1_11comp_targetILNS1_3genE2ELNS1_11target_archE906ELNS1_3gpuE6ELNS1_3repE0EEENS1_30default_config_static_selectorELNS0_4arch9wavefront6targetE0EEEvST_,comdat
.Lfunc_end562:
	.size	_ZN7rocprim17ROCPRIM_400000_NS6detail17trampoline_kernelINS0_14default_configENS1_22reduce_config_selectorIiEEZNS1_11reduce_implILb1ES3_PiS7_iN6hipcub16HIPCUB_304000_NS6detail34convert_binary_result_type_wrapperINS9_3SumENS9_22TransformInputIteratorIbN2at6native12_GLOBAL__N_19NonZeroOpIN3c107complexIfEEEEPKSK_lEEiEEEE10hipError_tPvRmT1_T2_T3_mT4_P12ihipStream_tbEUlT_E0_NS1_11comp_targetILNS1_3genE2ELNS1_11target_archE906ELNS1_3gpuE6ELNS1_3repE0EEENS1_30default_config_static_selectorELNS0_4arch9wavefront6targetE0EEEvST_, .Lfunc_end562-_ZN7rocprim17ROCPRIM_400000_NS6detail17trampoline_kernelINS0_14default_configENS1_22reduce_config_selectorIiEEZNS1_11reduce_implILb1ES3_PiS7_iN6hipcub16HIPCUB_304000_NS6detail34convert_binary_result_type_wrapperINS9_3SumENS9_22TransformInputIteratorIbN2at6native12_GLOBAL__N_19NonZeroOpIN3c107complexIfEEEEPKSK_lEEiEEEE10hipError_tPvRmT1_T2_T3_mT4_P12ihipStream_tbEUlT_E0_NS1_11comp_targetILNS1_3genE2ELNS1_11target_archE906ELNS1_3gpuE6ELNS1_3repE0EEENS1_30default_config_static_selectorELNS0_4arch9wavefront6targetE0EEEvST_
                                        ; -- End function
	.set _ZN7rocprim17ROCPRIM_400000_NS6detail17trampoline_kernelINS0_14default_configENS1_22reduce_config_selectorIiEEZNS1_11reduce_implILb1ES3_PiS7_iN6hipcub16HIPCUB_304000_NS6detail34convert_binary_result_type_wrapperINS9_3SumENS9_22TransformInputIteratorIbN2at6native12_GLOBAL__N_19NonZeroOpIN3c107complexIfEEEEPKSK_lEEiEEEE10hipError_tPvRmT1_T2_T3_mT4_P12ihipStream_tbEUlT_E0_NS1_11comp_targetILNS1_3genE2ELNS1_11target_archE906ELNS1_3gpuE6ELNS1_3repE0EEENS1_30default_config_static_selectorELNS0_4arch9wavefront6targetE0EEEvST_.num_vgpr, 0
	.set _ZN7rocprim17ROCPRIM_400000_NS6detail17trampoline_kernelINS0_14default_configENS1_22reduce_config_selectorIiEEZNS1_11reduce_implILb1ES3_PiS7_iN6hipcub16HIPCUB_304000_NS6detail34convert_binary_result_type_wrapperINS9_3SumENS9_22TransformInputIteratorIbN2at6native12_GLOBAL__N_19NonZeroOpIN3c107complexIfEEEEPKSK_lEEiEEEE10hipError_tPvRmT1_T2_T3_mT4_P12ihipStream_tbEUlT_E0_NS1_11comp_targetILNS1_3genE2ELNS1_11target_archE906ELNS1_3gpuE6ELNS1_3repE0EEENS1_30default_config_static_selectorELNS0_4arch9wavefront6targetE0EEEvST_.num_agpr, 0
	.set _ZN7rocprim17ROCPRIM_400000_NS6detail17trampoline_kernelINS0_14default_configENS1_22reduce_config_selectorIiEEZNS1_11reduce_implILb1ES3_PiS7_iN6hipcub16HIPCUB_304000_NS6detail34convert_binary_result_type_wrapperINS9_3SumENS9_22TransformInputIteratorIbN2at6native12_GLOBAL__N_19NonZeroOpIN3c107complexIfEEEEPKSK_lEEiEEEE10hipError_tPvRmT1_T2_T3_mT4_P12ihipStream_tbEUlT_E0_NS1_11comp_targetILNS1_3genE2ELNS1_11target_archE906ELNS1_3gpuE6ELNS1_3repE0EEENS1_30default_config_static_selectorELNS0_4arch9wavefront6targetE0EEEvST_.numbered_sgpr, 0
	.set _ZN7rocprim17ROCPRIM_400000_NS6detail17trampoline_kernelINS0_14default_configENS1_22reduce_config_selectorIiEEZNS1_11reduce_implILb1ES3_PiS7_iN6hipcub16HIPCUB_304000_NS6detail34convert_binary_result_type_wrapperINS9_3SumENS9_22TransformInputIteratorIbN2at6native12_GLOBAL__N_19NonZeroOpIN3c107complexIfEEEEPKSK_lEEiEEEE10hipError_tPvRmT1_T2_T3_mT4_P12ihipStream_tbEUlT_E0_NS1_11comp_targetILNS1_3genE2ELNS1_11target_archE906ELNS1_3gpuE6ELNS1_3repE0EEENS1_30default_config_static_selectorELNS0_4arch9wavefront6targetE0EEEvST_.num_named_barrier, 0
	.set _ZN7rocprim17ROCPRIM_400000_NS6detail17trampoline_kernelINS0_14default_configENS1_22reduce_config_selectorIiEEZNS1_11reduce_implILb1ES3_PiS7_iN6hipcub16HIPCUB_304000_NS6detail34convert_binary_result_type_wrapperINS9_3SumENS9_22TransformInputIteratorIbN2at6native12_GLOBAL__N_19NonZeroOpIN3c107complexIfEEEEPKSK_lEEiEEEE10hipError_tPvRmT1_T2_T3_mT4_P12ihipStream_tbEUlT_E0_NS1_11comp_targetILNS1_3genE2ELNS1_11target_archE906ELNS1_3gpuE6ELNS1_3repE0EEENS1_30default_config_static_selectorELNS0_4arch9wavefront6targetE0EEEvST_.private_seg_size, 0
	.set _ZN7rocprim17ROCPRIM_400000_NS6detail17trampoline_kernelINS0_14default_configENS1_22reduce_config_selectorIiEEZNS1_11reduce_implILb1ES3_PiS7_iN6hipcub16HIPCUB_304000_NS6detail34convert_binary_result_type_wrapperINS9_3SumENS9_22TransformInputIteratorIbN2at6native12_GLOBAL__N_19NonZeroOpIN3c107complexIfEEEEPKSK_lEEiEEEE10hipError_tPvRmT1_T2_T3_mT4_P12ihipStream_tbEUlT_E0_NS1_11comp_targetILNS1_3genE2ELNS1_11target_archE906ELNS1_3gpuE6ELNS1_3repE0EEENS1_30default_config_static_selectorELNS0_4arch9wavefront6targetE0EEEvST_.uses_vcc, 0
	.set _ZN7rocprim17ROCPRIM_400000_NS6detail17trampoline_kernelINS0_14default_configENS1_22reduce_config_selectorIiEEZNS1_11reduce_implILb1ES3_PiS7_iN6hipcub16HIPCUB_304000_NS6detail34convert_binary_result_type_wrapperINS9_3SumENS9_22TransformInputIteratorIbN2at6native12_GLOBAL__N_19NonZeroOpIN3c107complexIfEEEEPKSK_lEEiEEEE10hipError_tPvRmT1_T2_T3_mT4_P12ihipStream_tbEUlT_E0_NS1_11comp_targetILNS1_3genE2ELNS1_11target_archE906ELNS1_3gpuE6ELNS1_3repE0EEENS1_30default_config_static_selectorELNS0_4arch9wavefront6targetE0EEEvST_.uses_flat_scratch, 0
	.set _ZN7rocprim17ROCPRIM_400000_NS6detail17trampoline_kernelINS0_14default_configENS1_22reduce_config_selectorIiEEZNS1_11reduce_implILb1ES3_PiS7_iN6hipcub16HIPCUB_304000_NS6detail34convert_binary_result_type_wrapperINS9_3SumENS9_22TransformInputIteratorIbN2at6native12_GLOBAL__N_19NonZeroOpIN3c107complexIfEEEEPKSK_lEEiEEEE10hipError_tPvRmT1_T2_T3_mT4_P12ihipStream_tbEUlT_E0_NS1_11comp_targetILNS1_3genE2ELNS1_11target_archE906ELNS1_3gpuE6ELNS1_3repE0EEENS1_30default_config_static_selectorELNS0_4arch9wavefront6targetE0EEEvST_.has_dyn_sized_stack, 0
	.set _ZN7rocprim17ROCPRIM_400000_NS6detail17trampoline_kernelINS0_14default_configENS1_22reduce_config_selectorIiEEZNS1_11reduce_implILb1ES3_PiS7_iN6hipcub16HIPCUB_304000_NS6detail34convert_binary_result_type_wrapperINS9_3SumENS9_22TransformInputIteratorIbN2at6native12_GLOBAL__N_19NonZeroOpIN3c107complexIfEEEEPKSK_lEEiEEEE10hipError_tPvRmT1_T2_T3_mT4_P12ihipStream_tbEUlT_E0_NS1_11comp_targetILNS1_3genE2ELNS1_11target_archE906ELNS1_3gpuE6ELNS1_3repE0EEENS1_30default_config_static_selectorELNS0_4arch9wavefront6targetE0EEEvST_.has_recursion, 0
	.set _ZN7rocprim17ROCPRIM_400000_NS6detail17trampoline_kernelINS0_14default_configENS1_22reduce_config_selectorIiEEZNS1_11reduce_implILb1ES3_PiS7_iN6hipcub16HIPCUB_304000_NS6detail34convert_binary_result_type_wrapperINS9_3SumENS9_22TransformInputIteratorIbN2at6native12_GLOBAL__N_19NonZeroOpIN3c107complexIfEEEEPKSK_lEEiEEEE10hipError_tPvRmT1_T2_T3_mT4_P12ihipStream_tbEUlT_E0_NS1_11comp_targetILNS1_3genE2ELNS1_11target_archE906ELNS1_3gpuE6ELNS1_3repE0EEENS1_30default_config_static_selectorELNS0_4arch9wavefront6targetE0EEEvST_.has_indirect_call, 0
	.section	.AMDGPU.csdata,"",@progbits
; Kernel info:
; codeLenInByte = 0
; TotalNumSgprs: 0
; NumVgprs: 0
; ScratchSize: 0
; MemoryBound: 0
; FloatMode: 240
; IeeeMode: 1
; LDSByteSize: 0 bytes/workgroup (compile time only)
; SGPRBlocks: 0
; VGPRBlocks: 0
; NumSGPRsForWavesPerEU: 1
; NumVGPRsForWavesPerEU: 1
; Occupancy: 16
; WaveLimiterHint : 0
; COMPUTE_PGM_RSRC2:SCRATCH_EN: 0
; COMPUTE_PGM_RSRC2:USER_SGPR: 2
; COMPUTE_PGM_RSRC2:TRAP_HANDLER: 0
; COMPUTE_PGM_RSRC2:TGID_X_EN: 1
; COMPUTE_PGM_RSRC2:TGID_Y_EN: 0
; COMPUTE_PGM_RSRC2:TGID_Z_EN: 0
; COMPUTE_PGM_RSRC2:TIDIG_COMP_CNT: 0
	.section	.text._ZN7rocprim17ROCPRIM_400000_NS6detail17trampoline_kernelINS0_14default_configENS1_22reduce_config_selectorIiEEZNS1_11reduce_implILb1ES3_PiS7_iN6hipcub16HIPCUB_304000_NS6detail34convert_binary_result_type_wrapperINS9_3SumENS9_22TransformInputIteratorIbN2at6native12_GLOBAL__N_19NonZeroOpIN3c107complexIfEEEEPKSK_lEEiEEEE10hipError_tPvRmT1_T2_T3_mT4_P12ihipStream_tbEUlT_E0_NS1_11comp_targetILNS1_3genE10ELNS1_11target_archE1201ELNS1_3gpuE5ELNS1_3repE0EEENS1_30default_config_static_selectorELNS0_4arch9wavefront6targetE0EEEvST_,"axG",@progbits,_ZN7rocprim17ROCPRIM_400000_NS6detail17trampoline_kernelINS0_14default_configENS1_22reduce_config_selectorIiEEZNS1_11reduce_implILb1ES3_PiS7_iN6hipcub16HIPCUB_304000_NS6detail34convert_binary_result_type_wrapperINS9_3SumENS9_22TransformInputIteratorIbN2at6native12_GLOBAL__N_19NonZeroOpIN3c107complexIfEEEEPKSK_lEEiEEEE10hipError_tPvRmT1_T2_T3_mT4_P12ihipStream_tbEUlT_E0_NS1_11comp_targetILNS1_3genE10ELNS1_11target_archE1201ELNS1_3gpuE5ELNS1_3repE0EEENS1_30default_config_static_selectorELNS0_4arch9wavefront6targetE0EEEvST_,comdat
	.globl	_ZN7rocprim17ROCPRIM_400000_NS6detail17trampoline_kernelINS0_14default_configENS1_22reduce_config_selectorIiEEZNS1_11reduce_implILb1ES3_PiS7_iN6hipcub16HIPCUB_304000_NS6detail34convert_binary_result_type_wrapperINS9_3SumENS9_22TransformInputIteratorIbN2at6native12_GLOBAL__N_19NonZeroOpIN3c107complexIfEEEEPKSK_lEEiEEEE10hipError_tPvRmT1_T2_T3_mT4_P12ihipStream_tbEUlT_E0_NS1_11comp_targetILNS1_3genE10ELNS1_11target_archE1201ELNS1_3gpuE5ELNS1_3repE0EEENS1_30default_config_static_selectorELNS0_4arch9wavefront6targetE0EEEvST_ ; -- Begin function _ZN7rocprim17ROCPRIM_400000_NS6detail17trampoline_kernelINS0_14default_configENS1_22reduce_config_selectorIiEEZNS1_11reduce_implILb1ES3_PiS7_iN6hipcub16HIPCUB_304000_NS6detail34convert_binary_result_type_wrapperINS9_3SumENS9_22TransformInputIteratorIbN2at6native12_GLOBAL__N_19NonZeroOpIN3c107complexIfEEEEPKSK_lEEiEEEE10hipError_tPvRmT1_T2_T3_mT4_P12ihipStream_tbEUlT_E0_NS1_11comp_targetILNS1_3genE10ELNS1_11target_archE1201ELNS1_3gpuE5ELNS1_3repE0EEENS1_30default_config_static_selectorELNS0_4arch9wavefront6targetE0EEEvST_
	.p2align	8
	.type	_ZN7rocprim17ROCPRIM_400000_NS6detail17trampoline_kernelINS0_14default_configENS1_22reduce_config_selectorIiEEZNS1_11reduce_implILb1ES3_PiS7_iN6hipcub16HIPCUB_304000_NS6detail34convert_binary_result_type_wrapperINS9_3SumENS9_22TransformInputIteratorIbN2at6native12_GLOBAL__N_19NonZeroOpIN3c107complexIfEEEEPKSK_lEEiEEEE10hipError_tPvRmT1_T2_T3_mT4_P12ihipStream_tbEUlT_E0_NS1_11comp_targetILNS1_3genE10ELNS1_11target_archE1201ELNS1_3gpuE5ELNS1_3repE0EEENS1_30default_config_static_selectorELNS0_4arch9wavefront6targetE0EEEvST_,@function
_ZN7rocprim17ROCPRIM_400000_NS6detail17trampoline_kernelINS0_14default_configENS1_22reduce_config_selectorIiEEZNS1_11reduce_implILb1ES3_PiS7_iN6hipcub16HIPCUB_304000_NS6detail34convert_binary_result_type_wrapperINS9_3SumENS9_22TransformInputIteratorIbN2at6native12_GLOBAL__N_19NonZeroOpIN3c107complexIfEEEEPKSK_lEEiEEEE10hipError_tPvRmT1_T2_T3_mT4_P12ihipStream_tbEUlT_E0_NS1_11comp_targetILNS1_3genE10ELNS1_11target_archE1201ELNS1_3gpuE5ELNS1_3repE0EEENS1_30default_config_static_selectorELNS0_4arch9wavefront6targetE0EEEvST_: ; @_ZN7rocprim17ROCPRIM_400000_NS6detail17trampoline_kernelINS0_14default_configENS1_22reduce_config_selectorIiEEZNS1_11reduce_implILb1ES3_PiS7_iN6hipcub16HIPCUB_304000_NS6detail34convert_binary_result_type_wrapperINS9_3SumENS9_22TransformInputIteratorIbN2at6native12_GLOBAL__N_19NonZeroOpIN3c107complexIfEEEEPKSK_lEEiEEEE10hipError_tPvRmT1_T2_T3_mT4_P12ihipStream_tbEUlT_E0_NS1_11comp_targetILNS1_3genE10ELNS1_11target_archE1201ELNS1_3gpuE5ELNS1_3repE0EEENS1_30default_config_static_selectorELNS0_4arch9wavefront6targetE0EEEvST_
; %bb.0:
	s_clause 0x1
	s_load_b256 s[12:19], s[0:1], 0x0
	s_load_b128 s[20:23], s[0:1], 0x20
	s_lshl_b32 s2, ttmp9, 12
	s_mov_b32 s3, 0
	v_mbcnt_lo_u32_b32 v18, -1, 0
	v_lshlrev_b32_e32 v19, 2, v0
	s_mov_b32 s24, ttmp9
	s_mov_b32 s25, s3
	s_lshl_b64 s[8:9], s[2:3], 2
	s_wait_kmcnt 0x0
	s_lshl_b64 s[4:5], s[14:15], 2
	s_lshr_b64 s[6:7], s[16:17], 12
	s_add_nc_u64 s[4:5], s[12:13], s[4:5]
	s_cmp_lg_u64 s[6:7], s[24:25]
	s_add_nc_u64 s[26:27], s[4:5], s[8:9]
	s_cbranch_scc0 .LBB563_6
; %bb.1:
	s_clause 0xf
	global_load_b32 v1, v19, s[26:27]
	global_load_b32 v2, v19, s[26:27] offset:1024
	global_load_b32 v3, v19, s[26:27] offset:2048
	global_load_b32 v4, v19, s[26:27] offset:3072
	global_load_b32 v5, v19, s[26:27] offset:4096
	global_load_b32 v6, v19, s[26:27] offset:5120
	global_load_b32 v7, v19, s[26:27] offset:6144
	global_load_b32 v8, v19, s[26:27] offset:7168
	global_load_b32 v9, v19, s[26:27] offset:8192
	global_load_b32 v10, v19, s[26:27] offset:9216
	global_load_b32 v11, v19, s[26:27] offset:10240
	global_load_b32 v12, v19, s[26:27] offset:11264
	global_load_b32 v13, v19, s[26:27] offset:12288
	global_load_b32 v14, v19, s[26:27] offset:13312
	global_load_b32 v15, v19, s[26:27] offset:14336
	global_load_b32 v16, v19, s[26:27] offset:15360
	s_mov_b32 s3, exec_lo
	s_wait_loadcnt 0xe
	v_add_nc_u32_e32 v1, v2, v1
	s_wait_loadcnt 0xc
	s_delay_alu instid0(VALU_DEP_1) | instskip(SKIP_1) | instid1(VALU_DEP_1)
	v_add3_u32 v1, v1, v3, v4
	s_wait_loadcnt 0xa
	v_add3_u32 v1, v1, v5, v6
	s_wait_loadcnt 0x8
	s_delay_alu instid0(VALU_DEP_1) | instskip(SKIP_1) | instid1(VALU_DEP_1)
	v_add3_u32 v1, v1, v7, v8
	s_wait_loadcnt 0x6
	v_add3_u32 v1, v1, v9, v10
	;; [unrolled: 5-line block ×3, first 2 shown]
	s_wait_loadcnt 0x0
	s_delay_alu instid0(VALU_DEP_1) | instskip(NEXT) | instid1(VALU_DEP_1)
	v_add3_u32 v1, v1, v15, v16
	v_mov_b32_dpp v2, v1 quad_perm:[1,0,3,2] row_mask:0xf bank_mask:0xf
	s_delay_alu instid0(VALU_DEP_1) | instskip(NEXT) | instid1(VALU_DEP_1)
	v_add_nc_u32_e32 v1, v2, v1
	v_mov_b32_dpp v2, v1 quad_perm:[2,3,0,1] row_mask:0xf bank_mask:0xf
	s_delay_alu instid0(VALU_DEP_1) | instskip(NEXT) | instid1(VALU_DEP_1)
	v_add_nc_u32_e32 v1, v1, v2
	v_mov_b32_dpp v2, v1 row_ror:4 row_mask:0xf bank_mask:0xf
	s_delay_alu instid0(VALU_DEP_1) | instskip(NEXT) | instid1(VALU_DEP_1)
	v_add_nc_u32_e32 v1, v1, v2
	v_mov_b32_dpp v2, v1 row_ror:8 row_mask:0xf bank_mask:0xf
	s_delay_alu instid0(VALU_DEP_1)
	v_add_nc_u32_e32 v1, v1, v2
	ds_swizzle_b32 v2, v1 offset:swizzle(BROADCAST,32,15)
	s_wait_dscnt 0x0
	v_dual_mov_b32 v2, 0 :: v_dual_add_nc_u32 v1, v1, v2
	ds_bpermute_b32 v1, v2, v1 offset:124
	v_cmpx_eq_u32_e32 0, v18
	s_cbranch_execz .LBB563_3
; %bb.2:
	v_lshrrev_b32_e32 v2, 3, v0
	s_delay_alu instid0(VALU_DEP_1)
	v_and_b32_e32 v2, 28, v2
	s_wait_dscnt 0x0
	ds_store_b32 v2, v1
.LBB563_3:
	s_or_b32 exec_lo, exec_lo, s3
	s_delay_alu instid0(SALU_CYCLE_1)
	s_mov_b32 s3, exec_lo
	s_wait_dscnt 0x0
	s_barrier_signal -1
	s_barrier_wait -1
	global_inv scope:SCOPE_SE
	v_cmpx_gt_u32_e32 32, v0
	s_cbranch_execz .LBB563_5
; %bb.4:
	v_and_b32_e32 v1, 7, v18
	s_delay_alu instid0(VALU_DEP_1) | instskip(SKIP_4) | instid1(VALU_DEP_2)
	v_lshlrev_b32_e32 v2, 2, v1
	v_cmp_ne_u32_e32 vcc_lo, 7, v1
	ds_load_b32 v2, v2
	v_add_co_ci_u32_e64 v3, null, 0, v18, vcc_lo
	v_cmp_gt_u32_e32 vcc_lo, 6, v1
	v_lshlrev_b32_e32 v3, 2, v3
	s_wait_alu 0xfffd
	v_cndmask_b32_e64 v1, 0, 2, vcc_lo
	s_delay_alu instid0(VALU_DEP_1)
	v_add_lshl_u32 v1, v1, v18, 2
	s_wait_dscnt 0x0
	ds_bpermute_b32 v3, v3, v2
	s_wait_dscnt 0x0
	v_add_nc_u32_e32 v2, v3, v2
	v_lshlrev_b32_e32 v3, 2, v18
	ds_bpermute_b32 v1, v1, v2
	s_wait_dscnt 0x0
	v_add_nc_u32_e32 v1, v1, v2
	v_or_b32_e32 v2, 16, v3
	ds_bpermute_b32 v2, v2, v1
	s_wait_dscnt 0x0
	v_add_nc_u32_e32 v1, v2, v1
.LBB563_5:
	s_or_b32 exec_lo, exec_lo, s3
	s_branch .LBB563_44
.LBB563_6:
                                        ; implicit-def: $vgpr1
	s_cbranch_execz .LBB563_44
; %bb.7:
	v_mov_b32_e32 v1, 0
	s_sub_co_i32 s28, s16, s2
	s_mov_b32 s2, exec_lo
	s_delay_alu instid0(VALU_DEP_1)
	v_dual_mov_b32 v2, v1 :: v_dual_mov_b32 v3, v1
	v_dual_mov_b32 v4, v1 :: v_dual_mov_b32 v5, v1
	;; [unrolled: 1-line block ×7, first 2 shown]
	v_mov_b32_e32 v16, v1
	v_cmpx_gt_u32_e64 s28, v0
	s_cbranch_execz .LBB563_9
; %bb.8:
	global_load_b32 v2, v19, s[26:27]
	v_mov_b32_e32 v17, v1
	v_dual_mov_b32 v3, v1 :: v_dual_mov_b32 v4, v1
	v_dual_mov_b32 v5, v1 :: v_dual_mov_b32 v6, v1
	v_dual_mov_b32 v7, v1 :: v_dual_mov_b32 v8, v1
	v_dual_mov_b32 v9, v1 :: v_dual_mov_b32 v10, v1
	v_dual_mov_b32 v11, v1 :: v_dual_mov_b32 v12, v1
	v_dual_mov_b32 v13, v1 :: v_dual_mov_b32 v14, v1
	v_dual_mov_b32 v15, v1 :: v_dual_mov_b32 v16, v1
	s_wait_loadcnt 0x0
	v_mov_b32_e32 v1, v2
	v_mov_b32_e32 v2, v3
	;; [unrolled: 1-line block ×16, first 2 shown]
.LBB563_9:
	s_or_b32 exec_lo, exec_lo, s2
	v_or_b32_e32 v17, 0x100, v0
	s_delay_alu instid0(VALU_DEP_1)
	v_cmp_gt_u32_e32 vcc_lo, s28, v17
	s_and_saveexec_b32 s2, vcc_lo
	s_cbranch_execz .LBB563_11
; %bb.10:
	global_load_b32 v2, v19, s[26:27] offset:1024
.LBB563_11:
	s_or_b32 exec_lo, exec_lo, s2
	v_or_b32_e32 v17, 0x200, v0
	s_delay_alu instid0(VALU_DEP_1)
	v_cmp_gt_u32_e64 s2, s28, v17
	s_and_saveexec_b32 s3, s2
	s_cbranch_execz .LBB563_13
; %bb.12:
	global_load_b32 v3, v19, s[26:27] offset:2048
.LBB563_13:
	s_or_b32 exec_lo, exec_lo, s3
	v_or_b32_e32 v17, 0x300, v0
	s_delay_alu instid0(VALU_DEP_1)
	v_cmp_gt_u32_e64 s3, s28, v17
	s_and_saveexec_b32 s4, s3
	;; [unrolled: 9-line block ×14, first 2 shown]
	s_cbranch_execz .LBB563_39
; %bb.38:
	global_load_b32 v16, v19, s[26:27] offset:15360
.LBB563_39:
	s_wait_alu 0xfffe
	s_or_b32 exec_lo, exec_lo, s29
	s_wait_loadcnt 0x0
	v_cndmask_b32_e32 v2, 0, v2, vcc_lo
	v_cndmask_b32_e64 v3, 0, v3, s2
	v_cndmask_b32_e64 v4, 0, v4, s3
	v_cmp_ne_u32_e32 vcc_lo, 31, v18
	s_min_u32 s2, s28, 0x100
	v_add_nc_u32_e32 v1, v2, v1
	v_cndmask_b32_e64 v2, 0, v5, s4
	v_cndmask_b32_e64 v5, 0, v6, s5
	;; [unrolled: 1-line block ×3, first 2 shown]
	s_mov_b32 s3, exec_lo
	v_add3_u32 v1, v1, v3, v4
	v_cndmask_b32_e64 v3, 0, v7, s6
	v_cndmask_b32_e64 v4, 0, v8, s7
	s_delay_alu instid0(VALU_DEP_3) | instskip(SKIP_2) | instid1(VALU_DEP_3)
	v_add3_u32 v1, v1, v2, v5
	v_cndmask_b32_e64 v2, 0, v9, s8
	v_cndmask_b32_e64 v5, 0, v10, s9
	v_add3_u32 v1, v1, v3, v4
	v_cndmask_b32_e64 v3, 0, v11, s10
	v_cndmask_b32_e64 v4, 0, v12, s11
	s_delay_alu instid0(VALU_DEP_3) | instskip(SKIP_2) | instid1(VALU_DEP_3)
	v_add3_u32 v1, v1, v2, v5
	v_cndmask_b32_e64 v2, 0, v13, s12
	v_cndmask_b32_e64 v5, 0, v14, s13
	v_add3_u32 v1, v1, v3, v4
	v_cndmask_b32_e64 v3, 0, v16, s15
	s_wait_alu 0xfffd
	v_add_co_ci_u32_e64 v4, null, 0, v18, vcc_lo
	v_cmp_gt_u32_e32 vcc_lo, 30, v18
	v_add3_u32 v1, v1, v2, v5
	s_delay_alu instid0(VALU_DEP_3)
	v_lshlrev_b32_e32 v2, 2, v4
	v_add_nc_u32_e32 v4, 1, v18
	s_wait_alu 0xfffd
	v_cndmask_b32_e64 v5, 0, 2, vcc_lo
	v_add3_u32 v1, v1, v6, v3
	v_and_b32_e32 v3, 0xe0, v0
	ds_bpermute_b32 v2, v2, v1
	s_wait_alu 0xfffe
	v_sub_nc_u32_e64 v3, s2, v3 clamp
	s_delay_alu instid0(VALU_DEP_1)
	v_cmp_lt_u32_e32 vcc_lo, v4, v3
	v_add_lshl_u32 v4, v5, v18, 2
	s_wait_dscnt 0x0
	s_wait_alu 0xfffd
	v_cndmask_b32_e32 v2, 0, v2, vcc_lo
	v_cmp_gt_u32_e32 vcc_lo, 28, v18
	s_delay_alu instid0(VALU_DEP_2) | instskip(SKIP_4) | instid1(VALU_DEP_1)
	v_add_nc_u32_e32 v1, v1, v2
	s_wait_alu 0xfffd
	v_cndmask_b32_e64 v5, 0, 4, vcc_lo
	ds_bpermute_b32 v2, v4, v1
	v_add_nc_u32_e32 v4, 2, v18
	v_cmp_lt_u32_e32 vcc_lo, v4, v3
	v_add_lshl_u32 v4, v5, v18, 2
	s_wait_dscnt 0x0
	s_wait_alu 0xfffd
	v_cndmask_b32_e32 v2, 0, v2, vcc_lo
	v_cmp_gt_u32_e32 vcc_lo, 24, v18
	s_delay_alu instid0(VALU_DEP_2) | instskip(SKIP_4) | instid1(VALU_DEP_1)
	v_add_nc_u32_e32 v1, v1, v2
	s_wait_alu 0xfffd
	v_cndmask_b32_e64 v5, 0, 8, vcc_lo
	ds_bpermute_b32 v2, v4, v1
	v_add_nc_u32_e32 v4, 4, v18
	v_cmp_lt_u32_e32 vcc_lo, v4, v3
	v_add_lshl_u32 v4, v5, v18, 2
	v_add_nc_u32_e32 v5, 8, v18
	s_wait_dscnt 0x0
	s_wait_alu 0xfffd
	v_cndmask_b32_e32 v2, 0, v2, vcc_lo
	s_delay_alu instid0(VALU_DEP_2) | instskip(NEXT) | instid1(VALU_DEP_2)
	v_cmp_lt_u32_e32 vcc_lo, v5, v3
	v_add_nc_u32_e32 v1, v1, v2
	v_lshlrev_b32_e32 v2, 2, v18
	ds_bpermute_b32 v4, v4, v1
	v_or_b32_e32 v5, 64, v2
	s_wait_dscnt 0x0
	s_wait_alu 0xfffd
	v_cndmask_b32_e32 v4, 0, v4, vcc_lo
	s_delay_alu instid0(VALU_DEP_1) | instskip(SKIP_2) | instid1(VALU_DEP_1)
	v_add_nc_u32_e32 v1, v1, v4
	ds_bpermute_b32 v4, v5, v1
	v_add_nc_u32_e32 v5, 16, v18
	v_cmp_lt_u32_e32 vcc_lo, v5, v3
	s_wait_dscnt 0x0
	s_wait_alu 0xfffd
	v_cndmask_b32_e32 v3, 0, v4, vcc_lo
	s_delay_alu instid0(VALU_DEP_1)
	v_add_nc_u32_e32 v1, v1, v3
	v_cmpx_eq_u32_e32 0, v18
; %bb.40:
	v_lshrrev_b32_e32 v3, 3, v0
	s_delay_alu instid0(VALU_DEP_1)
	v_and_b32_e32 v3, 28, v3
	ds_store_b32 v3, v1 offset:32
; %bb.41:
	s_or_b32 exec_lo, exec_lo, s3
	s_delay_alu instid0(SALU_CYCLE_1)
	s_mov_b32 s3, exec_lo
	s_wait_dscnt 0x0
	s_barrier_signal -1
	s_barrier_wait -1
	global_inv scope:SCOPE_SE
	v_cmpx_gt_u32_e32 8, v0
	s_cbranch_execz .LBB563_43
; %bb.42:
	ds_load_b32 v1, v2 offset:32
	v_and_b32_e32 v3, 7, v18
	s_add_co_i32 s2, s2, 31
	v_or_b32_e32 v2, 16, v2
	s_wait_alu 0xfffe
	s_lshr_b32 s2, s2, 5
	v_cmp_ne_u32_e32 vcc_lo, 7, v3
	v_add_nc_u32_e32 v5, 1, v3
	s_wait_alu 0xfffd
	v_add_co_ci_u32_e64 v4, null, 0, v18, vcc_lo
	v_cmp_gt_u32_e32 vcc_lo, 6, v3
	s_delay_alu instid0(VALU_DEP_2)
	v_lshlrev_b32_e32 v4, 2, v4
	s_wait_alu 0xfffd
	v_cndmask_b32_e64 v6, 0, 2, vcc_lo
	s_wait_alu 0xfffe
	v_cmp_gt_u32_e32 vcc_lo, s2, v5
	s_wait_dscnt 0x0
	ds_bpermute_b32 v4, v4, v1
	v_add_lshl_u32 v5, v6, v18, 2
	s_wait_dscnt 0x0
	s_wait_alu 0xfffd
	v_cndmask_b32_e32 v4, 0, v4, vcc_lo
	s_delay_alu instid0(VALU_DEP_1) | instskip(SKIP_3) | instid1(VALU_DEP_2)
	v_add_nc_u32_e32 v1, v4, v1
	ds_bpermute_b32 v4, v5, v1
	v_add_nc_u32_e32 v5, 2, v3
	v_add_nc_u32_e32 v3, 4, v3
	v_cmp_gt_u32_e32 vcc_lo, s2, v5
	s_wait_dscnt 0x0
	s_wait_alu 0xfffd
	v_cndmask_b32_e32 v4, 0, v4, vcc_lo
	v_cmp_gt_u32_e32 vcc_lo, s2, v3
	s_delay_alu instid0(VALU_DEP_2) | instskip(SKIP_4) | instid1(VALU_DEP_1)
	v_add_nc_u32_e32 v1, v1, v4
	ds_bpermute_b32 v2, v2, v1
	s_wait_dscnt 0x0
	s_wait_alu 0xfffd
	v_cndmask_b32_e32 v2, 0, v2, vcc_lo
	v_add_nc_u32_e32 v1, v1, v2
.LBB563_43:
	s_wait_alu 0xfffe
	s_or_b32 exec_lo, exec_lo, s3
.LBB563_44:
	s_load_b32 s0, s[0:1], 0x30
	s_mov_b32 s1, exec_lo
	v_cmpx_eq_u32_e32 0, v0
	s_cbranch_execz .LBB563_46
; %bb.45:
	s_mul_u64 s[2:3], s[22:23], s[20:21]
	s_wait_alu 0xfffe
	s_lshl_b64 s[2:3], s[2:3], 2
	s_cmp_eq_u64 s[16:17], 0
	s_wait_alu 0xfffe
	s_add_nc_u64 s[2:3], s[18:19], s[2:3]
	s_cselect_b32 s1, -1, 0
	s_wait_kmcnt 0x0
	v_cndmask_b32_e64 v0, v1, s0, s1
	v_mov_b32_e32 v1, 0
	s_lshl_b64 s[0:1], s[24:25], 2
	s_wait_alu 0xfffe
	s_add_nc_u64 s[0:1], s[2:3], s[0:1]
	global_store_b32 v1, v0, s[0:1]
.LBB563_46:
	s_endpgm
	.section	.rodata,"a",@progbits
	.p2align	6, 0x0
	.amdhsa_kernel _ZN7rocprim17ROCPRIM_400000_NS6detail17trampoline_kernelINS0_14default_configENS1_22reduce_config_selectorIiEEZNS1_11reduce_implILb1ES3_PiS7_iN6hipcub16HIPCUB_304000_NS6detail34convert_binary_result_type_wrapperINS9_3SumENS9_22TransformInputIteratorIbN2at6native12_GLOBAL__N_19NonZeroOpIN3c107complexIfEEEEPKSK_lEEiEEEE10hipError_tPvRmT1_T2_T3_mT4_P12ihipStream_tbEUlT_E0_NS1_11comp_targetILNS1_3genE10ELNS1_11target_archE1201ELNS1_3gpuE5ELNS1_3repE0EEENS1_30default_config_static_selectorELNS0_4arch9wavefront6targetE0EEEvST_
		.amdhsa_group_segment_fixed_size 64
		.amdhsa_private_segment_fixed_size 0
		.amdhsa_kernarg_size 56
		.amdhsa_user_sgpr_count 2
		.amdhsa_user_sgpr_dispatch_ptr 0
		.amdhsa_user_sgpr_queue_ptr 0
		.amdhsa_user_sgpr_kernarg_segment_ptr 1
		.amdhsa_user_sgpr_dispatch_id 0
		.amdhsa_user_sgpr_private_segment_size 0
		.amdhsa_wavefront_size32 1
		.amdhsa_uses_dynamic_stack 0
		.amdhsa_enable_private_segment 0
		.amdhsa_system_sgpr_workgroup_id_x 1
		.amdhsa_system_sgpr_workgroup_id_y 0
		.amdhsa_system_sgpr_workgroup_id_z 0
		.amdhsa_system_sgpr_workgroup_info 0
		.amdhsa_system_vgpr_workitem_id 0
		.amdhsa_next_free_vgpr 20
		.amdhsa_next_free_sgpr 30
		.amdhsa_reserve_vcc 1
		.amdhsa_float_round_mode_32 0
		.amdhsa_float_round_mode_16_64 0
		.amdhsa_float_denorm_mode_32 3
		.amdhsa_float_denorm_mode_16_64 3
		.amdhsa_fp16_overflow 0
		.amdhsa_workgroup_processor_mode 1
		.amdhsa_memory_ordered 1
		.amdhsa_forward_progress 1
		.amdhsa_inst_pref_size 20
		.amdhsa_round_robin_scheduling 0
		.amdhsa_exception_fp_ieee_invalid_op 0
		.amdhsa_exception_fp_denorm_src 0
		.amdhsa_exception_fp_ieee_div_zero 0
		.amdhsa_exception_fp_ieee_overflow 0
		.amdhsa_exception_fp_ieee_underflow 0
		.amdhsa_exception_fp_ieee_inexact 0
		.amdhsa_exception_int_div_zero 0
	.end_amdhsa_kernel
	.section	.text._ZN7rocprim17ROCPRIM_400000_NS6detail17trampoline_kernelINS0_14default_configENS1_22reduce_config_selectorIiEEZNS1_11reduce_implILb1ES3_PiS7_iN6hipcub16HIPCUB_304000_NS6detail34convert_binary_result_type_wrapperINS9_3SumENS9_22TransformInputIteratorIbN2at6native12_GLOBAL__N_19NonZeroOpIN3c107complexIfEEEEPKSK_lEEiEEEE10hipError_tPvRmT1_T2_T3_mT4_P12ihipStream_tbEUlT_E0_NS1_11comp_targetILNS1_3genE10ELNS1_11target_archE1201ELNS1_3gpuE5ELNS1_3repE0EEENS1_30default_config_static_selectorELNS0_4arch9wavefront6targetE0EEEvST_,"axG",@progbits,_ZN7rocprim17ROCPRIM_400000_NS6detail17trampoline_kernelINS0_14default_configENS1_22reduce_config_selectorIiEEZNS1_11reduce_implILb1ES3_PiS7_iN6hipcub16HIPCUB_304000_NS6detail34convert_binary_result_type_wrapperINS9_3SumENS9_22TransformInputIteratorIbN2at6native12_GLOBAL__N_19NonZeroOpIN3c107complexIfEEEEPKSK_lEEiEEEE10hipError_tPvRmT1_T2_T3_mT4_P12ihipStream_tbEUlT_E0_NS1_11comp_targetILNS1_3genE10ELNS1_11target_archE1201ELNS1_3gpuE5ELNS1_3repE0EEENS1_30default_config_static_selectorELNS0_4arch9wavefront6targetE0EEEvST_,comdat
.Lfunc_end563:
	.size	_ZN7rocprim17ROCPRIM_400000_NS6detail17trampoline_kernelINS0_14default_configENS1_22reduce_config_selectorIiEEZNS1_11reduce_implILb1ES3_PiS7_iN6hipcub16HIPCUB_304000_NS6detail34convert_binary_result_type_wrapperINS9_3SumENS9_22TransformInputIteratorIbN2at6native12_GLOBAL__N_19NonZeroOpIN3c107complexIfEEEEPKSK_lEEiEEEE10hipError_tPvRmT1_T2_T3_mT4_P12ihipStream_tbEUlT_E0_NS1_11comp_targetILNS1_3genE10ELNS1_11target_archE1201ELNS1_3gpuE5ELNS1_3repE0EEENS1_30default_config_static_selectorELNS0_4arch9wavefront6targetE0EEEvST_, .Lfunc_end563-_ZN7rocprim17ROCPRIM_400000_NS6detail17trampoline_kernelINS0_14default_configENS1_22reduce_config_selectorIiEEZNS1_11reduce_implILb1ES3_PiS7_iN6hipcub16HIPCUB_304000_NS6detail34convert_binary_result_type_wrapperINS9_3SumENS9_22TransformInputIteratorIbN2at6native12_GLOBAL__N_19NonZeroOpIN3c107complexIfEEEEPKSK_lEEiEEEE10hipError_tPvRmT1_T2_T3_mT4_P12ihipStream_tbEUlT_E0_NS1_11comp_targetILNS1_3genE10ELNS1_11target_archE1201ELNS1_3gpuE5ELNS1_3repE0EEENS1_30default_config_static_selectorELNS0_4arch9wavefront6targetE0EEEvST_
                                        ; -- End function
	.set _ZN7rocprim17ROCPRIM_400000_NS6detail17trampoline_kernelINS0_14default_configENS1_22reduce_config_selectorIiEEZNS1_11reduce_implILb1ES3_PiS7_iN6hipcub16HIPCUB_304000_NS6detail34convert_binary_result_type_wrapperINS9_3SumENS9_22TransformInputIteratorIbN2at6native12_GLOBAL__N_19NonZeroOpIN3c107complexIfEEEEPKSK_lEEiEEEE10hipError_tPvRmT1_T2_T3_mT4_P12ihipStream_tbEUlT_E0_NS1_11comp_targetILNS1_3genE10ELNS1_11target_archE1201ELNS1_3gpuE5ELNS1_3repE0EEENS1_30default_config_static_selectorELNS0_4arch9wavefront6targetE0EEEvST_.num_vgpr, 20
	.set _ZN7rocprim17ROCPRIM_400000_NS6detail17trampoline_kernelINS0_14default_configENS1_22reduce_config_selectorIiEEZNS1_11reduce_implILb1ES3_PiS7_iN6hipcub16HIPCUB_304000_NS6detail34convert_binary_result_type_wrapperINS9_3SumENS9_22TransformInputIteratorIbN2at6native12_GLOBAL__N_19NonZeroOpIN3c107complexIfEEEEPKSK_lEEiEEEE10hipError_tPvRmT1_T2_T3_mT4_P12ihipStream_tbEUlT_E0_NS1_11comp_targetILNS1_3genE10ELNS1_11target_archE1201ELNS1_3gpuE5ELNS1_3repE0EEENS1_30default_config_static_selectorELNS0_4arch9wavefront6targetE0EEEvST_.num_agpr, 0
	.set _ZN7rocprim17ROCPRIM_400000_NS6detail17trampoline_kernelINS0_14default_configENS1_22reduce_config_selectorIiEEZNS1_11reduce_implILb1ES3_PiS7_iN6hipcub16HIPCUB_304000_NS6detail34convert_binary_result_type_wrapperINS9_3SumENS9_22TransformInputIteratorIbN2at6native12_GLOBAL__N_19NonZeroOpIN3c107complexIfEEEEPKSK_lEEiEEEE10hipError_tPvRmT1_T2_T3_mT4_P12ihipStream_tbEUlT_E0_NS1_11comp_targetILNS1_3genE10ELNS1_11target_archE1201ELNS1_3gpuE5ELNS1_3repE0EEENS1_30default_config_static_selectorELNS0_4arch9wavefront6targetE0EEEvST_.numbered_sgpr, 30
	.set _ZN7rocprim17ROCPRIM_400000_NS6detail17trampoline_kernelINS0_14default_configENS1_22reduce_config_selectorIiEEZNS1_11reduce_implILb1ES3_PiS7_iN6hipcub16HIPCUB_304000_NS6detail34convert_binary_result_type_wrapperINS9_3SumENS9_22TransformInputIteratorIbN2at6native12_GLOBAL__N_19NonZeroOpIN3c107complexIfEEEEPKSK_lEEiEEEE10hipError_tPvRmT1_T2_T3_mT4_P12ihipStream_tbEUlT_E0_NS1_11comp_targetILNS1_3genE10ELNS1_11target_archE1201ELNS1_3gpuE5ELNS1_3repE0EEENS1_30default_config_static_selectorELNS0_4arch9wavefront6targetE0EEEvST_.num_named_barrier, 0
	.set _ZN7rocprim17ROCPRIM_400000_NS6detail17trampoline_kernelINS0_14default_configENS1_22reduce_config_selectorIiEEZNS1_11reduce_implILb1ES3_PiS7_iN6hipcub16HIPCUB_304000_NS6detail34convert_binary_result_type_wrapperINS9_3SumENS9_22TransformInputIteratorIbN2at6native12_GLOBAL__N_19NonZeroOpIN3c107complexIfEEEEPKSK_lEEiEEEE10hipError_tPvRmT1_T2_T3_mT4_P12ihipStream_tbEUlT_E0_NS1_11comp_targetILNS1_3genE10ELNS1_11target_archE1201ELNS1_3gpuE5ELNS1_3repE0EEENS1_30default_config_static_selectorELNS0_4arch9wavefront6targetE0EEEvST_.private_seg_size, 0
	.set _ZN7rocprim17ROCPRIM_400000_NS6detail17trampoline_kernelINS0_14default_configENS1_22reduce_config_selectorIiEEZNS1_11reduce_implILb1ES3_PiS7_iN6hipcub16HIPCUB_304000_NS6detail34convert_binary_result_type_wrapperINS9_3SumENS9_22TransformInputIteratorIbN2at6native12_GLOBAL__N_19NonZeroOpIN3c107complexIfEEEEPKSK_lEEiEEEE10hipError_tPvRmT1_T2_T3_mT4_P12ihipStream_tbEUlT_E0_NS1_11comp_targetILNS1_3genE10ELNS1_11target_archE1201ELNS1_3gpuE5ELNS1_3repE0EEENS1_30default_config_static_selectorELNS0_4arch9wavefront6targetE0EEEvST_.uses_vcc, 1
	.set _ZN7rocprim17ROCPRIM_400000_NS6detail17trampoline_kernelINS0_14default_configENS1_22reduce_config_selectorIiEEZNS1_11reduce_implILb1ES3_PiS7_iN6hipcub16HIPCUB_304000_NS6detail34convert_binary_result_type_wrapperINS9_3SumENS9_22TransformInputIteratorIbN2at6native12_GLOBAL__N_19NonZeroOpIN3c107complexIfEEEEPKSK_lEEiEEEE10hipError_tPvRmT1_T2_T3_mT4_P12ihipStream_tbEUlT_E0_NS1_11comp_targetILNS1_3genE10ELNS1_11target_archE1201ELNS1_3gpuE5ELNS1_3repE0EEENS1_30default_config_static_selectorELNS0_4arch9wavefront6targetE0EEEvST_.uses_flat_scratch, 0
	.set _ZN7rocprim17ROCPRIM_400000_NS6detail17trampoline_kernelINS0_14default_configENS1_22reduce_config_selectorIiEEZNS1_11reduce_implILb1ES3_PiS7_iN6hipcub16HIPCUB_304000_NS6detail34convert_binary_result_type_wrapperINS9_3SumENS9_22TransformInputIteratorIbN2at6native12_GLOBAL__N_19NonZeroOpIN3c107complexIfEEEEPKSK_lEEiEEEE10hipError_tPvRmT1_T2_T3_mT4_P12ihipStream_tbEUlT_E0_NS1_11comp_targetILNS1_3genE10ELNS1_11target_archE1201ELNS1_3gpuE5ELNS1_3repE0EEENS1_30default_config_static_selectorELNS0_4arch9wavefront6targetE0EEEvST_.has_dyn_sized_stack, 0
	.set _ZN7rocprim17ROCPRIM_400000_NS6detail17trampoline_kernelINS0_14default_configENS1_22reduce_config_selectorIiEEZNS1_11reduce_implILb1ES3_PiS7_iN6hipcub16HIPCUB_304000_NS6detail34convert_binary_result_type_wrapperINS9_3SumENS9_22TransformInputIteratorIbN2at6native12_GLOBAL__N_19NonZeroOpIN3c107complexIfEEEEPKSK_lEEiEEEE10hipError_tPvRmT1_T2_T3_mT4_P12ihipStream_tbEUlT_E0_NS1_11comp_targetILNS1_3genE10ELNS1_11target_archE1201ELNS1_3gpuE5ELNS1_3repE0EEENS1_30default_config_static_selectorELNS0_4arch9wavefront6targetE0EEEvST_.has_recursion, 0
	.set _ZN7rocprim17ROCPRIM_400000_NS6detail17trampoline_kernelINS0_14default_configENS1_22reduce_config_selectorIiEEZNS1_11reduce_implILb1ES3_PiS7_iN6hipcub16HIPCUB_304000_NS6detail34convert_binary_result_type_wrapperINS9_3SumENS9_22TransformInputIteratorIbN2at6native12_GLOBAL__N_19NonZeroOpIN3c107complexIfEEEEPKSK_lEEiEEEE10hipError_tPvRmT1_T2_T3_mT4_P12ihipStream_tbEUlT_E0_NS1_11comp_targetILNS1_3genE10ELNS1_11target_archE1201ELNS1_3gpuE5ELNS1_3repE0EEENS1_30default_config_static_selectorELNS0_4arch9wavefront6targetE0EEEvST_.has_indirect_call, 0
	.section	.AMDGPU.csdata,"",@progbits
; Kernel info:
; codeLenInByte = 2448
; TotalNumSgprs: 32
; NumVgprs: 20
; ScratchSize: 0
; MemoryBound: 0
; FloatMode: 240
; IeeeMode: 1
; LDSByteSize: 64 bytes/workgroup (compile time only)
; SGPRBlocks: 0
; VGPRBlocks: 2
; NumSGPRsForWavesPerEU: 32
; NumVGPRsForWavesPerEU: 20
; Occupancy: 16
; WaveLimiterHint : 1
; COMPUTE_PGM_RSRC2:SCRATCH_EN: 0
; COMPUTE_PGM_RSRC2:USER_SGPR: 2
; COMPUTE_PGM_RSRC2:TRAP_HANDLER: 0
; COMPUTE_PGM_RSRC2:TGID_X_EN: 1
; COMPUTE_PGM_RSRC2:TGID_Y_EN: 0
; COMPUTE_PGM_RSRC2:TGID_Z_EN: 0
; COMPUTE_PGM_RSRC2:TIDIG_COMP_CNT: 0
	.section	.text._ZN7rocprim17ROCPRIM_400000_NS6detail17trampoline_kernelINS0_14default_configENS1_22reduce_config_selectorIiEEZNS1_11reduce_implILb1ES3_PiS7_iN6hipcub16HIPCUB_304000_NS6detail34convert_binary_result_type_wrapperINS9_3SumENS9_22TransformInputIteratorIbN2at6native12_GLOBAL__N_19NonZeroOpIN3c107complexIfEEEEPKSK_lEEiEEEE10hipError_tPvRmT1_T2_T3_mT4_P12ihipStream_tbEUlT_E0_NS1_11comp_targetILNS1_3genE10ELNS1_11target_archE1200ELNS1_3gpuE4ELNS1_3repE0EEENS1_30default_config_static_selectorELNS0_4arch9wavefront6targetE0EEEvST_,"axG",@progbits,_ZN7rocprim17ROCPRIM_400000_NS6detail17trampoline_kernelINS0_14default_configENS1_22reduce_config_selectorIiEEZNS1_11reduce_implILb1ES3_PiS7_iN6hipcub16HIPCUB_304000_NS6detail34convert_binary_result_type_wrapperINS9_3SumENS9_22TransformInputIteratorIbN2at6native12_GLOBAL__N_19NonZeroOpIN3c107complexIfEEEEPKSK_lEEiEEEE10hipError_tPvRmT1_T2_T3_mT4_P12ihipStream_tbEUlT_E0_NS1_11comp_targetILNS1_3genE10ELNS1_11target_archE1200ELNS1_3gpuE4ELNS1_3repE0EEENS1_30default_config_static_selectorELNS0_4arch9wavefront6targetE0EEEvST_,comdat
	.globl	_ZN7rocprim17ROCPRIM_400000_NS6detail17trampoline_kernelINS0_14default_configENS1_22reduce_config_selectorIiEEZNS1_11reduce_implILb1ES3_PiS7_iN6hipcub16HIPCUB_304000_NS6detail34convert_binary_result_type_wrapperINS9_3SumENS9_22TransformInputIteratorIbN2at6native12_GLOBAL__N_19NonZeroOpIN3c107complexIfEEEEPKSK_lEEiEEEE10hipError_tPvRmT1_T2_T3_mT4_P12ihipStream_tbEUlT_E0_NS1_11comp_targetILNS1_3genE10ELNS1_11target_archE1200ELNS1_3gpuE4ELNS1_3repE0EEENS1_30default_config_static_selectorELNS0_4arch9wavefront6targetE0EEEvST_ ; -- Begin function _ZN7rocprim17ROCPRIM_400000_NS6detail17trampoline_kernelINS0_14default_configENS1_22reduce_config_selectorIiEEZNS1_11reduce_implILb1ES3_PiS7_iN6hipcub16HIPCUB_304000_NS6detail34convert_binary_result_type_wrapperINS9_3SumENS9_22TransformInputIteratorIbN2at6native12_GLOBAL__N_19NonZeroOpIN3c107complexIfEEEEPKSK_lEEiEEEE10hipError_tPvRmT1_T2_T3_mT4_P12ihipStream_tbEUlT_E0_NS1_11comp_targetILNS1_3genE10ELNS1_11target_archE1200ELNS1_3gpuE4ELNS1_3repE0EEENS1_30default_config_static_selectorELNS0_4arch9wavefront6targetE0EEEvST_
	.p2align	8
	.type	_ZN7rocprim17ROCPRIM_400000_NS6detail17trampoline_kernelINS0_14default_configENS1_22reduce_config_selectorIiEEZNS1_11reduce_implILb1ES3_PiS7_iN6hipcub16HIPCUB_304000_NS6detail34convert_binary_result_type_wrapperINS9_3SumENS9_22TransformInputIteratorIbN2at6native12_GLOBAL__N_19NonZeroOpIN3c107complexIfEEEEPKSK_lEEiEEEE10hipError_tPvRmT1_T2_T3_mT4_P12ihipStream_tbEUlT_E0_NS1_11comp_targetILNS1_3genE10ELNS1_11target_archE1200ELNS1_3gpuE4ELNS1_3repE0EEENS1_30default_config_static_selectorELNS0_4arch9wavefront6targetE0EEEvST_,@function
_ZN7rocprim17ROCPRIM_400000_NS6detail17trampoline_kernelINS0_14default_configENS1_22reduce_config_selectorIiEEZNS1_11reduce_implILb1ES3_PiS7_iN6hipcub16HIPCUB_304000_NS6detail34convert_binary_result_type_wrapperINS9_3SumENS9_22TransformInputIteratorIbN2at6native12_GLOBAL__N_19NonZeroOpIN3c107complexIfEEEEPKSK_lEEiEEEE10hipError_tPvRmT1_T2_T3_mT4_P12ihipStream_tbEUlT_E0_NS1_11comp_targetILNS1_3genE10ELNS1_11target_archE1200ELNS1_3gpuE4ELNS1_3repE0EEENS1_30default_config_static_selectorELNS0_4arch9wavefront6targetE0EEEvST_: ; @_ZN7rocprim17ROCPRIM_400000_NS6detail17trampoline_kernelINS0_14default_configENS1_22reduce_config_selectorIiEEZNS1_11reduce_implILb1ES3_PiS7_iN6hipcub16HIPCUB_304000_NS6detail34convert_binary_result_type_wrapperINS9_3SumENS9_22TransformInputIteratorIbN2at6native12_GLOBAL__N_19NonZeroOpIN3c107complexIfEEEEPKSK_lEEiEEEE10hipError_tPvRmT1_T2_T3_mT4_P12ihipStream_tbEUlT_E0_NS1_11comp_targetILNS1_3genE10ELNS1_11target_archE1200ELNS1_3gpuE4ELNS1_3repE0EEENS1_30default_config_static_selectorELNS0_4arch9wavefront6targetE0EEEvST_
; %bb.0:
	.section	.rodata,"a",@progbits
	.p2align	6, 0x0
	.amdhsa_kernel _ZN7rocprim17ROCPRIM_400000_NS6detail17trampoline_kernelINS0_14default_configENS1_22reduce_config_selectorIiEEZNS1_11reduce_implILb1ES3_PiS7_iN6hipcub16HIPCUB_304000_NS6detail34convert_binary_result_type_wrapperINS9_3SumENS9_22TransformInputIteratorIbN2at6native12_GLOBAL__N_19NonZeroOpIN3c107complexIfEEEEPKSK_lEEiEEEE10hipError_tPvRmT1_T2_T3_mT4_P12ihipStream_tbEUlT_E0_NS1_11comp_targetILNS1_3genE10ELNS1_11target_archE1200ELNS1_3gpuE4ELNS1_3repE0EEENS1_30default_config_static_selectorELNS0_4arch9wavefront6targetE0EEEvST_
		.amdhsa_group_segment_fixed_size 0
		.amdhsa_private_segment_fixed_size 0
		.amdhsa_kernarg_size 56
		.amdhsa_user_sgpr_count 2
		.amdhsa_user_sgpr_dispatch_ptr 0
		.amdhsa_user_sgpr_queue_ptr 0
		.amdhsa_user_sgpr_kernarg_segment_ptr 1
		.amdhsa_user_sgpr_dispatch_id 0
		.amdhsa_user_sgpr_private_segment_size 0
		.amdhsa_wavefront_size32 1
		.amdhsa_uses_dynamic_stack 0
		.amdhsa_enable_private_segment 0
		.amdhsa_system_sgpr_workgroup_id_x 1
		.amdhsa_system_sgpr_workgroup_id_y 0
		.amdhsa_system_sgpr_workgroup_id_z 0
		.amdhsa_system_sgpr_workgroup_info 0
		.amdhsa_system_vgpr_workitem_id 0
		.amdhsa_next_free_vgpr 1
		.amdhsa_next_free_sgpr 1
		.amdhsa_reserve_vcc 0
		.amdhsa_float_round_mode_32 0
		.amdhsa_float_round_mode_16_64 0
		.amdhsa_float_denorm_mode_32 3
		.amdhsa_float_denorm_mode_16_64 3
		.amdhsa_fp16_overflow 0
		.amdhsa_workgroup_processor_mode 1
		.amdhsa_memory_ordered 1
		.amdhsa_forward_progress 1
		.amdhsa_inst_pref_size 0
		.amdhsa_round_robin_scheduling 0
		.amdhsa_exception_fp_ieee_invalid_op 0
		.amdhsa_exception_fp_denorm_src 0
		.amdhsa_exception_fp_ieee_div_zero 0
		.amdhsa_exception_fp_ieee_overflow 0
		.amdhsa_exception_fp_ieee_underflow 0
		.amdhsa_exception_fp_ieee_inexact 0
		.amdhsa_exception_int_div_zero 0
	.end_amdhsa_kernel
	.section	.text._ZN7rocprim17ROCPRIM_400000_NS6detail17trampoline_kernelINS0_14default_configENS1_22reduce_config_selectorIiEEZNS1_11reduce_implILb1ES3_PiS7_iN6hipcub16HIPCUB_304000_NS6detail34convert_binary_result_type_wrapperINS9_3SumENS9_22TransformInputIteratorIbN2at6native12_GLOBAL__N_19NonZeroOpIN3c107complexIfEEEEPKSK_lEEiEEEE10hipError_tPvRmT1_T2_T3_mT4_P12ihipStream_tbEUlT_E0_NS1_11comp_targetILNS1_3genE10ELNS1_11target_archE1200ELNS1_3gpuE4ELNS1_3repE0EEENS1_30default_config_static_selectorELNS0_4arch9wavefront6targetE0EEEvST_,"axG",@progbits,_ZN7rocprim17ROCPRIM_400000_NS6detail17trampoline_kernelINS0_14default_configENS1_22reduce_config_selectorIiEEZNS1_11reduce_implILb1ES3_PiS7_iN6hipcub16HIPCUB_304000_NS6detail34convert_binary_result_type_wrapperINS9_3SumENS9_22TransformInputIteratorIbN2at6native12_GLOBAL__N_19NonZeroOpIN3c107complexIfEEEEPKSK_lEEiEEEE10hipError_tPvRmT1_T2_T3_mT4_P12ihipStream_tbEUlT_E0_NS1_11comp_targetILNS1_3genE10ELNS1_11target_archE1200ELNS1_3gpuE4ELNS1_3repE0EEENS1_30default_config_static_selectorELNS0_4arch9wavefront6targetE0EEEvST_,comdat
.Lfunc_end564:
	.size	_ZN7rocprim17ROCPRIM_400000_NS6detail17trampoline_kernelINS0_14default_configENS1_22reduce_config_selectorIiEEZNS1_11reduce_implILb1ES3_PiS7_iN6hipcub16HIPCUB_304000_NS6detail34convert_binary_result_type_wrapperINS9_3SumENS9_22TransformInputIteratorIbN2at6native12_GLOBAL__N_19NonZeroOpIN3c107complexIfEEEEPKSK_lEEiEEEE10hipError_tPvRmT1_T2_T3_mT4_P12ihipStream_tbEUlT_E0_NS1_11comp_targetILNS1_3genE10ELNS1_11target_archE1200ELNS1_3gpuE4ELNS1_3repE0EEENS1_30default_config_static_selectorELNS0_4arch9wavefront6targetE0EEEvST_, .Lfunc_end564-_ZN7rocprim17ROCPRIM_400000_NS6detail17trampoline_kernelINS0_14default_configENS1_22reduce_config_selectorIiEEZNS1_11reduce_implILb1ES3_PiS7_iN6hipcub16HIPCUB_304000_NS6detail34convert_binary_result_type_wrapperINS9_3SumENS9_22TransformInputIteratorIbN2at6native12_GLOBAL__N_19NonZeroOpIN3c107complexIfEEEEPKSK_lEEiEEEE10hipError_tPvRmT1_T2_T3_mT4_P12ihipStream_tbEUlT_E0_NS1_11comp_targetILNS1_3genE10ELNS1_11target_archE1200ELNS1_3gpuE4ELNS1_3repE0EEENS1_30default_config_static_selectorELNS0_4arch9wavefront6targetE0EEEvST_
                                        ; -- End function
	.set _ZN7rocprim17ROCPRIM_400000_NS6detail17trampoline_kernelINS0_14default_configENS1_22reduce_config_selectorIiEEZNS1_11reduce_implILb1ES3_PiS7_iN6hipcub16HIPCUB_304000_NS6detail34convert_binary_result_type_wrapperINS9_3SumENS9_22TransformInputIteratorIbN2at6native12_GLOBAL__N_19NonZeroOpIN3c107complexIfEEEEPKSK_lEEiEEEE10hipError_tPvRmT1_T2_T3_mT4_P12ihipStream_tbEUlT_E0_NS1_11comp_targetILNS1_3genE10ELNS1_11target_archE1200ELNS1_3gpuE4ELNS1_3repE0EEENS1_30default_config_static_selectorELNS0_4arch9wavefront6targetE0EEEvST_.num_vgpr, 0
	.set _ZN7rocprim17ROCPRIM_400000_NS6detail17trampoline_kernelINS0_14default_configENS1_22reduce_config_selectorIiEEZNS1_11reduce_implILb1ES3_PiS7_iN6hipcub16HIPCUB_304000_NS6detail34convert_binary_result_type_wrapperINS9_3SumENS9_22TransformInputIteratorIbN2at6native12_GLOBAL__N_19NonZeroOpIN3c107complexIfEEEEPKSK_lEEiEEEE10hipError_tPvRmT1_T2_T3_mT4_P12ihipStream_tbEUlT_E0_NS1_11comp_targetILNS1_3genE10ELNS1_11target_archE1200ELNS1_3gpuE4ELNS1_3repE0EEENS1_30default_config_static_selectorELNS0_4arch9wavefront6targetE0EEEvST_.num_agpr, 0
	.set _ZN7rocprim17ROCPRIM_400000_NS6detail17trampoline_kernelINS0_14default_configENS1_22reduce_config_selectorIiEEZNS1_11reduce_implILb1ES3_PiS7_iN6hipcub16HIPCUB_304000_NS6detail34convert_binary_result_type_wrapperINS9_3SumENS9_22TransformInputIteratorIbN2at6native12_GLOBAL__N_19NonZeroOpIN3c107complexIfEEEEPKSK_lEEiEEEE10hipError_tPvRmT1_T2_T3_mT4_P12ihipStream_tbEUlT_E0_NS1_11comp_targetILNS1_3genE10ELNS1_11target_archE1200ELNS1_3gpuE4ELNS1_3repE0EEENS1_30default_config_static_selectorELNS0_4arch9wavefront6targetE0EEEvST_.numbered_sgpr, 0
	.set _ZN7rocprim17ROCPRIM_400000_NS6detail17trampoline_kernelINS0_14default_configENS1_22reduce_config_selectorIiEEZNS1_11reduce_implILb1ES3_PiS7_iN6hipcub16HIPCUB_304000_NS6detail34convert_binary_result_type_wrapperINS9_3SumENS9_22TransformInputIteratorIbN2at6native12_GLOBAL__N_19NonZeroOpIN3c107complexIfEEEEPKSK_lEEiEEEE10hipError_tPvRmT1_T2_T3_mT4_P12ihipStream_tbEUlT_E0_NS1_11comp_targetILNS1_3genE10ELNS1_11target_archE1200ELNS1_3gpuE4ELNS1_3repE0EEENS1_30default_config_static_selectorELNS0_4arch9wavefront6targetE0EEEvST_.num_named_barrier, 0
	.set _ZN7rocprim17ROCPRIM_400000_NS6detail17trampoline_kernelINS0_14default_configENS1_22reduce_config_selectorIiEEZNS1_11reduce_implILb1ES3_PiS7_iN6hipcub16HIPCUB_304000_NS6detail34convert_binary_result_type_wrapperINS9_3SumENS9_22TransformInputIteratorIbN2at6native12_GLOBAL__N_19NonZeroOpIN3c107complexIfEEEEPKSK_lEEiEEEE10hipError_tPvRmT1_T2_T3_mT4_P12ihipStream_tbEUlT_E0_NS1_11comp_targetILNS1_3genE10ELNS1_11target_archE1200ELNS1_3gpuE4ELNS1_3repE0EEENS1_30default_config_static_selectorELNS0_4arch9wavefront6targetE0EEEvST_.private_seg_size, 0
	.set _ZN7rocprim17ROCPRIM_400000_NS6detail17trampoline_kernelINS0_14default_configENS1_22reduce_config_selectorIiEEZNS1_11reduce_implILb1ES3_PiS7_iN6hipcub16HIPCUB_304000_NS6detail34convert_binary_result_type_wrapperINS9_3SumENS9_22TransformInputIteratorIbN2at6native12_GLOBAL__N_19NonZeroOpIN3c107complexIfEEEEPKSK_lEEiEEEE10hipError_tPvRmT1_T2_T3_mT4_P12ihipStream_tbEUlT_E0_NS1_11comp_targetILNS1_3genE10ELNS1_11target_archE1200ELNS1_3gpuE4ELNS1_3repE0EEENS1_30default_config_static_selectorELNS0_4arch9wavefront6targetE0EEEvST_.uses_vcc, 0
	.set _ZN7rocprim17ROCPRIM_400000_NS6detail17trampoline_kernelINS0_14default_configENS1_22reduce_config_selectorIiEEZNS1_11reduce_implILb1ES3_PiS7_iN6hipcub16HIPCUB_304000_NS6detail34convert_binary_result_type_wrapperINS9_3SumENS9_22TransformInputIteratorIbN2at6native12_GLOBAL__N_19NonZeroOpIN3c107complexIfEEEEPKSK_lEEiEEEE10hipError_tPvRmT1_T2_T3_mT4_P12ihipStream_tbEUlT_E0_NS1_11comp_targetILNS1_3genE10ELNS1_11target_archE1200ELNS1_3gpuE4ELNS1_3repE0EEENS1_30default_config_static_selectorELNS0_4arch9wavefront6targetE0EEEvST_.uses_flat_scratch, 0
	.set _ZN7rocprim17ROCPRIM_400000_NS6detail17trampoline_kernelINS0_14default_configENS1_22reduce_config_selectorIiEEZNS1_11reduce_implILb1ES3_PiS7_iN6hipcub16HIPCUB_304000_NS6detail34convert_binary_result_type_wrapperINS9_3SumENS9_22TransformInputIteratorIbN2at6native12_GLOBAL__N_19NonZeroOpIN3c107complexIfEEEEPKSK_lEEiEEEE10hipError_tPvRmT1_T2_T3_mT4_P12ihipStream_tbEUlT_E0_NS1_11comp_targetILNS1_3genE10ELNS1_11target_archE1200ELNS1_3gpuE4ELNS1_3repE0EEENS1_30default_config_static_selectorELNS0_4arch9wavefront6targetE0EEEvST_.has_dyn_sized_stack, 0
	.set _ZN7rocprim17ROCPRIM_400000_NS6detail17trampoline_kernelINS0_14default_configENS1_22reduce_config_selectorIiEEZNS1_11reduce_implILb1ES3_PiS7_iN6hipcub16HIPCUB_304000_NS6detail34convert_binary_result_type_wrapperINS9_3SumENS9_22TransformInputIteratorIbN2at6native12_GLOBAL__N_19NonZeroOpIN3c107complexIfEEEEPKSK_lEEiEEEE10hipError_tPvRmT1_T2_T3_mT4_P12ihipStream_tbEUlT_E0_NS1_11comp_targetILNS1_3genE10ELNS1_11target_archE1200ELNS1_3gpuE4ELNS1_3repE0EEENS1_30default_config_static_selectorELNS0_4arch9wavefront6targetE0EEEvST_.has_recursion, 0
	.set _ZN7rocprim17ROCPRIM_400000_NS6detail17trampoline_kernelINS0_14default_configENS1_22reduce_config_selectorIiEEZNS1_11reduce_implILb1ES3_PiS7_iN6hipcub16HIPCUB_304000_NS6detail34convert_binary_result_type_wrapperINS9_3SumENS9_22TransformInputIteratorIbN2at6native12_GLOBAL__N_19NonZeroOpIN3c107complexIfEEEEPKSK_lEEiEEEE10hipError_tPvRmT1_T2_T3_mT4_P12ihipStream_tbEUlT_E0_NS1_11comp_targetILNS1_3genE10ELNS1_11target_archE1200ELNS1_3gpuE4ELNS1_3repE0EEENS1_30default_config_static_selectorELNS0_4arch9wavefront6targetE0EEEvST_.has_indirect_call, 0
	.section	.AMDGPU.csdata,"",@progbits
; Kernel info:
; codeLenInByte = 0
; TotalNumSgprs: 0
; NumVgprs: 0
; ScratchSize: 0
; MemoryBound: 0
; FloatMode: 240
; IeeeMode: 1
; LDSByteSize: 0 bytes/workgroup (compile time only)
; SGPRBlocks: 0
; VGPRBlocks: 0
; NumSGPRsForWavesPerEU: 1
; NumVGPRsForWavesPerEU: 1
; Occupancy: 16
; WaveLimiterHint : 0
; COMPUTE_PGM_RSRC2:SCRATCH_EN: 0
; COMPUTE_PGM_RSRC2:USER_SGPR: 2
; COMPUTE_PGM_RSRC2:TRAP_HANDLER: 0
; COMPUTE_PGM_RSRC2:TGID_X_EN: 1
; COMPUTE_PGM_RSRC2:TGID_Y_EN: 0
; COMPUTE_PGM_RSRC2:TGID_Z_EN: 0
; COMPUTE_PGM_RSRC2:TIDIG_COMP_CNT: 0
	.section	.text._ZN7rocprim17ROCPRIM_400000_NS6detail17trampoline_kernelINS0_14default_configENS1_22reduce_config_selectorIiEEZNS1_11reduce_implILb1ES3_PiS7_iN6hipcub16HIPCUB_304000_NS6detail34convert_binary_result_type_wrapperINS9_3SumENS9_22TransformInputIteratorIbN2at6native12_GLOBAL__N_19NonZeroOpIN3c107complexIfEEEEPKSK_lEEiEEEE10hipError_tPvRmT1_T2_T3_mT4_P12ihipStream_tbEUlT_E0_NS1_11comp_targetILNS1_3genE9ELNS1_11target_archE1100ELNS1_3gpuE3ELNS1_3repE0EEENS1_30default_config_static_selectorELNS0_4arch9wavefront6targetE0EEEvST_,"axG",@progbits,_ZN7rocprim17ROCPRIM_400000_NS6detail17trampoline_kernelINS0_14default_configENS1_22reduce_config_selectorIiEEZNS1_11reduce_implILb1ES3_PiS7_iN6hipcub16HIPCUB_304000_NS6detail34convert_binary_result_type_wrapperINS9_3SumENS9_22TransformInputIteratorIbN2at6native12_GLOBAL__N_19NonZeroOpIN3c107complexIfEEEEPKSK_lEEiEEEE10hipError_tPvRmT1_T2_T3_mT4_P12ihipStream_tbEUlT_E0_NS1_11comp_targetILNS1_3genE9ELNS1_11target_archE1100ELNS1_3gpuE3ELNS1_3repE0EEENS1_30default_config_static_selectorELNS0_4arch9wavefront6targetE0EEEvST_,comdat
	.globl	_ZN7rocprim17ROCPRIM_400000_NS6detail17trampoline_kernelINS0_14default_configENS1_22reduce_config_selectorIiEEZNS1_11reduce_implILb1ES3_PiS7_iN6hipcub16HIPCUB_304000_NS6detail34convert_binary_result_type_wrapperINS9_3SumENS9_22TransformInputIteratorIbN2at6native12_GLOBAL__N_19NonZeroOpIN3c107complexIfEEEEPKSK_lEEiEEEE10hipError_tPvRmT1_T2_T3_mT4_P12ihipStream_tbEUlT_E0_NS1_11comp_targetILNS1_3genE9ELNS1_11target_archE1100ELNS1_3gpuE3ELNS1_3repE0EEENS1_30default_config_static_selectorELNS0_4arch9wavefront6targetE0EEEvST_ ; -- Begin function _ZN7rocprim17ROCPRIM_400000_NS6detail17trampoline_kernelINS0_14default_configENS1_22reduce_config_selectorIiEEZNS1_11reduce_implILb1ES3_PiS7_iN6hipcub16HIPCUB_304000_NS6detail34convert_binary_result_type_wrapperINS9_3SumENS9_22TransformInputIteratorIbN2at6native12_GLOBAL__N_19NonZeroOpIN3c107complexIfEEEEPKSK_lEEiEEEE10hipError_tPvRmT1_T2_T3_mT4_P12ihipStream_tbEUlT_E0_NS1_11comp_targetILNS1_3genE9ELNS1_11target_archE1100ELNS1_3gpuE3ELNS1_3repE0EEENS1_30default_config_static_selectorELNS0_4arch9wavefront6targetE0EEEvST_
	.p2align	8
	.type	_ZN7rocprim17ROCPRIM_400000_NS6detail17trampoline_kernelINS0_14default_configENS1_22reduce_config_selectorIiEEZNS1_11reduce_implILb1ES3_PiS7_iN6hipcub16HIPCUB_304000_NS6detail34convert_binary_result_type_wrapperINS9_3SumENS9_22TransformInputIteratorIbN2at6native12_GLOBAL__N_19NonZeroOpIN3c107complexIfEEEEPKSK_lEEiEEEE10hipError_tPvRmT1_T2_T3_mT4_P12ihipStream_tbEUlT_E0_NS1_11comp_targetILNS1_3genE9ELNS1_11target_archE1100ELNS1_3gpuE3ELNS1_3repE0EEENS1_30default_config_static_selectorELNS0_4arch9wavefront6targetE0EEEvST_,@function
_ZN7rocprim17ROCPRIM_400000_NS6detail17trampoline_kernelINS0_14default_configENS1_22reduce_config_selectorIiEEZNS1_11reduce_implILb1ES3_PiS7_iN6hipcub16HIPCUB_304000_NS6detail34convert_binary_result_type_wrapperINS9_3SumENS9_22TransformInputIteratorIbN2at6native12_GLOBAL__N_19NonZeroOpIN3c107complexIfEEEEPKSK_lEEiEEEE10hipError_tPvRmT1_T2_T3_mT4_P12ihipStream_tbEUlT_E0_NS1_11comp_targetILNS1_3genE9ELNS1_11target_archE1100ELNS1_3gpuE3ELNS1_3repE0EEENS1_30default_config_static_selectorELNS0_4arch9wavefront6targetE0EEEvST_: ; @_ZN7rocprim17ROCPRIM_400000_NS6detail17trampoline_kernelINS0_14default_configENS1_22reduce_config_selectorIiEEZNS1_11reduce_implILb1ES3_PiS7_iN6hipcub16HIPCUB_304000_NS6detail34convert_binary_result_type_wrapperINS9_3SumENS9_22TransformInputIteratorIbN2at6native12_GLOBAL__N_19NonZeroOpIN3c107complexIfEEEEPKSK_lEEiEEEE10hipError_tPvRmT1_T2_T3_mT4_P12ihipStream_tbEUlT_E0_NS1_11comp_targetILNS1_3genE9ELNS1_11target_archE1100ELNS1_3gpuE3ELNS1_3repE0EEENS1_30default_config_static_selectorELNS0_4arch9wavefront6targetE0EEEvST_
; %bb.0:
	.section	.rodata,"a",@progbits
	.p2align	6, 0x0
	.amdhsa_kernel _ZN7rocprim17ROCPRIM_400000_NS6detail17trampoline_kernelINS0_14default_configENS1_22reduce_config_selectorIiEEZNS1_11reduce_implILb1ES3_PiS7_iN6hipcub16HIPCUB_304000_NS6detail34convert_binary_result_type_wrapperINS9_3SumENS9_22TransformInputIteratorIbN2at6native12_GLOBAL__N_19NonZeroOpIN3c107complexIfEEEEPKSK_lEEiEEEE10hipError_tPvRmT1_T2_T3_mT4_P12ihipStream_tbEUlT_E0_NS1_11comp_targetILNS1_3genE9ELNS1_11target_archE1100ELNS1_3gpuE3ELNS1_3repE0EEENS1_30default_config_static_selectorELNS0_4arch9wavefront6targetE0EEEvST_
		.amdhsa_group_segment_fixed_size 0
		.amdhsa_private_segment_fixed_size 0
		.amdhsa_kernarg_size 56
		.amdhsa_user_sgpr_count 2
		.amdhsa_user_sgpr_dispatch_ptr 0
		.amdhsa_user_sgpr_queue_ptr 0
		.amdhsa_user_sgpr_kernarg_segment_ptr 1
		.amdhsa_user_sgpr_dispatch_id 0
		.amdhsa_user_sgpr_private_segment_size 0
		.amdhsa_wavefront_size32 1
		.amdhsa_uses_dynamic_stack 0
		.amdhsa_enable_private_segment 0
		.amdhsa_system_sgpr_workgroup_id_x 1
		.amdhsa_system_sgpr_workgroup_id_y 0
		.amdhsa_system_sgpr_workgroup_id_z 0
		.amdhsa_system_sgpr_workgroup_info 0
		.amdhsa_system_vgpr_workitem_id 0
		.amdhsa_next_free_vgpr 1
		.amdhsa_next_free_sgpr 1
		.amdhsa_reserve_vcc 0
		.amdhsa_float_round_mode_32 0
		.amdhsa_float_round_mode_16_64 0
		.amdhsa_float_denorm_mode_32 3
		.amdhsa_float_denorm_mode_16_64 3
		.amdhsa_fp16_overflow 0
		.amdhsa_workgroup_processor_mode 1
		.amdhsa_memory_ordered 1
		.amdhsa_forward_progress 1
		.amdhsa_inst_pref_size 0
		.amdhsa_round_robin_scheduling 0
		.amdhsa_exception_fp_ieee_invalid_op 0
		.amdhsa_exception_fp_denorm_src 0
		.amdhsa_exception_fp_ieee_div_zero 0
		.amdhsa_exception_fp_ieee_overflow 0
		.amdhsa_exception_fp_ieee_underflow 0
		.amdhsa_exception_fp_ieee_inexact 0
		.amdhsa_exception_int_div_zero 0
	.end_amdhsa_kernel
	.section	.text._ZN7rocprim17ROCPRIM_400000_NS6detail17trampoline_kernelINS0_14default_configENS1_22reduce_config_selectorIiEEZNS1_11reduce_implILb1ES3_PiS7_iN6hipcub16HIPCUB_304000_NS6detail34convert_binary_result_type_wrapperINS9_3SumENS9_22TransformInputIteratorIbN2at6native12_GLOBAL__N_19NonZeroOpIN3c107complexIfEEEEPKSK_lEEiEEEE10hipError_tPvRmT1_T2_T3_mT4_P12ihipStream_tbEUlT_E0_NS1_11comp_targetILNS1_3genE9ELNS1_11target_archE1100ELNS1_3gpuE3ELNS1_3repE0EEENS1_30default_config_static_selectorELNS0_4arch9wavefront6targetE0EEEvST_,"axG",@progbits,_ZN7rocprim17ROCPRIM_400000_NS6detail17trampoline_kernelINS0_14default_configENS1_22reduce_config_selectorIiEEZNS1_11reduce_implILb1ES3_PiS7_iN6hipcub16HIPCUB_304000_NS6detail34convert_binary_result_type_wrapperINS9_3SumENS9_22TransformInputIteratorIbN2at6native12_GLOBAL__N_19NonZeroOpIN3c107complexIfEEEEPKSK_lEEiEEEE10hipError_tPvRmT1_T2_T3_mT4_P12ihipStream_tbEUlT_E0_NS1_11comp_targetILNS1_3genE9ELNS1_11target_archE1100ELNS1_3gpuE3ELNS1_3repE0EEENS1_30default_config_static_selectorELNS0_4arch9wavefront6targetE0EEEvST_,comdat
.Lfunc_end565:
	.size	_ZN7rocprim17ROCPRIM_400000_NS6detail17trampoline_kernelINS0_14default_configENS1_22reduce_config_selectorIiEEZNS1_11reduce_implILb1ES3_PiS7_iN6hipcub16HIPCUB_304000_NS6detail34convert_binary_result_type_wrapperINS9_3SumENS9_22TransformInputIteratorIbN2at6native12_GLOBAL__N_19NonZeroOpIN3c107complexIfEEEEPKSK_lEEiEEEE10hipError_tPvRmT1_T2_T3_mT4_P12ihipStream_tbEUlT_E0_NS1_11comp_targetILNS1_3genE9ELNS1_11target_archE1100ELNS1_3gpuE3ELNS1_3repE0EEENS1_30default_config_static_selectorELNS0_4arch9wavefront6targetE0EEEvST_, .Lfunc_end565-_ZN7rocprim17ROCPRIM_400000_NS6detail17trampoline_kernelINS0_14default_configENS1_22reduce_config_selectorIiEEZNS1_11reduce_implILb1ES3_PiS7_iN6hipcub16HIPCUB_304000_NS6detail34convert_binary_result_type_wrapperINS9_3SumENS9_22TransformInputIteratorIbN2at6native12_GLOBAL__N_19NonZeroOpIN3c107complexIfEEEEPKSK_lEEiEEEE10hipError_tPvRmT1_T2_T3_mT4_P12ihipStream_tbEUlT_E0_NS1_11comp_targetILNS1_3genE9ELNS1_11target_archE1100ELNS1_3gpuE3ELNS1_3repE0EEENS1_30default_config_static_selectorELNS0_4arch9wavefront6targetE0EEEvST_
                                        ; -- End function
	.set _ZN7rocprim17ROCPRIM_400000_NS6detail17trampoline_kernelINS0_14default_configENS1_22reduce_config_selectorIiEEZNS1_11reduce_implILb1ES3_PiS7_iN6hipcub16HIPCUB_304000_NS6detail34convert_binary_result_type_wrapperINS9_3SumENS9_22TransformInputIteratorIbN2at6native12_GLOBAL__N_19NonZeroOpIN3c107complexIfEEEEPKSK_lEEiEEEE10hipError_tPvRmT1_T2_T3_mT4_P12ihipStream_tbEUlT_E0_NS1_11comp_targetILNS1_3genE9ELNS1_11target_archE1100ELNS1_3gpuE3ELNS1_3repE0EEENS1_30default_config_static_selectorELNS0_4arch9wavefront6targetE0EEEvST_.num_vgpr, 0
	.set _ZN7rocprim17ROCPRIM_400000_NS6detail17trampoline_kernelINS0_14default_configENS1_22reduce_config_selectorIiEEZNS1_11reduce_implILb1ES3_PiS7_iN6hipcub16HIPCUB_304000_NS6detail34convert_binary_result_type_wrapperINS9_3SumENS9_22TransformInputIteratorIbN2at6native12_GLOBAL__N_19NonZeroOpIN3c107complexIfEEEEPKSK_lEEiEEEE10hipError_tPvRmT1_T2_T3_mT4_P12ihipStream_tbEUlT_E0_NS1_11comp_targetILNS1_3genE9ELNS1_11target_archE1100ELNS1_3gpuE3ELNS1_3repE0EEENS1_30default_config_static_selectorELNS0_4arch9wavefront6targetE0EEEvST_.num_agpr, 0
	.set _ZN7rocprim17ROCPRIM_400000_NS6detail17trampoline_kernelINS0_14default_configENS1_22reduce_config_selectorIiEEZNS1_11reduce_implILb1ES3_PiS7_iN6hipcub16HIPCUB_304000_NS6detail34convert_binary_result_type_wrapperINS9_3SumENS9_22TransformInputIteratorIbN2at6native12_GLOBAL__N_19NonZeroOpIN3c107complexIfEEEEPKSK_lEEiEEEE10hipError_tPvRmT1_T2_T3_mT4_P12ihipStream_tbEUlT_E0_NS1_11comp_targetILNS1_3genE9ELNS1_11target_archE1100ELNS1_3gpuE3ELNS1_3repE0EEENS1_30default_config_static_selectorELNS0_4arch9wavefront6targetE0EEEvST_.numbered_sgpr, 0
	.set _ZN7rocprim17ROCPRIM_400000_NS6detail17trampoline_kernelINS0_14default_configENS1_22reduce_config_selectorIiEEZNS1_11reduce_implILb1ES3_PiS7_iN6hipcub16HIPCUB_304000_NS6detail34convert_binary_result_type_wrapperINS9_3SumENS9_22TransformInputIteratorIbN2at6native12_GLOBAL__N_19NonZeroOpIN3c107complexIfEEEEPKSK_lEEiEEEE10hipError_tPvRmT1_T2_T3_mT4_P12ihipStream_tbEUlT_E0_NS1_11comp_targetILNS1_3genE9ELNS1_11target_archE1100ELNS1_3gpuE3ELNS1_3repE0EEENS1_30default_config_static_selectorELNS0_4arch9wavefront6targetE0EEEvST_.num_named_barrier, 0
	.set _ZN7rocprim17ROCPRIM_400000_NS6detail17trampoline_kernelINS0_14default_configENS1_22reduce_config_selectorIiEEZNS1_11reduce_implILb1ES3_PiS7_iN6hipcub16HIPCUB_304000_NS6detail34convert_binary_result_type_wrapperINS9_3SumENS9_22TransformInputIteratorIbN2at6native12_GLOBAL__N_19NonZeroOpIN3c107complexIfEEEEPKSK_lEEiEEEE10hipError_tPvRmT1_T2_T3_mT4_P12ihipStream_tbEUlT_E0_NS1_11comp_targetILNS1_3genE9ELNS1_11target_archE1100ELNS1_3gpuE3ELNS1_3repE0EEENS1_30default_config_static_selectorELNS0_4arch9wavefront6targetE0EEEvST_.private_seg_size, 0
	.set _ZN7rocprim17ROCPRIM_400000_NS6detail17trampoline_kernelINS0_14default_configENS1_22reduce_config_selectorIiEEZNS1_11reduce_implILb1ES3_PiS7_iN6hipcub16HIPCUB_304000_NS6detail34convert_binary_result_type_wrapperINS9_3SumENS9_22TransformInputIteratorIbN2at6native12_GLOBAL__N_19NonZeroOpIN3c107complexIfEEEEPKSK_lEEiEEEE10hipError_tPvRmT1_T2_T3_mT4_P12ihipStream_tbEUlT_E0_NS1_11comp_targetILNS1_3genE9ELNS1_11target_archE1100ELNS1_3gpuE3ELNS1_3repE0EEENS1_30default_config_static_selectorELNS0_4arch9wavefront6targetE0EEEvST_.uses_vcc, 0
	.set _ZN7rocprim17ROCPRIM_400000_NS6detail17trampoline_kernelINS0_14default_configENS1_22reduce_config_selectorIiEEZNS1_11reduce_implILb1ES3_PiS7_iN6hipcub16HIPCUB_304000_NS6detail34convert_binary_result_type_wrapperINS9_3SumENS9_22TransformInputIteratorIbN2at6native12_GLOBAL__N_19NonZeroOpIN3c107complexIfEEEEPKSK_lEEiEEEE10hipError_tPvRmT1_T2_T3_mT4_P12ihipStream_tbEUlT_E0_NS1_11comp_targetILNS1_3genE9ELNS1_11target_archE1100ELNS1_3gpuE3ELNS1_3repE0EEENS1_30default_config_static_selectorELNS0_4arch9wavefront6targetE0EEEvST_.uses_flat_scratch, 0
	.set _ZN7rocprim17ROCPRIM_400000_NS6detail17trampoline_kernelINS0_14default_configENS1_22reduce_config_selectorIiEEZNS1_11reduce_implILb1ES3_PiS7_iN6hipcub16HIPCUB_304000_NS6detail34convert_binary_result_type_wrapperINS9_3SumENS9_22TransformInputIteratorIbN2at6native12_GLOBAL__N_19NonZeroOpIN3c107complexIfEEEEPKSK_lEEiEEEE10hipError_tPvRmT1_T2_T3_mT4_P12ihipStream_tbEUlT_E0_NS1_11comp_targetILNS1_3genE9ELNS1_11target_archE1100ELNS1_3gpuE3ELNS1_3repE0EEENS1_30default_config_static_selectorELNS0_4arch9wavefront6targetE0EEEvST_.has_dyn_sized_stack, 0
	.set _ZN7rocprim17ROCPRIM_400000_NS6detail17trampoline_kernelINS0_14default_configENS1_22reduce_config_selectorIiEEZNS1_11reduce_implILb1ES3_PiS7_iN6hipcub16HIPCUB_304000_NS6detail34convert_binary_result_type_wrapperINS9_3SumENS9_22TransformInputIteratorIbN2at6native12_GLOBAL__N_19NonZeroOpIN3c107complexIfEEEEPKSK_lEEiEEEE10hipError_tPvRmT1_T2_T3_mT4_P12ihipStream_tbEUlT_E0_NS1_11comp_targetILNS1_3genE9ELNS1_11target_archE1100ELNS1_3gpuE3ELNS1_3repE0EEENS1_30default_config_static_selectorELNS0_4arch9wavefront6targetE0EEEvST_.has_recursion, 0
	.set _ZN7rocprim17ROCPRIM_400000_NS6detail17trampoline_kernelINS0_14default_configENS1_22reduce_config_selectorIiEEZNS1_11reduce_implILb1ES3_PiS7_iN6hipcub16HIPCUB_304000_NS6detail34convert_binary_result_type_wrapperINS9_3SumENS9_22TransformInputIteratorIbN2at6native12_GLOBAL__N_19NonZeroOpIN3c107complexIfEEEEPKSK_lEEiEEEE10hipError_tPvRmT1_T2_T3_mT4_P12ihipStream_tbEUlT_E0_NS1_11comp_targetILNS1_3genE9ELNS1_11target_archE1100ELNS1_3gpuE3ELNS1_3repE0EEENS1_30default_config_static_selectorELNS0_4arch9wavefront6targetE0EEEvST_.has_indirect_call, 0
	.section	.AMDGPU.csdata,"",@progbits
; Kernel info:
; codeLenInByte = 0
; TotalNumSgprs: 0
; NumVgprs: 0
; ScratchSize: 0
; MemoryBound: 0
; FloatMode: 240
; IeeeMode: 1
; LDSByteSize: 0 bytes/workgroup (compile time only)
; SGPRBlocks: 0
; VGPRBlocks: 0
; NumSGPRsForWavesPerEU: 1
; NumVGPRsForWavesPerEU: 1
; Occupancy: 16
; WaveLimiterHint : 0
; COMPUTE_PGM_RSRC2:SCRATCH_EN: 0
; COMPUTE_PGM_RSRC2:USER_SGPR: 2
; COMPUTE_PGM_RSRC2:TRAP_HANDLER: 0
; COMPUTE_PGM_RSRC2:TGID_X_EN: 1
; COMPUTE_PGM_RSRC2:TGID_Y_EN: 0
; COMPUTE_PGM_RSRC2:TGID_Z_EN: 0
; COMPUTE_PGM_RSRC2:TIDIG_COMP_CNT: 0
	.section	.text._ZN7rocprim17ROCPRIM_400000_NS6detail17trampoline_kernelINS0_14default_configENS1_22reduce_config_selectorIiEEZNS1_11reduce_implILb1ES3_PiS7_iN6hipcub16HIPCUB_304000_NS6detail34convert_binary_result_type_wrapperINS9_3SumENS9_22TransformInputIteratorIbN2at6native12_GLOBAL__N_19NonZeroOpIN3c107complexIfEEEEPKSK_lEEiEEEE10hipError_tPvRmT1_T2_T3_mT4_P12ihipStream_tbEUlT_E0_NS1_11comp_targetILNS1_3genE8ELNS1_11target_archE1030ELNS1_3gpuE2ELNS1_3repE0EEENS1_30default_config_static_selectorELNS0_4arch9wavefront6targetE0EEEvST_,"axG",@progbits,_ZN7rocprim17ROCPRIM_400000_NS6detail17trampoline_kernelINS0_14default_configENS1_22reduce_config_selectorIiEEZNS1_11reduce_implILb1ES3_PiS7_iN6hipcub16HIPCUB_304000_NS6detail34convert_binary_result_type_wrapperINS9_3SumENS9_22TransformInputIteratorIbN2at6native12_GLOBAL__N_19NonZeroOpIN3c107complexIfEEEEPKSK_lEEiEEEE10hipError_tPvRmT1_T2_T3_mT4_P12ihipStream_tbEUlT_E0_NS1_11comp_targetILNS1_3genE8ELNS1_11target_archE1030ELNS1_3gpuE2ELNS1_3repE0EEENS1_30default_config_static_selectorELNS0_4arch9wavefront6targetE0EEEvST_,comdat
	.globl	_ZN7rocprim17ROCPRIM_400000_NS6detail17trampoline_kernelINS0_14default_configENS1_22reduce_config_selectorIiEEZNS1_11reduce_implILb1ES3_PiS7_iN6hipcub16HIPCUB_304000_NS6detail34convert_binary_result_type_wrapperINS9_3SumENS9_22TransformInputIteratorIbN2at6native12_GLOBAL__N_19NonZeroOpIN3c107complexIfEEEEPKSK_lEEiEEEE10hipError_tPvRmT1_T2_T3_mT4_P12ihipStream_tbEUlT_E0_NS1_11comp_targetILNS1_3genE8ELNS1_11target_archE1030ELNS1_3gpuE2ELNS1_3repE0EEENS1_30default_config_static_selectorELNS0_4arch9wavefront6targetE0EEEvST_ ; -- Begin function _ZN7rocprim17ROCPRIM_400000_NS6detail17trampoline_kernelINS0_14default_configENS1_22reduce_config_selectorIiEEZNS1_11reduce_implILb1ES3_PiS7_iN6hipcub16HIPCUB_304000_NS6detail34convert_binary_result_type_wrapperINS9_3SumENS9_22TransformInputIteratorIbN2at6native12_GLOBAL__N_19NonZeroOpIN3c107complexIfEEEEPKSK_lEEiEEEE10hipError_tPvRmT1_T2_T3_mT4_P12ihipStream_tbEUlT_E0_NS1_11comp_targetILNS1_3genE8ELNS1_11target_archE1030ELNS1_3gpuE2ELNS1_3repE0EEENS1_30default_config_static_selectorELNS0_4arch9wavefront6targetE0EEEvST_
	.p2align	8
	.type	_ZN7rocprim17ROCPRIM_400000_NS6detail17trampoline_kernelINS0_14default_configENS1_22reduce_config_selectorIiEEZNS1_11reduce_implILb1ES3_PiS7_iN6hipcub16HIPCUB_304000_NS6detail34convert_binary_result_type_wrapperINS9_3SumENS9_22TransformInputIteratorIbN2at6native12_GLOBAL__N_19NonZeroOpIN3c107complexIfEEEEPKSK_lEEiEEEE10hipError_tPvRmT1_T2_T3_mT4_P12ihipStream_tbEUlT_E0_NS1_11comp_targetILNS1_3genE8ELNS1_11target_archE1030ELNS1_3gpuE2ELNS1_3repE0EEENS1_30default_config_static_selectorELNS0_4arch9wavefront6targetE0EEEvST_,@function
_ZN7rocprim17ROCPRIM_400000_NS6detail17trampoline_kernelINS0_14default_configENS1_22reduce_config_selectorIiEEZNS1_11reduce_implILb1ES3_PiS7_iN6hipcub16HIPCUB_304000_NS6detail34convert_binary_result_type_wrapperINS9_3SumENS9_22TransformInputIteratorIbN2at6native12_GLOBAL__N_19NonZeroOpIN3c107complexIfEEEEPKSK_lEEiEEEE10hipError_tPvRmT1_T2_T3_mT4_P12ihipStream_tbEUlT_E0_NS1_11comp_targetILNS1_3genE8ELNS1_11target_archE1030ELNS1_3gpuE2ELNS1_3repE0EEENS1_30default_config_static_selectorELNS0_4arch9wavefront6targetE0EEEvST_: ; @_ZN7rocprim17ROCPRIM_400000_NS6detail17trampoline_kernelINS0_14default_configENS1_22reduce_config_selectorIiEEZNS1_11reduce_implILb1ES3_PiS7_iN6hipcub16HIPCUB_304000_NS6detail34convert_binary_result_type_wrapperINS9_3SumENS9_22TransformInputIteratorIbN2at6native12_GLOBAL__N_19NonZeroOpIN3c107complexIfEEEEPKSK_lEEiEEEE10hipError_tPvRmT1_T2_T3_mT4_P12ihipStream_tbEUlT_E0_NS1_11comp_targetILNS1_3genE8ELNS1_11target_archE1030ELNS1_3gpuE2ELNS1_3repE0EEENS1_30default_config_static_selectorELNS0_4arch9wavefront6targetE0EEEvST_
; %bb.0:
	.section	.rodata,"a",@progbits
	.p2align	6, 0x0
	.amdhsa_kernel _ZN7rocprim17ROCPRIM_400000_NS6detail17trampoline_kernelINS0_14default_configENS1_22reduce_config_selectorIiEEZNS1_11reduce_implILb1ES3_PiS7_iN6hipcub16HIPCUB_304000_NS6detail34convert_binary_result_type_wrapperINS9_3SumENS9_22TransformInputIteratorIbN2at6native12_GLOBAL__N_19NonZeroOpIN3c107complexIfEEEEPKSK_lEEiEEEE10hipError_tPvRmT1_T2_T3_mT4_P12ihipStream_tbEUlT_E0_NS1_11comp_targetILNS1_3genE8ELNS1_11target_archE1030ELNS1_3gpuE2ELNS1_3repE0EEENS1_30default_config_static_selectorELNS0_4arch9wavefront6targetE0EEEvST_
		.amdhsa_group_segment_fixed_size 0
		.amdhsa_private_segment_fixed_size 0
		.amdhsa_kernarg_size 56
		.amdhsa_user_sgpr_count 2
		.amdhsa_user_sgpr_dispatch_ptr 0
		.amdhsa_user_sgpr_queue_ptr 0
		.amdhsa_user_sgpr_kernarg_segment_ptr 1
		.amdhsa_user_sgpr_dispatch_id 0
		.amdhsa_user_sgpr_private_segment_size 0
		.amdhsa_wavefront_size32 1
		.amdhsa_uses_dynamic_stack 0
		.amdhsa_enable_private_segment 0
		.amdhsa_system_sgpr_workgroup_id_x 1
		.amdhsa_system_sgpr_workgroup_id_y 0
		.amdhsa_system_sgpr_workgroup_id_z 0
		.amdhsa_system_sgpr_workgroup_info 0
		.amdhsa_system_vgpr_workitem_id 0
		.amdhsa_next_free_vgpr 1
		.amdhsa_next_free_sgpr 1
		.amdhsa_reserve_vcc 0
		.amdhsa_float_round_mode_32 0
		.amdhsa_float_round_mode_16_64 0
		.amdhsa_float_denorm_mode_32 3
		.amdhsa_float_denorm_mode_16_64 3
		.amdhsa_fp16_overflow 0
		.amdhsa_workgroup_processor_mode 1
		.amdhsa_memory_ordered 1
		.amdhsa_forward_progress 1
		.amdhsa_inst_pref_size 0
		.amdhsa_round_robin_scheduling 0
		.amdhsa_exception_fp_ieee_invalid_op 0
		.amdhsa_exception_fp_denorm_src 0
		.amdhsa_exception_fp_ieee_div_zero 0
		.amdhsa_exception_fp_ieee_overflow 0
		.amdhsa_exception_fp_ieee_underflow 0
		.amdhsa_exception_fp_ieee_inexact 0
		.amdhsa_exception_int_div_zero 0
	.end_amdhsa_kernel
	.section	.text._ZN7rocprim17ROCPRIM_400000_NS6detail17trampoline_kernelINS0_14default_configENS1_22reduce_config_selectorIiEEZNS1_11reduce_implILb1ES3_PiS7_iN6hipcub16HIPCUB_304000_NS6detail34convert_binary_result_type_wrapperINS9_3SumENS9_22TransformInputIteratorIbN2at6native12_GLOBAL__N_19NonZeroOpIN3c107complexIfEEEEPKSK_lEEiEEEE10hipError_tPvRmT1_T2_T3_mT4_P12ihipStream_tbEUlT_E0_NS1_11comp_targetILNS1_3genE8ELNS1_11target_archE1030ELNS1_3gpuE2ELNS1_3repE0EEENS1_30default_config_static_selectorELNS0_4arch9wavefront6targetE0EEEvST_,"axG",@progbits,_ZN7rocprim17ROCPRIM_400000_NS6detail17trampoline_kernelINS0_14default_configENS1_22reduce_config_selectorIiEEZNS1_11reduce_implILb1ES3_PiS7_iN6hipcub16HIPCUB_304000_NS6detail34convert_binary_result_type_wrapperINS9_3SumENS9_22TransformInputIteratorIbN2at6native12_GLOBAL__N_19NonZeroOpIN3c107complexIfEEEEPKSK_lEEiEEEE10hipError_tPvRmT1_T2_T3_mT4_P12ihipStream_tbEUlT_E0_NS1_11comp_targetILNS1_3genE8ELNS1_11target_archE1030ELNS1_3gpuE2ELNS1_3repE0EEENS1_30default_config_static_selectorELNS0_4arch9wavefront6targetE0EEEvST_,comdat
.Lfunc_end566:
	.size	_ZN7rocprim17ROCPRIM_400000_NS6detail17trampoline_kernelINS0_14default_configENS1_22reduce_config_selectorIiEEZNS1_11reduce_implILb1ES3_PiS7_iN6hipcub16HIPCUB_304000_NS6detail34convert_binary_result_type_wrapperINS9_3SumENS9_22TransformInputIteratorIbN2at6native12_GLOBAL__N_19NonZeroOpIN3c107complexIfEEEEPKSK_lEEiEEEE10hipError_tPvRmT1_T2_T3_mT4_P12ihipStream_tbEUlT_E0_NS1_11comp_targetILNS1_3genE8ELNS1_11target_archE1030ELNS1_3gpuE2ELNS1_3repE0EEENS1_30default_config_static_selectorELNS0_4arch9wavefront6targetE0EEEvST_, .Lfunc_end566-_ZN7rocprim17ROCPRIM_400000_NS6detail17trampoline_kernelINS0_14default_configENS1_22reduce_config_selectorIiEEZNS1_11reduce_implILb1ES3_PiS7_iN6hipcub16HIPCUB_304000_NS6detail34convert_binary_result_type_wrapperINS9_3SumENS9_22TransformInputIteratorIbN2at6native12_GLOBAL__N_19NonZeroOpIN3c107complexIfEEEEPKSK_lEEiEEEE10hipError_tPvRmT1_T2_T3_mT4_P12ihipStream_tbEUlT_E0_NS1_11comp_targetILNS1_3genE8ELNS1_11target_archE1030ELNS1_3gpuE2ELNS1_3repE0EEENS1_30default_config_static_selectorELNS0_4arch9wavefront6targetE0EEEvST_
                                        ; -- End function
	.set _ZN7rocprim17ROCPRIM_400000_NS6detail17trampoline_kernelINS0_14default_configENS1_22reduce_config_selectorIiEEZNS1_11reduce_implILb1ES3_PiS7_iN6hipcub16HIPCUB_304000_NS6detail34convert_binary_result_type_wrapperINS9_3SumENS9_22TransformInputIteratorIbN2at6native12_GLOBAL__N_19NonZeroOpIN3c107complexIfEEEEPKSK_lEEiEEEE10hipError_tPvRmT1_T2_T3_mT4_P12ihipStream_tbEUlT_E0_NS1_11comp_targetILNS1_3genE8ELNS1_11target_archE1030ELNS1_3gpuE2ELNS1_3repE0EEENS1_30default_config_static_selectorELNS0_4arch9wavefront6targetE0EEEvST_.num_vgpr, 0
	.set _ZN7rocprim17ROCPRIM_400000_NS6detail17trampoline_kernelINS0_14default_configENS1_22reduce_config_selectorIiEEZNS1_11reduce_implILb1ES3_PiS7_iN6hipcub16HIPCUB_304000_NS6detail34convert_binary_result_type_wrapperINS9_3SumENS9_22TransformInputIteratorIbN2at6native12_GLOBAL__N_19NonZeroOpIN3c107complexIfEEEEPKSK_lEEiEEEE10hipError_tPvRmT1_T2_T3_mT4_P12ihipStream_tbEUlT_E0_NS1_11comp_targetILNS1_3genE8ELNS1_11target_archE1030ELNS1_3gpuE2ELNS1_3repE0EEENS1_30default_config_static_selectorELNS0_4arch9wavefront6targetE0EEEvST_.num_agpr, 0
	.set _ZN7rocprim17ROCPRIM_400000_NS6detail17trampoline_kernelINS0_14default_configENS1_22reduce_config_selectorIiEEZNS1_11reduce_implILb1ES3_PiS7_iN6hipcub16HIPCUB_304000_NS6detail34convert_binary_result_type_wrapperINS9_3SumENS9_22TransformInputIteratorIbN2at6native12_GLOBAL__N_19NonZeroOpIN3c107complexIfEEEEPKSK_lEEiEEEE10hipError_tPvRmT1_T2_T3_mT4_P12ihipStream_tbEUlT_E0_NS1_11comp_targetILNS1_3genE8ELNS1_11target_archE1030ELNS1_3gpuE2ELNS1_3repE0EEENS1_30default_config_static_selectorELNS0_4arch9wavefront6targetE0EEEvST_.numbered_sgpr, 0
	.set _ZN7rocprim17ROCPRIM_400000_NS6detail17trampoline_kernelINS0_14default_configENS1_22reduce_config_selectorIiEEZNS1_11reduce_implILb1ES3_PiS7_iN6hipcub16HIPCUB_304000_NS6detail34convert_binary_result_type_wrapperINS9_3SumENS9_22TransformInputIteratorIbN2at6native12_GLOBAL__N_19NonZeroOpIN3c107complexIfEEEEPKSK_lEEiEEEE10hipError_tPvRmT1_T2_T3_mT4_P12ihipStream_tbEUlT_E0_NS1_11comp_targetILNS1_3genE8ELNS1_11target_archE1030ELNS1_3gpuE2ELNS1_3repE0EEENS1_30default_config_static_selectorELNS0_4arch9wavefront6targetE0EEEvST_.num_named_barrier, 0
	.set _ZN7rocprim17ROCPRIM_400000_NS6detail17trampoline_kernelINS0_14default_configENS1_22reduce_config_selectorIiEEZNS1_11reduce_implILb1ES3_PiS7_iN6hipcub16HIPCUB_304000_NS6detail34convert_binary_result_type_wrapperINS9_3SumENS9_22TransformInputIteratorIbN2at6native12_GLOBAL__N_19NonZeroOpIN3c107complexIfEEEEPKSK_lEEiEEEE10hipError_tPvRmT1_T2_T3_mT4_P12ihipStream_tbEUlT_E0_NS1_11comp_targetILNS1_3genE8ELNS1_11target_archE1030ELNS1_3gpuE2ELNS1_3repE0EEENS1_30default_config_static_selectorELNS0_4arch9wavefront6targetE0EEEvST_.private_seg_size, 0
	.set _ZN7rocprim17ROCPRIM_400000_NS6detail17trampoline_kernelINS0_14default_configENS1_22reduce_config_selectorIiEEZNS1_11reduce_implILb1ES3_PiS7_iN6hipcub16HIPCUB_304000_NS6detail34convert_binary_result_type_wrapperINS9_3SumENS9_22TransformInputIteratorIbN2at6native12_GLOBAL__N_19NonZeroOpIN3c107complexIfEEEEPKSK_lEEiEEEE10hipError_tPvRmT1_T2_T3_mT4_P12ihipStream_tbEUlT_E0_NS1_11comp_targetILNS1_3genE8ELNS1_11target_archE1030ELNS1_3gpuE2ELNS1_3repE0EEENS1_30default_config_static_selectorELNS0_4arch9wavefront6targetE0EEEvST_.uses_vcc, 0
	.set _ZN7rocprim17ROCPRIM_400000_NS6detail17trampoline_kernelINS0_14default_configENS1_22reduce_config_selectorIiEEZNS1_11reduce_implILb1ES3_PiS7_iN6hipcub16HIPCUB_304000_NS6detail34convert_binary_result_type_wrapperINS9_3SumENS9_22TransformInputIteratorIbN2at6native12_GLOBAL__N_19NonZeroOpIN3c107complexIfEEEEPKSK_lEEiEEEE10hipError_tPvRmT1_T2_T3_mT4_P12ihipStream_tbEUlT_E0_NS1_11comp_targetILNS1_3genE8ELNS1_11target_archE1030ELNS1_3gpuE2ELNS1_3repE0EEENS1_30default_config_static_selectorELNS0_4arch9wavefront6targetE0EEEvST_.uses_flat_scratch, 0
	.set _ZN7rocprim17ROCPRIM_400000_NS6detail17trampoline_kernelINS0_14default_configENS1_22reduce_config_selectorIiEEZNS1_11reduce_implILb1ES3_PiS7_iN6hipcub16HIPCUB_304000_NS6detail34convert_binary_result_type_wrapperINS9_3SumENS9_22TransformInputIteratorIbN2at6native12_GLOBAL__N_19NonZeroOpIN3c107complexIfEEEEPKSK_lEEiEEEE10hipError_tPvRmT1_T2_T3_mT4_P12ihipStream_tbEUlT_E0_NS1_11comp_targetILNS1_3genE8ELNS1_11target_archE1030ELNS1_3gpuE2ELNS1_3repE0EEENS1_30default_config_static_selectorELNS0_4arch9wavefront6targetE0EEEvST_.has_dyn_sized_stack, 0
	.set _ZN7rocprim17ROCPRIM_400000_NS6detail17trampoline_kernelINS0_14default_configENS1_22reduce_config_selectorIiEEZNS1_11reduce_implILb1ES3_PiS7_iN6hipcub16HIPCUB_304000_NS6detail34convert_binary_result_type_wrapperINS9_3SumENS9_22TransformInputIteratorIbN2at6native12_GLOBAL__N_19NonZeroOpIN3c107complexIfEEEEPKSK_lEEiEEEE10hipError_tPvRmT1_T2_T3_mT4_P12ihipStream_tbEUlT_E0_NS1_11comp_targetILNS1_3genE8ELNS1_11target_archE1030ELNS1_3gpuE2ELNS1_3repE0EEENS1_30default_config_static_selectorELNS0_4arch9wavefront6targetE0EEEvST_.has_recursion, 0
	.set _ZN7rocprim17ROCPRIM_400000_NS6detail17trampoline_kernelINS0_14default_configENS1_22reduce_config_selectorIiEEZNS1_11reduce_implILb1ES3_PiS7_iN6hipcub16HIPCUB_304000_NS6detail34convert_binary_result_type_wrapperINS9_3SumENS9_22TransformInputIteratorIbN2at6native12_GLOBAL__N_19NonZeroOpIN3c107complexIfEEEEPKSK_lEEiEEEE10hipError_tPvRmT1_T2_T3_mT4_P12ihipStream_tbEUlT_E0_NS1_11comp_targetILNS1_3genE8ELNS1_11target_archE1030ELNS1_3gpuE2ELNS1_3repE0EEENS1_30default_config_static_selectorELNS0_4arch9wavefront6targetE0EEEvST_.has_indirect_call, 0
	.section	.AMDGPU.csdata,"",@progbits
; Kernel info:
; codeLenInByte = 0
; TotalNumSgprs: 0
; NumVgprs: 0
; ScratchSize: 0
; MemoryBound: 0
; FloatMode: 240
; IeeeMode: 1
; LDSByteSize: 0 bytes/workgroup (compile time only)
; SGPRBlocks: 0
; VGPRBlocks: 0
; NumSGPRsForWavesPerEU: 1
; NumVGPRsForWavesPerEU: 1
; Occupancy: 16
; WaveLimiterHint : 0
; COMPUTE_PGM_RSRC2:SCRATCH_EN: 0
; COMPUTE_PGM_RSRC2:USER_SGPR: 2
; COMPUTE_PGM_RSRC2:TRAP_HANDLER: 0
; COMPUTE_PGM_RSRC2:TGID_X_EN: 1
; COMPUTE_PGM_RSRC2:TGID_Y_EN: 0
; COMPUTE_PGM_RSRC2:TGID_Z_EN: 0
; COMPUTE_PGM_RSRC2:TIDIG_COMP_CNT: 0
	.section	.text._ZN7rocprim17ROCPRIM_400000_NS6detail17trampoline_kernelINS0_14default_configENS1_22reduce_config_selectorIiEEZNS1_11reduce_implILb1ES3_PiS7_iN6hipcub16HIPCUB_304000_NS6detail34convert_binary_result_type_wrapperINS9_3SumENS9_22TransformInputIteratorIbN2at6native12_GLOBAL__N_19NonZeroOpIN3c107complexIfEEEEPKSK_lEEiEEEE10hipError_tPvRmT1_T2_T3_mT4_P12ihipStream_tbEUlT_E1_NS1_11comp_targetILNS1_3genE0ELNS1_11target_archE4294967295ELNS1_3gpuE0ELNS1_3repE0EEENS1_30default_config_static_selectorELNS0_4arch9wavefront6targetE0EEEvST_,"axG",@progbits,_ZN7rocprim17ROCPRIM_400000_NS6detail17trampoline_kernelINS0_14default_configENS1_22reduce_config_selectorIiEEZNS1_11reduce_implILb1ES3_PiS7_iN6hipcub16HIPCUB_304000_NS6detail34convert_binary_result_type_wrapperINS9_3SumENS9_22TransformInputIteratorIbN2at6native12_GLOBAL__N_19NonZeroOpIN3c107complexIfEEEEPKSK_lEEiEEEE10hipError_tPvRmT1_T2_T3_mT4_P12ihipStream_tbEUlT_E1_NS1_11comp_targetILNS1_3genE0ELNS1_11target_archE4294967295ELNS1_3gpuE0ELNS1_3repE0EEENS1_30default_config_static_selectorELNS0_4arch9wavefront6targetE0EEEvST_,comdat
	.globl	_ZN7rocprim17ROCPRIM_400000_NS6detail17trampoline_kernelINS0_14default_configENS1_22reduce_config_selectorIiEEZNS1_11reduce_implILb1ES3_PiS7_iN6hipcub16HIPCUB_304000_NS6detail34convert_binary_result_type_wrapperINS9_3SumENS9_22TransformInputIteratorIbN2at6native12_GLOBAL__N_19NonZeroOpIN3c107complexIfEEEEPKSK_lEEiEEEE10hipError_tPvRmT1_T2_T3_mT4_P12ihipStream_tbEUlT_E1_NS1_11comp_targetILNS1_3genE0ELNS1_11target_archE4294967295ELNS1_3gpuE0ELNS1_3repE0EEENS1_30default_config_static_selectorELNS0_4arch9wavefront6targetE0EEEvST_ ; -- Begin function _ZN7rocprim17ROCPRIM_400000_NS6detail17trampoline_kernelINS0_14default_configENS1_22reduce_config_selectorIiEEZNS1_11reduce_implILb1ES3_PiS7_iN6hipcub16HIPCUB_304000_NS6detail34convert_binary_result_type_wrapperINS9_3SumENS9_22TransformInputIteratorIbN2at6native12_GLOBAL__N_19NonZeroOpIN3c107complexIfEEEEPKSK_lEEiEEEE10hipError_tPvRmT1_T2_T3_mT4_P12ihipStream_tbEUlT_E1_NS1_11comp_targetILNS1_3genE0ELNS1_11target_archE4294967295ELNS1_3gpuE0ELNS1_3repE0EEENS1_30default_config_static_selectorELNS0_4arch9wavefront6targetE0EEEvST_
	.p2align	8
	.type	_ZN7rocprim17ROCPRIM_400000_NS6detail17trampoline_kernelINS0_14default_configENS1_22reduce_config_selectorIiEEZNS1_11reduce_implILb1ES3_PiS7_iN6hipcub16HIPCUB_304000_NS6detail34convert_binary_result_type_wrapperINS9_3SumENS9_22TransformInputIteratorIbN2at6native12_GLOBAL__N_19NonZeroOpIN3c107complexIfEEEEPKSK_lEEiEEEE10hipError_tPvRmT1_T2_T3_mT4_P12ihipStream_tbEUlT_E1_NS1_11comp_targetILNS1_3genE0ELNS1_11target_archE4294967295ELNS1_3gpuE0ELNS1_3repE0EEENS1_30default_config_static_selectorELNS0_4arch9wavefront6targetE0EEEvST_,@function
_ZN7rocprim17ROCPRIM_400000_NS6detail17trampoline_kernelINS0_14default_configENS1_22reduce_config_selectorIiEEZNS1_11reduce_implILb1ES3_PiS7_iN6hipcub16HIPCUB_304000_NS6detail34convert_binary_result_type_wrapperINS9_3SumENS9_22TransformInputIteratorIbN2at6native12_GLOBAL__N_19NonZeroOpIN3c107complexIfEEEEPKSK_lEEiEEEE10hipError_tPvRmT1_T2_T3_mT4_P12ihipStream_tbEUlT_E1_NS1_11comp_targetILNS1_3genE0ELNS1_11target_archE4294967295ELNS1_3gpuE0ELNS1_3repE0EEENS1_30default_config_static_selectorELNS0_4arch9wavefront6targetE0EEEvST_: ; @_ZN7rocprim17ROCPRIM_400000_NS6detail17trampoline_kernelINS0_14default_configENS1_22reduce_config_selectorIiEEZNS1_11reduce_implILb1ES3_PiS7_iN6hipcub16HIPCUB_304000_NS6detail34convert_binary_result_type_wrapperINS9_3SumENS9_22TransformInputIteratorIbN2at6native12_GLOBAL__N_19NonZeroOpIN3c107complexIfEEEEPKSK_lEEiEEEE10hipError_tPvRmT1_T2_T3_mT4_P12ihipStream_tbEUlT_E1_NS1_11comp_targetILNS1_3genE0ELNS1_11target_archE4294967295ELNS1_3gpuE0ELNS1_3repE0EEENS1_30default_config_static_selectorELNS0_4arch9wavefront6targetE0EEEvST_
; %bb.0:
	.section	.rodata,"a",@progbits
	.p2align	6, 0x0
	.amdhsa_kernel _ZN7rocprim17ROCPRIM_400000_NS6detail17trampoline_kernelINS0_14default_configENS1_22reduce_config_selectorIiEEZNS1_11reduce_implILb1ES3_PiS7_iN6hipcub16HIPCUB_304000_NS6detail34convert_binary_result_type_wrapperINS9_3SumENS9_22TransformInputIteratorIbN2at6native12_GLOBAL__N_19NonZeroOpIN3c107complexIfEEEEPKSK_lEEiEEEE10hipError_tPvRmT1_T2_T3_mT4_P12ihipStream_tbEUlT_E1_NS1_11comp_targetILNS1_3genE0ELNS1_11target_archE4294967295ELNS1_3gpuE0ELNS1_3repE0EEENS1_30default_config_static_selectorELNS0_4arch9wavefront6targetE0EEEvST_
		.amdhsa_group_segment_fixed_size 0
		.amdhsa_private_segment_fixed_size 0
		.amdhsa_kernarg_size 40
		.amdhsa_user_sgpr_count 2
		.amdhsa_user_sgpr_dispatch_ptr 0
		.amdhsa_user_sgpr_queue_ptr 0
		.amdhsa_user_sgpr_kernarg_segment_ptr 1
		.amdhsa_user_sgpr_dispatch_id 0
		.amdhsa_user_sgpr_private_segment_size 0
		.amdhsa_wavefront_size32 1
		.amdhsa_uses_dynamic_stack 0
		.amdhsa_enable_private_segment 0
		.amdhsa_system_sgpr_workgroup_id_x 1
		.amdhsa_system_sgpr_workgroup_id_y 0
		.amdhsa_system_sgpr_workgroup_id_z 0
		.amdhsa_system_sgpr_workgroup_info 0
		.amdhsa_system_vgpr_workitem_id 0
		.amdhsa_next_free_vgpr 1
		.amdhsa_next_free_sgpr 1
		.amdhsa_reserve_vcc 0
		.amdhsa_float_round_mode_32 0
		.amdhsa_float_round_mode_16_64 0
		.amdhsa_float_denorm_mode_32 3
		.amdhsa_float_denorm_mode_16_64 3
		.amdhsa_fp16_overflow 0
		.amdhsa_workgroup_processor_mode 1
		.amdhsa_memory_ordered 1
		.amdhsa_forward_progress 1
		.amdhsa_inst_pref_size 0
		.amdhsa_round_robin_scheduling 0
		.amdhsa_exception_fp_ieee_invalid_op 0
		.amdhsa_exception_fp_denorm_src 0
		.amdhsa_exception_fp_ieee_div_zero 0
		.amdhsa_exception_fp_ieee_overflow 0
		.amdhsa_exception_fp_ieee_underflow 0
		.amdhsa_exception_fp_ieee_inexact 0
		.amdhsa_exception_int_div_zero 0
	.end_amdhsa_kernel
	.section	.text._ZN7rocprim17ROCPRIM_400000_NS6detail17trampoline_kernelINS0_14default_configENS1_22reduce_config_selectorIiEEZNS1_11reduce_implILb1ES3_PiS7_iN6hipcub16HIPCUB_304000_NS6detail34convert_binary_result_type_wrapperINS9_3SumENS9_22TransformInputIteratorIbN2at6native12_GLOBAL__N_19NonZeroOpIN3c107complexIfEEEEPKSK_lEEiEEEE10hipError_tPvRmT1_T2_T3_mT4_P12ihipStream_tbEUlT_E1_NS1_11comp_targetILNS1_3genE0ELNS1_11target_archE4294967295ELNS1_3gpuE0ELNS1_3repE0EEENS1_30default_config_static_selectorELNS0_4arch9wavefront6targetE0EEEvST_,"axG",@progbits,_ZN7rocprim17ROCPRIM_400000_NS6detail17trampoline_kernelINS0_14default_configENS1_22reduce_config_selectorIiEEZNS1_11reduce_implILb1ES3_PiS7_iN6hipcub16HIPCUB_304000_NS6detail34convert_binary_result_type_wrapperINS9_3SumENS9_22TransformInputIteratorIbN2at6native12_GLOBAL__N_19NonZeroOpIN3c107complexIfEEEEPKSK_lEEiEEEE10hipError_tPvRmT1_T2_T3_mT4_P12ihipStream_tbEUlT_E1_NS1_11comp_targetILNS1_3genE0ELNS1_11target_archE4294967295ELNS1_3gpuE0ELNS1_3repE0EEENS1_30default_config_static_selectorELNS0_4arch9wavefront6targetE0EEEvST_,comdat
.Lfunc_end567:
	.size	_ZN7rocprim17ROCPRIM_400000_NS6detail17trampoline_kernelINS0_14default_configENS1_22reduce_config_selectorIiEEZNS1_11reduce_implILb1ES3_PiS7_iN6hipcub16HIPCUB_304000_NS6detail34convert_binary_result_type_wrapperINS9_3SumENS9_22TransformInputIteratorIbN2at6native12_GLOBAL__N_19NonZeroOpIN3c107complexIfEEEEPKSK_lEEiEEEE10hipError_tPvRmT1_T2_T3_mT4_P12ihipStream_tbEUlT_E1_NS1_11comp_targetILNS1_3genE0ELNS1_11target_archE4294967295ELNS1_3gpuE0ELNS1_3repE0EEENS1_30default_config_static_selectorELNS0_4arch9wavefront6targetE0EEEvST_, .Lfunc_end567-_ZN7rocprim17ROCPRIM_400000_NS6detail17trampoline_kernelINS0_14default_configENS1_22reduce_config_selectorIiEEZNS1_11reduce_implILb1ES3_PiS7_iN6hipcub16HIPCUB_304000_NS6detail34convert_binary_result_type_wrapperINS9_3SumENS9_22TransformInputIteratorIbN2at6native12_GLOBAL__N_19NonZeroOpIN3c107complexIfEEEEPKSK_lEEiEEEE10hipError_tPvRmT1_T2_T3_mT4_P12ihipStream_tbEUlT_E1_NS1_11comp_targetILNS1_3genE0ELNS1_11target_archE4294967295ELNS1_3gpuE0ELNS1_3repE0EEENS1_30default_config_static_selectorELNS0_4arch9wavefront6targetE0EEEvST_
                                        ; -- End function
	.set _ZN7rocprim17ROCPRIM_400000_NS6detail17trampoline_kernelINS0_14default_configENS1_22reduce_config_selectorIiEEZNS1_11reduce_implILb1ES3_PiS7_iN6hipcub16HIPCUB_304000_NS6detail34convert_binary_result_type_wrapperINS9_3SumENS9_22TransformInputIteratorIbN2at6native12_GLOBAL__N_19NonZeroOpIN3c107complexIfEEEEPKSK_lEEiEEEE10hipError_tPvRmT1_T2_T3_mT4_P12ihipStream_tbEUlT_E1_NS1_11comp_targetILNS1_3genE0ELNS1_11target_archE4294967295ELNS1_3gpuE0ELNS1_3repE0EEENS1_30default_config_static_selectorELNS0_4arch9wavefront6targetE0EEEvST_.num_vgpr, 0
	.set _ZN7rocprim17ROCPRIM_400000_NS6detail17trampoline_kernelINS0_14default_configENS1_22reduce_config_selectorIiEEZNS1_11reduce_implILb1ES3_PiS7_iN6hipcub16HIPCUB_304000_NS6detail34convert_binary_result_type_wrapperINS9_3SumENS9_22TransformInputIteratorIbN2at6native12_GLOBAL__N_19NonZeroOpIN3c107complexIfEEEEPKSK_lEEiEEEE10hipError_tPvRmT1_T2_T3_mT4_P12ihipStream_tbEUlT_E1_NS1_11comp_targetILNS1_3genE0ELNS1_11target_archE4294967295ELNS1_3gpuE0ELNS1_3repE0EEENS1_30default_config_static_selectorELNS0_4arch9wavefront6targetE0EEEvST_.num_agpr, 0
	.set _ZN7rocprim17ROCPRIM_400000_NS6detail17trampoline_kernelINS0_14default_configENS1_22reduce_config_selectorIiEEZNS1_11reduce_implILb1ES3_PiS7_iN6hipcub16HIPCUB_304000_NS6detail34convert_binary_result_type_wrapperINS9_3SumENS9_22TransformInputIteratorIbN2at6native12_GLOBAL__N_19NonZeroOpIN3c107complexIfEEEEPKSK_lEEiEEEE10hipError_tPvRmT1_T2_T3_mT4_P12ihipStream_tbEUlT_E1_NS1_11comp_targetILNS1_3genE0ELNS1_11target_archE4294967295ELNS1_3gpuE0ELNS1_3repE0EEENS1_30default_config_static_selectorELNS0_4arch9wavefront6targetE0EEEvST_.numbered_sgpr, 0
	.set _ZN7rocprim17ROCPRIM_400000_NS6detail17trampoline_kernelINS0_14default_configENS1_22reduce_config_selectorIiEEZNS1_11reduce_implILb1ES3_PiS7_iN6hipcub16HIPCUB_304000_NS6detail34convert_binary_result_type_wrapperINS9_3SumENS9_22TransformInputIteratorIbN2at6native12_GLOBAL__N_19NonZeroOpIN3c107complexIfEEEEPKSK_lEEiEEEE10hipError_tPvRmT1_T2_T3_mT4_P12ihipStream_tbEUlT_E1_NS1_11comp_targetILNS1_3genE0ELNS1_11target_archE4294967295ELNS1_3gpuE0ELNS1_3repE0EEENS1_30default_config_static_selectorELNS0_4arch9wavefront6targetE0EEEvST_.num_named_barrier, 0
	.set _ZN7rocprim17ROCPRIM_400000_NS6detail17trampoline_kernelINS0_14default_configENS1_22reduce_config_selectorIiEEZNS1_11reduce_implILb1ES3_PiS7_iN6hipcub16HIPCUB_304000_NS6detail34convert_binary_result_type_wrapperINS9_3SumENS9_22TransformInputIteratorIbN2at6native12_GLOBAL__N_19NonZeroOpIN3c107complexIfEEEEPKSK_lEEiEEEE10hipError_tPvRmT1_T2_T3_mT4_P12ihipStream_tbEUlT_E1_NS1_11comp_targetILNS1_3genE0ELNS1_11target_archE4294967295ELNS1_3gpuE0ELNS1_3repE0EEENS1_30default_config_static_selectorELNS0_4arch9wavefront6targetE0EEEvST_.private_seg_size, 0
	.set _ZN7rocprim17ROCPRIM_400000_NS6detail17trampoline_kernelINS0_14default_configENS1_22reduce_config_selectorIiEEZNS1_11reduce_implILb1ES3_PiS7_iN6hipcub16HIPCUB_304000_NS6detail34convert_binary_result_type_wrapperINS9_3SumENS9_22TransformInputIteratorIbN2at6native12_GLOBAL__N_19NonZeroOpIN3c107complexIfEEEEPKSK_lEEiEEEE10hipError_tPvRmT1_T2_T3_mT4_P12ihipStream_tbEUlT_E1_NS1_11comp_targetILNS1_3genE0ELNS1_11target_archE4294967295ELNS1_3gpuE0ELNS1_3repE0EEENS1_30default_config_static_selectorELNS0_4arch9wavefront6targetE0EEEvST_.uses_vcc, 0
	.set _ZN7rocprim17ROCPRIM_400000_NS6detail17trampoline_kernelINS0_14default_configENS1_22reduce_config_selectorIiEEZNS1_11reduce_implILb1ES3_PiS7_iN6hipcub16HIPCUB_304000_NS6detail34convert_binary_result_type_wrapperINS9_3SumENS9_22TransformInputIteratorIbN2at6native12_GLOBAL__N_19NonZeroOpIN3c107complexIfEEEEPKSK_lEEiEEEE10hipError_tPvRmT1_T2_T3_mT4_P12ihipStream_tbEUlT_E1_NS1_11comp_targetILNS1_3genE0ELNS1_11target_archE4294967295ELNS1_3gpuE0ELNS1_3repE0EEENS1_30default_config_static_selectorELNS0_4arch9wavefront6targetE0EEEvST_.uses_flat_scratch, 0
	.set _ZN7rocprim17ROCPRIM_400000_NS6detail17trampoline_kernelINS0_14default_configENS1_22reduce_config_selectorIiEEZNS1_11reduce_implILb1ES3_PiS7_iN6hipcub16HIPCUB_304000_NS6detail34convert_binary_result_type_wrapperINS9_3SumENS9_22TransformInputIteratorIbN2at6native12_GLOBAL__N_19NonZeroOpIN3c107complexIfEEEEPKSK_lEEiEEEE10hipError_tPvRmT1_T2_T3_mT4_P12ihipStream_tbEUlT_E1_NS1_11comp_targetILNS1_3genE0ELNS1_11target_archE4294967295ELNS1_3gpuE0ELNS1_3repE0EEENS1_30default_config_static_selectorELNS0_4arch9wavefront6targetE0EEEvST_.has_dyn_sized_stack, 0
	.set _ZN7rocprim17ROCPRIM_400000_NS6detail17trampoline_kernelINS0_14default_configENS1_22reduce_config_selectorIiEEZNS1_11reduce_implILb1ES3_PiS7_iN6hipcub16HIPCUB_304000_NS6detail34convert_binary_result_type_wrapperINS9_3SumENS9_22TransformInputIteratorIbN2at6native12_GLOBAL__N_19NonZeroOpIN3c107complexIfEEEEPKSK_lEEiEEEE10hipError_tPvRmT1_T2_T3_mT4_P12ihipStream_tbEUlT_E1_NS1_11comp_targetILNS1_3genE0ELNS1_11target_archE4294967295ELNS1_3gpuE0ELNS1_3repE0EEENS1_30default_config_static_selectorELNS0_4arch9wavefront6targetE0EEEvST_.has_recursion, 0
	.set _ZN7rocprim17ROCPRIM_400000_NS6detail17trampoline_kernelINS0_14default_configENS1_22reduce_config_selectorIiEEZNS1_11reduce_implILb1ES3_PiS7_iN6hipcub16HIPCUB_304000_NS6detail34convert_binary_result_type_wrapperINS9_3SumENS9_22TransformInputIteratorIbN2at6native12_GLOBAL__N_19NonZeroOpIN3c107complexIfEEEEPKSK_lEEiEEEE10hipError_tPvRmT1_T2_T3_mT4_P12ihipStream_tbEUlT_E1_NS1_11comp_targetILNS1_3genE0ELNS1_11target_archE4294967295ELNS1_3gpuE0ELNS1_3repE0EEENS1_30default_config_static_selectorELNS0_4arch9wavefront6targetE0EEEvST_.has_indirect_call, 0
	.section	.AMDGPU.csdata,"",@progbits
; Kernel info:
; codeLenInByte = 0
; TotalNumSgprs: 0
; NumVgprs: 0
; ScratchSize: 0
; MemoryBound: 0
; FloatMode: 240
; IeeeMode: 1
; LDSByteSize: 0 bytes/workgroup (compile time only)
; SGPRBlocks: 0
; VGPRBlocks: 0
; NumSGPRsForWavesPerEU: 1
; NumVGPRsForWavesPerEU: 1
; Occupancy: 16
; WaveLimiterHint : 0
; COMPUTE_PGM_RSRC2:SCRATCH_EN: 0
; COMPUTE_PGM_RSRC2:USER_SGPR: 2
; COMPUTE_PGM_RSRC2:TRAP_HANDLER: 0
; COMPUTE_PGM_RSRC2:TGID_X_EN: 1
; COMPUTE_PGM_RSRC2:TGID_Y_EN: 0
; COMPUTE_PGM_RSRC2:TGID_Z_EN: 0
; COMPUTE_PGM_RSRC2:TIDIG_COMP_CNT: 0
	.section	.text._ZN7rocprim17ROCPRIM_400000_NS6detail17trampoline_kernelINS0_14default_configENS1_22reduce_config_selectorIiEEZNS1_11reduce_implILb1ES3_PiS7_iN6hipcub16HIPCUB_304000_NS6detail34convert_binary_result_type_wrapperINS9_3SumENS9_22TransformInputIteratorIbN2at6native12_GLOBAL__N_19NonZeroOpIN3c107complexIfEEEEPKSK_lEEiEEEE10hipError_tPvRmT1_T2_T3_mT4_P12ihipStream_tbEUlT_E1_NS1_11comp_targetILNS1_3genE5ELNS1_11target_archE942ELNS1_3gpuE9ELNS1_3repE0EEENS1_30default_config_static_selectorELNS0_4arch9wavefront6targetE0EEEvST_,"axG",@progbits,_ZN7rocprim17ROCPRIM_400000_NS6detail17trampoline_kernelINS0_14default_configENS1_22reduce_config_selectorIiEEZNS1_11reduce_implILb1ES3_PiS7_iN6hipcub16HIPCUB_304000_NS6detail34convert_binary_result_type_wrapperINS9_3SumENS9_22TransformInputIteratorIbN2at6native12_GLOBAL__N_19NonZeroOpIN3c107complexIfEEEEPKSK_lEEiEEEE10hipError_tPvRmT1_T2_T3_mT4_P12ihipStream_tbEUlT_E1_NS1_11comp_targetILNS1_3genE5ELNS1_11target_archE942ELNS1_3gpuE9ELNS1_3repE0EEENS1_30default_config_static_selectorELNS0_4arch9wavefront6targetE0EEEvST_,comdat
	.globl	_ZN7rocprim17ROCPRIM_400000_NS6detail17trampoline_kernelINS0_14default_configENS1_22reduce_config_selectorIiEEZNS1_11reduce_implILb1ES3_PiS7_iN6hipcub16HIPCUB_304000_NS6detail34convert_binary_result_type_wrapperINS9_3SumENS9_22TransformInputIteratorIbN2at6native12_GLOBAL__N_19NonZeroOpIN3c107complexIfEEEEPKSK_lEEiEEEE10hipError_tPvRmT1_T2_T3_mT4_P12ihipStream_tbEUlT_E1_NS1_11comp_targetILNS1_3genE5ELNS1_11target_archE942ELNS1_3gpuE9ELNS1_3repE0EEENS1_30default_config_static_selectorELNS0_4arch9wavefront6targetE0EEEvST_ ; -- Begin function _ZN7rocprim17ROCPRIM_400000_NS6detail17trampoline_kernelINS0_14default_configENS1_22reduce_config_selectorIiEEZNS1_11reduce_implILb1ES3_PiS7_iN6hipcub16HIPCUB_304000_NS6detail34convert_binary_result_type_wrapperINS9_3SumENS9_22TransformInputIteratorIbN2at6native12_GLOBAL__N_19NonZeroOpIN3c107complexIfEEEEPKSK_lEEiEEEE10hipError_tPvRmT1_T2_T3_mT4_P12ihipStream_tbEUlT_E1_NS1_11comp_targetILNS1_3genE5ELNS1_11target_archE942ELNS1_3gpuE9ELNS1_3repE0EEENS1_30default_config_static_selectorELNS0_4arch9wavefront6targetE0EEEvST_
	.p2align	8
	.type	_ZN7rocprim17ROCPRIM_400000_NS6detail17trampoline_kernelINS0_14default_configENS1_22reduce_config_selectorIiEEZNS1_11reduce_implILb1ES3_PiS7_iN6hipcub16HIPCUB_304000_NS6detail34convert_binary_result_type_wrapperINS9_3SumENS9_22TransformInputIteratorIbN2at6native12_GLOBAL__N_19NonZeroOpIN3c107complexIfEEEEPKSK_lEEiEEEE10hipError_tPvRmT1_T2_T3_mT4_P12ihipStream_tbEUlT_E1_NS1_11comp_targetILNS1_3genE5ELNS1_11target_archE942ELNS1_3gpuE9ELNS1_3repE0EEENS1_30default_config_static_selectorELNS0_4arch9wavefront6targetE0EEEvST_,@function
_ZN7rocprim17ROCPRIM_400000_NS6detail17trampoline_kernelINS0_14default_configENS1_22reduce_config_selectorIiEEZNS1_11reduce_implILb1ES3_PiS7_iN6hipcub16HIPCUB_304000_NS6detail34convert_binary_result_type_wrapperINS9_3SumENS9_22TransformInputIteratorIbN2at6native12_GLOBAL__N_19NonZeroOpIN3c107complexIfEEEEPKSK_lEEiEEEE10hipError_tPvRmT1_T2_T3_mT4_P12ihipStream_tbEUlT_E1_NS1_11comp_targetILNS1_3genE5ELNS1_11target_archE942ELNS1_3gpuE9ELNS1_3repE0EEENS1_30default_config_static_selectorELNS0_4arch9wavefront6targetE0EEEvST_: ; @_ZN7rocprim17ROCPRIM_400000_NS6detail17trampoline_kernelINS0_14default_configENS1_22reduce_config_selectorIiEEZNS1_11reduce_implILb1ES3_PiS7_iN6hipcub16HIPCUB_304000_NS6detail34convert_binary_result_type_wrapperINS9_3SumENS9_22TransformInputIteratorIbN2at6native12_GLOBAL__N_19NonZeroOpIN3c107complexIfEEEEPKSK_lEEiEEEE10hipError_tPvRmT1_T2_T3_mT4_P12ihipStream_tbEUlT_E1_NS1_11comp_targetILNS1_3genE5ELNS1_11target_archE942ELNS1_3gpuE9ELNS1_3repE0EEENS1_30default_config_static_selectorELNS0_4arch9wavefront6targetE0EEEvST_
; %bb.0:
	.section	.rodata,"a",@progbits
	.p2align	6, 0x0
	.amdhsa_kernel _ZN7rocprim17ROCPRIM_400000_NS6detail17trampoline_kernelINS0_14default_configENS1_22reduce_config_selectorIiEEZNS1_11reduce_implILb1ES3_PiS7_iN6hipcub16HIPCUB_304000_NS6detail34convert_binary_result_type_wrapperINS9_3SumENS9_22TransformInputIteratorIbN2at6native12_GLOBAL__N_19NonZeroOpIN3c107complexIfEEEEPKSK_lEEiEEEE10hipError_tPvRmT1_T2_T3_mT4_P12ihipStream_tbEUlT_E1_NS1_11comp_targetILNS1_3genE5ELNS1_11target_archE942ELNS1_3gpuE9ELNS1_3repE0EEENS1_30default_config_static_selectorELNS0_4arch9wavefront6targetE0EEEvST_
		.amdhsa_group_segment_fixed_size 0
		.amdhsa_private_segment_fixed_size 0
		.amdhsa_kernarg_size 40
		.amdhsa_user_sgpr_count 2
		.amdhsa_user_sgpr_dispatch_ptr 0
		.amdhsa_user_sgpr_queue_ptr 0
		.amdhsa_user_sgpr_kernarg_segment_ptr 1
		.amdhsa_user_sgpr_dispatch_id 0
		.amdhsa_user_sgpr_private_segment_size 0
		.amdhsa_wavefront_size32 1
		.amdhsa_uses_dynamic_stack 0
		.amdhsa_enable_private_segment 0
		.amdhsa_system_sgpr_workgroup_id_x 1
		.amdhsa_system_sgpr_workgroup_id_y 0
		.amdhsa_system_sgpr_workgroup_id_z 0
		.amdhsa_system_sgpr_workgroup_info 0
		.amdhsa_system_vgpr_workitem_id 0
		.amdhsa_next_free_vgpr 1
		.amdhsa_next_free_sgpr 1
		.amdhsa_reserve_vcc 0
		.amdhsa_float_round_mode_32 0
		.amdhsa_float_round_mode_16_64 0
		.amdhsa_float_denorm_mode_32 3
		.amdhsa_float_denorm_mode_16_64 3
		.amdhsa_fp16_overflow 0
		.amdhsa_workgroup_processor_mode 1
		.amdhsa_memory_ordered 1
		.amdhsa_forward_progress 1
		.amdhsa_inst_pref_size 0
		.amdhsa_round_robin_scheduling 0
		.amdhsa_exception_fp_ieee_invalid_op 0
		.amdhsa_exception_fp_denorm_src 0
		.amdhsa_exception_fp_ieee_div_zero 0
		.amdhsa_exception_fp_ieee_overflow 0
		.amdhsa_exception_fp_ieee_underflow 0
		.amdhsa_exception_fp_ieee_inexact 0
		.amdhsa_exception_int_div_zero 0
	.end_amdhsa_kernel
	.section	.text._ZN7rocprim17ROCPRIM_400000_NS6detail17trampoline_kernelINS0_14default_configENS1_22reduce_config_selectorIiEEZNS1_11reduce_implILb1ES3_PiS7_iN6hipcub16HIPCUB_304000_NS6detail34convert_binary_result_type_wrapperINS9_3SumENS9_22TransformInputIteratorIbN2at6native12_GLOBAL__N_19NonZeroOpIN3c107complexIfEEEEPKSK_lEEiEEEE10hipError_tPvRmT1_T2_T3_mT4_P12ihipStream_tbEUlT_E1_NS1_11comp_targetILNS1_3genE5ELNS1_11target_archE942ELNS1_3gpuE9ELNS1_3repE0EEENS1_30default_config_static_selectorELNS0_4arch9wavefront6targetE0EEEvST_,"axG",@progbits,_ZN7rocprim17ROCPRIM_400000_NS6detail17trampoline_kernelINS0_14default_configENS1_22reduce_config_selectorIiEEZNS1_11reduce_implILb1ES3_PiS7_iN6hipcub16HIPCUB_304000_NS6detail34convert_binary_result_type_wrapperINS9_3SumENS9_22TransformInputIteratorIbN2at6native12_GLOBAL__N_19NonZeroOpIN3c107complexIfEEEEPKSK_lEEiEEEE10hipError_tPvRmT1_T2_T3_mT4_P12ihipStream_tbEUlT_E1_NS1_11comp_targetILNS1_3genE5ELNS1_11target_archE942ELNS1_3gpuE9ELNS1_3repE0EEENS1_30default_config_static_selectorELNS0_4arch9wavefront6targetE0EEEvST_,comdat
.Lfunc_end568:
	.size	_ZN7rocprim17ROCPRIM_400000_NS6detail17trampoline_kernelINS0_14default_configENS1_22reduce_config_selectorIiEEZNS1_11reduce_implILb1ES3_PiS7_iN6hipcub16HIPCUB_304000_NS6detail34convert_binary_result_type_wrapperINS9_3SumENS9_22TransformInputIteratorIbN2at6native12_GLOBAL__N_19NonZeroOpIN3c107complexIfEEEEPKSK_lEEiEEEE10hipError_tPvRmT1_T2_T3_mT4_P12ihipStream_tbEUlT_E1_NS1_11comp_targetILNS1_3genE5ELNS1_11target_archE942ELNS1_3gpuE9ELNS1_3repE0EEENS1_30default_config_static_selectorELNS0_4arch9wavefront6targetE0EEEvST_, .Lfunc_end568-_ZN7rocprim17ROCPRIM_400000_NS6detail17trampoline_kernelINS0_14default_configENS1_22reduce_config_selectorIiEEZNS1_11reduce_implILb1ES3_PiS7_iN6hipcub16HIPCUB_304000_NS6detail34convert_binary_result_type_wrapperINS9_3SumENS9_22TransformInputIteratorIbN2at6native12_GLOBAL__N_19NonZeroOpIN3c107complexIfEEEEPKSK_lEEiEEEE10hipError_tPvRmT1_T2_T3_mT4_P12ihipStream_tbEUlT_E1_NS1_11comp_targetILNS1_3genE5ELNS1_11target_archE942ELNS1_3gpuE9ELNS1_3repE0EEENS1_30default_config_static_selectorELNS0_4arch9wavefront6targetE0EEEvST_
                                        ; -- End function
	.set _ZN7rocprim17ROCPRIM_400000_NS6detail17trampoline_kernelINS0_14default_configENS1_22reduce_config_selectorIiEEZNS1_11reduce_implILb1ES3_PiS7_iN6hipcub16HIPCUB_304000_NS6detail34convert_binary_result_type_wrapperINS9_3SumENS9_22TransformInputIteratorIbN2at6native12_GLOBAL__N_19NonZeroOpIN3c107complexIfEEEEPKSK_lEEiEEEE10hipError_tPvRmT1_T2_T3_mT4_P12ihipStream_tbEUlT_E1_NS1_11comp_targetILNS1_3genE5ELNS1_11target_archE942ELNS1_3gpuE9ELNS1_3repE0EEENS1_30default_config_static_selectorELNS0_4arch9wavefront6targetE0EEEvST_.num_vgpr, 0
	.set _ZN7rocprim17ROCPRIM_400000_NS6detail17trampoline_kernelINS0_14default_configENS1_22reduce_config_selectorIiEEZNS1_11reduce_implILb1ES3_PiS7_iN6hipcub16HIPCUB_304000_NS6detail34convert_binary_result_type_wrapperINS9_3SumENS9_22TransformInputIteratorIbN2at6native12_GLOBAL__N_19NonZeroOpIN3c107complexIfEEEEPKSK_lEEiEEEE10hipError_tPvRmT1_T2_T3_mT4_P12ihipStream_tbEUlT_E1_NS1_11comp_targetILNS1_3genE5ELNS1_11target_archE942ELNS1_3gpuE9ELNS1_3repE0EEENS1_30default_config_static_selectorELNS0_4arch9wavefront6targetE0EEEvST_.num_agpr, 0
	.set _ZN7rocprim17ROCPRIM_400000_NS6detail17trampoline_kernelINS0_14default_configENS1_22reduce_config_selectorIiEEZNS1_11reduce_implILb1ES3_PiS7_iN6hipcub16HIPCUB_304000_NS6detail34convert_binary_result_type_wrapperINS9_3SumENS9_22TransformInputIteratorIbN2at6native12_GLOBAL__N_19NonZeroOpIN3c107complexIfEEEEPKSK_lEEiEEEE10hipError_tPvRmT1_T2_T3_mT4_P12ihipStream_tbEUlT_E1_NS1_11comp_targetILNS1_3genE5ELNS1_11target_archE942ELNS1_3gpuE9ELNS1_3repE0EEENS1_30default_config_static_selectorELNS0_4arch9wavefront6targetE0EEEvST_.numbered_sgpr, 0
	.set _ZN7rocprim17ROCPRIM_400000_NS6detail17trampoline_kernelINS0_14default_configENS1_22reduce_config_selectorIiEEZNS1_11reduce_implILb1ES3_PiS7_iN6hipcub16HIPCUB_304000_NS6detail34convert_binary_result_type_wrapperINS9_3SumENS9_22TransformInputIteratorIbN2at6native12_GLOBAL__N_19NonZeroOpIN3c107complexIfEEEEPKSK_lEEiEEEE10hipError_tPvRmT1_T2_T3_mT4_P12ihipStream_tbEUlT_E1_NS1_11comp_targetILNS1_3genE5ELNS1_11target_archE942ELNS1_3gpuE9ELNS1_3repE0EEENS1_30default_config_static_selectorELNS0_4arch9wavefront6targetE0EEEvST_.num_named_barrier, 0
	.set _ZN7rocprim17ROCPRIM_400000_NS6detail17trampoline_kernelINS0_14default_configENS1_22reduce_config_selectorIiEEZNS1_11reduce_implILb1ES3_PiS7_iN6hipcub16HIPCUB_304000_NS6detail34convert_binary_result_type_wrapperINS9_3SumENS9_22TransformInputIteratorIbN2at6native12_GLOBAL__N_19NonZeroOpIN3c107complexIfEEEEPKSK_lEEiEEEE10hipError_tPvRmT1_T2_T3_mT4_P12ihipStream_tbEUlT_E1_NS1_11comp_targetILNS1_3genE5ELNS1_11target_archE942ELNS1_3gpuE9ELNS1_3repE0EEENS1_30default_config_static_selectorELNS0_4arch9wavefront6targetE0EEEvST_.private_seg_size, 0
	.set _ZN7rocprim17ROCPRIM_400000_NS6detail17trampoline_kernelINS0_14default_configENS1_22reduce_config_selectorIiEEZNS1_11reduce_implILb1ES3_PiS7_iN6hipcub16HIPCUB_304000_NS6detail34convert_binary_result_type_wrapperINS9_3SumENS9_22TransformInputIteratorIbN2at6native12_GLOBAL__N_19NonZeroOpIN3c107complexIfEEEEPKSK_lEEiEEEE10hipError_tPvRmT1_T2_T3_mT4_P12ihipStream_tbEUlT_E1_NS1_11comp_targetILNS1_3genE5ELNS1_11target_archE942ELNS1_3gpuE9ELNS1_3repE0EEENS1_30default_config_static_selectorELNS0_4arch9wavefront6targetE0EEEvST_.uses_vcc, 0
	.set _ZN7rocprim17ROCPRIM_400000_NS6detail17trampoline_kernelINS0_14default_configENS1_22reduce_config_selectorIiEEZNS1_11reduce_implILb1ES3_PiS7_iN6hipcub16HIPCUB_304000_NS6detail34convert_binary_result_type_wrapperINS9_3SumENS9_22TransformInputIteratorIbN2at6native12_GLOBAL__N_19NonZeroOpIN3c107complexIfEEEEPKSK_lEEiEEEE10hipError_tPvRmT1_T2_T3_mT4_P12ihipStream_tbEUlT_E1_NS1_11comp_targetILNS1_3genE5ELNS1_11target_archE942ELNS1_3gpuE9ELNS1_3repE0EEENS1_30default_config_static_selectorELNS0_4arch9wavefront6targetE0EEEvST_.uses_flat_scratch, 0
	.set _ZN7rocprim17ROCPRIM_400000_NS6detail17trampoline_kernelINS0_14default_configENS1_22reduce_config_selectorIiEEZNS1_11reduce_implILb1ES3_PiS7_iN6hipcub16HIPCUB_304000_NS6detail34convert_binary_result_type_wrapperINS9_3SumENS9_22TransformInputIteratorIbN2at6native12_GLOBAL__N_19NonZeroOpIN3c107complexIfEEEEPKSK_lEEiEEEE10hipError_tPvRmT1_T2_T3_mT4_P12ihipStream_tbEUlT_E1_NS1_11comp_targetILNS1_3genE5ELNS1_11target_archE942ELNS1_3gpuE9ELNS1_3repE0EEENS1_30default_config_static_selectorELNS0_4arch9wavefront6targetE0EEEvST_.has_dyn_sized_stack, 0
	.set _ZN7rocprim17ROCPRIM_400000_NS6detail17trampoline_kernelINS0_14default_configENS1_22reduce_config_selectorIiEEZNS1_11reduce_implILb1ES3_PiS7_iN6hipcub16HIPCUB_304000_NS6detail34convert_binary_result_type_wrapperINS9_3SumENS9_22TransformInputIteratorIbN2at6native12_GLOBAL__N_19NonZeroOpIN3c107complexIfEEEEPKSK_lEEiEEEE10hipError_tPvRmT1_T2_T3_mT4_P12ihipStream_tbEUlT_E1_NS1_11comp_targetILNS1_3genE5ELNS1_11target_archE942ELNS1_3gpuE9ELNS1_3repE0EEENS1_30default_config_static_selectorELNS0_4arch9wavefront6targetE0EEEvST_.has_recursion, 0
	.set _ZN7rocprim17ROCPRIM_400000_NS6detail17trampoline_kernelINS0_14default_configENS1_22reduce_config_selectorIiEEZNS1_11reduce_implILb1ES3_PiS7_iN6hipcub16HIPCUB_304000_NS6detail34convert_binary_result_type_wrapperINS9_3SumENS9_22TransformInputIteratorIbN2at6native12_GLOBAL__N_19NonZeroOpIN3c107complexIfEEEEPKSK_lEEiEEEE10hipError_tPvRmT1_T2_T3_mT4_P12ihipStream_tbEUlT_E1_NS1_11comp_targetILNS1_3genE5ELNS1_11target_archE942ELNS1_3gpuE9ELNS1_3repE0EEENS1_30default_config_static_selectorELNS0_4arch9wavefront6targetE0EEEvST_.has_indirect_call, 0
	.section	.AMDGPU.csdata,"",@progbits
; Kernel info:
; codeLenInByte = 0
; TotalNumSgprs: 0
; NumVgprs: 0
; ScratchSize: 0
; MemoryBound: 0
; FloatMode: 240
; IeeeMode: 1
; LDSByteSize: 0 bytes/workgroup (compile time only)
; SGPRBlocks: 0
; VGPRBlocks: 0
; NumSGPRsForWavesPerEU: 1
; NumVGPRsForWavesPerEU: 1
; Occupancy: 16
; WaveLimiterHint : 0
; COMPUTE_PGM_RSRC2:SCRATCH_EN: 0
; COMPUTE_PGM_RSRC2:USER_SGPR: 2
; COMPUTE_PGM_RSRC2:TRAP_HANDLER: 0
; COMPUTE_PGM_RSRC2:TGID_X_EN: 1
; COMPUTE_PGM_RSRC2:TGID_Y_EN: 0
; COMPUTE_PGM_RSRC2:TGID_Z_EN: 0
; COMPUTE_PGM_RSRC2:TIDIG_COMP_CNT: 0
	.section	.text._ZN7rocprim17ROCPRIM_400000_NS6detail17trampoline_kernelINS0_14default_configENS1_22reduce_config_selectorIiEEZNS1_11reduce_implILb1ES3_PiS7_iN6hipcub16HIPCUB_304000_NS6detail34convert_binary_result_type_wrapperINS9_3SumENS9_22TransformInputIteratorIbN2at6native12_GLOBAL__N_19NonZeroOpIN3c107complexIfEEEEPKSK_lEEiEEEE10hipError_tPvRmT1_T2_T3_mT4_P12ihipStream_tbEUlT_E1_NS1_11comp_targetILNS1_3genE4ELNS1_11target_archE910ELNS1_3gpuE8ELNS1_3repE0EEENS1_30default_config_static_selectorELNS0_4arch9wavefront6targetE0EEEvST_,"axG",@progbits,_ZN7rocprim17ROCPRIM_400000_NS6detail17trampoline_kernelINS0_14default_configENS1_22reduce_config_selectorIiEEZNS1_11reduce_implILb1ES3_PiS7_iN6hipcub16HIPCUB_304000_NS6detail34convert_binary_result_type_wrapperINS9_3SumENS9_22TransformInputIteratorIbN2at6native12_GLOBAL__N_19NonZeroOpIN3c107complexIfEEEEPKSK_lEEiEEEE10hipError_tPvRmT1_T2_T3_mT4_P12ihipStream_tbEUlT_E1_NS1_11comp_targetILNS1_3genE4ELNS1_11target_archE910ELNS1_3gpuE8ELNS1_3repE0EEENS1_30default_config_static_selectorELNS0_4arch9wavefront6targetE0EEEvST_,comdat
	.globl	_ZN7rocprim17ROCPRIM_400000_NS6detail17trampoline_kernelINS0_14default_configENS1_22reduce_config_selectorIiEEZNS1_11reduce_implILb1ES3_PiS7_iN6hipcub16HIPCUB_304000_NS6detail34convert_binary_result_type_wrapperINS9_3SumENS9_22TransformInputIteratorIbN2at6native12_GLOBAL__N_19NonZeroOpIN3c107complexIfEEEEPKSK_lEEiEEEE10hipError_tPvRmT1_T2_T3_mT4_P12ihipStream_tbEUlT_E1_NS1_11comp_targetILNS1_3genE4ELNS1_11target_archE910ELNS1_3gpuE8ELNS1_3repE0EEENS1_30default_config_static_selectorELNS0_4arch9wavefront6targetE0EEEvST_ ; -- Begin function _ZN7rocprim17ROCPRIM_400000_NS6detail17trampoline_kernelINS0_14default_configENS1_22reduce_config_selectorIiEEZNS1_11reduce_implILb1ES3_PiS7_iN6hipcub16HIPCUB_304000_NS6detail34convert_binary_result_type_wrapperINS9_3SumENS9_22TransformInputIteratorIbN2at6native12_GLOBAL__N_19NonZeroOpIN3c107complexIfEEEEPKSK_lEEiEEEE10hipError_tPvRmT1_T2_T3_mT4_P12ihipStream_tbEUlT_E1_NS1_11comp_targetILNS1_3genE4ELNS1_11target_archE910ELNS1_3gpuE8ELNS1_3repE0EEENS1_30default_config_static_selectorELNS0_4arch9wavefront6targetE0EEEvST_
	.p2align	8
	.type	_ZN7rocprim17ROCPRIM_400000_NS6detail17trampoline_kernelINS0_14default_configENS1_22reduce_config_selectorIiEEZNS1_11reduce_implILb1ES3_PiS7_iN6hipcub16HIPCUB_304000_NS6detail34convert_binary_result_type_wrapperINS9_3SumENS9_22TransformInputIteratorIbN2at6native12_GLOBAL__N_19NonZeroOpIN3c107complexIfEEEEPKSK_lEEiEEEE10hipError_tPvRmT1_T2_T3_mT4_P12ihipStream_tbEUlT_E1_NS1_11comp_targetILNS1_3genE4ELNS1_11target_archE910ELNS1_3gpuE8ELNS1_3repE0EEENS1_30default_config_static_selectorELNS0_4arch9wavefront6targetE0EEEvST_,@function
_ZN7rocprim17ROCPRIM_400000_NS6detail17trampoline_kernelINS0_14default_configENS1_22reduce_config_selectorIiEEZNS1_11reduce_implILb1ES3_PiS7_iN6hipcub16HIPCUB_304000_NS6detail34convert_binary_result_type_wrapperINS9_3SumENS9_22TransformInputIteratorIbN2at6native12_GLOBAL__N_19NonZeroOpIN3c107complexIfEEEEPKSK_lEEiEEEE10hipError_tPvRmT1_T2_T3_mT4_P12ihipStream_tbEUlT_E1_NS1_11comp_targetILNS1_3genE4ELNS1_11target_archE910ELNS1_3gpuE8ELNS1_3repE0EEENS1_30default_config_static_selectorELNS0_4arch9wavefront6targetE0EEEvST_: ; @_ZN7rocprim17ROCPRIM_400000_NS6detail17trampoline_kernelINS0_14default_configENS1_22reduce_config_selectorIiEEZNS1_11reduce_implILb1ES3_PiS7_iN6hipcub16HIPCUB_304000_NS6detail34convert_binary_result_type_wrapperINS9_3SumENS9_22TransformInputIteratorIbN2at6native12_GLOBAL__N_19NonZeroOpIN3c107complexIfEEEEPKSK_lEEiEEEE10hipError_tPvRmT1_T2_T3_mT4_P12ihipStream_tbEUlT_E1_NS1_11comp_targetILNS1_3genE4ELNS1_11target_archE910ELNS1_3gpuE8ELNS1_3repE0EEENS1_30default_config_static_selectorELNS0_4arch9wavefront6targetE0EEEvST_
; %bb.0:
	.section	.rodata,"a",@progbits
	.p2align	6, 0x0
	.amdhsa_kernel _ZN7rocprim17ROCPRIM_400000_NS6detail17trampoline_kernelINS0_14default_configENS1_22reduce_config_selectorIiEEZNS1_11reduce_implILb1ES3_PiS7_iN6hipcub16HIPCUB_304000_NS6detail34convert_binary_result_type_wrapperINS9_3SumENS9_22TransformInputIteratorIbN2at6native12_GLOBAL__N_19NonZeroOpIN3c107complexIfEEEEPKSK_lEEiEEEE10hipError_tPvRmT1_T2_T3_mT4_P12ihipStream_tbEUlT_E1_NS1_11comp_targetILNS1_3genE4ELNS1_11target_archE910ELNS1_3gpuE8ELNS1_3repE0EEENS1_30default_config_static_selectorELNS0_4arch9wavefront6targetE0EEEvST_
		.amdhsa_group_segment_fixed_size 0
		.amdhsa_private_segment_fixed_size 0
		.amdhsa_kernarg_size 40
		.amdhsa_user_sgpr_count 2
		.amdhsa_user_sgpr_dispatch_ptr 0
		.amdhsa_user_sgpr_queue_ptr 0
		.amdhsa_user_sgpr_kernarg_segment_ptr 1
		.amdhsa_user_sgpr_dispatch_id 0
		.amdhsa_user_sgpr_private_segment_size 0
		.amdhsa_wavefront_size32 1
		.amdhsa_uses_dynamic_stack 0
		.amdhsa_enable_private_segment 0
		.amdhsa_system_sgpr_workgroup_id_x 1
		.amdhsa_system_sgpr_workgroup_id_y 0
		.amdhsa_system_sgpr_workgroup_id_z 0
		.amdhsa_system_sgpr_workgroup_info 0
		.amdhsa_system_vgpr_workitem_id 0
		.amdhsa_next_free_vgpr 1
		.amdhsa_next_free_sgpr 1
		.amdhsa_reserve_vcc 0
		.amdhsa_float_round_mode_32 0
		.amdhsa_float_round_mode_16_64 0
		.amdhsa_float_denorm_mode_32 3
		.amdhsa_float_denorm_mode_16_64 3
		.amdhsa_fp16_overflow 0
		.amdhsa_workgroup_processor_mode 1
		.amdhsa_memory_ordered 1
		.amdhsa_forward_progress 1
		.amdhsa_inst_pref_size 0
		.amdhsa_round_robin_scheduling 0
		.amdhsa_exception_fp_ieee_invalid_op 0
		.amdhsa_exception_fp_denorm_src 0
		.amdhsa_exception_fp_ieee_div_zero 0
		.amdhsa_exception_fp_ieee_overflow 0
		.amdhsa_exception_fp_ieee_underflow 0
		.amdhsa_exception_fp_ieee_inexact 0
		.amdhsa_exception_int_div_zero 0
	.end_amdhsa_kernel
	.section	.text._ZN7rocprim17ROCPRIM_400000_NS6detail17trampoline_kernelINS0_14default_configENS1_22reduce_config_selectorIiEEZNS1_11reduce_implILb1ES3_PiS7_iN6hipcub16HIPCUB_304000_NS6detail34convert_binary_result_type_wrapperINS9_3SumENS9_22TransformInputIteratorIbN2at6native12_GLOBAL__N_19NonZeroOpIN3c107complexIfEEEEPKSK_lEEiEEEE10hipError_tPvRmT1_T2_T3_mT4_P12ihipStream_tbEUlT_E1_NS1_11comp_targetILNS1_3genE4ELNS1_11target_archE910ELNS1_3gpuE8ELNS1_3repE0EEENS1_30default_config_static_selectorELNS0_4arch9wavefront6targetE0EEEvST_,"axG",@progbits,_ZN7rocprim17ROCPRIM_400000_NS6detail17trampoline_kernelINS0_14default_configENS1_22reduce_config_selectorIiEEZNS1_11reduce_implILb1ES3_PiS7_iN6hipcub16HIPCUB_304000_NS6detail34convert_binary_result_type_wrapperINS9_3SumENS9_22TransformInputIteratorIbN2at6native12_GLOBAL__N_19NonZeroOpIN3c107complexIfEEEEPKSK_lEEiEEEE10hipError_tPvRmT1_T2_T3_mT4_P12ihipStream_tbEUlT_E1_NS1_11comp_targetILNS1_3genE4ELNS1_11target_archE910ELNS1_3gpuE8ELNS1_3repE0EEENS1_30default_config_static_selectorELNS0_4arch9wavefront6targetE0EEEvST_,comdat
.Lfunc_end569:
	.size	_ZN7rocprim17ROCPRIM_400000_NS6detail17trampoline_kernelINS0_14default_configENS1_22reduce_config_selectorIiEEZNS1_11reduce_implILb1ES3_PiS7_iN6hipcub16HIPCUB_304000_NS6detail34convert_binary_result_type_wrapperINS9_3SumENS9_22TransformInputIteratorIbN2at6native12_GLOBAL__N_19NonZeroOpIN3c107complexIfEEEEPKSK_lEEiEEEE10hipError_tPvRmT1_T2_T3_mT4_P12ihipStream_tbEUlT_E1_NS1_11comp_targetILNS1_3genE4ELNS1_11target_archE910ELNS1_3gpuE8ELNS1_3repE0EEENS1_30default_config_static_selectorELNS0_4arch9wavefront6targetE0EEEvST_, .Lfunc_end569-_ZN7rocprim17ROCPRIM_400000_NS6detail17trampoline_kernelINS0_14default_configENS1_22reduce_config_selectorIiEEZNS1_11reduce_implILb1ES3_PiS7_iN6hipcub16HIPCUB_304000_NS6detail34convert_binary_result_type_wrapperINS9_3SumENS9_22TransformInputIteratorIbN2at6native12_GLOBAL__N_19NonZeroOpIN3c107complexIfEEEEPKSK_lEEiEEEE10hipError_tPvRmT1_T2_T3_mT4_P12ihipStream_tbEUlT_E1_NS1_11comp_targetILNS1_3genE4ELNS1_11target_archE910ELNS1_3gpuE8ELNS1_3repE0EEENS1_30default_config_static_selectorELNS0_4arch9wavefront6targetE0EEEvST_
                                        ; -- End function
	.set _ZN7rocprim17ROCPRIM_400000_NS6detail17trampoline_kernelINS0_14default_configENS1_22reduce_config_selectorIiEEZNS1_11reduce_implILb1ES3_PiS7_iN6hipcub16HIPCUB_304000_NS6detail34convert_binary_result_type_wrapperINS9_3SumENS9_22TransformInputIteratorIbN2at6native12_GLOBAL__N_19NonZeroOpIN3c107complexIfEEEEPKSK_lEEiEEEE10hipError_tPvRmT1_T2_T3_mT4_P12ihipStream_tbEUlT_E1_NS1_11comp_targetILNS1_3genE4ELNS1_11target_archE910ELNS1_3gpuE8ELNS1_3repE0EEENS1_30default_config_static_selectorELNS0_4arch9wavefront6targetE0EEEvST_.num_vgpr, 0
	.set _ZN7rocprim17ROCPRIM_400000_NS6detail17trampoline_kernelINS0_14default_configENS1_22reduce_config_selectorIiEEZNS1_11reduce_implILb1ES3_PiS7_iN6hipcub16HIPCUB_304000_NS6detail34convert_binary_result_type_wrapperINS9_3SumENS9_22TransformInputIteratorIbN2at6native12_GLOBAL__N_19NonZeroOpIN3c107complexIfEEEEPKSK_lEEiEEEE10hipError_tPvRmT1_T2_T3_mT4_P12ihipStream_tbEUlT_E1_NS1_11comp_targetILNS1_3genE4ELNS1_11target_archE910ELNS1_3gpuE8ELNS1_3repE0EEENS1_30default_config_static_selectorELNS0_4arch9wavefront6targetE0EEEvST_.num_agpr, 0
	.set _ZN7rocprim17ROCPRIM_400000_NS6detail17trampoline_kernelINS0_14default_configENS1_22reduce_config_selectorIiEEZNS1_11reduce_implILb1ES3_PiS7_iN6hipcub16HIPCUB_304000_NS6detail34convert_binary_result_type_wrapperINS9_3SumENS9_22TransformInputIteratorIbN2at6native12_GLOBAL__N_19NonZeroOpIN3c107complexIfEEEEPKSK_lEEiEEEE10hipError_tPvRmT1_T2_T3_mT4_P12ihipStream_tbEUlT_E1_NS1_11comp_targetILNS1_3genE4ELNS1_11target_archE910ELNS1_3gpuE8ELNS1_3repE0EEENS1_30default_config_static_selectorELNS0_4arch9wavefront6targetE0EEEvST_.numbered_sgpr, 0
	.set _ZN7rocprim17ROCPRIM_400000_NS6detail17trampoline_kernelINS0_14default_configENS1_22reduce_config_selectorIiEEZNS1_11reduce_implILb1ES3_PiS7_iN6hipcub16HIPCUB_304000_NS6detail34convert_binary_result_type_wrapperINS9_3SumENS9_22TransformInputIteratorIbN2at6native12_GLOBAL__N_19NonZeroOpIN3c107complexIfEEEEPKSK_lEEiEEEE10hipError_tPvRmT1_T2_T3_mT4_P12ihipStream_tbEUlT_E1_NS1_11comp_targetILNS1_3genE4ELNS1_11target_archE910ELNS1_3gpuE8ELNS1_3repE0EEENS1_30default_config_static_selectorELNS0_4arch9wavefront6targetE0EEEvST_.num_named_barrier, 0
	.set _ZN7rocprim17ROCPRIM_400000_NS6detail17trampoline_kernelINS0_14default_configENS1_22reduce_config_selectorIiEEZNS1_11reduce_implILb1ES3_PiS7_iN6hipcub16HIPCUB_304000_NS6detail34convert_binary_result_type_wrapperINS9_3SumENS9_22TransformInputIteratorIbN2at6native12_GLOBAL__N_19NonZeroOpIN3c107complexIfEEEEPKSK_lEEiEEEE10hipError_tPvRmT1_T2_T3_mT4_P12ihipStream_tbEUlT_E1_NS1_11comp_targetILNS1_3genE4ELNS1_11target_archE910ELNS1_3gpuE8ELNS1_3repE0EEENS1_30default_config_static_selectorELNS0_4arch9wavefront6targetE0EEEvST_.private_seg_size, 0
	.set _ZN7rocprim17ROCPRIM_400000_NS6detail17trampoline_kernelINS0_14default_configENS1_22reduce_config_selectorIiEEZNS1_11reduce_implILb1ES3_PiS7_iN6hipcub16HIPCUB_304000_NS6detail34convert_binary_result_type_wrapperINS9_3SumENS9_22TransformInputIteratorIbN2at6native12_GLOBAL__N_19NonZeroOpIN3c107complexIfEEEEPKSK_lEEiEEEE10hipError_tPvRmT1_T2_T3_mT4_P12ihipStream_tbEUlT_E1_NS1_11comp_targetILNS1_3genE4ELNS1_11target_archE910ELNS1_3gpuE8ELNS1_3repE0EEENS1_30default_config_static_selectorELNS0_4arch9wavefront6targetE0EEEvST_.uses_vcc, 0
	.set _ZN7rocprim17ROCPRIM_400000_NS6detail17trampoline_kernelINS0_14default_configENS1_22reduce_config_selectorIiEEZNS1_11reduce_implILb1ES3_PiS7_iN6hipcub16HIPCUB_304000_NS6detail34convert_binary_result_type_wrapperINS9_3SumENS9_22TransformInputIteratorIbN2at6native12_GLOBAL__N_19NonZeroOpIN3c107complexIfEEEEPKSK_lEEiEEEE10hipError_tPvRmT1_T2_T3_mT4_P12ihipStream_tbEUlT_E1_NS1_11comp_targetILNS1_3genE4ELNS1_11target_archE910ELNS1_3gpuE8ELNS1_3repE0EEENS1_30default_config_static_selectorELNS0_4arch9wavefront6targetE0EEEvST_.uses_flat_scratch, 0
	.set _ZN7rocprim17ROCPRIM_400000_NS6detail17trampoline_kernelINS0_14default_configENS1_22reduce_config_selectorIiEEZNS1_11reduce_implILb1ES3_PiS7_iN6hipcub16HIPCUB_304000_NS6detail34convert_binary_result_type_wrapperINS9_3SumENS9_22TransformInputIteratorIbN2at6native12_GLOBAL__N_19NonZeroOpIN3c107complexIfEEEEPKSK_lEEiEEEE10hipError_tPvRmT1_T2_T3_mT4_P12ihipStream_tbEUlT_E1_NS1_11comp_targetILNS1_3genE4ELNS1_11target_archE910ELNS1_3gpuE8ELNS1_3repE0EEENS1_30default_config_static_selectorELNS0_4arch9wavefront6targetE0EEEvST_.has_dyn_sized_stack, 0
	.set _ZN7rocprim17ROCPRIM_400000_NS6detail17trampoline_kernelINS0_14default_configENS1_22reduce_config_selectorIiEEZNS1_11reduce_implILb1ES3_PiS7_iN6hipcub16HIPCUB_304000_NS6detail34convert_binary_result_type_wrapperINS9_3SumENS9_22TransformInputIteratorIbN2at6native12_GLOBAL__N_19NonZeroOpIN3c107complexIfEEEEPKSK_lEEiEEEE10hipError_tPvRmT1_T2_T3_mT4_P12ihipStream_tbEUlT_E1_NS1_11comp_targetILNS1_3genE4ELNS1_11target_archE910ELNS1_3gpuE8ELNS1_3repE0EEENS1_30default_config_static_selectorELNS0_4arch9wavefront6targetE0EEEvST_.has_recursion, 0
	.set _ZN7rocprim17ROCPRIM_400000_NS6detail17trampoline_kernelINS0_14default_configENS1_22reduce_config_selectorIiEEZNS1_11reduce_implILb1ES3_PiS7_iN6hipcub16HIPCUB_304000_NS6detail34convert_binary_result_type_wrapperINS9_3SumENS9_22TransformInputIteratorIbN2at6native12_GLOBAL__N_19NonZeroOpIN3c107complexIfEEEEPKSK_lEEiEEEE10hipError_tPvRmT1_T2_T3_mT4_P12ihipStream_tbEUlT_E1_NS1_11comp_targetILNS1_3genE4ELNS1_11target_archE910ELNS1_3gpuE8ELNS1_3repE0EEENS1_30default_config_static_selectorELNS0_4arch9wavefront6targetE0EEEvST_.has_indirect_call, 0
	.section	.AMDGPU.csdata,"",@progbits
; Kernel info:
; codeLenInByte = 0
; TotalNumSgprs: 0
; NumVgprs: 0
; ScratchSize: 0
; MemoryBound: 0
; FloatMode: 240
; IeeeMode: 1
; LDSByteSize: 0 bytes/workgroup (compile time only)
; SGPRBlocks: 0
; VGPRBlocks: 0
; NumSGPRsForWavesPerEU: 1
; NumVGPRsForWavesPerEU: 1
; Occupancy: 16
; WaveLimiterHint : 0
; COMPUTE_PGM_RSRC2:SCRATCH_EN: 0
; COMPUTE_PGM_RSRC2:USER_SGPR: 2
; COMPUTE_PGM_RSRC2:TRAP_HANDLER: 0
; COMPUTE_PGM_RSRC2:TGID_X_EN: 1
; COMPUTE_PGM_RSRC2:TGID_Y_EN: 0
; COMPUTE_PGM_RSRC2:TGID_Z_EN: 0
; COMPUTE_PGM_RSRC2:TIDIG_COMP_CNT: 0
	.section	.text._ZN7rocprim17ROCPRIM_400000_NS6detail17trampoline_kernelINS0_14default_configENS1_22reduce_config_selectorIiEEZNS1_11reduce_implILb1ES3_PiS7_iN6hipcub16HIPCUB_304000_NS6detail34convert_binary_result_type_wrapperINS9_3SumENS9_22TransformInputIteratorIbN2at6native12_GLOBAL__N_19NonZeroOpIN3c107complexIfEEEEPKSK_lEEiEEEE10hipError_tPvRmT1_T2_T3_mT4_P12ihipStream_tbEUlT_E1_NS1_11comp_targetILNS1_3genE3ELNS1_11target_archE908ELNS1_3gpuE7ELNS1_3repE0EEENS1_30default_config_static_selectorELNS0_4arch9wavefront6targetE0EEEvST_,"axG",@progbits,_ZN7rocprim17ROCPRIM_400000_NS6detail17trampoline_kernelINS0_14default_configENS1_22reduce_config_selectorIiEEZNS1_11reduce_implILb1ES3_PiS7_iN6hipcub16HIPCUB_304000_NS6detail34convert_binary_result_type_wrapperINS9_3SumENS9_22TransformInputIteratorIbN2at6native12_GLOBAL__N_19NonZeroOpIN3c107complexIfEEEEPKSK_lEEiEEEE10hipError_tPvRmT1_T2_T3_mT4_P12ihipStream_tbEUlT_E1_NS1_11comp_targetILNS1_3genE3ELNS1_11target_archE908ELNS1_3gpuE7ELNS1_3repE0EEENS1_30default_config_static_selectorELNS0_4arch9wavefront6targetE0EEEvST_,comdat
	.globl	_ZN7rocprim17ROCPRIM_400000_NS6detail17trampoline_kernelINS0_14default_configENS1_22reduce_config_selectorIiEEZNS1_11reduce_implILb1ES3_PiS7_iN6hipcub16HIPCUB_304000_NS6detail34convert_binary_result_type_wrapperINS9_3SumENS9_22TransformInputIteratorIbN2at6native12_GLOBAL__N_19NonZeroOpIN3c107complexIfEEEEPKSK_lEEiEEEE10hipError_tPvRmT1_T2_T3_mT4_P12ihipStream_tbEUlT_E1_NS1_11comp_targetILNS1_3genE3ELNS1_11target_archE908ELNS1_3gpuE7ELNS1_3repE0EEENS1_30default_config_static_selectorELNS0_4arch9wavefront6targetE0EEEvST_ ; -- Begin function _ZN7rocprim17ROCPRIM_400000_NS6detail17trampoline_kernelINS0_14default_configENS1_22reduce_config_selectorIiEEZNS1_11reduce_implILb1ES3_PiS7_iN6hipcub16HIPCUB_304000_NS6detail34convert_binary_result_type_wrapperINS9_3SumENS9_22TransformInputIteratorIbN2at6native12_GLOBAL__N_19NonZeroOpIN3c107complexIfEEEEPKSK_lEEiEEEE10hipError_tPvRmT1_T2_T3_mT4_P12ihipStream_tbEUlT_E1_NS1_11comp_targetILNS1_3genE3ELNS1_11target_archE908ELNS1_3gpuE7ELNS1_3repE0EEENS1_30default_config_static_selectorELNS0_4arch9wavefront6targetE0EEEvST_
	.p2align	8
	.type	_ZN7rocprim17ROCPRIM_400000_NS6detail17trampoline_kernelINS0_14default_configENS1_22reduce_config_selectorIiEEZNS1_11reduce_implILb1ES3_PiS7_iN6hipcub16HIPCUB_304000_NS6detail34convert_binary_result_type_wrapperINS9_3SumENS9_22TransformInputIteratorIbN2at6native12_GLOBAL__N_19NonZeroOpIN3c107complexIfEEEEPKSK_lEEiEEEE10hipError_tPvRmT1_T2_T3_mT4_P12ihipStream_tbEUlT_E1_NS1_11comp_targetILNS1_3genE3ELNS1_11target_archE908ELNS1_3gpuE7ELNS1_3repE0EEENS1_30default_config_static_selectorELNS0_4arch9wavefront6targetE0EEEvST_,@function
_ZN7rocprim17ROCPRIM_400000_NS6detail17trampoline_kernelINS0_14default_configENS1_22reduce_config_selectorIiEEZNS1_11reduce_implILb1ES3_PiS7_iN6hipcub16HIPCUB_304000_NS6detail34convert_binary_result_type_wrapperINS9_3SumENS9_22TransformInputIteratorIbN2at6native12_GLOBAL__N_19NonZeroOpIN3c107complexIfEEEEPKSK_lEEiEEEE10hipError_tPvRmT1_T2_T3_mT4_P12ihipStream_tbEUlT_E1_NS1_11comp_targetILNS1_3genE3ELNS1_11target_archE908ELNS1_3gpuE7ELNS1_3repE0EEENS1_30default_config_static_selectorELNS0_4arch9wavefront6targetE0EEEvST_: ; @_ZN7rocprim17ROCPRIM_400000_NS6detail17trampoline_kernelINS0_14default_configENS1_22reduce_config_selectorIiEEZNS1_11reduce_implILb1ES3_PiS7_iN6hipcub16HIPCUB_304000_NS6detail34convert_binary_result_type_wrapperINS9_3SumENS9_22TransformInputIteratorIbN2at6native12_GLOBAL__N_19NonZeroOpIN3c107complexIfEEEEPKSK_lEEiEEEE10hipError_tPvRmT1_T2_T3_mT4_P12ihipStream_tbEUlT_E1_NS1_11comp_targetILNS1_3genE3ELNS1_11target_archE908ELNS1_3gpuE7ELNS1_3repE0EEENS1_30default_config_static_selectorELNS0_4arch9wavefront6targetE0EEEvST_
; %bb.0:
	.section	.rodata,"a",@progbits
	.p2align	6, 0x0
	.amdhsa_kernel _ZN7rocprim17ROCPRIM_400000_NS6detail17trampoline_kernelINS0_14default_configENS1_22reduce_config_selectorIiEEZNS1_11reduce_implILb1ES3_PiS7_iN6hipcub16HIPCUB_304000_NS6detail34convert_binary_result_type_wrapperINS9_3SumENS9_22TransformInputIteratorIbN2at6native12_GLOBAL__N_19NonZeroOpIN3c107complexIfEEEEPKSK_lEEiEEEE10hipError_tPvRmT1_T2_T3_mT4_P12ihipStream_tbEUlT_E1_NS1_11comp_targetILNS1_3genE3ELNS1_11target_archE908ELNS1_3gpuE7ELNS1_3repE0EEENS1_30default_config_static_selectorELNS0_4arch9wavefront6targetE0EEEvST_
		.amdhsa_group_segment_fixed_size 0
		.amdhsa_private_segment_fixed_size 0
		.amdhsa_kernarg_size 40
		.amdhsa_user_sgpr_count 2
		.amdhsa_user_sgpr_dispatch_ptr 0
		.amdhsa_user_sgpr_queue_ptr 0
		.amdhsa_user_sgpr_kernarg_segment_ptr 1
		.amdhsa_user_sgpr_dispatch_id 0
		.amdhsa_user_sgpr_private_segment_size 0
		.amdhsa_wavefront_size32 1
		.amdhsa_uses_dynamic_stack 0
		.amdhsa_enable_private_segment 0
		.amdhsa_system_sgpr_workgroup_id_x 1
		.amdhsa_system_sgpr_workgroup_id_y 0
		.amdhsa_system_sgpr_workgroup_id_z 0
		.amdhsa_system_sgpr_workgroup_info 0
		.amdhsa_system_vgpr_workitem_id 0
		.amdhsa_next_free_vgpr 1
		.amdhsa_next_free_sgpr 1
		.amdhsa_reserve_vcc 0
		.amdhsa_float_round_mode_32 0
		.amdhsa_float_round_mode_16_64 0
		.amdhsa_float_denorm_mode_32 3
		.amdhsa_float_denorm_mode_16_64 3
		.amdhsa_fp16_overflow 0
		.amdhsa_workgroup_processor_mode 1
		.amdhsa_memory_ordered 1
		.amdhsa_forward_progress 1
		.amdhsa_inst_pref_size 0
		.amdhsa_round_robin_scheduling 0
		.amdhsa_exception_fp_ieee_invalid_op 0
		.amdhsa_exception_fp_denorm_src 0
		.amdhsa_exception_fp_ieee_div_zero 0
		.amdhsa_exception_fp_ieee_overflow 0
		.amdhsa_exception_fp_ieee_underflow 0
		.amdhsa_exception_fp_ieee_inexact 0
		.amdhsa_exception_int_div_zero 0
	.end_amdhsa_kernel
	.section	.text._ZN7rocprim17ROCPRIM_400000_NS6detail17trampoline_kernelINS0_14default_configENS1_22reduce_config_selectorIiEEZNS1_11reduce_implILb1ES3_PiS7_iN6hipcub16HIPCUB_304000_NS6detail34convert_binary_result_type_wrapperINS9_3SumENS9_22TransformInputIteratorIbN2at6native12_GLOBAL__N_19NonZeroOpIN3c107complexIfEEEEPKSK_lEEiEEEE10hipError_tPvRmT1_T2_T3_mT4_P12ihipStream_tbEUlT_E1_NS1_11comp_targetILNS1_3genE3ELNS1_11target_archE908ELNS1_3gpuE7ELNS1_3repE0EEENS1_30default_config_static_selectorELNS0_4arch9wavefront6targetE0EEEvST_,"axG",@progbits,_ZN7rocprim17ROCPRIM_400000_NS6detail17trampoline_kernelINS0_14default_configENS1_22reduce_config_selectorIiEEZNS1_11reduce_implILb1ES3_PiS7_iN6hipcub16HIPCUB_304000_NS6detail34convert_binary_result_type_wrapperINS9_3SumENS9_22TransformInputIteratorIbN2at6native12_GLOBAL__N_19NonZeroOpIN3c107complexIfEEEEPKSK_lEEiEEEE10hipError_tPvRmT1_T2_T3_mT4_P12ihipStream_tbEUlT_E1_NS1_11comp_targetILNS1_3genE3ELNS1_11target_archE908ELNS1_3gpuE7ELNS1_3repE0EEENS1_30default_config_static_selectorELNS0_4arch9wavefront6targetE0EEEvST_,comdat
.Lfunc_end570:
	.size	_ZN7rocprim17ROCPRIM_400000_NS6detail17trampoline_kernelINS0_14default_configENS1_22reduce_config_selectorIiEEZNS1_11reduce_implILb1ES3_PiS7_iN6hipcub16HIPCUB_304000_NS6detail34convert_binary_result_type_wrapperINS9_3SumENS9_22TransformInputIteratorIbN2at6native12_GLOBAL__N_19NonZeroOpIN3c107complexIfEEEEPKSK_lEEiEEEE10hipError_tPvRmT1_T2_T3_mT4_P12ihipStream_tbEUlT_E1_NS1_11comp_targetILNS1_3genE3ELNS1_11target_archE908ELNS1_3gpuE7ELNS1_3repE0EEENS1_30default_config_static_selectorELNS0_4arch9wavefront6targetE0EEEvST_, .Lfunc_end570-_ZN7rocprim17ROCPRIM_400000_NS6detail17trampoline_kernelINS0_14default_configENS1_22reduce_config_selectorIiEEZNS1_11reduce_implILb1ES3_PiS7_iN6hipcub16HIPCUB_304000_NS6detail34convert_binary_result_type_wrapperINS9_3SumENS9_22TransformInputIteratorIbN2at6native12_GLOBAL__N_19NonZeroOpIN3c107complexIfEEEEPKSK_lEEiEEEE10hipError_tPvRmT1_T2_T3_mT4_P12ihipStream_tbEUlT_E1_NS1_11comp_targetILNS1_3genE3ELNS1_11target_archE908ELNS1_3gpuE7ELNS1_3repE0EEENS1_30default_config_static_selectorELNS0_4arch9wavefront6targetE0EEEvST_
                                        ; -- End function
	.set _ZN7rocprim17ROCPRIM_400000_NS6detail17trampoline_kernelINS0_14default_configENS1_22reduce_config_selectorIiEEZNS1_11reduce_implILb1ES3_PiS7_iN6hipcub16HIPCUB_304000_NS6detail34convert_binary_result_type_wrapperINS9_3SumENS9_22TransformInputIteratorIbN2at6native12_GLOBAL__N_19NonZeroOpIN3c107complexIfEEEEPKSK_lEEiEEEE10hipError_tPvRmT1_T2_T3_mT4_P12ihipStream_tbEUlT_E1_NS1_11comp_targetILNS1_3genE3ELNS1_11target_archE908ELNS1_3gpuE7ELNS1_3repE0EEENS1_30default_config_static_selectorELNS0_4arch9wavefront6targetE0EEEvST_.num_vgpr, 0
	.set _ZN7rocprim17ROCPRIM_400000_NS6detail17trampoline_kernelINS0_14default_configENS1_22reduce_config_selectorIiEEZNS1_11reduce_implILb1ES3_PiS7_iN6hipcub16HIPCUB_304000_NS6detail34convert_binary_result_type_wrapperINS9_3SumENS9_22TransformInputIteratorIbN2at6native12_GLOBAL__N_19NonZeroOpIN3c107complexIfEEEEPKSK_lEEiEEEE10hipError_tPvRmT1_T2_T3_mT4_P12ihipStream_tbEUlT_E1_NS1_11comp_targetILNS1_3genE3ELNS1_11target_archE908ELNS1_3gpuE7ELNS1_3repE0EEENS1_30default_config_static_selectorELNS0_4arch9wavefront6targetE0EEEvST_.num_agpr, 0
	.set _ZN7rocprim17ROCPRIM_400000_NS6detail17trampoline_kernelINS0_14default_configENS1_22reduce_config_selectorIiEEZNS1_11reduce_implILb1ES3_PiS7_iN6hipcub16HIPCUB_304000_NS6detail34convert_binary_result_type_wrapperINS9_3SumENS9_22TransformInputIteratorIbN2at6native12_GLOBAL__N_19NonZeroOpIN3c107complexIfEEEEPKSK_lEEiEEEE10hipError_tPvRmT1_T2_T3_mT4_P12ihipStream_tbEUlT_E1_NS1_11comp_targetILNS1_3genE3ELNS1_11target_archE908ELNS1_3gpuE7ELNS1_3repE0EEENS1_30default_config_static_selectorELNS0_4arch9wavefront6targetE0EEEvST_.numbered_sgpr, 0
	.set _ZN7rocprim17ROCPRIM_400000_NS6detail17trampoline_kernelINS0_14default_configENS1_22reduce_config_selectorIiEEZNS1_11reduce_implILb1ES3_PiS7_iN6hipcub16HIPCUB_304000_NS6detail34convert_binary_result_type_wrapperINS9_3SumENS9_22TransformInputIteratorIbN2at6native12_GLOBAL__N_19NonZeroOpIN3c107complexIfEEEEPKSK_lEEiEEEE10hipError_tPvRmT1_T2_T3_mT4_P12ihipStream_tbEUlT_E1_NS1_11comp_targetILNS1_3genE3ELNS1_11target_archE908ELNS1_3gpuE7ELNS1_3repE0EEENS1_30default_config_static_selectorELNS0_4arch9wavefront6targetE0EEEvST_.num_named_barrier, 0
	.set _ZN7rocprim17ROCPRIM_400000_NS6detail17trampoline_kernelINS0_14default_configENS1_22reduce_config_selectorIiEEZNS1_11reduce_implILb1ES3_PiS7_iN6hipcub16HIPCUB_304000_NS6detail34convert_binary_result_type_wrapperINS9_3SumENS9_22TransformInputIteratorIbN2at6native12_GLOBAL__N_19NonZeroOpIN3c107complexIfEEEEPKSK_lEEiEEEE10hipError_tPvRmT1_T2_T3_mT4_P12ihipStream_tbEUlT_E1_NS1_11comp_targetILNS1_3genE3ELNS1_11target_archE908ELNS1_3gpuE7ELNS1_3repE0EEENS1_30default_config_static_selectorELNS0_4arch9wavefront6targetE0EEEvST_.private_seg_size, 0
	.set _ZN7rocprim17ROCPRIM_400000_NS6detail17trampoline_kernelINS0_14default_configENS1_22reduce_config_selectorIiEEZNS1_11reduce_implILb1ES3_PiS7_iN6hipcub16HIPCUB_304000_NS6detail34convert_binary_result_type_wrapperINS9_3SumENS9_22TransformInputIteratorIbN2at6native12_GLOBAL__N_19NonZeroOpIN3c107complexIfEEEEPKSK_lEEiEEEE10hipError_tPvRmT1_T2_T3_mT4_P12ihipStream_tbEUlT_E1_NS1_11comp_targetILNS1_3genE3ELNS1_11target_archE908ELNS1_3gpuE7ELNS1_3repE0EEENS1_30default_config_static_selectorELNS0_4arch9wavefront6targetE0EEEvST_.uses_vcc, 0
	.set _ZN7rocprim17ROCPRIM_400000_NS6detail17trampoline_kernelINS0_14default_configENS1_22reduce_config_selectorIiEEZNS1_11reduce_implILb1ES3_PiS7_iN6hipcub16HIPCUB_304000_NS6detail34convert_binary_result_type_wrapperINS9_3SumENS9_22TransformInputIteratorIbN2at6native12_GLOBAL__N_19NonZeroOpIN3c107complexIfEEEEPKSK_lEEiEEEE10hipError_tPvRmT1_T2_T3_mT4_P12ihipStream_tbEUlT_E1_NS1_11comp_targetILNS1_3genE3ELNS1_11target_archE908ELNS1_3gpuE7ELNS1_3repE0EEENS1_30default_config_static_selectorELNS0_4arch9wavefront6targetE0EEEvST_.uses_flat_scratch, 0
	.set _ZN7rocprim17ROCPRIM_400000_NS6detail17trampoline_kernelINS0_14default_configENS1_22reduce_config_selectorIiEEZNS1_11reduce_implILb1ES3_PiS7_iN6hipcub16HIPCUB_304000_NS6detail34convert_binary_result_type_wrapperINS9_3SumENS9_22TransformInputIteratorIbN2at6native12_GLOBAL__N_19NonZeroOpIN3c107complexIfEEEEPKSK_lEEiEEEE10hipError_tPvRmT1_T2_T3_mT4_P12ihipStream_tbEUlT_E1_NS1_11comp_targetILNS1_3genE3ELNS1_11target_archE908ELNS1_3gpuE7ELNS1_3repE0EEENS1_30default_config_static_selectorELNS0_4arch9wavefront6targetE0EEEvST_.has_dyn_sized_stack, 0
	.set _ZN7rocprim17ROCPRIM_400000_NS6detail17trampoline_kernelINS0_14default_configENS1_22reduce_config_selectorIiEEZNS1_11reduce_implILb1ES3_PiS7_iN6hipcub16HIPCUB_304000_NS6detail34convert_binary_result_type_wrapperINS9_3SumENS9_22TransformInputIteratorIbN2at6native12_GLOBAL__N_19NonZeroOpIN3c107complexIfEEEEPKSK_lEEiEEEE10hipError_tPvRmT1_T2_T3_mT4_P12ihipStream_tbEUlT_E1_NS1_11comp_targetILNS1_3genE3ELNS1_11target_archE908ELNS1_3gpuE7ELNS1_3repE0EEENS1_30default_config_static_selectorELNS0_4arch9wavefront6targetE0EEEvST_.has_recursion, 0
	.set _ZN7rocprim17ROCPRIM_400000_NS6detail17trampoline_kernelINS0_14default_configENS1_22reduce_config_selectorIiEEZNS1_11reduce_implILb1ES3_PiS7_iN6hipcub16HIPCUB_304000_NS6detail34convert_binary_result_type_wrapperINS9_3SumENS9_22TransformInputIteratorIbN2at6native12_GLOBAL__N_19NonZeroOpIN3c107complexIfEEEEPKSK_lEEiEEEE10hipError_tPvRmT1_T2_T3_mT4_P12ihipStream_tbEUlT_E1_NS1_11comp_targetILNS1_3genE3ELNS1_11target_archE908ELNS1_3gpuE7ELNS1_3repE0EEENS1_30default_config_static_selectorELNS0_4arch9wavefront6targetE0EEEvST_.has_indirect_call, 0
	.section	.AMDGPU.csdata,"",@progbits
; Kernel info:
; codeLenInByte = 0
; TotalNumSgprs: 0
; NumVgprs: 0
; ScratchSize: 0
; MemoryBound: 0
; FloatMode: 240
; IeeeMode: 1
; LDSByteSize: 0 bytes/workgroup (compile time only)
; SGPRBlocks: 0
; VGPRBlocks: 0
; NumSGPRsForWavesPerEU: 1
; NumVGPRsForWavesPerEU: 1
; Occupancy: 16
; WaveLimiterHint : 0
; COMPUTE_PGM_RSRC2:SCRATCH_EN: 0
; COMPUTE_PGM_RSRC2:USER_SGPR: 2
; COMPUTE_PGM_RSRC2:TRAP_HANDLER: 0
; COMPUTE_PGM_RSRC2:TGID_X_EN: 1
; COMPUTE_PGM_RSRC2:TGID_Y_EN: 0
; COMPUTE_PGM_RSRC2:TGID_Z_EN: 0
; COMPUTE_PGM_RSRC2:TIDIG_COMP_CNT: 0
	.section	.text._ZN7rocprim17ROCPRIM_400000_NS6detail17trampoline_kernelINS0_14default_configENS1_22reduce_config_selectorIiEEZNS1_11reduce_implILb1ES3_PiS7_iN6hipcub16HIPCUB_304000_NS6detail34convert_binary_result_type_wrapperINS9_3SumENS9_22TransformInputIteratorIbN2at6native12_GLOBAL__N_19NonZeroOpIN3c107complexIfEEEEPKSK_lEEiEEEE10hipError_tPvRmT1_T2_T3_mT4_P12ihipStream_tbEUlT_E1_NS1_11comp_targetILNS1_3genE2ELNS1_11target_archE906ELNS1_3gpuE6ELNS1_3repE0EEENS1_30default_config_static_selectorELNS0_4arch9wavefront6targetE0EEEvST_,"axG",@progbits,_ZN7rocprim17ROCPRIM_400000_NS6detail17trampoline_kernelINS0_14default_configENS1_22reduce_config_selectorIiEEZNS1_11reduce_implILb1ES3_PiS7_iN6hipcub16HIPCUB_304000_NS6detail34convert_binary_result_type_wrapperINS9_3SumENS9_22TransformInputIteratorIbN2at6native12_GLOBAL__N_19NonZeroOpIN3c107complexIfEEEEPKSK_lEEiEEEE10hipError_tPvRmT1_T2_T3_mT4_P12ihipStream_tbEUlT_E1_NS1_11comp_targetILNS1_3genE2ELNS1_11target_archE906ELNS1_3gpuE6ELNS1_3repE0EEENS1_30default_config_static_selectorELNS0_4arch9wavefront6targetE0EEEvST_,comdat
	.globl	_ZN7rocprim17ROCPRIM_400000_NS6detail17trampoline_kernelINS0_14default_configENS1_22reduce_config_selectorIiEEZNS1_11reduce_implILb1ES3_PiS7_iN6hipcub16HIPCUB_304000_NS6detail34convert_binary_result_type_wrapperINS9_3SumENS9_22TransformInputIteratorIbN2at6native12_GLOBAL__N_19NonZeroOpIN3c107complexIfEEEEPKSK_lEEiEEEE10hipError_tPvRmT1_T2_T3_mT4_P12ihipStream_tbEUlT_E1_NS1_11comp_targetILNS1_3genE2ELNS1_11target_archE906ELNS1_3gpuE6ELNS1_3repE0EEENS1_30default_config_static_selectorELNS0_4arch9wavefront6targetE0EEEvST_ ; -- Begin function _ZN7rocprim17ROCPRIM_400000_NS6detail17trampoline_kernelINS0_14default_configENS1_22reduce_config_selectorIiEEZNS1_11reduce_implILb1ES3_PiS7_iN6hipcub16HIPCUB_304000_NS6detail34convert_binary_result_type_wrapperINS9_3SumENS9_22TransformInputIteratorIbN2at6native12_GLOBAL__N_19NonZeroOpIN3c107complexIfEEEEPKSK_lEEiEEEE10hipError_tPvRmT1_T2_T3_mT4_P12ihipStream_tbEUlT_E1_NS1_11comp_targetILNS1_3genE2ELNS1_11target_archE906ELNS1_3gpuE6ELNS1_3repE0EEENS1_30default_config_static_selectorELNS0_4arch9wavefront6targetE0EEEvST_
	.p2align	8
	.type	_ZN7rocprim17ROCPRIM_400000_NS6detail17trampoline_kernelINS0_14default_configENS1_22reduce_config_selectorIiEEZNS1_11reduce_implILb1ES3_PiS7_iN6hipcub16HIPCUB_304000_NS6detail34convert_binary_result_type_wrapperINS9_3SumENS9_22TransformInputIteratorIbN2at6native12_GLOBAL__N_19NonZeroOpIN3c107complexIfEEEEPKSK_lEEiEEEE10hipError_tPvRmT1_T2_T3_mT4_P12ihipStream_tbEUlT_E1_NS1_11comp_targetILNS1_3genE2ELNS1_11target_archE906ELNS1_3gpuE6ELNS1_3repE0EEENS1_30default_config_static_selectorELNS0_4arch9wavefront6targetE0EEEvST_,@function
_ZN7rocprim17ROCPRIM_400000_NS6detail17trampoline_kernelINS0_14default_configENS1_22reduce_config_selectorIiEEZNS1_11reduce_implILb1ES3_PiS7_iN6hipcub16HIPCUB_304000_NS6detail34convert_binary_result_type_wrapperINS9_3SumENS9_22TransformInputIteratorIbN2at6native12_GLOBAL__N_19NonZeroOpIN3c107complexIfEEEEPKSK_lEEiEEEE10hipError_tPvRmT1_T2_T3_mT4_P12ihipStream_tbEUlT_E1_NS1_11comp_targetILNS1_3genE2ELNS1_11target_archE906ELNS1_3gpuE6ELNS1_3repE0EEENS1_30default_config_static_selectorELNS0_4arch9wavefront6targetE0EEEvST_: ; @_ZN7rocprim17ROCPRIM_400000_NS6detail17trampoline_kernelINS0_14default_configENS1_22reduce_config_selectorIiEEZNS1_11reduce_implILb1ES3_PiS7_iN6hipcub16HIPCUB_304000_NS6detail34convert_binary_result_type_wrapperINS9_3SumENS9_22TransformInputIteratorIbN2at6native12_GLOBAL__N_19NonZeroOpIN3c107complexIfEEEEPKSK_lEEiEEEE10hipError_tPvRmT1_T2_T3_mT4_P12ihipStream_tbEUlT_E1_NS1_11comp_targetILNS1_3genE2ELNS1_11target_archE906ELNS1_3gpuE6ELNS1_3repE0EEENS1_30default_config_static_selectorELNS0_4arch9wavefront6targetE0EEEvST_
; %bb.0:
	.section	.rodata,"a",@progbits
	.p2align	6, 0x0
	.amdhsa_kernel _ZN7rocprim17ROCPRIM_400000_NS6detail17trampoline_kernelINS0_14default_configENS1_22reduce_config_selectorIiEEZNS1_11reduce_implILb1ES3_PiS7_iN6hipcub16HIPCUB_304000_NS6detail34convert_binary_result_type_wrapperINS9_3SumENS9_22TransformInputIteratorIbN2at6native12_GLOBAL__N_19NonZeroOpIN3c107complexIfEEEEPKSK_lEEiEEEE10hipError_tPvRmT1_T2_T3_mT4_P12ihipStream_tbEUlT_E1_NS1_11comp_targetILNS1_3genE2ELNS1_11target_archE906ELNS1_3gpuE6ELNS1_3repE0EEENS1_30default_config_static_selectorELNS0_4arch9wavefront6targetE0EEEvST_
		.amdhsa_group_segment_fixed_size 0
		.amdhsa_private_segment_fixed_size 0
		.amdhsa_kernarg_size 40
		.amdhsa_user_sgpr_count 2
		.amdhsa_user_sgpr_dispatch_ptr 0
		.amdhsa_user_sgpr_queue_ptr 0
		.amdhsa_user_sgpr_kernarg_segment_ptr 1
		.amdhsa_user_sgpr_dispatch_id 0
		.amdhsa_user_sgpr_private_segment_size 0
		.amdhsa_wavefront_size32 1
		.amdhsa_uses_dynamic_stack 0
		.amdhsa_enable_private_segment 0
		.amdhsa_system_sgpr_workgroup_id_x 1
		.amdhsa_system_sgpr_workgroup_id_y 0
		.amdhsa_system_sgpr_workgroup_id_z 0
		.amdhsa_system_sgpr_workgroup_info 0
		.amdhsa_system_vgpr_workitem_id 0
		.amdhsa_next_free_vgpr 1
		.amdhsa_next_free_sgpr 1
		.amdhsa_reserve_vcc 0
		.amdhsa_float_round_mode_32 0
		.amdhsa_float_round_mode_16_64 0
		.amdhsa_float_denorm_mode_32 3
		.amdhsa_float_denorm_mode_16_64 3
		.amdhsa_fp16_overflow 0
		.amdhsa_workgroup_processor_mode 1
		.amdhsa_memory_ordered 1
		.amdhsa_forward_progress 1
		.amdhsa_inst_pref_size 0
		.amdhsa_round_robin_scheduling 0
		.amdhsa_exception_fp_ieee_invalid_op 0
		.amdhsa_exception_fp_denorm_src 0
		.amdhsa_exception_fp_ieee_div_zero 0
		.amdhsa_exception_fp_ieee_overflow 0
		.amdhsa_exception_fp_ieee_underflow 0
		.amdhsa_exception_fp_ieee_inexact 0
		.amdhsa_exception_int_div_zero 0
	.end_amdhsa_kernel
	.section	.text._ZN7rocprim17ROCPRIM_400000_NS6detail17trampoline_kernelINS0_14default_configENS1_22reduce_config_selectorIiEEZNS1_11reduce_implILb1ES3_PiS7_iN6hipcub16HIPCUB_304000_NS6detail34convert_binary_result_type_wrapperINS9_3SumENS9_22TransformInputIteratorIbN2at6native12_GLOBAL__N_19NonZeroOpIN3c107complexIfEEEEPKSK_lEEiEEEE10hipError_tPvRmT1_T2_T3_mT4_P12ihipStream_tbEUlT_E1_NS1_11comp_targetILNS1_3genE2ELNS1_11target_archE906ELNS1_3gpuE6ELNS1_3repE0EEENS1_30default_config_static_selectorELNS0_4arch9wavefront6targetE0EEEvST_,"axG",@progbits,_ZN7rocprim17ROCPRIM_400000_NS6detail17trampoline_kernelINS0_14default_configENS1_22reduce_config_selectorIiEEZNS1_11reduce_implILb1ES3_PiS7_iN6hipcub16HIPCUB_304000_NS6detail34convert_binary_result_type_wrapperINS9_3SumENS9_22TransformInputIteratorIbN2at6native12_GLOBAL__N_19NonZeroOpIN3c107complexIfEEEEPKSK_lEEiEEEE10hipError_tPvRmT1_T2_T3_mT4_P12ihipStream_tbEUlT_E1_NS1_11comp_targetILNS1_3genE2ELNS1_11target_archE906ELNS1_3gpuE6ELNS1_3repE0EEENS1_30default_config_static_selectorELNS0_4arch9wavefront6targetE0EEEvST_,comdat
.Lfunc_end571:
	.size	_ZN7rocprim17ROCPRIM_400000_NS6detail17trampoline_kernelINS0_14default_configENS1_22reduce_config_selectorIiEEZNS1_11reduce_implILb1ES3_PiS7_iN6hipcub16HIPCUB_304000_NS6detail34convert_binary_result_type_wrapperINS9_3SumENS9_22TransformInputIteratorIbN2at6native12_GLOBAL__N_19NonZeroOpIN3c107complexIfEEEEPKSK_lEEiEEEE10hipError_tPvRmT1_T2_T3_mT4_P12ihipStream_tbEUlT_E1_NS1_11comp_targetILNS1_3genE2ELNS1_11target_archE906ELNS1_3gpuE6ELNS1_3repE0EEENS1_30default_config_static_selectorELNS0_4arch9wavefront6targetE0EEEvST_, .Lfunc_end571-_ZN7rocprim17ROCPRIM_400000_NS6detail17trampoline_kernelINS0_14default_configENS1_22reduce_config_selectorIiEEZNS1_11reduce_implILb1ES3_PiS7_iN6hipcub16HIPCUB_304000_NS6detail34convert_binary_result_type_wrapperINS9_3SumENS9_22TransformInputIteratorIbN2at6native12_GLOBAL__N_19NonZeroOpIN3c107complexIfEEEEPKSK_lEEiEEEE10hipError_tPvRmT1_T2_T3_mT4_P12ihipStream_tbEUlT_E1_NS1_11comp_targetILNS1_3genE2ELNS1_11target_archE906ELNS1_3gpuE6ELNS1_3repE0EEENS1_30default_config_static_selectorELNS0_4arch9wavefront6targetE0EEEvST_
                                        ; -- End function
	.set _ZN7rocprim17ROCPRIM_400000_NS6detail17trampoline_kernelINS0_14default_configENS1_22reduce_config_selectorIiEEZNS1_11reduce_implILb1ES3_PiS7_iN6hipcub16HIPCUB_304000_NS6detail34convert_binary_result_type_wrapperINS9_3SumENS9_22TransformInputIteratorIbN2at6native12_GLOBAL__N_19NonZeroOpIN3c107complexIfEEEEPKSK_lEEiEEEE10hipError_tPvRmT1_T2_T3_mT4_P12ihipStream_tbEUlT_E1_NS1_11comp_targetILNS1_3genE2ELNS1_11target_archE906ELNS1_3gpuE6ELNS1_3repE0EEENS1_30default_config_static_selectorELNS0_4arch9wavefront6targetE0EEEvST_.num_vgpr, 0
	.set _ZN7rocprim17ROCPRIM_400000_NS6detail17trampoline_kernelINS0_14default_configENS1_22reduce_config_selectorIiEEZNS1_11reduce_implILb1ES3_PiS7_iN6hipcub16HIPCUB_304000_NS6detail34convert_binary_result_type_wrapperINS9_3SumENS9_22TransformInputIteratorIbN2at6native12_GLOBAL__N_19NonZeroOpIN3c107complexIfEEEEPKSK_lEEiEEEE10hipError_tPvRmT1_T2_T3_mT4_P12ihipStream_tbEUlT_E1_NS1_11comp_targetILNS1_3genE2ELNS1_11target_archE906ELNS1_3gpuE6ELNS1_3repE0EEENS1_30default_config_static_selectorELNS0_4arch9wavefront6targetE0EEEvST_.num_agpr, 0
	.set _ZN7rocprim17ROCPRIM_400000_NS6detail17trampoline_kernelINS0_14default_configENS1_22reduce_config_selectorIiEEZNS1_11reduce_implILb1ES3_PiS7_iN6hipcub16HIPCUB_304000_NS6detail34convert_binary_result_type_wrapperINS9_3SumENS9_22TransformInputIteratorIbN2at6native12_GLOBAL__N_19NonZeroOpIN3c107complexIfEEEEPKSK_lEEiEEEE10hipError_tPvRmT1_T2_T3_mT4_P12ihipStream_tbEUlT_E1_NS1_11comp_targetILNS1_3genE2ELNS1_11target_archE906ELNS1_3gpuE6ELNS1_3repE0EEENS1_30default_config_static_selectorELNS0_4arch9wavefront6targetE0EEEvST_.numbered_sgpr, 0
	.set _ZN7rocprim17ROCPRIM_400000_NS6detail17trampoline_kernelINS0_14default_configENS1_22reduce_config_selectorIiEEZNS1_11reduce_implILb1ES3_PiS7_iN6hipcub16HIPCUB_304000_NS6detail34convert_binary_result_type_wrapperINS9_3SumENS9_22TransformInputIteratorIbN2at6native12_GLOBAL__N_19NonZeroOpIN3c107complexIfEEEEPKSK_lEEiEEEE10hipError_tPvRmT1_T2_T3_mT4_P12ihipStream_tbEUlT_E1_NS1_11comp_targetILNS1_3genE2ELNS1_11target_archE906ELNS1_3gpuE6ELNS1_3repE0EEENS1_30default_config_static_selectorELNS0_4arch9wavefront6targetE0EEEvST_.num_named_barrier, 0
	.set _ZN7rocprim17ROCPRIM_400000_NS6detail17trampoline_kernelINS0_14default_configENS1_22reduce_config_selectorIiEEZNS1_11reduce_implILb1ES3_PiS7_iN6hipcub16HIPCUB_304000_NS6detail34convert_binary_result_type_wrapperINS9_3SumENS9_22TransformInputIteratorIbN2at6native12_GLOBAL__N_19NonZeroOpIN3c107complexIfEEEEPKSK_lEEiEEEE10hipError_tPvRmT1_T2_T3_mT4_P12ihipStream_tbEUlT_E1_NS1_11comp_targetILNS1_3genE2ELNS1_11target_archE906ELNS1_3gpuE6ELNS1_3repE0EEENS1_30default_config_static_selectorELNS0_4arch9wavefront6targetE0EEEvST_.private_seg_size, 0
	.set _ZN7rocprim17ROCPRIM_400000_NS6detail17trampoline_kernelINS0_14default_configENS1_22reduce_config_selectorIiEEZNS1_11reduce_implILb1ES3_PiS7_iN6hipcub16HIPCUB_304000_NS6detail34convert_binary_result_type_wrapperINS9_3SumENS9_22TransformInputIteratorIbN2at6native12_GLOBAL__N_19NonZeroOpIN3c107complexIfEEEEPKSK_lEEiEEEE10hipError_tPvRmT1_T2_T3_mT4_P12ihipStream_tbEUlT_E1_NS1_11comp_targetILNS1_3genE2ELNS1_11target_archE906ELNS1_3gpuE6ELNS1_3repE0EEENS1_30default_config_static_selectorELNS0_4arch9wavefront6targetE0EEEvST_.uses_vcc, 0
	.set _ZN7rocprim17ROCPRIM_400000_NS6detail17trampoline_kernelINS0_14default_configENS1_22reduce_config_selectorIiEEZNS1_11reduce_implILb1ES3_PiS7_iN6hipcub16HIPCUB_304000_NS6detail34convert_binary_result_type_wrapperINS9_3SumENS9_22TransformInputIteratorIbN2at6native12_GLOBAL__N_19NonZeroOpIN3c107complexIfEEEEPKSK_lEEiEEEE10hipError_tPvRmT1_T2_T3_mT4_P12ihipStream_tbEUlT_E1_NS1_11comp_targetILNS1_3genE2ELNS1_11target_archE906ELNS1_3gpuE6ELNS1_3repE0EEENS1_30default_config_static_selectorELNS0_4arch9wavefront6targetE0EEEvST_.uses_flat_scratch, 0
	.set _ZN7rocprim17ROCPRIM_400000_NS6detail17trampoline_kernelINS0_14default_configENS1_22reduce_config_selectorIiEEZNS1_11reduce_implILb1ES3_PiS7_iN6hipcub16HIPCUB_304000_NS6detail34convert_binary_result_type_wrapperINS9_3SumENS9_22TransformInputIteratorIbN2at6native12_GLOBAL__N_19NonZeroOpIN3c107complexIfEEEEPKSK_lEEiEEEE10hipError_tPvRmT1_T2_T3_mT4_P12ihipStream_tbEUlT_E1_NS1_11comp_targetILNS1_3genE2ELNS1_11target_archE906ELNS1_3gpuE6ELNS1_3repE0EEENS1_30default_config_static_selectorELNS0_4arch9wavefront6targetE0EEEvST_.has_dyn_sized_stack, 0
	.set _ZN7rocprim17ROCPRIM_400000_NS6detail17trampoline_kernelINS0_14default_configENS1_22reduce_config_selectorIiEEZNS1_11reduce_implILb1ES3_PiS7_iN6hipcub16HIPCUB_304000_NS6detail34convert_binary_result_type_wrapperINS9_3SumENS9_22TransformInputIteratorIbN2at6native12_GLOBAL__N_19NonZeroOpIN3c107complexIfEEEEPKSK_lEEiEEEE10hipError_tPvRmT1_T2_T3_mT4_P12ihipStream_tbEUlT_E1_NS1_11comp_targetILNS1_3genE2ELNS1_11target_archE906ELNS1_3gpuE6ELNS1_3repE0EEENS1_30default_config_static_selectorELNS0_4arch9wavefront6targetE0EEEvST_.has_recursion, 0
	.set _ZN7rocprim17ROCPRIM_400000_NS6detail17trampoline_kernelINS0_14default_configENS1_22reduce_config_selectorIiEEZNS1_11reduce_implILb1ES3_PiS7_iN6hipcub16HIPCUB_304000_NS6detail34convert_binary_result_type_wrapperINS9_3SumENS9_22TransformInputIteratorIbN2at6native12_GLOBAL__N_19NonZeroOpIN3c107complexIfEEEEPKSK_lEEiEEEE10hipError_tPvRmT1_T2_T3_mT4_P12ihipStream_tbEUlT_E1_NS1_11comp_targetILNS1_3genE2ELNS1_11target_archE906ELNS1_3gpuE6ELNS1_3repE0EEENS1_30default_config_static_selectorELNS0_4arch9wavefront6targetE0EEEvST_.has_indirect_call, 0
	.section	.AMDGPU.csdata,"",@progbits
; Kernel info:
; codeLenInByte = 0
; TotalNumSgprs: 0
; NumVgprs: 0
; ScratchSize: 0
; MemoryBound: 0
; FloatMode: 240
; IeeeMode: 1
; LDSByteSize: 0 bytes/workgroup (compile time only)
; SGPRBlocks: 0
; VGPRBlocks: 0
; NumSGPRsForWavesPerEU: 1
; NumVGPRsForWavesPerEU: 1
; Occupancy: 16
; WaveLimiterHint : 0
; COMPUTE_PGM_RSRC2:SCRATCH_EN: 0
; COMPUTE_PGM_RSRC2:USER_SGPR: 2
; COMPUTE_PGM_RSRC2:TRAP_HANDLER: 0
; COMPUTE_PGM_RSRC2:TGID_X_EN: 1
; COMPUTE_PGM_RSRC2:TGID_Y_EN: 0
; COMPUTE_PGM_RSRC2:TGID_Z_EN: 0
; COMPUTE_PGM_RSRC2:TIDIG_COMP_CNT: 0
	.section	.text._ZN7rocprim17ROCPRIM_400000_NS6detail17trampoline_kernelINS0_14default_configENS1_22reduce_config_selectorIiEEZNS1_11reduce_implILb1ES3_PiS7_iN6hipcub16HIPCUB_304000_NS6detail34convert_binary_result_type_wrapperINS9_3SumENS9_22TransformInputIteratorIbN2at6native12_GLOBAL__N_19NonZeroOpIN3c107complexIfEEEEPKSK_lEEiEEEE10hipError_tPvRmT1_T2_T3_mT4_P12ihipStream_tbEUlT_E1_NS1_11comp_targetILNS1_3genE10ELNS1_11target_archE1201ELNS1_3gpuE5ELNS1_3repE0EEENS1_30default_config_static_selectorELNS0_4arch9wavefront6targetE0EEEvST_,"axG",@progbits,_ZN7rocprim17ROCPRIM_400000_NS6detail17trampoline_kernelINS0_14default_configENS1_22reduce_config_selectorIiEEZNS1_11reduce_implILb1ES3_PiS7_iN6hipcub16HIPCUB_304000_NS6detail34convert_binary_result_type_wrapperINS9_3SumENS9_22TransformInputIteratorIbN2at6native12_GLOBAL__N_19NonZeroOpIN3c107complexIfEEEEPKSK_lEEiEEEE10hipError_tPvRmT1_T2_T3_mT4_P12ihipStream_tbEUlT_E1_NS1_11comp_targetILNS1_3genE10ELNS1_11target_archE1201ELNS1_3gpuE5ELNS1_3repE0EEENS1_30default_config_static_selectorELNS0_4arch9wavefront6targetE0EEEvST_,comdat
	.globl	_ZN7rocprim17ROCPRIM_400000_NS6detail17trampoline_kernelINS0_14default_configENS1_22reduce_config_selectorIiEEZNS1_11reduce_implILb1ES3_PiS7_iN6hipcub16HIPCUB_304000_NS6detail34convert_binary_result_type_wrapperINS9_3SumENS9_22TransformInputIteratorIbN2at6native12_GLOBAL__N_19NonZeroOpIN3c107complexIfEEEEPKSK_lEEiEEEE10hipError_tPvRmT1_T2_T3_mT4_P12ihipStream_tbEUlT_E1_NS1_11comp_targetILNS1_3genE10ELNS1_11target_archE1201ELNS1_3gpuE5ELNS1_3repE0EEENS1_30default_config_static_selectorELNS0_4arch9wavefront6targetE0EEEvST_ ; -- Begin function _ZN7rocprim17ROCPRIM_400000_NS6detail17trampoline_kernelINS0_14default_configENS1_22reduce_config_selectorIiEEZNS1_11reduce_implILb1ES3_PiS7_iN6hipcub16HIPCUB_304000_NS6detail34convert_binary_result_type_wrapperINS9_3SumENS9_22TransformInputIteratorIbN2at6native12_GLOBAL__N_19NonZeroOpIN3c107complexIfEEEEPKSK_lEEiEEEE10hipError_tPvRmT1_T2_T3_mT4_P12ihipStream_tbEUlT_E1_NS1_11comp_targetILNS1_3genE10ELNS1_11target_archE1201ELNS1_3gpuE5ELNS1_3repE0EEENS1_30default_config_static_selectorELNS0_4arch9wavefront6targetE0EEEvST_
	.p2align	8
	.type	_ZN7rocprim17ROCPRIM_400000_NS6detail17trampoline_kernelINS0_14default_configENS1_22reduce_config_selectorIiEEZNS1_11reduce_implILb1ES3_PiS7_iN6hipcub16HIPCUB_304000_NS6detail34convert_binary_result_type_wrapperINS9_3SumENS9_22TransformInputIteratorIbN2at6native12_GLOBAL__N_19NonZeroOpIN3c107complexIfEEEEPKSK_lEEiEEEE10hipError_tPvRmT1_T2_T3_mT4_P12ihipStream_tbEUlT_E1_NS1_11comp_targetILNS1_3genE10ELNS1_11target_archE1201ELNS1_3gpuE5ELNS1_3repE0EEENS1_30default_config_static_selectorELNS0_4arch9wavefront6targetE0EEEvST_,@function
_ZN7rocprim17ROCPRIM_400000_NS6detail17trampoline_kernelINS0_14default_configENS1_22reduce_config_selectorIiEEZNS1_11reduce_implILb1ES3_PiS7_iN6hipcub16HIPCUB_304000_NS6detail34convert_binary_result_type_wrapperINS9_3SumENS9_22TransformInputIteratorIbN2at6native12_GLOBAL__N_19NonZeroOpIN3c107complexIfEEEEPKSK_lEEiEEEE10hipError_tPvRmT1_T2_T3_mT4_P12ihipStream_tbEUlT_E1_NS1_11comp_targetILNS1_3genE10ELNS1_11target_archE1201ELNS1_3gpuE5ELNS1_3repE0EEENS1_30default_config_static_selectorELNS0_4arch9wavefront6targetE0EEEvST_: ; @_ZN7rocprim17ROCPRIM_400000_NS6detail17trampoline_kernelINS0_14default_configENS1_22reduce_config_selectorIiEEZNS1_11reduce_implILb1ES3_PiS7_iN6hipcub16HIPCUB_304000_NS6detail34convert_binary_result_type_wrapperINS9_3SumENS9_22TransformInputIteratorIbN2at6native12_GLOBAL__N_19NonZeroOpIN3c107complexIfEEEEPKSK_lEEiEEEE10hipError_tPvRmT1_T2_T3_mT4_P12ihipStream_tbEUlT_E1_NS1_11comp_targetILNS1_3genE10ELNS1_11target_archE1201ELNS1_3gpuE5ELNS1_3repE0EEENS1_30default_config_static_selectorELNS0_4arch9wavefront6targetE0EEEvST_
; %bb.0:
	s_clause 0x1
	s_load_b32 s33, s[0:1], 0x4
	s_load_b128 s[36:39], s[0:1], 0x8
	s_mov_b32 s34, ttmp9
	s_wait_kmcnt 0x0
	s_cmp_lt_i32 s33, 8
	s_cbranch_scc1 .LBB572_11
; %bb.1:
	s_cmp_gt_i32 s33, 15
	s_cbranch_scc0 .LBB572_12
; %bb.2:
	s_cmp_gt_i32 s33, 31
	s_cbranch_scc0 .LBB572_13
; %bb.3:
	s_cmp_eq_u32 s33, 32
	s_mov_b32 s42, 0
	s_cbranch_scc0 .LBB572_14
; %bb.4:
	s_mov_b32 s35, 0
	s_lshl_b32 s2, s34, 13
	s_mov_b32 s3, s35
	s_lshr_b64 s[4:5], s[38:39], 13
	s_lshl_b64 s[6:7], s[2:3], 2
	s_cmp_lg_u64 s[4:5], s[34:35]
	s_add_nc_u64 s[40:41], s[36:37], s[6:7]
	s_cbranch_scc0 .LBB572_23
; %bb.5:
	v_lshlrev_b32_e32 v1, 2, v0
	s_mov_b32 s3, exec_lo
	s_clause 0x1f
	global_load_b32 v2, v1, s[40:41]
	global_load_b32 v3, v1, s[40:41] offset:1024
	global_load_b32 v4, v1, s[40:41] offset:2048
	;; [unrolled: 1-line block ×31, first 2 shown]
	s_wait_loadcnt 0x1e
	v_add_nc_u32_e32 v2, v3, v2
	s_wait_loadcnt 0x1c
	s_delay_alu instid0(VALU_DEP_1) | instskip(SKIP_1) | instid1(VALU_DEP_1)
	v_add3_u32 v2, v2, v4, v5
	s_wait_loadcnt 0x1a
	v_add3_u32 v2, v2, v6, v7
	s_wait_loadcnt 0x18
	s_delay_alu instid0(VALU_DEP_1) | instskip(SKIP_1) | instid1(VALU_DEP_1)
	v_add3_u32 v2, v2, v8, v9
	s_wait_loadcnt 0x16
	v_add3_u32 v2, v2, v10, v11
	;; [unrolled: 5-line block ×7, first 2 shown]
	s_wait_loadcnt 0x0
	s_delay_alu instid0(VALU_DEP_1) | instskip(NEXT) | instid1(VALU_DEP_1)
	v_add3_u32 v1, v2, v32, v1
	v_mov_b32_dpp v2, v1 quad_perm:[1,0,3,2] row_mask:0xf bank_mask:0xf
	s_delay_alu instid0(VALU_DEP_1) | instskip(NEXT) | instid1(VALU_DEP_1)
	v_add_nc_u32_e32 v1, v2, v1
	v_mov_b32_dpp v2, v1 quad_perm:[2,3,0,1] row_mask:0xf bank_mask:0xf
	s_delay_alu instid0(VALU_DEP_1) | instskip(NEXT) | instid1(VALU_DEP_1)
	v_add_nc_u32_e32 v1, v1, v2
	v_mov_b32_dpp v2, v1 row_ror:4 row_mask:0xf bank_mask:0xf
	s_delay_alu instid0(VALU_DEP_1) | instskip(NEXT) | instid1(VALU_DEP_1)
	v_add_nc_u32_e32 v1, v1, v2
	v_mov_b32_dpp v2, v1 row_ror:8 row_mask:0xf bank_mask:0xf
	s_delay_alu instid0(VALU_DEP_1)
	v_add_nc_u32_e32 v1, v1, v2
	ds_swizzle_b32 v2, v1 offset:swizzle(BROADCAST,32,15)
	s_wait_dscnt 0x0
	v_dual_mov_b32 v2, 0 :: v_dual_add_nc_u32 v1, v1, v2
	ds_bpermute_b32 v1, v2, v1 offset:124
	v_mbcnt_lo_u32_b32 v2, -1, 0
	s_delay_alu instid0(VALU_DEP_1)
	v_cmpx_eq_u32_e32 0, v2
	s_cbranch_execz .LBB572_7
; %bb.6:
	v_lshrrev_b32_e32 v3, 3, v0
	s_delay_alu instid0(VALU_DEP_1)
	v_and_b32_e32 v3, 28, v3
	s_wait_dscnt 0x0
	ds_store_b32 v3, v1 offset:96
.LBB572_7:
	s_or_b32 exec_lo, exec_lo, s3
	s_delay_alu instid0(SALU_CYCLE_1)
	s_mov_b32 s3, exec_lo
	s_wait_dscnt 0x0
	s_barrier_signal -1
	s_barrier_wait -1
	global_inv scope:SCOPE_SE
	v_cmpx_gt_u32_e32 32, v0
	s_cbranch_execz .LBB572_9
; %bb.8:
	v_lshl_or_b32 v1, v2, 2, 0x60
	v_and_b32_e32 v3, 7, v2
	ds_load_b32 v1, v1
	v_cmp_ne_u32_e32 vcc_lo, 7, v3
	v_add_co_ci_u32_e64 v4, null, 0, v2, vcc_lo
	v_cmp_gt_u32_e32 vcc_lo, 6, v3
	s_delay_alu instid0(VALU_DEP_2) | instskip(SKIP_2) | instid1(VALU_DEP_1)
	v_lshlrev_b32_e32 v4, 2, v4
	s_wait_alu 0xfffd
	v_cndmask_b32_e64 v3, 0, 2, vcc_lo
	v_add_lshl_u32 v3, v3, v2, 2
	v_lshlrev_b32_e32 v2, 2, v2
	s_wait_dscnt 0x0
	ds_bpermute_b32 v4, v4, v1
	v_or_b32_e32 v2, 16, v2
	s_wait_dscnt 0x0
	v_add_nc_u32_e32 v1, v4, v1
	ds_bpermute_b32 v3, v3, v1
	s_wait_dscnt 0x0
	v_add_nc_u32_e32 v1, v3, v1
	ds_bpermute_b32 v2, v2, v1
	s_wait_dscnt 0x0
	v_add_nc_u32_e32 v1, v2, v1
.LBB572_9:
	s_or_b32 exec_lo, exec_lo, s3
.LBB572_10:
	v_cmp_eq_u32_e64 s2, 0, v0
	s_and_b32 vcc_lo, exec_lo, s42
	s_wait_alu 0xfffe
	s_cbranch_vccnz .LBB572_15
	s_branch .LBB572_93
.LBB572_11:
	s_mov_b32 s2, 0
                                        ; implicit-def: $vgpr1
	s_cbranch_execnz .LBB572_166
	s_branch .LBB572_224
.LBB572_12:
	s_mov_b32 s2, 0
                                        ; implicit-def: $vgpr1
	s_cbranch_execnz .LBB572_134
	s_branch .LBB572_142
.LBB572_13:
	s_mov_b32 s42, -1
.LBB572_14:
	s_mov_b32 s2, 0
                                        ; implicit-def: $vgpr1
	s_and_b32 vcc_lo, exec_lo, s42
	s_cbranch_vccz .LBB572_93
.LBB572_15:
	s_cmp_eq_u32 s33, 16
	s_cbranch_scc0 .LBB572_22
; %bb.16:
	s_mov_b32 s35, 0
	s_lshl_b32 s2, s34, 12
	s_mov_b32 s3, s35
	s_lshr_b64 s[4:5], s[38:39], 12
	s_wait_alu 0xfffe
	s_lshl_b64 s[6:7], s[2:3], 2
	s_cmp_lg_u64 s[4:5], s[34:35]
	s_wait_alu 0xfffe
	s_add_nc_u64 s[16:17], s[36:37], s[6:7]
	s_cbranch_scc0 .LBB572_94
; %bb.17:
	v_lshlrev_b32_e32 v1, 2, v0
	s_mov_b32 s3, exec_lo
	s_clause 0xf
	global_load_b32 v2, v1, s[16:17]
	global_load_b32 v3, v1, s[16:17] offset:1024
	global_load_b32 v4, v1, s[16:17] offset:2048
	;; [unrolled: 1-line block ×15, first 2 shown]
	s_wait_loadcnt 0xe
	v_add_nc_u32_e32 v2, v3, v2
	s_wait_loadcnt 0xc
	s_delay_alu instid0(VALU_DEP_1) | instskip(SKIP_1) | instid1(VALU_DEP_1)
	v_add3_u32 v2, v2, v4, v5
	s_wait_loadcnt 0xa
	v_add3_u32 v2, v2, v6, v7
	s_wait_loadcnt 0x8
	s_delay_alu instid0(VALU_DEP_1) | instskip(SKIP_1) | instid1(VALU_DEP_1)
	v_add3_u32 v2, v2, v8, v9
	s_wait_loadcnt 0x6
	v_add3_u32 v2, v2, v10, v11
	;; [unrolled: 5-line block ×3, first 2 shown]
	s_wait_loadcnt 0x0
	s_delay_alu instid0(VALU_DEP_1) | instskip(NEXT) | instid1(VALU_DEP_1)
	v_add3_u32 v1, v2, v16, v1
	v_mov_b32_dpp v2, v1 quad_perm:[1,0,3,2] row_mask:0xf bank_mask:0xf
	s_delay_alu instid0(VALU_DEP_1) | instskip(NEXT) | instid1(VALU_DEP_1)
	v_add_nc_u32_e32 v1, v2, v1
	v_mov_b32_dpp v2, v1 quad_perm:[2,3,0,1] row_mask:0xf bank_mask:0xf
	s_delay_alu instid0(VALU_DEP_1) | instskip(NEXT) | instid1(VALU_DEP_1)
	v_add_nc_u32_e32 v1, v1, v2
	v_mov_b32_dpp v2, v1 row_ror:4 row_mask:0xf bank_mask:0xf
	s_delay_alu instid0(VALU_DEP_1) | instskip(NEXT) | instid1(VALU_DEP_1)
	v_add_nc_u32_e32 v1, v1, v2
	v_mov_b32_dpp v2, v1 row_ror:8 row_mask:0xf bank_mask:0xf
	s_delay_alu instid0(VALU_DEP_1)
	v_add_nc_u32_e32 v1, v1, v2
	ds_swizzle_b32 v2, v1 offset:swizzle(BROADCAST,32,15)
	s_wait_dscnt 0x0
	v_dual_mov_b32 v2, 0 :: v_dual_add_nc_u32 v1, v1, v2
	ds_bpermute_b32 v1, v2, v1 offset:124
	v_mbcnt_lo_u32_b32 v2, -1, 0
	s_delay_alu instid0(VALU_DEP_1)
	v_cmpx_eq_u32_e32 0, v2
	s_cbranch_execz .LBB572_19
; %bb.18:
	v_lshrrev_b32_e32 v3, 3, v0
	s_delay_alu instid0(VALU_DEP_1)
	v_and_b32_e32 v3, 28, v3
	s_wait_dscnt 0x0
	ds_store_b32 v3, v1
.LBB572_19:
	s_wait_alu 0xfffe
	s_or_b32 exec_lo, exec_lo, s3
	s_delay_alu instid0(SALU_CYCLE_1)
	s_mov_b32 s3, exec_lo
	s_wait_dscnt 0x0
	s_barrier_signal -1
	s_barrier_wait -1
	global_inv scope:SCOPE_SE
	v_cmpx_gt_u32_e32 32, v0
	s_cbranch_execz .LBB572_21
; %bb.20:
	v_and_b32_e32 v1, 7, v2
	s_delay_alu instid0(VALU_DEP_1)
	v_lshlrev_b32_e32 v3, 2, v1
	v_cmp_ne_u32_e32 vcc_lo, 7, v1
	ds_load_b32 v3, v3
	s_wait_alu 0xfffd
	v_add_co_ci_u32_e64 v4, null, 0, v2, vcc_lo
	v_cmp_gt_u32_e32 vcc_lo, 6, v1
	s_delay_alu instid0(VALU_DEP_2) | instskip(SKIP_2) | instid1(VALU_DEP_1)
	v_lshlrev_b32_e32 v4, 2, v4
	s_wait_alu 0xfffd
	v_cndmask_b32_e64 v1, 0, 2, vcc_lo
	v_add_lshl_u32 v1, v1, v2, 2
	v_lshlrev_b32_e32 v2, 2, v2
	s_delay_alu instid0(VALU_DEP_1)
	v_or_b32_e32 v2, 16, v2
	s_wait_dscnt 0x0
	ds_bpermute_b32 v4, v4, v3
	s_wait_dscnt 0x0
	v_add_nc_u32_e32 v3, v4, v3
	ds_bpermute_b32 v1, v1, v3
	s_wait_dscnt 0x0
	v_add_nc_u32_e32 v1, v1, v3
	;; [unrolled: 3-line block ×3, first 2 shown]
.LBB572_21:
	s_wait_alu 0xfffe
	s_or_b32 exec_lo, exec_lo, s3
	s_mov_b32 s3, 0
	s_branch .LBB572_95
.LBB572_22:
                                        ; implicit-def: $vgpr1
	s_branch .LBB572_142
.LBB572_23:
                                        ; implicit-def: $vgpr1
	s_cbranch_execz .LBB572_10
; %bb.24:
	v_mov_b32_e32 v1, 0
	s_sub_co_i32 s43, s38, s2
	s_delay_alu instid0(SALU_CYCLE_1) | instskip(NEXT) | instid1(VALU_DEP_2)
	v_cmp_gt_u32_e32 vcc_lo, s43, v0
	v_dual_mov_b32 v2, v1 :: v_dual_mov_b32 v3, v1
	v_dual_mov_b32 v4, v1 :: v_dual_mov_b32 v5, v1
	;; [unrolled: 1-line block ×15, first 2 shown]
	v_mov_b32_e32 v32, v1
	s_and_saveexec_b32 s2, vcc_lo
	s_cbranch_execz .LBB572_26
; %bb.25:
	v_dual_mov_b32 v3, v1 :: v_dual_lshlrev_b32 v2, 2, v0
	v_dual_mov_b32 v32, v1 :: v_dual_mov_b32 v33, v1
	v_dual_mov_b32 v4, v1 :: v_dual_mov_b32 v5, v1
	global_load_b32 v2, v2, s[40:41]
	v_dual_mov_b32 v6, v1 :: v_dual_mov_b32 v7, v1
	v_dual_mov_b32 v8, v1 :: v_dual_mov_b32 v9, v1
	;; [unrolled: 1-line block ×13, first 2 shown]
	s_wait_loadcnt 0x0
	v_mov_b32_e32 v1, v2
	v_mov_b32_e32 v2, v3
	;; [unrolled: 1-line block ×32, first 2 shown]
.LBB572_26:
	s_or_b32 exec_lo, exec_lo, s2
	v_or_b32_e32 v33, 0x100, v0
	s_delay_alu instid0(VALU_DEP_1)
	v_cmp_gt_u32_e32 vcc_lo, s43, v33
	s_and_saveexec_b32 s2, vcc_lo
	s_cbranch_execz .LBB572_28
; %bb.27:
	v_lshlrev_b32_e32 v2, 2, v0
	global_load_b32 v2, v2, s[40:41] offset:1024
.LBB572_28:
	s_or_b32 exec_lo, exec_lo, s2
	v_or_b32_e32 v33, 0x200, v0
	s_delay_alu instid0(VALU_DEP_1)
	v_cmp_gt_u32_e64 s2, s43, v33
	s_and_saveexec_b32 s3, s2
	s_cbranch_execz .LBB572_30
; %bb.29:
	v_lshlrev_b32_e32 v3, 2, v0
	global_load_b32 v3, v3, s[40:41] offset:2048
.LBB572_30:
	s_or_b32 exec_lo, exec_lo, s3
	v_or_b32_e32 v33, 0x300, v0
	s_delay_alu instid0(VALU_DEP_1)
	v_cmp_gt_u32_e64 s3, s43, v33
	s_and_saveexec_b32 s4, s3
	;; [unrolled: 10-line block ×30, first 2 shown]
	s_cbranch_execz .LBB572_88
; %bb.87:
	v_lshlrev_b32_e32 v32, 2, v0
	global_load_b32 v32, v32, s[40:41] offset:31744
.LBB572_88:
	s_or_b32 exec_lo, exec_lo, s44
	s_wait_loadcnt 0x0
	v_cndmask_b32_e32 v2, 0, v2, vcc_lo
	v_cndmask_b32_e64 v3, 0, v3, s2
	v_cndmask_b32_e64 v4, 0, v4, s3
	s_min_u32 s2, s43, 0x100
	s_mov_b32 s3, exec_lo
	v_add_nc_u32_e32 v1, v2, v1
	v_cndmask_b32_e64 v2, 0, v5, s4
	v_cndmask_b32_e64 v5, 0, v6, s5
	;; [unrolled: 1-line block ×3, first 2 shown]
	s_delay_alu instid0(VALU_DEP_4) | instskip(SKIP_3) | instid1(VALU_DEP_4)
	v_add3_u32 v1, v1, v3, v4
	v_cndmask_b32_e64 v3, 0, v7, s6
	v_cndmask_b32_e64 v4, 0, v8, s7
	;; [unrolled: 1-line block ×3, first 2 shown]
	v_add3_u32 v1, v1, v2, v5
	v_cndmask_b32_e64 v2, 0, v9, s8
	v_cndmask_b32_e64 v5, 0, v10, s9
	s_delay_alu instid0(VALU_DEP_3) | instskip(SKIP_2) | instid1(VALU_DEP_3)
	v_add3_u32 v1, v1, v3, v4
	v_cndmask_b32_e64 v3, 0, v11, s10
	v_cndmask_b32_e64 v4, 0, v12, s11
	v_add3_u32 v1, v1, v2, v5
	v_cndmask_b32_e64 v2, 0, v13, s12
	v_cndmask_b32_e64 v5, 0, v14, s13
	s_delay_alu instid0(VALU_DEP_3) | instskip(SKIP_2) | instid1(VALU_DEP_3)
	v_add3_u32 v1, v1, v3, v4
	v_cndmask_b32_e64 v3, 0, v15, s14
	v_cndmask_b32_e64 v4, 0, v16, s15
	;; [unrolled: 7-line block ×5, first 2 shown]
	v_add3_u32 v1, v1, v2, v5
	v_mbcnt_lo_u32_b32 v2, -1, 0
	v_cndmask_b32_e64 v5, 0, v29, s28
	s_delay_alu instid0(VALU_DEP_3) | instskip(NEXT) | instid1(VALU_DEP_3)
	v_add3_u32 v1, v1, v3, v4
	v_cmp_ne_u32_e32 vcc_lo, 31, v2
	v_cndmask_b32_e64 v3, 0, v32, s31
	s_delay_alu instid0(VALU_DEP_3)
	v_add3_u32 v1, v1, v5, v6
	s_wait_alu 0xfffd
	v_add_co_ci_u32_e64 v4, null, 0, v2, vcc_lo
	v_add_nc_u32_e32 v5, 1, v2
	v_cmp_gt_u32_e32 vcc_lo, 30, v2
	v_add3_u32 v1, v1, v7, v3
	s_delay_alu instid0(VALU_DEP_4)
	v_lshlrev_b32_e32 v4, 2, v4
	s_wait_alu 0xfffd
	v_cndmask_b32_e64 v6, 0, 2, vcc_lo
	ds_bpermute_b32 v3, v4, v1
	v_and_b32_e32 v4, 0xe0, v0
	s_wait_alu 0xfffe
	s_delay_alu instid0(VALU_DEP_1) | instskip(NEXT) | instid1(VALU_DEP_1)
	v_sub_nc_u32_e64 v4, s2, v4 clamp
	v_cmp_lt_u32_e32 vcc_lo, v5, v4
	v_add_lshl_u32 v5, v6, v2, 2
	s_wait_dscnt 0x0
	s_wait_alu 0xfffd
	v_cndmask_b32_e32 v3, 0, v3, vcc_lo
	v_cmp_gt_u32_e32 vcc_lo, 28, v2
	s_delay_alu instid0(VALU_DEP_2) | instskip(SKIP_4) | instid1(VALU_DEP_1)
	v_add_nc_u32_e32 v1, v1, v3
	s_wait_alu 0xfffd
	v_cndmask_b32_e64 v6, 0, 4, vcc_lo
	ds_bpermute_b32 v3, v5, v1
	v_add_nc_u32_e32 v5, 2, v2
	v_cmp_lt_u32_e32 vcc_lo, v5, v4
	v_add_lshl_u32 v5, v6, v2, 2
	s_wait_dscnt 0x0
	s_wait_alu 0xfffd
	v_cndmask_b32_e32 v3, 0, v3, vcc_lo
	v_cmp_gt_u32_e32 vcc_lo, 24, v2
	s_delay_alu instid0(VALU_DEP_2) | instskip(SKIP_4) | instid1(VALU_DEP_1)
	v_add_nc_u32_e32 v1, v1, v3
	s_wait_alu 0xfffd
	v_cndmask_b32_e64 v6, 0, 8, vcc_lo
	ds_bpermute_b32 v3, v5, v1
	v_add_nc_u32_e32 v5, 4, v2
	v_cmp_lt_u32_e32 vcc_lo, v5, v4
	v_add_lshl_u32 v5, v6, v2, 2
	s_wait_dscnt 0x0
	s_wait_alu 0xfffd
	v_cndmask_b32_e32 v3, 0, v3, vcc_lo
	s_delay_alu instid0(VALU_DEP_1) | instskip(SKIP_3) | instid1(VALU_DEP_1)
	v_add_nc_u32_e32 v1, v1, v3
	v_lshlrev_b32_e32 v3, 2, v2
	ds_bpermute_b32 v5, v5, v1
	v_add_nc_u32_e32 v6, 8, v2
	v_cmp_lt_u32_e32 vcc_lo, v6, v4
	v_or_b32_e32 v6, 64, v3
	s_wait_dscnt 0x0
	s_wait_alu 0xfffd
	v_cndmask_b32_e32 v5, 0, v5, vcc_lo
	s_delay_alu instid0(VALU_DEP_1) | instskip(SKIP_2) | instid1(VALU_DEP_1)
	v_add_nc_u32_e32 v1, v1, v5
	ds_bpermute_b32 v5, v6, v1
	v_add_nc_u32_e32 v6, 16, v2
	v_cmp_lt_u32_e32 vcc_lo, v6, v4
	s_wait_dscnt 0x0
	s_wait_alu 0xfffd
	v_cndmask_b32_e32 v4, 0, v5, vcc_lo
	s_delay_alu instid0(VALU_DEP_1)
	v_add_nc_u32_e32 v1, v1, v4
	v_cmpx_eq_u32_e32 0, v2
; %bb.89:
	v_lshrrev_b32_e32 v4, 3, v0
	s_delay_alu instid0(VALU_DEP_1)
	v_and_b32_e32 v4, 28, v4
	ds_store_b32 v4, v1 offset:192
; %bb.90:
	s_or_b32 exec_lo, exec_lo, s3
	s_delay_alu instid0(SALU_CYCLE_1)
	s_mov_b32 s3, exec_lo
	s_wait_dscnt 0x0
	s_barrier_signal -1
	s_barrier_wait -1
	global_inv scope:SCOPE_SE
	v_cmpx_gt_u32_e32 8, v0
	s_cbranch_execz .LBB572_92
; %bb.91:
	ds_load_b32 v1, v3 offset:192
	v_and_b32_e32 v4, 7, v2
	s_add_co_i32 s2, s2, 31
	s_wait_alu 0xfffe
	s_lshr_b32 s2, s2, 5
	s_delay_alu instid0(VALU_DEP_1) | instskip(SKIP_4) | instid1(VALU_DEP_2)
	v_cmp_ne_u32_e32 vcc_lo, 7, v4
	v_add_nc_u32_e32 v6, 1, v4
	s_wait_alu 0xfffd
	v_add_co_ci_u32_e64 v5, null, 0, v2, vcc_lo
	v_cmp_gt_u32_e32 vcc_lo, 6, v4
	v_lshlrev_b32_e32 v5, 2, v5
	s_wait_alu 0xfffd
	v_cndmask_b32_e64 v7, 0, 2, vcc_lo
	s_wait_alu 0xfffe
	v_cmp_gt_u32_e32 vcc_lo, s2, v6
	s_wait_dscnt 0x0
	ds_bpermute_b32 v5, v5, v1
	v_add_lshl_u32 v2, v7, v2, 2
	s_wait_dscnt 0x0
	s_wait_alu 0xfffd
	v_cndmask_b32_e32 v5, 0, v5, vcc_lo
	s_delay_alu instid0(VALU_DEP_1)
	v_add_nc_u32_e32 v1, v5, v1
	v_add_nc_u32_e32 v5, 2, v4
	ds_bpermute_b32 v2, v2, v1
	v_cmp_gt_u32_e32 vcc_lo, s2, v5
	s_wait_dscnt 0x0
	s_wait_alu 0xfffd
	v_cndmask_b32_e32 v2, 0, v2, vcc_lo
	s_delay_alu instid0(VALU_DEP_1)
	v_add_nc_u32_e32 v1, v1, v2
	v_or_b32_e32 v2, 16, v3
	v_add_nc_u32_e32 v3, 4, v4
	ds_bpermute_b32 v2, v2, v1
	v_cmp_gt_u32_e32 vcc_lo, s2, v3
	s_wait_dscnt 0x0
	s_wait_alu 0xfffd
	v_cndmask_b32_e32 v2, 0, v2, vcc_lo
	s_delay_alu instid0(VALU_DEP_1)
	v_add_nc_u32_e32 v1, v1, v2
.LBB572_92:
	s_wait_alu 0xfffe
	s_or_b32 exec_lo, exec_lo, s3
	v_cmp_eq_u32_e64 s2, 0, v0
	s_and_b32 vcc_lo, exec_lo, s42
	s_wait_alu 0xfffe
	s_cbranch_vccnz .LBB572_15
.LBB572_93:
	s_branch .LBB572_142
.LBB572_94:
	s_mov_b32 s3, -1
                                        ; implicit-def: $vgpr1
.LBB572_95:
	s_wait_alu 0xfffe
	s_and_b32 vcc_lo, exec_lo, s3
	s_wait_alu 0xfffe
	s_cbranch_vccz .LBB572_133
; %bb.96:
	v_mov_b32_e32 v1, 0
	s_sub_co_i32 s18, s38, s2
	s_mov_b32 s2, exec_lo
	s_delay_alu instid0(VALU_DEP_1)
	v_dual_mov_b32 v2, v1 :: v_dual_mov_b32 v3, v1
	v_dual_mov_b32 v4, v1 :: v_dual_mov_b32 v5, v1
	;; [unrolled: 1-line block ×7, first 2 shown]
	v_mov_b32_e32 v16, v1
	s_wait_alu 0xfffe
	v_cmpx_gt_u32_e64 s18, v0
	s_cbranch_execz .LBB572_98
; %bb.97:
	v_dual_mov_b32 v3, v1 :: v_dual_lshlrev_b32 v2, 2, v0
	v_dual_mov_b32 v16, v1 :: v_dual_mov_b32 v17, v1
	v_dual_mov_b32 v4, v1 :: v_dual_mov_b32 v5, v1
	global_load_b32 v2, v2, s[16:17]
	v_dual_mov_b32 v6, v1 :: v_dual_mov_b32 v7, v1
	v_dual_mov_b32 v8, v1 :: v_dual_mov_b32 v9, v1
	v_dual_mov_b32 v10, v1 :: v_dual_mov_b32 v11, v1
	v_dual_mov_b32 v12, v1 :: v_dual_mov_b32 v13, v1
	v_dual_mov_b32 v14, v1 :: v_dual_mov_b32 v15, v1
	s_wait_loadcnt 0x0
	v_mov_b32_e32 v1, v2
	v_mov_b32_e32 v2, v3
	;; [unrolled: 1-line block ×16, first 2 shown]
.LBB572_98:
	s_or_b32 exec_lo, exec_lo, s2
	v_or_b32_e32 v17, 0x100, v0
	s_delay_alu instid0(VALU_DEP_1)
	v_cmp_gt_u32_e32 vcc_lo, s18, v17
	s_and_saveexec_b32 s2, vcc_lo
	s_cbranch_execz .LBB572_100
; %bb.99:
	v_lshlrev_b32_e32 v2, 2, v0
	global_load_b32 v2, v2, s[16:17] offset:1024
.LBB572_100:
	s_wait_alu 0xfffe
	s_or_b32 exec_lo, exec_lo, s2
	v_or_b32_e32 v17, 0x200, v0
	s_delay_alu instid0(VALU_DEP_1)
	v_cmp_gt_u32_e64 s2, s18, v17
	s_and_saveexec_b32 s3, s2
	s_cbranch_execz .LBB572_102
; %bb.101:
	v_lshlrev_b32_e32 v3, 2, v0
	global_load_b32 v3, v3, s[16:17] offset:2048
.LBB572_102:
	s_wait_alu 0xfffe
	s_or_b32 exec_lo, exec_lo, s3
	v_or_b32_e32 v17, 0x300, v0
	s_delay_alu instid0(VALU_DEP_1)
	v_cmp_gt_u32_e64 s3, s18, v17
	s_and_saveexec_b32 s4, s3
	;; [unrolled: 11-line block ×14, first 2 shown]
	s_cbranch_execz .LBB572_128
; %bb.127:
	v_lshlrev_b32_e32 v16, 2, v0
	global_load_b32 v16, v16, s[16:17] offset:15360
.LBB572_128:
	s_wait_alu 0xfffe
	s_or_b32 exec_lo, exec_lo, s19
	s_wait_loadcnt 0x0
	v_cndmask_b32_e32 v2, 0, v2, vcc_lo
	v_cndmask_b32_e64 v3, 0, v3, s2
	v_cndmask_b32_e64 v4, 0, v4, s3
	s_min_u32 s2, s18, 0x100
	s_mov_b32 s3, exec_lo
	v_add_nc_u32_e32 v1, v2, v1
	v_cndmask_b32_e64 v2, 0, v5, s4
	v_cndmask_b32_e64 v5, 0, v6, s5
	;; [unrolled: 1-line block ×3, first 2 shown]
	s_delay_alu instid0(VALU_DEP_4) | instskip(SKIP_3) | instid1(VALU_DEP_4)
	v_add3_u32 v1, v1, v3, v4
	v_cndmask_b32_e64 v3, 0, v7, s6
	v_cndmask_b32_e64 v4, 0, v8, s7
	;; [unrolled: 1-line block ×3, first 2 shown]
	v_add3_u32 v1, v1, v2, v5
	v_cndmask_b32_e64 v2, 0, v9, s8
	v_cndmask_b32_e64 v5, 0, v10, s9
	s_delay_alu instid0(VALU_DEP_3) | instskip(SKIP_2) | instid1(VALU_DEP_3)
	v_add3_u32 v1, v1, v3, v4
	v_cndmask_b32_e64 v3, 0, v11, s10
	v_cndmask_b32_e64 v4, 0, v12, s11
	v_add3_u32 v1, v1, v2, v5
	v_mbcnt_lo_u32_b32 v2, -1, 0
	v_cndmask_b32_e64 v5, 0, v13, s12
	s_delay_alu instid0(VALU_DEP_3) | instskip(NEXT) | instid1(VALU_DEP_3)
	v_add3_u32 v1, v1, v3, v4
	v_cmp_ne_u32_e32 vcc_lo, 31, v2
	v_cndmask_b32_e64 v3, 0, v16, s15
	s_delay_alu instid0(VALU_DEP_3)
	v_add3_u32 v1, v1, v5, v6
	s_wait_alu 0xfffd
	v_add_co_ci_u32_e64 v4, null, 0, v2, vcc_lo
	v_add_nc_u32_e32 v5, 1, v2
	v_cmp_gt_u32_e32 vcc_lo, 30, v2
	v_add3_u32 v1, v1, v7, v3
	s_delay_alu instid0(VALU_DEP_4)
	v_lshlrev_b32_e32 v4, 2, v4
	s_wait_alu 0xfffd
	v_cndmask_b32_e64 v6, 0, 2, vcc_lo
	ds_bpermute_b32 v3, v4, v1
	v_and_b32_e32 v4, 0xe0, v0
	s_wait_alu 0xfffe
	s_delay_alu instid0(VALU_DEP_1) | instskip(NEXT) | instid1(VALU_DEP_1)
	v_sub_nc_u32_e64 v4, s2, v4 clamp
	v_cmp_lt_u32_e32 vcc_lo, v5, v4
	v_add_lshl_u32 v5, v6, v2, 2
	s_wait_dscnt 0x0
	s_wait_alu 0xfffd
	v_cndmask_b32_e32 v3, 0, v3, vcc_lo
	v_cmp_gt_u32_e32 vcc_lo, 28, v2
	s_delay_alu instid0(VALU_DEP_2) | instskip(SKIP_4) | instid1(VALU_DEP_1)
	v_add_nc_u32_e32 v1, v1, v3
	s_wait_alu 0xfffd
	v_cndmask_b32_e64 v6, 0, 4, vcc_lo
	ds_bpermute_b32 v3, v5, v1
	v_add_nc_u32_e32 v5, 2, v2
	v_cmp_lt_u32_e32 vcc_lo, v5, v4
	v_add_lshl_u32 v5, v6, v2, 2
	s_wait_dscnt 0x0
	s_wait_alu 0xfffd
	v_cndmask_b32_e32 v3, 0, v3, vcc_lo
	v_cmp_gt_u32_e32 vcc_lo, 24, v2
	s_delay_alu instid0(VALU_DEP_2) | instskip(SKIP_4) | instid1(VALU_DEP_1)
	v_add_nc_u32_e32 v1, v1, v3
	s_wait_alu 0xfffd
	v_cndmask_b32_e64 v6, 0, 8, vcc_lo
	ds_bpermute_b32 v3, v5, v1
	v_add_nc_u32_e32 v5, 4, v2
	v_cmp_lt_u32_e32 vcc_lo, v5, v4
	v_add_lshl_u32 v5, v6, v2, 2
	s_wait_dscnt 0x0
	s_wait_alu 0xfffd
	v_cndmask_b32_e32 v3, 0, v3, vcc_lo
	s_delay_alu instid0(VALU_DEP_1) | instskip(SKIP_3) | instid1(VALU_DEP_1)
	v_add_nc_u32_e32 v1, v1, v3
	v_lshlrev_b32_e32 v3, 2, v2
	ds_bpermute_b32 v5, v5, v1
	v_add_nc_u32_e32 v6, 8, v2
	v_cmp_lt_u32_e32 vcc_lo, v6, v4
	v_or_b32_e32 v6, 64, v3
	s_wait_dscnt 0x0
	s_wait_alu 0xfffd
	v_cndmask_b32_e32 v5, 0, v5, vcc_lo
	s_delay_alu instid0(VALU_DEP_1) | instskip(SKIP_2) | instid1(VALU_DEP_1)
	v_add_nc_u32_e32 v1, v1, v5
	ds_bpermute_b32 v5, v6, v1
	v_add_nc_u32_e32 v6, 16, v2
	v_cmp_lt_u32_e32 vcc_lo, v6, v4
	s_wait_dscnt 0x0
	s_wait_alu 0xfffd
	v_cndmask_b32_e32 v4, 0, v5, vcc_lo
	s_delay_alu instid0(VALU_DEP_1)
	v_add_nc_u32_e32 v1, v1, v4
	v_cmpx_eq_u32_e32 0, v2
; %bb.129:
	v_lshrrev_b32_e32 v4, 3, v0
	s_delay_alu instid0(VALU_DEP_1)
	v_and_b32_e32 v4, 28, v4
	ds_store_b32 v4, v1 offset:192
; %bb.130:
	s_or_b32 exec_lo, exec_lo, s3
	s_delay_alu instid0(SALU_CYCLE_1)
	s_mov_b32 s3, exec_lo
	s_wait_dscnt 0x0
	s_barrier_signal -1
	s_barrier_wait -1
	global_inv scope:SCOPE_SE
	v_cmpx_gt_u32_e32 8, v0
	s_cbranch_execz .LBB572_132
; %bb.131:
	ds_load_b32 v1, v3 offset:192
	v_and_b32_e32 v4, 7, v2
	s_add_co_i32 s2, s2, 31
	s_wait_alu 0xfffe
	s_lshr_b32 s2, s2, 5
	s_delay_alu instid0(VALU_DEP_1) | instskip(SKIP_4) | instid1(VALU_DEP_2)
	v_cmp_ne_u32_e32 vcc_lo, 7, v4
	v_add_nc_u32_e32 v6, 1, v4
	s_wait_alu 0xfffd
	v_add_co_ci_u32_e64 v5, null, 0, v2, vcc_lo
	v_cmp_gt_u32_e32 vcc_lo, 6, v4
	v_lshlrev_b32_e32 v5, 2, v5
	s_wait_alu 0xfffd
	v_cndmask_b32_e64 v7, 0, 2, vcc_lo
	s_wait_alu 0xfffe
	v_cmp_gt_u32_e32 vcc_lo, s2, v6
	s_wait_dscnt 0x0
	ds_bpermute_b32 v5, v5, v1
	v_add_lshl_u32 v2, v7, v2, 2
	s_wait_dscnt 0x0
	s_wait_alu 0xfffd
	v_cndmask_b32_e32 v5, 0, v5, vcc_lo
	s_delay_alu instid0(VALU_DEP_1)
	v_add_nc_u32_e32 v1, v5, v1
	v_add_nc_u32_e32 v5, 2, v4
	ds_bpermute_b32 v2, v2, v1
	v_cmp_gt_u32_e32 vcc_lo, s2, v5
	s_wait_dscnt 0x0
	s_wait_alu 0xfffd
	v_cndmask_b32_e32 v2, 0, v2, vcc_lo
	s_delay_alu instid0(VALU_DEP_1)
	v_add_nc_u32_e32 v1, v1, v2
	v_or_b32_e32 v2, 16, v3
	v_add_nc_u32_e32 v3, 4, v4
	ds_bpermute_b32 v2, v2, v1
	v_cmp_gt_u32_e32 vcc_lo, s2, v3
	s_wait_dscnt 0x0
	s_wait_alu 0xfffd
	v_cndmask_b32_e32 v2, 0, v2, vcc_lo
	s_delay_alu instid0(VALU_DEP_1)
	v_add_nc_u32_e32 v1, v1, v2
.LBB572_132:
	s_wait_alu 0xfffe
	s_or_b32 exec_lo, exec_lo, s3
.LBB572_133:
	v_cmp_eq_u32_e64 s2, 0, v0
	s_branch .LBB572_142
.LBB572_134:
	s_cmp_eq_u32 s33, 8
	s_cbranch_scc0 .LBB572_141
; %bb.135:
	s_mov_b32 s35, 0
	s_lshl_b32 s2, s34, 11
	s_mov_b32 s3, s35
	s_lshr_b64 s[4:5], s[38:39], 11
	s_lshl_b64 s[6:7], s[2:3], 2
	s_cmp_lg_u64 s[4:5], s[34:35]
	s_add_nc_u64 s[8:9], s[36:37], s[6:7]
	s_cbranch_scc0 .LBB572_143
; %bb.136:
	v_lshlrev_b32_e32 v1, 2, v0
	s_mov_b32 s3, exec_lo
	s_clause 0x7
	global_load_b32 v2, v1, s[8:9]
	global_load_b32 v3, v1, s[8:9] offset:1024
	global_load_b32 v4, v1, s[8:9] offset:2048
	;; [unrolled: 1-line block ×7, first 2 shown]
	s_wait_loadcnt 0x6
	v_add_nc_u32_e32 v2, v3, v2
	s_wait_loadcnt 0x4
	s_delay_alu instid0(VALU_DEP_1) | instskip(SKIP_1) | instid1(VALU_DEP_1)
	v_add3_u32 v2, v2, v4, v5
	s_wait_loadcnt 0x2
	v_add3_u32 v2, v2, v6, v7
	s_wait_loadcnt 0x0
	s_delay_alu instid0(VALU_DEP_1) | instskip(NEXT) | instid1(VALU_DEP_1)
	v_add3_u32 v1, v2, v8, v1
	v_mov_b32_dpp v2, v1 quad_perm:[1,0,3,2] row_mask:0xf bank_mask:0xf
	s_delay_alu instid0(VALU_DEP_1) | instskip(NEXT) | instid1(VALU_DEP_1)
	v_add_nc_u32_e32 v1, v2, v1
	v_mov_b32_dpp v2, v1 quad_perm:[2,3,0,1] row_mask:0xf bank_mask:0xf
	s_delay_alu instid0(VALU_DEP_1) | instskip(NEXT) | instid1(VALU_DEP_1)
	v_add_nc_u32_e32 v1, v1, v2
	v_mov_b32_dpp v2, v1 row_ror:4 row_mask:0xf bank_mask:0xf
	s_delay_alu instid0(VALU_DEP_1) | instskip(NEXT) | instid1(VALU_DEP_1)
	v_add_nc_u32_e32 v1, v1, v2
	v_mov_b32_dpp v2, v1 row_ror:8 row_mask:0xf bank_mask:0xf
	s_delay_alu instid0(VALU_DEP_1)
	v_add_nc_u32_e32 v1, v1, v2
	ds_swizzle_b32 v2, v1 offset:swizzle(BROADCAST,32,15)
	s_wait_dscnt 0x0
	v_dual_mov_b32 v2, 0 :: v_dual_add_nc_u32 v1, v1, v2
	ds_bpermute_b32 v1, v2, v1 offset:124
	v_mbcnt_lo_u32_b32 v2, -1, 0
	s_delay_alu instid0(VALU_DEP_1)
	v_cmpx_eq_u32_e32 0, v2
	s_cbranch_execz .LBB572_138
; %bb.137:
	v_lshrrev_b32_e32 v3, 3, v0
	s_delay_alu instid0(VALU_DEP_1)
	v_and_b32_e32 v3, 28, v3
	s_wait_dscnt 0x0
	ds_store_b32 v3, v1 offset:160
.LBB572_138:
	s_or_b32 exec_lo, exec_lo, s3
	s_delay_alu instid0(SALU_CYCLE_1)
	s_mov_b32 s3, exec_lo
	s_wait_dscnt 0x0
	s_barrier_signal -1
	s_barrier_wait -1
	global_inv scope:SCOPE_SE
	v_cmpx_gt_u32_e32 32, v0
	s_cbranch_execz .LBB572_140
; %bb.139:
	v_and_b32_e32 v1, 7, v2
	s_delay_alu instid0(VALU_DEP_1) | instskip(SKIP_4) | instid1(VALU_DEP_2)
	v_lshlrev_b32_e32 v3, 2, v1
	v_cmp_ne_u32_e32 vcc_lo, 7, v1
	ds_load_b32 v3, v3 offset:160
	v_add_co_ci_u32_e64 v4, null, 0, v2, vcc_lo
	v_cmp_gt_u32_e32 vcc_lo, 6, v1
	v_lshlrev_b32_e32 v4, 2, v4
	s_wait_alu 0xfffd
	v_cndmask_b32_e64 v1, 0, 2, vcc_lo
	s_delay_alu instid0(VALU_DEP_1) | instskip(SKIP_1) | instid1(VALU_DEP_1)
	v_add_lshl_u32 v1, v1, v2, 2
	v_lshlrev_b32_e32 v2, 2, v2
	v_or_b32_e32 v2, 16, v2
	s_wait_dscnt 0x0
	ds_bpermute_b32 v4, v4, v3
	s_wait_dscnt 0x0
	v_add_nc_u32_e32 v3, v4, v3
	ds_bpermute_b32 v1, v1, v3
	s_wait_dscnt 0x0
	v_add_nc_u32_e32 v1, v1, v3
	;; [unrolled: 3-line block ×3, first 2 shown]
.LBB572_140:
	s_or_b32 exec_lo, exec_lo, s3
	s_branch .LBB572_165
.LBB572_141:
                                        ; implicit-def: $vgpr1
.LBB572_142:
	s_branch .LBB572_224
.LBB572_143:
                                        ; implicit-def: $vgpr1
	s_cbranch_execz .LBB572_165
; %bb.144:
	v_mov_b32_e32 v1, 0
	s_sub_co_i32 s10, s38, s2
	s_mov_b32 s2, exec_lo
	s_delay_alu instid0(VALU_DEP_1)
	v_dual_mov_b32 v2, v1 :: v_dual_mov_b32 v3, v1
	v_dual_mov_b32 v4, v1 :: v_dual_mov_b32 v5, v1
	;; [unrolled: 1-line block ×3, first 2 shown]
	v_mov_b32_e32 v8, v1
	v_cmpx_gt_u32_e64 s10, v0
	s_cbranch_execz .LBB572_146
; %bb.145:
	v_dual_mov_b32 v3, v1 :: v_dual_lshlrev_b32 v2, 2, v0
	v_dual_mov_b32 v8, v1 :: v_dual_mov_b32 v9, v1
	v_dual_mov_b32 v4, v1 :: v_dual_mov_b32 v5, v1
	global_load_b32 v2, v2, s[8:9]
	v_dual_mov_b32 v6, v1 :: v_dual_mov_b32 v7, v1
	s_wait_loadcnt 0x0
	v_mov_b32_e32 v1, v2
	v_mov_b32_e32 v2, v3
	;; [unrolled: 1-line block ×8, first 2 shown]
.LBB572_146:
	s_or_b32 exec_lo, exec_lo, s2
	v_or_b32_e32 v9, 0x100, v0
	s_delay_alu instid0(VALU_DEP_1)
	v_cmp_gt_u32_e32 vcc_lo, s10, v9
	s_and_saveexec_b32 s2, vcc_lo
	s_cbranch_execz .LBB572_148
; %bb.147:
	v_lshlrev_b32_e32 v2, 2, v0
	global_load_b32 v2, v2, s[8:9] offset:1024
.LBB572_148:
	s_or_b32 exec_lo, exec_lo, s2
	v_or_b32_e32 v9, 0x200, v0
	s_delay_alu instid0(VALU_DEP_1)
	v_cmp_gt_u32_e64 s2, s10, v9
	s_and_saveexec_b32 s3, s2
	s_cbranch_execz .LBB572_150
; %bb.149:
	v_lshlrev_b32_e32 v3, 2, v0
	global_load_b32 v3, v3, s[8:9] offset:2048
.LBB572_150:
	s_or_b32 exec_lo, exec_lo, s3
	v_or_b32_e32 v9, 0x300, v0
	s_delay_alu instid0(VALU_DEP_1)
	v_cmp_gt_u32_e64 s3, s10, v9
	s_and_saveexec_b32 s4, s3
	;; [unrolled: 10-line block ×6, first 2 shown]
	s_cbranch_execz .LBB572_160
; %bb.159:
	v_lshlrev_b32_e32 v8, 2, v0
	global_load_b32 v8, v8, s[8:9] offset:7168
.LBB572_160:
	s_wait_alu 0xfffe
	s_or_b32 exec_lo, exec_lo, s11
	s_wait_loadcnt 0x0
	v_cndmask_b32_e32 v2, 0, v2, vcc_lo
	v_cndmask_b32_e64 v3, 0, v3, s2
	v_cndmask_b32_e64 v4, 0, v4, s3
	;; [unrolled: 1-line block ×4, first 2 shown]
	v_add_nc_u32_e32 v1, v2, v1
	v_mbcnt_lo_u32_b32 v2, -1, 0
	v_cndmask_b32_e64 v7, 0, v7, s6
	s_min_u32 s2, s10, 0x100
	s_mov_b32 s3, exec_lo
	v_add3_u32 v1, v1, v3, v4
	v_cmp_ne_u32_e32 vcc_lo, 31, v2
	v_cndmask_b32_e64 v3, 0, v8, s7
	s_delay_alu instid0(VALU_DEP_3)
	v_add3_u32 v1, v1, v5, v6
	s_wait_alu 0xfffd
	v_add_co_ci_u32_e64 v4, null, 0, v2, vcc_lo
	v_add_nc_u32_e32 v5, 1, v2
	v_cmp_gt_u32_e32 vcc_lo, 30, v2
	v_add3_u32 v1, v1, v7, v3
	s_delay_alu instid0(VALU_DEP_4)
	v_lshlrev_b32_e32 v4, 2, v4
	s_wait_alu 0xfffd
	v_cndmask_b32_e64 v6, 0, 2, vcc_lo
	ds_bpermute_b32 v3, v4, v1
	v_and_b32_e32 v4, 0xe0, v0
	s_wait_alu 0xfffe
	s_delay_alu instid0(VALU_DEP_1) | instskip(NEXT) | instid1(VALU_DEP_1)
	v_sub_nc_u32_e64 v4, s2, v4 clamp
	v_cmp_lt_u32_e32 vcc_lo, v5, v4
	v_add_lshl_u32 v5, v6, v2, 2
	s_wait_dscnt 0x0
	s_wait_alu 0xfffd
	v_cndmask_b32_e32 v3, 0, v3, vcc_lo
	v_cmp_gt_u32_e32 vcc_lo, 28, v2
	s_delay_alu instid0(VALU_DEP_2) | instskip(SKIP_4) | instid1(VALU_DEP_1)
	v_add_nc_u32_e32 v1, v1, v3
	s_wait_alu 0xfffd
	v_cndmask_b32_e64 v6, 0, 4, vcc_lo
	ds_bpermute_b32 v3, v5, v1
	v_add_nc_u32_e32 v5, 2, v2
	v_cmp_lt_u32_e32 vcc_lo, v5, v4
	v_add_lshl_u32 v5, v6, v2, 2
	s_wait_dscnt 0x0
	s_wait_alu 0xfffd
	v_cndmask_b32_e32 v3, 0, v3, vcc_lo
	v_cmp_gt_u32_e32 vcc_lo, 24, v2
	s_delay_alu instid0(VALU_DEP_2) | instskip(SKIP_4) | instid1(VALU_DEP_1)
	v_add_nc_u32_e32 v1, v1, v3
	s_wait_alu 0xfffd
	v_cndmask_b32_e64 v6, 0, 8, vcc_lo
	ds_bpermute_b32 v3, v5, v1
	v_add_nc_u32_e32 v5, 4, v2
	v_cmp_lt_u32_e32 vcc_lo, v5, v4
	v_add_lshl_u32 v5, v6, v2, 2
	s_wait_dscnt 0x0
	s_wait_alu 0xfffd
	v_cndmask_b32_e32 v3, 0, v3, vcc_lo
	s_delay_alu instid0(VALU_DEP_1) | instskip(SKIP_3) | instid1(VALU_DEP_1)
	v_add_nc_u32_e32 v1, v1, v3
	v_lshlrev_b32_e32 v3, 2, v2
	ds_bpermute_b32 v5, v5, v1
	v_add_nc_u32_e32 v6, 8, v2
	v_cmp_lt_u32_e32 vcc_lo, v6, v4
	v_or_b32_e32 v6, 64, v3
	s_wait_dscnt 0x0
	s_wait_alu 0xfffd
	v_cndmask_b32_e32 v5, 0, v5, vcc_lo
	s_delay_alu instid0(VALU_DEP_1) | instskip(SKIP_2) | instid1(VALU_DEP_1)
	v_add_nc_u32_e32 v1, v1, v5
	ds_bpermute_b32 v5, v6, v1
	v_add_nc_u32_e32 v6, 16, v2
	v_cmp_lt_u32_e32 vcc_lo, v6, v4
	s_wait_dscnt 0x0
	s_wait_alu 0xfffd
	v_cndmask_b32_e32 v4, 0, v5, vcc_lo
	s_delay_alu instid0(VALU_DEP_1)
	v_add_nc_u32_e32 v1, v1, v4
	v_cmpx_eq_u32_e32 0, v2
; %bb.161:
	v_lshrrev_b32_e32 v4, 3, v0
	s_delay_alu instid0(VALU_DEP_1)
	v_and_b32_e32 v4, 28, v4
	ds_store_b32 v4, v1 offset:192
; %bb.162:
	s_or_b32 exec_lo, exec_lo, s3
	s_delay_alu instid0(SALU_CYCLE_1)
	s_mov_b32 s3, exec_lo
	s_wait_dscnt 0x0
	s_barrier_signal -1
	s_barrier_wait -1
	global_inv scope:SCOPE_SE
	v_cmpx_gt_u32_e32 8, v0
	s_cbranch_execz .LBB572_164
; %bb.163:
	ds_load_b32 v1, v3 offset:192
	v_and_b32_e32 v4, 7, v2
	s_add_co_i32 s2, s2, 31
	s_wait_alu 0xfffe
	s_lshr_b32 s2, s2, 5
	s_delay_alu instid0(VALU_DEP_1) | instskip(SKIP_4) | instid1(VALU_DEP_2)
	v_cmp_ne_u32_e32 vcc_lo, 7, v4
	v_add_nc_u32_e32 v6, 1, v4
	s_wait_alu 0xfffd
	v_add_co_ci_u32_e64 v5, null, 0, v2, vcc_lo
	v_cmp_gt_u32_e32 vcc_lo, 6, v4
	v_lshlrev_b32_e32 v5, 2, v5
	s_wait_alu 0xfffd
	v_cndmask_b32_e64 v7, 0, 2, vcc_lo
	s_wait_alu 0xfffe
	v_cmp_gt_u32_e32 vcc_lo, s2, v6
	s_wait_dscnt 0x0
	ds_bpermute_b32 v5, v5, v1
	v_add_lshl_u32 v2, v7, v2, 2
	s_wait_dscnt 0x0
	s_wait_alu 0xfffd
	v_cndmask_b32_e32 v5, 0, v5, vcc_lo
	s_delay_alu instid0(VALU_DEP_1)
	v_add_nc_u32_e32 v1, v5, v1
	v_add_nc_u32_e32 v5, 2, v4
	ds_bpermute_b32 v2, v2, v1
	v_cmp_gt_u32_e32 vcc_lo, s2, v5
	s_wait_dscnt 0x0
	s_wait_alu 0xfffd
	v_cndmask_b32_e32 v2, 0, v2, vcc_lo
	s_delay_alu instid0(VALU_DEP_1)
	v_add_nc_u32_e32 v1, v1, v2
	v_or_b32_e32 v2, 16, v3
	v_add_nc_u32_e32 v3, 4, v4
	ds_bpermute_b32 v2, v2, v1
	v_cmp_gt_u32_e32 vcc_lo, s2, v3
	s_wait_dscnt 0x0
	s_wait_alu 0xfffd
	v_cndmask_b32_e32 v2, 0, v2, vcc_lo
	s_delay_alu instid0(VALU_DEP_1)
	v_add_nc_u32_e32 v1, v1, v2
.LBB572_164:
	s_wait_alu 0xfffe
	s_or_b32 exec_lo, exec_lo, s3
.LBB572_165:
	v_cmp_eq_u32_e64 s2, 0, v0
	s_branch .LBB572_224
.LBB572_166:
	s_cmp_gt_i32 s33, 1
	s_cbranch_scc0 .LBB572_175
; %bb.167:
	s_cmp_gt_i32 s33, 3
	s_cbranch_scc0 .LBB572_176
; %bb.168:
	s_cmp_eq_u32 s33, 4
	s_cbranch_scc0 .LBB572_177
; %bb.169:
	s_mov_b32 s35, 0
	s_lshl_b32 s2, s34, 10
	s_mov_b32 s3, s35
	s_lshr_b64 s[4:5], s[38:39], 10
	s_lshl_b64 s[6:7], s[2:3], 2
	s_cmp_lg_u64 s[4:5], s[34:35]
	s_add_nc_u64 s[4:5], s[36:37], s[6:7]
	s_cbranch_scc0 .LBB572_179
; %bb.170:
	v_lshlrev_b32_e32 v1, 2, v0
	s_mov_b32 s3, exec_lo
	s_clause 0x3
	global_load_b32 v2, v1, s[4:5]
	global_load_b32 v3, v1, s[4:5] offset:1024
	global_load_b32 v4, v1, s[4:5] offset:2048
	;; [unrolled: 1-line block ×3, first 2 shown]
	s_wait_loadcnt 0x2
	v_add_nc_u32_e32 v2, v3, v2
	s_wait_loadcnt 0x0
	s_delay_alu instid0(VALU_DEP_1) | instskip(NEXT) | instid1(VALU_DEP_1)
	v_add3_u32 v1, v2, v4, v1
	v_mov_b32_dpp v2, v1 quad_perm:[1,0,3,2] row_mask:0xf bank_mask:0xf
	s_delay_alu instid0(VALU_DEP_1) | instskip(NEXT) | instid1(VALU_DEP_1)
	v_add_nc_u32_e32 v1, v2, v1
	v_mov_b32_dpp v2, v1 quad_perm:[2,3,0,1] row_mask:0xf bank_mask:0xf
	s_delay_alu instid0(VALU_DEP_1) | instskip(NEXT) | instid1(VALU_DEP_1)
	v_add_nc_u32_e32 v1, v1, v2
	v_mov_b32_dpp v2, v1 row_ror:4 row_mask:0xf bank_mask:0xf
	s_delay_alu instid0(VALU_DEP_1) | instskip(NEXT) | instid1(VALU_DEP_1)
	v_add_nc_u32_e32 v1, v1, v2
	v_mov_b32_dpp v2, v1 row_ror:8 row_mask:0xf bank_mask:0xf
	s_delay_alu instid0(VALU_DEP_1)
	v_add_nc_u32_e32 v1, v1, v2
	ds_swizzle_b32 v2, v1 offset:swizzle(BROADCAST,32,15)
	s_wait_dscnt 0x0
	v_dual_mov_b32 v2, 0 :: v_dual_add_nc_u32 v1, v1, v2
	ds_bpermute_b32 v1, v2, v1 offset:124
	v_mbcnt_lo_u32_b32 v2, -1, 0
	s_delay_alu instid0(VALU_DEP_1)
	v_cmpx_eq_u32_e32 0, v2
	s_cbranch_execz .LBB572_172
; %bb.171:
	v_lshrrev_b32_e32 v3, 3, v0
	s_delay_alu instid0(VALU_DEP_1)
	v_and_b32_e32 v3, 28, v3
	s_wait_dscnt 0x0
	ds_store_b32 v3, v1 offset:128
.LBB572_172:
	s_or_b32 exec_lo, exec_lo, s3
	s_delay_alu instid0(SALU_CYCLE_1)
	s_mov_b32 s3, exec_lo
	s_wait_dscnt 0x0
	s_barrier_signal -1
	s_barrier_wait -1
	global_inv scope:SCOPE_SE
	v_cmpx_gt_u32_e32 32, v0
	s_cbranch_execz .LBB572_174
; %bb.173:
	v_and_b32_e32 v1, 7, v2
	s_delay_alu instid0(VALU_DEP_1) | instskip(SKIP_4) | instid1(VALU_DEP_2)
	v_lshlrev_b32_e32 v3, 2, v1
	v_cmp_ne_u32_e32 vcc_lo, 7, v1
	ds_load_b32 v3, v3 offset:128
	v_add_co_ci_u32_e64 v4, null, 0, v2, vcc_lo
	v_cmp_gt_u32_e32 vcc_lo, 6, v1
	v_lshlrev_b32_e32 v4, 2, v4
	s_wait_alu 0xfffd
	v_cndmask_b32_e64 v1, 0, 2, vcc_lo
	s_delay_alu instid0(VALU_DEP_1) | instskip(SKIP_1) | instid1(VALU_DEP_1)
	v_add_lshl_u32 v1, v1, v2, 2
	v_lshlrev_b32_e32 v2, 2, v2
	v_or_b32_e32 v2, 16, v2
	s_wait_dscnt 0x0
	ds_bpermute_b32 v4, v4, v3
	s_wait_dscnt 0x0
	v_add_nc_u32_e32 v3, v4, v3
	ds_bpermute_b32 v1, v1, v3
	s_wait_dscnt 0x0
	v_add_nc_u32_e32 v1, v1, v3
	;; [unrolled: 3-line block ×3, first 2 shown]
.LBB572_174:
	s_or_b32 exec_lo, exec_lo, s3
	s_mov_b32 s3, 0
	s_branch .LBB572_180
.LBB572_175:
                                        ; implicit-def: $vgpr1
	s_cbranch_execnz .LBB572_215
	s_branch .LBB572_224
.LBB572_176:
                                        ; implicit-def: $vgpr1
	s_cbranch_execz .LBB572_178
	s_branch .LBB572_195
.LBB572_177:
                                        ; implicit-def: $vgpr1
.LBB572_178:
	s_branch .LBB572_224
.LBB572_179:
	s_mov_b32 s3, -1
                                        ; implicit-def: $vgpr1
.LBB572_180:
	s_delay_alu instid0(SALU_CYCLE_1)
	s_and_b32 vcc_lo, exec_lo, s3
	s_wait_alu 0xfffe
	s_cbranch_vccz .LBB572_194
; %bb.181:
	v_mov_b32_e32 v1, 0
	s_sub_co_i32 s6, s38, s2
	s_mov_b32 s2, exec_lo
	s_delay_alu instid0(VALU_DEP_1)
	v_dual_mov_b32 v2, v1 :: v_dual_mov_b32 v3, v1
	v_mov_b32_e32 v4, v1
	v_cmpx_gt_u32_e64 s6, v0
	s_cbranch_execz .LBB572_183
; %bb.182:
	v_dual_mov_b32 v3, v1 :: v_dual_lshlrev_b32 v2, 2, v0
	v_dual_mov_b32 v4, v1 :: v_dual_mov_b32 v5, v1
	global_load_b32 v2, v2, s[4:5]
	s_wait_loadcnt 0x0
	v_mov_b32_e32 v1, v2
	v_mov_b32_e32 v2, v3
	;; [unrolled: 1-line block ×4, first 2 shown]
.LBB572_183:
	s_or_b32 exec_lo, exec_lo, s2
	v_or_b32_e32 v5, 0x100, v0
	s_delay_alu instid0(VALU_DEP_1)
	v_cmp_gt_u32_e32 vcc_lo, s6, v5
	s_and_saveexec_b32 s2, vcc_lo
	s_cbranch_execz .LBB572_185
; %bb.184:
	v_lshlrev_b32_e32 v2, 2, v0
	global_load_b32 v2, v2, s[4:5] offset:1024
.LBB572_185:
	s_or_b32 exec_lo, exec_lo, s2
	v_or_b32_e32 v5, 0x200, v0
	s_delay_alu instid0(VALU_DEP_1)
	v_cmp_gt_u32_e64 s2, s6, v5
	s_and_saveexec_b32 s3, s2
	s_cbranch_execz .LBB572_187
; %bb.186:
	v_lshlrev_b32_e32 v3, 2, v0
	global_load_b32 v3, v3, s[4:5] offset:2048
.LBB572_187:
	s_or_b32 exec_lo, exec_lo, s3
	v_or_b32_e32 v5, 0x300, v0
	s_delay_alu instid0(VALU_DEP_1)
	v_cmp_gt_u32_e64 s3, s6, v5
	s_and_saveexec_b32 s7, s3
	s_cbranch_execz .LBB572_189
; %bb.188:
	v_lshlrev_b32_e32 v4, 2, v0
	global_load_b32 v4, v4, s[4:5] offset:3072
.LBB572_189:
	s_wait_alu 0xfffe
	s_or_b32 exec_lo, exec_lo, s7
	s_wait_loadcnt 0x0
	v_cndmask_b32_e32 v5, 0, v2, vcc_lo
	v_mbcnt_lo_u32_b32 v2, -1, 0
	v_cndmask_b32_e64 v3, 0, v3, s2
	v_cndmask_b32_e64 v4, 0, v4, s3
	s_min_u32 s2, s6, 0x100
	v_add_nc_u32_e32 v1, v5, v1
	v_cmp_ne_u32_e32 vcc_lo, 31, v2
	s_mov_b32 s3, exec_lo
	s_delay_alu instid0(VALU_DEP_2) | instskip(SKIP_4) | instid1(VALU_DEP_3)
	v_add3_u32 v1, v1, v3, v4
	s_wait_alu 0xfffd
	v_add_co_ci_u32_e64 v5, null, 0, v2, vcc_lo
	v_and_b32_e32 v4, 0xe0, v0
	v_cmp_gt_u32_e32 vcc_lo, 30, v2
	v_lshlrev_b32_e32 v3, 2, v5
	v_add_nc_u32_e32 v5, 1, v2
	s_wait_alu 0xfffe
	v_sub_nc_u32_e64 v4, s2, v4 clamp
	s_wait_alu 0xfffd
	v_cndmask_b32_e64 v6, 0, 2, vcc_lo
	ds_bpermute_b32 v3, v3, v1
	v_cmp_lt_u32_e32 vcc_lo, v5, v4
	v_add_lshl_u32 v5, v6, v2, 2
	s_wait_dscnt 0x0
	s_wait_alu 0xfffd
	v_cndmask_b32_e32 v3, 0, v3, vcc_lo
	v_cmp_gt_u32_e32 vcc_lo, 28, v2
	s_delay_alu instid0(VALU_DEP_2) | instskip(SKIP_4) | instid1(VALU_DEP_1)
	v_add_nc_u32_e32 v1, v3, v1
	s_wait_alu 0xfffd
	v_cndmask_b32_e64 v6, 0, 4, vcc_lo
	ds_bpermute_b32 v3, v5, v1
	v_add_nc_u32_e32 v5, 2, v2
	v_cmp_lt_u32_e32 vcc_lo, v5, v4
	v_add_lshl_u32 v5, v6, v2, 2
	s_wait_dscnt 0x0
	s_wait_alu 0xfffd
	v_cndmask_b32_e32 v3, 0, v3, vcc_lo
	v_cmp_gt_u32_e32 vcc_lo, 24, v2
	s_delay_alu instid0(VALU_DEP_2) | instskip(SKIP_4) | instid1(VALU_DEP_1)
	v_add_nc_u32_e32 v1, v1, v3
	s_wait_alu 0xfffd
	v_cndmask_b32_e64 v6, 0, 8, vcc_lo
	ds_bpermute_b32 v3, v5, v1
	v_add_nc_u32_e32 v5, 4, v2
	v_cmp_lt_u32_e32 vcc_lo, v5, v4
	v_add_lshl_u32 v5, v6, v2, 2
	s_wait_dscnt 0x0
	s_wait_alu 0xfffd
	v_dual_cndmask_b32 v3, 0, v3 :: v_dual_add_nc_u32 v6, 8, v2
	s_delay_alu instid0(VALU_DEP_1) | instskip(NEXT) | instid1(VALU_DEP_2)
	v_cmp_lt_u32_e32 vcc_lo, v6, v4
	v_add_nc_u32_e32 v1, v1, v3
	v_lshlrev_b32_e32 v3, 2, v2
	ds_bpermute_b32 v5, v5, v1
	v_or_b32_e32 v6, 64, v3
	s_wait_dscnt 0x0
	s_wait_alu 0xfffd
	v_cndmask_b32_e32 v5, 0, v5, vcc_lo
	s_delay_alu instid0(VALU_DEP_1) | instskip(SKIP_2) | instid1(VALU_DEP_1)
	v_add_nc_u32_e32 v1, v1, v5
	ds_bpermute_b32 v5, v6, v1
	v_add_nc_u32_e32 v6, 16, v2
	v_cmp_lt_u32_e32 vcc_lo, v6, v4
	s_wait_dscnt 0x0
	s_wait_alu 0xfffd
	v_cndmask_b32_e32 v4, 0, v5, vcc_lo
	s_delay_alu instid0(VALU_DEP_1)
	v_add_nc_u32_e32 v1, v1, v4
	v_cmpx_eq_u32_e32 0, v2
; %bb.190:
	v_lshrrev_b32_e32 v4, 3, v0
	s_delay_alu instid0(VALU_DEP_1)
	v_and_b32_e32 v4, 28, v4
	ds_store_b32 v4, v1 offset:192
; %bb.191:
	s_or_b32 exec_lo, exec_lo, s3
	s_delay_alu instid0(SALU_CYCLE_1)
	s_mov_b32 s3, exec_lo
	s_wait_dscnt 0x0
	s_barrier_signal -1
	s_barrier_wait -1
	global_inv scope:SCOPE_SE
	v_cmpx_gt_u32_e32 8, v0
	s_cbranch_execz .LBB572_193
; %bb.192:
	ds_load_b32 v1, v3 offset:192
	v_and_b32_e32 v4, 7, v2
	s_add_co_i32 s2, s2, 31
	s_wait_alu 0xfffe
	s_lshr_b32 s2, s2, 5
	s_delay_alu instid0(VALU_DEP_1) | instskip(SKIP_4) | instid1(VALU_DEP_2)
	v_cmp_ne_u32_e32 vcc_lo, 7, v4
	v_add_nc_u32_e32 v6, 1, v4
	s_wait_alu 0xfffd
	v_add_co_ci_u32_e64 v5, null, 0, v2, vcc_lo
	v_cmp_gt_u32_e32 vcc_lo, 6, v4
	v_lshlrev_b32_e32 v5, 2, v5
	s_wait_alu 0xfffd
	v_cndmask_b32_e64 v7, 0, 2, vcc_lo
	s_wait_alu 0xfffe
	v_cmp_gt_u32_e32 vcc_lo, s2, v6
	s_wait_dscnt 0x0
	ds_bpermute_b32 v5, v5, v1
	v_add_lshl_u32 v2, v7, v2, 2
	s_wait_dscnt 0x0
	s_wait_alu 0xfffd
	v_cndmask_b32_e32 v5, 0, v5, vcc_lo
	s_delay_alu instid0(VALU_DEP_1)
	v_add_nc_u32_e32 v1, v5, v1
	v_add_nc_u32_e32 v5, 2, v4
	ds_bpermute_b32 v2, v2, v1
	v_cmp_gt_u32_e32 vcc_lo, s2, v5
	s_wait_dscnt 0x0
	s_wait_alu 0xfffd
	v_cndmask_b32_e32 v2, 0, v2, vcc_lo
	s_delay_alu instid0(VALU_DEP_1)
	v_add_nc_u32_e32 v1, v1, v2
	v_or_b32_e32 v2, 16, v3
	v_add_nc_u32_e32 v3, 4, v4
	ds_bpermute_b32 v2, v2, v1
	v_cmp_gt_u32_e32 vcc_lo, s2, v3
	s_wait_dscnt 0x0
	s_wait_alu 0xfffd
	v_cndmask_b32_e32 v2, 0, v2, vcc_lo
	s_delay_alu instid0(VALU_DEP_1)
	v_add_nc_u32_e32 v1, v1, v2
.LBB572_193:
	s_wait_alu 0xfffe
	s_or_b32 exec_lo, exec_lo, s3
.LBB572_194:
	v_cmp_eq_u32_e64 s2, 0, v0
	s_branch .LBB572_178
.LBB572_195:
	s_cmp_eq_u32 s33, 2
	s_cbranch_scc0 .LBB572_202
; %bb.196:
	s_mov_b32 s35, 0
	s_lshl_b32 s4, s34, 9
	s_mov_b32 s5, s35
	s_lshr_b64 s[2:3], s[38:39], 9
	s_lshl_b64 s[6:7], s[4:5], 2
	s_cmp_lg_u64 s[2:3], s[34:35]
	s_add_nc_u64 s[2:3], s[36:37], s[6:7]
	s_cbranch_scc0 .LBB572_203
; %bb.197:
	v_lshlrev_b32_e32 v1, 2, v0
	s_mov_b32 s5, exec_lo
	s_clause 0x1
	global_load_b32 v2, v1, s[2:3]
	global_load_b32 v1, v1, s[2:3] offset:1024
	s_wait_loadcnt 0x0
	v_add_nc_u32_e32 v1, v1, v2
	s_delay_alu instid0(VALU_DEP_1) | instskip(NEXT) | instid1(VALU_DEP_1)
	v_mov_b32_dpp v2, v1 quad_perm:[1,0,3,2] row_mask:0xf bank_mask:0xf
	v_add_nc_u32_e32 v1, v2, v1
	s_delay_alu instid0(VALU_DEP_1) | instskip(NEXT) | instid1(VALU_DEP_1)
	v_mov_b32_dpp v2, v1 quad_perm:[2,3,0,1] row_mask:0xf bank_mask:0xf
	v_add_nc_u32_e32 v1, v1, v2
	s_delay_alu instid0(VALU_DEP_1) | instskip(NEXT) | instid1(VALU_DEP_1)
	v_mov_b32_dpp v2, v1 row_ror:4 row_mask:0xf bank_mask:0xf
	v_add_nc_u32_e32 v1, v1, v2
	s_delay_alu instid0(VALU_DEP_1) | instskip(NEXT) | instid1(VALU_DEP_1)
	v_mov_b32_dpp v2, v1 row_ror:8 row_mask:0xf bank_mask:0xf
	v_add_nc_u32_e32 v1, v1, v2
	ds_swizzle_b32 v2, v1 offset:swizzle(BROADCAST,32,15)
	s_wait_dscnt 0x0
	v_dual_mov_b32 v2, 0 :: v_dual_add_nc_u32 v1, v1, v2
	ds_bpermute_b32 v1, v2, v1 offset:124
	v_mbcnt_lo_u32_b32 v2, -1, 0
	s_delay_alu instid0(VALU_DEP_1)
	v_cmpx_eq_u32_e32 0, v2
	s_cbranch_execz .LBB572_199
; %bb.198:
	v_lshrrev_b32_e32 v3, 3, v0
	s_delay_alu instid0(VALU_DEP_1)
	v_and_b32_e32 v3, 28, v3
	s_wait_dscnt 0x0
	ds_store_b32 v3, v1 offset:64
.LBB572_199:
	s_or_b32 exec_lo, exec_lo, s5
	s_delay_alu instid0(SALU_CYCLE_1)
	s_mov_b32 s5, exec_lo
	s_wait_dscnt 0x0
	s_barrier_signal -1
	s_barrier_wait -1
	global_inv scope:SCOPE_SE
	v_cmpx_gt_u32_e32 32, v0
	s_cbranch_execz .LBB572_201
; %bb.200:
	v_and_b32_e32 v1, 7, v2
	s_delay_alu instid0(VALU_DEP_1) | instskip(SKIP_4) | instid1(VALU_DEP_2)
	v_lshlrev_b32_e32 v3, 2, v1
	v_cmp_ne_u32_e32 vcc_lo, 7, v1
	ds_load_b32 v3, v3 offset:64
	v_add_co_ci_u32_e64 v4, null, 0, v2, vcc_lo
	v_cmp_gt_u32_e32 vcc_lo, 6, v1
	v_lshlrev_b32_e32 v4, 2, v4
	s_wait_alu 0xfffd
	v_cndmask_b32_e64 v1, 0, 2, vcc_lo
	s_delay_alu instid0(VALU_DEP_1) | instskip(SKIP_1) | instid1(VALU_DEP_1)
	v_add_lshl_u32 v1, v1, v2, 2
	v_lshlrev_b32_e32 v2, 2, v2
	v_or_b32_e32 v2, 16, v2
	s_wait_dscnt 0x0
	ds_bpermute_b32 v4, v4, v3
	s_wait_dscnt 0x0
	v_add_nc_u32_e32 v3, v4, v3
	ds_bpermute_b32 v1, v1, v3
	s_wait_dscnt 0x0
	v_add_nc_u32_e32 v1, v1, v3
	;; [unrolled: 3-line block ×3, first 2 shown]
.LBB572_201:
	s_or_b32 exec_lo, exec_lo, s5
	s_mov_b32 s5, 0
	s_branch .LBB572_204
.LBB572_202:
                                        ; implicit-def: $vgpr1
	s_branch .LBB572_224
.LBB572_203:
	s_mov_b32 s5, -1
                                        ; implicit-def: $vgpr1
.LBB572_204:
	s_delay_alu instid0(SALU_CYCLE_1)
	s_and_b32 vcc_lo, exec_lo, s5
	s_wait_alu 0xfffe
	s_cbranch_vccz .LBB572_214
; %bb.205:
	v_mov_b32_e32 v1, 0
	s_sub_co_i32 s4, s38, s4
	s_mov_b32 s5, exec_lo
	s_delay_alu instid0(VALU_DEP_1)
	v_mov_b32_e32 v2, v1
	v_cmpx_gt_u32_e64 s4, v0
	s_cbranch_execz .LBB572_207
; %bb.206:
	v_dual_mov_b32 v3, v1 :: v_dual_lshlrev_b32 v2, 2, v0
	global_load_b32 v2, v2, s[2:3]
	s_wait_loadcnt 0x0
	v_mov_b32_e32 v1, v2
	v_mov_b32_e32 v2, v3
.LBB572_207:
	s_or_b32 exec_lo, exec_lo, s5
	v_or_b32_e32 v3, 0x100, v0
	s_delay_alu instid0(VALU_DEP_1)
	v_cmp_gt_u32_e32 vcc_lo, s4, v3
	s_and_saveexec_b32 s5, vcc_lo
	s_cbranch_execz .LBB572_209
; %bb.208:
	v_lshlrev_b32_e32 v2, 2, v0
	global_load_b32 v2, v2, s[2:3] offset:1024
.LBB572_209:
	s_wait_alu 0xfffe
	s_or_b32 exec_lo, exec_lo, s5
	v_mbcnt_lo_u32_b32 v3, -1, 0
	s_wait_loadcnt 0x0
	v_cndmask_b32_e32 v2, 0, v2, vcc_lo
	s_min_u32 s2, s4, 0x100
	s_mov_b32 s3, exec_lo
	v_cmp_ne_u32_e32 vcc_lo, 31, v3
	v_add_nc_u32_e32 v5, 1, v3
	v_add_nc_u32_e32 v1, v2, v1
	s_wait_alu 0xfffd
	v_add_co_ci_u32_e64 v4, null, 0, v3, vcc_lo
	v_cmp_gt_u32_e32 vcc_lo, 30, v3
	s_delay_alu instid0(VALU_DEP_2)
	v_lshlrev_b32_e32 v2, 2, v4
	v_and_b32_e32 v4, 0xe0, v0
	s_wait_alu 0xfffd
	v_cndmask_b32_e64 v6, 0, 2, vcc_lo
	ds_bpermute_b32 v2, v2, v1
	v_sub_nc_u32_e64 v4, s2, v4 clamp
	s_delay_alu instid0(VALU_DEP_1)
	v_cmp_lt_u32_e32 vcc_lo, v5, v4
	v_add_lshl_u32 v5, v6, v3, 2
	s_wait_dscnt 0x0
	s_wait_alu 0xfffd
	v_cndmask_b32_e32 v2, 0, v2, vcc_lo
	v_cmp_gt_u32_e32 vcc_lo, 28, v3
	s_delay_alu instid0(VALU_DEP_2) | instskip(SKIP_4) | instid1(VALU_DEP_1)
	v_add_nc_u32_e32 v1, v2, v1
	s_wait_alu 0xfffd
	v_cndmask_b32_e64 v6, 0, 4, vcc_lo
	ds_bpermute_b32 v2, v5, v1
	v_add_nc_u32_e32 v5, 2, v3
	v_cmp_lt_u32_e32 vcc_lo, v5, v4
	v_add_lshl_u32 v5, v6, v3, 2
	s_wait_dscnt 0x0
	s_wait_alu 0xfffd
	v_cndmask_b32_e32 v2, 0, v2, vcc_lo
	v_cmp_gt_u32_e32 vcc_lo, 24, v3
	s_delay_alu instid0(VALU_DEP_2) | instskip(SKIP_4) | instid1(VALU_DEP_1)
	v_add_nc_u32_e32 v1, v1, v2
	s_wait_alu 0xfffd
	v_cndmask_b32_e64 v6, 0, 8, vcc_lo
	ds_bpermute_b32 v2, v5, v1
	v_add_nc_u32_e32 v5, 4, v3
	v_cmp_lt_u32_e32 vcc_lo, v5, v4
	v_add_lshl_u32 v5, v6, v3, 2
	v_add_nc_u32_e32 v6, 8, v3
	s_wait_dscnt 0x0
	s_wait_alu 0xfffd
	v_cndmask_b32_e32 v2, 0, v2, vcc_lo
	s_delay_alu instid0(VALU_DEP_2) | instskip(NEXT) | instid1(VALU_DEP_2)
	v_cmp_lt_u32_e32 vcc_lo, v6, v4
	v_add_nc_u32_e32 v1, v1, v2
	v_lshlrev_b32_e32 v2, 2, v3
	ds_bpermute_b32 v5, v5, v1
	v_or_b32_e32 v6, 64, v2
	s_wait_dscnt 0x0
	s_wait_alu 0xfffd
	v_cndmask_b32_e32 v5, 0, v5, vcc_lo
	s_delay_alu instid0(VALU_DEP_1) | instskip(SKIP_2) | instid1(VALU_DEP_1)
	v_add_nc_u32_e32 v1, v1, v5
	ds_bpermute_b32 v5, v6, v1
	v_add_nc_u32_e32 v6, 16, v3
	v_cmp_lt_u32_e32 vcc_lo, v6, v4
	s_wait_dscnt 0x0
	s_wait_alu 0xfffd
	v_cndmask_b32_e32 v4, 0, v5, vcc_lo
	s_delay_alu instid0(VALU_DEP_1)
	v_add_nc_u32_e32 v1, v1, v4
	v_cmpx_eq_u32_e32 0, v3
; %bb.210:
	v_lshrrev_b32_e32 v4, 3, v0
	s_delay_alu instid0(VALU_DEP_1)
	v_and_b32_e32 v4, 28, v4
	ds_store_b32 v4, v1 offset:192
; %bb.211:
	s_or_b32 exec_lo, exec_lo, s3
	s_delay_alu instid0(SALU_CYCLE_1)
	s_mov_b32 s3, exec_lo
	s_wait_dscnt 0x0
	s_barrier_signal -1
	s_barrier_wait -1
	global_inv scope:SCOPE_SE
	v_cmpx_gt_u32_e32 8, v0
	s_cbranch_execz .LBB572_213
; %bb.212:
	ds_load_b32 v1, v2 offset:192
	v_and_b32_e32 v4, 7, v3
	s_add_co_i32 s2, s2, 31
	v_or_b32_e32 v2, 16, v2
	s_wait_alu 0xfffe
	s_lshr_b32 s2, s2, 5
	v_cmp_ne_u32_e32 vcc_lo, 7, v4
	v_add_nc_u32_e32 v6, 1, v4
	s_wait_alu 0xfffd
	v_add_co_ci_u32_e64 v5, null, 0, v3, vcc_lo
	v_cmp_gt_u32_e32 vcc_lo, 6, v4
	s_delay_alu instid0(VALU_DEP_2)
	v_lshlrev_b32_e32 v5, 2, v5
	s_wait_alu 0xfffd
	v_cndmask_b32_e64 v7, 0, 2, vcc_lo
	s_wait_alu 0xfffe
	v_cmp_gt_u32_e32 vcc_lo, s2, v6
	s_wait_dscnt 0x0
	ds_bpermute_b32 v5, v5, v1
	v_add_lshl_u32 v3, v7, v3, 2
	s_wait_dscnt 0x0
	s_wait_alu 0xfffd
	v_cndmask_b32_e32 v5, 0, v5, vcc_lo
	s_delay_alu instid0(VALU_DEP_1)
	v_add_nc_u32_e32 v1, v5, v1
	v_add_nc_u32_e32 v5, 2, v4
	ds_bpermute_b32 v3, v3, v1
	v_cmp_gt_u32_e32 vcc_lo, s2, v5
	s_wait_dscnt 0x0
	s_wait_alu 0xfffd
	v_cndmask_b32_e32 v3, 0, v3, vcc_lo
	s_delay_alu instid0(VALU_DEP_1)
	v_add_nc_u32_e32 v1, v1, v3
	v_add_nc_u32_e32 v3, 4, v4
	ds_bpermute_b32 v2, v2, v1
	v_cmp_gt_u32_e32 vcc_lo, s2, v3
	s_wait_dscnt 0x0
	s_wait_alu 0xfffd
	v_cndmask_b32_e32 v2, 0, v2, vcc_lo
	s_delay_alu instid0(VALU_DEP_1)
	v_add_nc_u32_e32 v1, v1, v2
.LBB572_213:
	s_wait_alu 0xfffe
	s_or_b32 exec_lo, exec_lo, s3
.LBB572_214:
	v_cmp_eq_u32_e64 s2, 0, v0
	s_branch .LBB572_224
.LBB572_215:
	s_cmp_eq_u32 s33, 1
	s_cbranch_scc0 .LBB572_223
; %bb.216:
	s_mov_b32 s3, 0
	v_mbcnt_lo_u32_b32 v2, -1, 0
	s_lshr_b64 s[4:5], s[38:39], 8
	s_mov_b32 s35, s3
	s_lshl_b32 s2, s34, 8
	s_cmp_lg_u64 s[4:5], s[34:35]
	s_cbranch_scc0 .LBB572_227
; %bb.217:
	v_lshlrev_b32_e32 v1, 2, v0
	s_lshl_b64 s[4:5], s[2:3], 2
	s_delay_alu instid0(SALU_CYCLE_1) | instskip(SKIP_4) | instid1(VALU_DEP_1)
	s_add_nc_u64 s[4:5], s[36:37], s[4:5]
	global_load_b32 v1, v1, s[4:5]
	s_mov_b32 s4, exec_lo
	s_wait_loadcnt 0x0
	v_mov_b32_dpp v3, v1 quad_perm:[1,0,3,2] row_mask:0xf bank_mask:0xf
	v_add_nc_u32_e32 v1, v3, v1
	s_delay_alu instid0(VALU_DEP_1) | instskip(NEXT) | instid1(VALU_DEP_1)
	v_mov_b32_dpp v3, v1 quad_perm:[2,3,0,1] row_mask:0xf bank_mask:0xf
	v_add_nc_u32_e32 v1, v1, v3
	s_delay_alu instid0(VALU_DEP_1) | instskip(NEXT) | instid1(VALU_DEP_1)
	v_mov_b32_dpp v3, v1 row_ror:4 row_mask:0xf bank_mask:0xf
	v_add_nc_u32_e32 v1, v1, v3
	s_delay_alu instid0(VALU_DEP_1) | instskip(NEXT) | instid1(VALU_DEP_1)
	v_mov_b32_dpp v3, v1 row_ror:8 row_mask:0xf bank_mask:0xf
	v_add_nc_u32_e32 v1, v1, v3
	ds_swizzle_b32 v3, v1 offset:swizzle(BROADCAST,32,15)
	s_wait_dscnt 0x0
	v_add_nc_u32_e32 v1, v1, v3
	v_mov_b32_e32 v3, 0
	ds_bpermute_b32 v1, v3, v1 offset:124
	v_cmpx_eq_u32_e32 0, v2
	s_cbranch_execz .LBB572_219
; %bb.218:
	v_lshrrev_b32_e32 v3, 3, v0
	s_delay_alu instid0(VALU_DEP_1)
	v_and_b32_e32 v3, 28, v3
	s_wait_dscnt 0x0
	ds_store_b32 v3, v1 offset:32
.LBB572_219:
	s_or_b32 exec_lo, exec_lo, s4
	s_delay_alu instid0(SALU_CYCLE_1)
	s_mov_b32 s4, exec_lo
	s_wait_dscnt 0x0
	s_barrier_signal -1
	s_barrier_wait -1
	global_inv scope:SCOPE_SE
	v_cmpx_gt_u32_e32 32, v0
	s_cbranch_execz .LBB572_221
; %bb.220:
	v_and_b32_e32 v1, 7, v2
	s_delay_alu instid0(VALU_DEP_1) | instskip(SKIP_4) | instid1(VALU_DEP_2)
	v_lshlrev_b32_e32 v3, 2, v1
	v_cmp_ne_u32_e32 vcc_lo, 7, v1
	ds_load_b32 v3, v3 offset:32
	v_add_co_ci_u32_e64 v4, null, 0, v2, vcc_lo
	v_cmp_gt_u32_e32 vcc_lo, 6, v1
	v_lshlrev_b32_e32 v4, 2, v4
	s_wait_alu 0xfffd
	v_cndmask_b32_e64 v1, 0, 2, vcc_lo
	s_delay_alu instid0(VALU_DEP_1)
	v_add_lshl_u32 v1, v1, v2, 2
	s_wait_dscnt 0x0
	ds_bpermute_b32 v4, v4, v3
	s_wait_dscnt 0x0
	v_add_nc_u32_e32 v3, v4, v3
	v_lshlrev_b32_e32 v4, 2, v2
	ds_bpermute_b32 v1, v1, v3
	s_wait_dscnt 0x0
	v_add_nc_u32_e32 v1, v1, v3
	v_or_b32_e32 v3, 16, v4
	ds_bpermute_b32 v3, v3, v1
	s_wait_dscnt 0x0
	v_add_nc_u32_e32 v1, v3, v1
.LBB572_221:
	s_or_b32 exec_lo, exec_lo, s4
.LBB572_222:
	v_cmp_eq_u32_e64 s2, 0, v0
	s_and_saveexec_b32 s3, s2
	s_cbranch_execnz .LBB572_225
	s_branch .LBB572_226
.LBB572_223:
                                        ; implicit-def: $vgpr1
                                        ; implicit-def: $sgpr34_sgpr35
.LBB572_224:
	s_delay_alu instid0(VALU_DEP_1)
	s_and_saveexec_b32 s3, s2
	s_cbranch_execz .LBB572_226
.LBB572_225:
	s_load_b96 s[0:2], s[0:1], 0x18
	s_lshl_b64 s[4:5], s[34:35], 2
	s_cmp_lg_u64 s[38:39], 0
	s_cselect_b32 vcc_lo, -1, 0
	s_wait_alu 0xfffe
	v_dual_cndmask_b32 v0, 0, v1 :: v_dual_mov_b32 v1, 0
	s_wait_kmcnt 0x0
	s_delay_alu instid0(VALU_DEP_1)
	v_add_nc_u32_e32 v0, s2, v0
	s_add_nc_u64 s[0:1], s[0:1], s[4:5]
	global_store_b32 v1, v0, s[0:1]
.LBB572_226:
	s_endpgm
.LBB572_227:
                                        ; implicit-def: $vgpr1
	s_cbranch_execz .LBB572_222
; %bb.228:
	s_sub_co_i32 s4, s38, s2
	s_mov_b32 s5, exec_lo
                                        ; implicit-def: $vgpr1
	v_cmpx_gt_u32_e64 s4, v0
	s_cbranch_execz .LBB572_230
; %bb.229:
	v_lshlrev_b32_e32 v1, 2, v0
	s_lshl_b64 s[2:3], s[2:3], 2
	s_delay_alu instid0(SALU_CYCLE_1)
	s_add_nc_u64 s[2:3], s[36:37], s[2:3]
	global_load_b32 v1, v1, s[2:3]
.LBB572_230:
	s_or_b32 exec_lo, exec_lo, s5
	v_cmp_ne_u32_e32 vcc_lo, 31, v2
	s_min_u32 s2, s4, 0x100
	v_add_nc_u32_e32 v5, 1, v2
	s_mov_b32 s3, exec_lo
	v_add_co_ci_u32_e64 v3, null, 0, v2, vcc_lo
	v_cmp_gt_u32_e32 vcc_lo, 30, v2
	s_delay_alu instid0(VALU_DEP_2)
	v_lshlrev_b32_e32 v3, 2, v3
	s_wait_alu 0xfffd
	v_cndmask_b32_e64 v6, 0, 2, vcc_lo
	s_wait_loadcnt 0x0
	ds_bpermute_b32 v3, v3, v1
	v_and_b32_e32 v4, 0xe0, v0
	s_delay_alu instid0(VALU_DEP_1) | instskip(NEXT) | instid1(VALU_DEP_1)
	v_sub_nc_u32_e64 v4, s2, v4 clamp
	v_cmp_lt_u32_e32 vcc_lo, v5, v4
	v_add_lshl_u32 v5, v6, v2, 2
	s_wait_dscnt 0x0
	s_wait_alu 0xfffd
	v_cndmask_b32_e32 v3, 0, v3, vcc_lo
	v_cmp_gt_u32_e32 vcc_lo, 28, v2
	s_delay_alu instid0(VALU_DEP_2) | instskip(SKIP_4) | instid1(VALU_DEP_1)
	v_add_nc_u32_e32 v1, v3, v1
	s_wait_alu 0xfffd
	v_cndmask_b32_e64 v6, 0, 4, vcc_lo
	ds_bpermute_b32 v3, v5, v1
	v_add_nc_u32_e32 v5, 2, v2
	v_cmp_lt_u32_e32 vcc_lo, v5, v4
	v_add_lshl_u32 v5, v6, v2, 2
	s_wait_dscnt 0x0
	s_wait_alu 0xfffd
	v_cndmask_b32_e32 v3, 0, v3, vcc_lo
	v_cmp_gt_u32_e32 vcc_lo, 24, v2
	s_delay_alu instid0(VALU_DEP_2) | instskip(SKIP_4) | instid1(VALU_DEP_1)
	v_add_nc_u32_e32 v1, v1, v3
	s_wait_alu 0xfffd
	v_cndmask_b32_e64 v6, 0, 8, vcc_lo
	ds_bpermute_b32 v3, v5, v1
	v_add_nc_u32_e32 v5, 4, v2
	v_cmp_lt_u32_e32 vcc_lo, v5, v4
	v_add_lshl_u32 v5, v6, v2, 2
	s_wait_dscnt 0x0
	s_wait_alu 0xfffd
	v_dual_cndmask_b32 v3, 0, v3 :: v_dual_add_nc_u32 v6, 8, v2
	s_delay_alu instid0(VALU_DEP_1) | instskip(NEXT) | instid1(VALU_DEP_2)
	v_cmp_lt_u32_e32 vcc_lo, v6, v4
	v_add_nc_u32_e32 v1, v1, v3
	v_lshlrev_b32_e32 v3, 2, v2
	ds_bpermute_b32 v5, v5, v1
	v_or_b32_e32 v6, 64, v3
	s_wait_dscnt 0x0
	s_wait_alu 0xfffd
	v_cndmask_b32_e32 v5, 0, v5, vcc_lo
	s_delay_alu instid0(VALU_DEP_1) | instskip(SKIP_2) | instid1(VALU_DEP_1)
	v_add_nc_u32_e32 v1, v1, v5
	ds_bpermute_b32 v5, v6, v1
	v_add_nc_u32_e32 v6, 16, v2
	v_cmp_lt_u32_e32 vcc_lo, v6, v4
	s_wait_dscnt 0x0
	s_wait_alu 0xfffd
	v_cndmask_b32_e32 v4, 0, v5, vcc_lo
	s_delay_alu instid0(VALU_DEP_1)
	v_add_nc_u32_e32 v1, v1, v4
	v_cmpx_eq_u32_e32 0, v2
; %bb.231:
	v_lshrrev_b32_e32 v4, 3, v0
	s_delay_alu instid0(VALU_DEP_1)
	v_and_b32_e32 v4, 28, v4
	ds_store_b32 v4, v1 offset:192
; %bb.232:
	s_or_b32 exec_lo, exec_lo, s3
	s_delay_alu instid0(SALU_CYCLE_1)
	s_mov_b32 s3, exec_lo
	s_wait_dscnt 0x0
	s_barrier_signal -1
	s_barrier_wait -1
	global_inv scope:SCOPE_SE
	v_cmpx_gt_u32_e32 8, v0
	s_cbranch_execz .LBB572_234
; %bb.233:
	ds_load_b32 v1, v3 offset:192
	v_and_b32_e32 v4, 7, v2
	s_add_co_i32 s2, s2, 31
	s_wait_alu 0xfffe
	s_lshr_b32 s2, s2, 5
	s_delay_alu instid0(VALU_DEP_1) | instskip(SKIP_4) | instid1(VALU_DEP_2)
	v_cmp_ne_u32_e32 vcc_lo, 7, v4
	v_add_nc_u32_e32 v6, 1, v4
	s_wait_alu 0xfffd
	v_add_co_ci_u32_e64 v5, null, 0, v2, vcc_lo
	v_cmp_gt_u32_e32 vcc_lo, 6, v4
	v_lshlrev_b32_e32 v5, 2, v5
	s_wait_alu 0xfffd
	v_cndmask_b32_e64 v7, 0, 2, vcc_lo
	s_wait_alu 0xfffe
	v_cmp_gt_u32_e32 vcc_lo, s2, v6
	s_wait_dscnt 0x0
	ds_bpermute_b32 v5, v5, v1
	v_add_lshl_u32 v2, v7, v2, 2
	s_wait_dscnt 0x0
	s_wait_alu 0xfffd
	v_cndmask_b32_e32 v5, 0, v5, vcc_lo
	s_delay_alu instid0(VALU_DEP_1)
	v_add_nc_u32_e32 v1, v5, v1
	v_add_nc_u32_e32 v5, 2, v4
	ds_bpermute_b32 v2, v2, v1
	v_cmp_gt_u32_e32 vcc_lo, s2, v5
	s_wait_dscnt 0x0
	s_wait_alu 0xfffd
	v_cndmask_b32_e32 v2, 0, v2, vcc_lo
	s_delay_alu instid0(VALU_DEP_1)
	v_add_nc_u32_e32 v1, v1, v2
	v_or_b32_e32 v2, 16, v3
	v_add_nc_u32_e32 v3, 4, v4
	ds_bpermute_b32 v2, v2, v1
	v_cmp_gt_u32_e32 vcc_lo, s2, v3
	s_wait_dscnt 0x0
	s_wait_alu 0xfffd
	v_cndmask_b32_e32 v2, 0, v2, vcc_lo
	s_delay_alu instid0(VALU_DEP_1)
	v_add_nc_u32_e32 v1, v1, v2
.LBB572_234:
	s_wait_alu 0xfffe
	s_or_b32 exec_lo, exec_lo, s3
	v_cmp_eq_u32_e64 s2, 0, v0
	s_and_saveexec_b32 s3, s2
	s_cbranch_execnz .LBB572_225
	s_branch .LBB572_226
	.section	.rodata,"a",@progbits
	.p2align	6, 0x0
	.amdhsa_kernel _ZN7rocprim17ROCPRIM_400000_NS6detail17trampoline_kernelINS0_14default_configENS1_22reduce_config_selectorIiEEZNS1_11reduce_implILb1ES3_PiS7_iN6hipcub16HIPCUB_304000_NS6detail34convert_binary_result_type_wrapperINS9_3SumENS9_22TransformInputIteratorIbN2at6native12_GLOBAL__N_19NonZeroOpIN3c107complexIfEEEEPKSK_lEEiEEEE10hipError_tPvRmT1_T2_T3_mT4_P12ihipStream_tbEUlT_E1_NS1_11comp_targetILNS1_3genE10ELNS1_11target_archE1201ELNS1_3gpuE5ELNS1_3repE0EEENS1_30default_config_static_selectorELNS0_4arch9wavefront6targetE0EEEvST_
		.amdhsa_group_segment_fixed_size 224
		.amdhsa_private_segment_fixed_size 0
		.amdhsa_kernarg_size 40
		.amdhsa_user_sgpr_count 2
		.amdhsa_user_sgpr_dispatch_ptr 0
		.amdhsa_user_sgpr_queue_ptr 0
		.amdhsa_user_sgpr_kernarg_segment_ptr 1
		.amdhsa_user_sgpr_dispatch_id 0
		.amdhsa_user_sgpr_private_segment_size 0
		.amdhsa_wavefront_size32 1
		.amdhsa_uses_dynamic_stack 0
		.amdhsa_enable_private_segment 0
		.amdhsa_system_sgpr_workgroup_id_x 1
		.amdhsa_system_sgpr_workgroup_id_y 0
		.amdhsa_system_sgpr_workgroup_id_z 0
		.amdhsa_system_sgpr_workgroup_info 0
		.amdhsa_system_vgpr_workitem_id 0
		.amdhsa_next_free_vgpr 34
		.amdhsa_next_free_sgpr 45
		.amdhsa_reserve_vcc 1
		.amdhsa_float_round_mode_32 0
		.amdhsa_float_round_mode_16_64 0
		.amdhsa_float_denorm_mode_32 3
		.amdhsa_float_denorm_mode_16_64 3
		.amdhsa_fp16_overflow 0
		.amdhsa_workgroup_processor_mode 1
		.amdhsa_memory_ordered 1
		.amdhsa_forward_progress 1
		.amdhsa_inst_pref_size 93
		.amdhsa_round_robin_scheduling 0
		.amdhsa_exception_fp_ieee_invalid_op 0
		.amdhsa_exception_fp_denorm_src 0
		.amdhsa_exception_fp_ieee_div_zero 0
		.amdhsa_exception_fp_ieee_overflow 0
		.amdhsa_exception_fp_ieee_underflow 0
		.amdhsa_exception_fp_ieee_inexact 0
		.amdhsa_exception_int_div_zero 0
	.end_amdhsa_kernel
	.section	.text._ZN7rocprim17ROCPRIM_400000_NS6detail17trampoline_kernelINS0_14default_configENS1_22reduce_config_selectorIiEEZNS1_11reduce_implILb1ES3_PiS7_iN6hipcub16HIPCUB_304000_NS6detail34convert_binary_result_type_wrapperINS9_3SumENS9_22TransformInputIteratorIbN2at6native12_GLOBAL__N_19NonZeroOpIN3c107complexIfEEEEPKSK_lEEiEEEE10hipError_tPvRmT1_T2_T3_mT4_P12ihipStream_tbEUlT_E1_NS1_11comp_targetILNS1_3genE10ELNS1_11target_archE1201ELNS1_3gpuE5ELNS1_3repE0EEENS1_30default_config_static_selectorELNS0_4arch9wavefront6targetE0EEEvST_,"axG",@progbits,_ZN7rocprim17ROCPRIM_400000_NS6detail17trampoline_kernelINS0_14default_configENS1_22reduce_config_selectorIiEEZNS1_11reduce_implILb1ES3_PiS7_iN6hipcub16HIPCUB_304000_NS6detail34convert_binary_result_type_wrapperINS9_3SumENS9_22TransformInputIteratorIbN2at6native12_GLOBAL__N_19NonZeroOpIN3c107complexIfEEEEPKSK_lEEiEEEE10hipError_tPvRmT1_T2_T3_mT4_P12ihipStream_tbEUlT_E1_NS1_11comp_targetILNS1_3genE10ELNS1_11target_archE1201ELNS1_3gpuE5ELNS1_3repE0EEENS1_30default_config_static_selectorELNS0_4arch9wavefront6targetE0EEEvST_,comdat
.Lfunc_end572:
	.size	_ZN7rocprim17ROCPRIM_400000_NS6detail17trampoline_kernelINS0_14default_configENS1_22reduce_config_selectorIiEEZNS1_11reduce_implILb1ES3_PiS7_iN6hipcub16HIPCUB_304000_NS6detail34convert_binary_result_type_wrapperINS9_3SumENS9_22TransformInputIteratorIbN2at6native12_GLOBAL__N_19NonZeroOpIN3c107complexIfEEEEPKSK_lEEiEEEE10hipError_tPvRmT1_T2_T3_mT4_P12ihipStream_tbEUlT_E1_NS1_11comp_targetILNS1_3genE10ELNS1_11target_archE1201ELNS1_3gpuE5ELNS1_3repE0EEENS1_30default_config_static_selectorELNS0_4arch9wavefront6targetE0EEEvST_, .Lfunc_end572-_ZN7rocprim17ROCPRIM_400000_NS6detail17trampoline_kernelINS0_14default_configENS1_22reduce_config_selectorIiEEZNS1_11reduce_implILb1ES3_PiS7_iN6hipcub16HIPCUB_304000_NS6detail34convert_binary_result_type_wrapperINS9_3SumENS9_22TransformInputIteratorIbN2at6native12_GLOBAL__N_19NonZeroOpIN3c107complexIfEEEEPKSK_lEEiEEEE10hipError_tPvRmT1_T2_T3_mT4_P12ihipStream_tbEUlT_E1_NS1_11comp_targetILNS1_3genE10ELNS1_11target_archE1201ELNS1_3gpuE5ELNS1_3repE0EEENS1_30default_config_static_selectorELNS0_4arch9wavefront6targetE0EEEvST_
                                        ; -- End function
	.set _ZN7rocprim17ROCPRIM_400000_NS6detail17trampoline_kernelINS0_14default_configENS1_22reduce_config_selectorIiEEZNS1_11reduce_implILb1ES3_PiS7_iN6hipcub16HIPCUB_304000_NS6detail34convert_binary_result_type_wrapperINS9_3SumENS9_22TransformInputIteratorIbN2at6native12_GLOBAL__N_19NonZeroOpIN3c107complexIfEEEEPKSK_lEEiEEEE10hipError_tPvRmT1_T2_T3_mT4_P12ihipStream_tbEUlT_E1_NS1_11comp_targetILNS1_3genE10ELNS1_11target_archE1201ELNS1_3gpuE5ELNS1_3repE0EEENS1_30default_config_static_selectorELNS0_4arch9wavefront6targetE0EEEvST_.num_vgpr, 34
	.set _ZN7rocprim17ROCPRIM_400000_NS6detail17trampoline_kernelINS0_14default_configENS1_22reduce_config_selectorIiEEZNS1_11reduce_implILb1ES3_PiS7_iN6hipcub16HIPCUB_304000_NS6detail34convert_binary_result_type_wrapperINS9_3SumENS9_22TransformInputIteratorIbN2at6native12_GLOBAL__N_19NonZeroOpIN3c107complexIfEEEEPKSK_lEEiEEEE10hipError_tPvRmT1_T2_T3_mT4_P12ihipStream_tbEUlT_E1_NS1_11comp_targetILNS1_3genE10ELNS1_11target_archE1201ELNS1_3gpuE5ELNS1_3repE0EEENS1_30default_config_static_selectorELNS0_4arch9wavefront6targetE0EEEvST_.num_agpr, 0
	.set _ZN7rocprim17ROCPRIM_400000_NS6detail17trampoline_kernelINS0_14default_configENS1_22reduce_config_selectorIiEEZNS1_11reduce_implILb1ES3_PiS7_iN6hipcub16HIPCUB_304000_NS6detail34convert_binary_result_type_wrapperINS9_3SumENS9_22TransformInputIteratorIbN2at6native12_GLOBAL__N_19NonZeroOpIN3c107complexIfEEEEPKSK_lEEiEEEE10hipError_tPvRmT1_T2_T3_mT4_P12ihipStream_tbEUlT_E1_NS1_11comp_targetILNS1_3genE10ELNS1_11target_archE1201ELNS1_3gpuE5ELNS1_3repE0EEENS1_30default_config_static_selectorELNS0_4arch9wavefront6targetE0EEEvST_.numbered_sgpr, 45
	.set _ZN7rocprim17ROCPRIM_400000_NS6detail17trampoline_kernelINS0_14default_configENS1_22reduce_config_selectorIiEEZNS1_11reduce_implILb1ES3_PiS7_iN6hipcub16HIPCUB_304000_NS6detail34convert_binary_result_type_wrapperINS9_3SumENS9_22TransformInputIteratorIbN2at6native12_GLOBAL__N_19NonZeroOpIN3c107complexIfEEEEPKSK_lEEiEEEE10hipError_tPvRmT1_T2_T3_mT4_P12ihipStream_tbEUlT_E1_NS1_11comp_targetILNS1_3genE10ELNS1_11target_archE1201ELNS1_3gpuE5ELNS1_3repE0EEENS1_30default_config_static_selectorELNS0_4arch9wavefront6targetE0EEEvST_.num_named_barrier, 0
	.set _ZN7rocprim17ROCPRIM_400000_NS6detail17trampoline_kernelINS0_14default_configENS1_22reduce_config_selectorIiEEZNS1_11reduce_implILb1ES3_PiS7_iN6hipcub16HIPCUB_304000_NS6detail34convert_binary_result_type_wrapperINS9_3SumENS9_22TransformInputIteratorIbN2at6native12_GLOBAL__N_19NonZeroOpIN3c107complexIfEEEEPKSK_lEEiEEEE10hipError_tPvRmT1_T2_T3_mT4_P12ihipStream_tbEUlT_E1_NS1_11comp_targetILNS1_3genE10ELNS1_11target_archE1201ELNS1_3gpuE5ELNS1_3repE0EEENS1_30default_config_static_selectorELNS0_4arch9wavefront6targetE0EEEvST_.private_seg_size, 0
	.set _ZN7rocprim17ROCPRIM_400000_NS6detail17trampoline_kernelINS0_14default_configENS1_22reduce_config_selectorIiEEZNS1_11reduce_implILb1ES3_PiS7_iN6hipcub16HIPCUB_304000_NS6detail34convert_binary_result_type_wrapperINS9_3SumENS9_22TransformInputIteratorIbN2at6native12_GLOBAL__N_19NonZeroOpIN3c107complexIfEEEEPKSK_lEEiEEEE10hipError_tPvRmT1_T2_T3_mT4_P12ihipStream_tbEUlT_E1_NS1_11comp_targetILNS1_3genE10ELNS1_11target_archE1201ELNS1_3gpuE5ELNS1_3repE0EEENS1_30default_config_static_selectorELNS0_4arch9wavefront6targetE0EEEvST_.uses_vcc, 1
	.set _ZN7rocprim17ROCPRIM_400000_NS6detail17trampoline_kernelINS0_14default_configENS1_22reduce_config_selectorIiEEZNS1_11reduce_implILb1ES3_PiS7_iN6hipcub16HIPCUB_304000_NS6detail34convert_binary_result_type_wrapperINS9_3SumENS9_22TransformInputIteratorIbN2at6native12_GLOBAL__N_19NonZeroOpIN3c107complexIfEEEEPKSK_lEEiEEEE10hipError_tPvRmT1_T2_T3_mT4_P12ihipStream_tbEUlT_E1_NS1_11comp_targetILNS1_3genE10ELNS1_11target_archE1201ELNS1_3gpuE5ELNS1_3repE0EEENS1_30default_config_static_selectorELNS0_4arch9wavefront6targetE0EEEvST_.uses_flat_scratch, 0
	.set _ZN7rocprim17ROCPRIM_400000_NS6detail17trampoline_kernelINS0_14default_configENS1_22reduce_config_selectorIiEEZNS1_11reduce_implILb1ES3_PiS7_iN6hipcub16HIPCUB_304000_NS6detail34convert_binary_result_type_wrapperINS9_3SumENS9_22TransformInputIteratorIbN2at6native12_GLOBAL__N_19NonZeroOpIN3c107complexIfEEEEPKSK_lEEiEEEE10hipError_tPvRmT1_T2_T3_mT4_P12ihipStream_tbEUlT_E1_NS1_11comp_targetILNS1_3genE10ELNS1_11target_archE1201ELNS1_3gpuE5ELNS1_3repE0EEENS1_30default_config_static_selectorELNS0_4arch9wavefront6targetE0EEEvST_.has_dyn_sized_stack, 0
	.set _ZN7rocprim17ROCPRIM_400000_NS6detail17trampoline_kernelINS0_14default_configENS1_22reduce_config_selectorIiEEZNS1_11reduce_implILb1ES3_PiS7_iN6hipcub16HIPCUB_304000_NS6detail34convert_binary_result_type_wrapperINS9_3SumENS9_22TransformInputIteratorIbN2at6native12_GLOBAL__N_19NonZeroOpIN3c107complexIfEEEEPKSK_lEEiEEEE10hipError_tPvRmT1_T2_T3_mT4_P12ihipStream_tbEUlT_E1_NS1_11comp_targetILNS1_3genE10ELNS1_11target_archE1201ELNS1_3gpuE5ELNS1_3repE0EEENS1_30default_config_static_selectorELNS0_4arch9wavefront6targetE0EEEvST_.has_recursion, 0
	.set _ZN7rocprim17ROCPRIM_400000_NS6detail17trampoline_kernelINS0_14default_configENS1_22reduce_config_selectorIiEEZNS1_11reduce_implILb1ES3_PiS7_iN6hipcub16HIPCUB_304000_NS6detail34convert_binary_result_type_wrapperINS9_3SumENS9_22TransformInputIteratorIbN2at6native12_GLOBAL__N_19NonZeroOpIN3c107complexIfEEEEPKSK_lEEiEEEE10hipError_tPvRmT1_T2_T3_mT4_P12ihipStream_tbEUlT_E1_NS1_11comp_targetILNS1_3genE10ELNS1_11target_archE1201ELNS1_3gpuE5ELNS1_3repE0EEENS1_30default_config_static_selectorELNS0_4arch9wavefront6targetE0EEEvST_.has_indirect_call, 0
	.section	.AMDGPU.csdata,"",@progbits
; Kernel info:
; codeLenInByte = 11904
; TotalNumSgprs: 47
; NumVgprs: 34
; ScratchSize: 0
; MemoryBound: 0
; FloatMode: 240
; IeeeMode: 1
; LDSByteSize: 224 bytes/workgroup (compile time only)
; SGPRBlocks: 0
; VGPRBlocks: 4
; NumSGPRsForWavesPerEU: 47
; NumVGPRsForWavesPerEU: 34
; Occupancy: 16
; WaveLimiterHint : 1
; COMPUTE_PGM_RSRC2:SCRATCH_EN: 0
; COMPUTE_PGM_RSRC2:USER_SGPR: 2
; COMPUTE_PGM_RSRC2:TRAP_HANDLER: 0
; COMPUTE_PGM_RSRC2:TGID_X_EN: 1
; COMPUTE_PGM_RSRC2:TGID_Y_EN: 0
; COMPUTE_PGM_RSRC2:TGID_Z_EN: 0
; COMPUTE_PGM_RSRC2:TIDIG_COMP_CNT: 0
	.section	.text._ZN7rocprim17ROCPRIM_400000_NS6detail17trampoline_kernelINS0_14default_configENS1_22reduce_config_selectorIiEEZNS1_11reduce_implILb1ES3_PiS7_iN6hipcub16HIPCUB_304000_NS6detail34convert_binary_result_type_wrapperINS9_3SumENS9_22TransformInputIteratorIbN2at6native12_GLOBAL__N_19NonZeroOpIN3c107complexIfEEEEPKSK_lEEiEEEE10hipError_tPvRmT1_T2_T3_mT4_P12ihipStream_tbEUlT_E1_NS1_11comp_targetILNS1_3genE10ELNS1_11target_archE1200ELNS1_3gpuE4ELNS1_3repE0EEENS1_30default_config_static_selectorELNS0_4arch9wavefront6targetE0EEEvST_,"axG",@progbits,_ZN7rocprim17ROCPRIM_400000_NS6detail17trampoline_kernelINS0_14default_configENS1_22reduce_config_selectorIiEEZNS1_11reduce_implILb1ES3_PiS7_iN6hipcub16HIPCUB_304000_NS6detail34convert_binary_result_type_wrapperINS9_3SumENS9_22TransformInputIteratorIbN2at6native12_GLOBAL__N_19NonZeroOpIN3c107complexIfEEEEPKSK_lEEiEEEE10hipError_tPvRmT1_T2_T3_mT4_P12ihipStream_tbEUlT_E1_NS1_11comp_targetILNS1_3genE10ELNS1_11target_archE1200ELNS1_3gpuE4ELNS1_3repE0EEENS1_30default_config_static_selectorELNS0_4arch9wavefront6targetE0EEEvST_,comdat
	.globl	_ZN7rocprim17ROCPRIM_400000_NS6detail17trampoline_kernelINS0_14default_configENS1_22reduce_config_selectorIiEEZNS1_11reduce_implILb1ES3_PiS7_iN6hipcub16HIPCUB_304000_NS6detail34convert_binary_result_type_wrapperINS9_3SumENS9_22TransformInputIteratorIbN2at6native12_GLOBAL__N_19NonZeroOpIN3c107complexIfEEEEPKSK_lEEiEEEE10hipError_tPvRmT1_T2_T3_mT4_P12ihipStream_tbEUlT_E1_NS1_11comp_targetILNS1_3genE10ELNS1_11target_archE1200ELNS1_3gpuE4ELNS1_3repE0EEENS1_30default_config_static_selectorELNS0_4arch9wavefront6targetE0EEEvST_ ; -- Begin function _ZN7rocprim17ROCPRIM_400000_NS6detail17trampoline_kernelINS0_14default_configENS1_22reduce_config_selectorIiEEZNS1_11reduce_implILb1ES3_PiS7_iN6hipcub16HIPCUB_304000_NS6detail34convert_binary_result_type_wrapperINS9_3SumENS9_22TransformInputIteratorIbN2at6native12_GLOBAL__N_19NonZeroOpIN3c107complexIfEEEEPKSK_lEEiEEEE10hipError_tPvRmT1_T2_T3_mT4_P12ihipStream_tbEUlT_E1_NS1_11comp_targetILNS1_3genE10ELNS1_11target_archE1200ELNS1_3gpuE4ELNS1_3repE0EEENS1_30default_config_static_selectorELNS0_4arch9wavefront6targetE0EEEvST_
	.p2align	8
	.type	_ZN7rocprim17ROCPRIM_400000_NS6detail17trampoline_kernelINS0_14default_configENS1_22reduce_config_selectorIiEEZNS1_11reduce_implILb1ES3_PiS7_iN6hipcub16HIPCUB_304000_NS6detail34convert_binary_result_type_wrapperINS9_3SumENS9_22TransformInputIteratorIbN2at6native12_GLOBAL__N_19NonZeroOpIN3c107complexIfEEEEPKSK_lEEiEEEE10hipError_tPvRmT1_T2_T3_mT4_P12ihipStream_tbEUlT_E1_NS1_11comp_targetILNS1_3genE10ELNS1_11target_archE1200ELNS1_3gpuE4ELNS1_3repE0EEENS1_30default_config_static_selectorELNS0_4arch9wavefront6targetE0EEEvST_,@function
_ZN7rocprim17ROCPRIM_400000_NS6detail17trampoline_kernelINS0_14default_configENS1_22reduce_config_selectorIiEEZNS1_11reduce_implILb1ES3_PiS7_iN6hipcub16HIPCUB_304000_NS6detail34convert_binary_result_type_wrapperINS9_3SumENS9_22TransformInputIteratorIbN2at6native12_GLOBAL__N_19NonZeroOpIN3c107complexIfEEEEPKSK_lEEiEEEE10hipError_tPvRmT1_T2_T3_mT4_P12ihipStream_tbEUlT_E1_NS1_11comp_targetILNS1_3genE10ELNS1_11target_archE1200ELNS1_3gpuE4ELNS1_3repE0EEENS1_30default_config_static_selectorELNS0_4arch9wavefront6targetE0EEEvST_: ; @_ZN7rocprim17ROCPRIM_400000_NS6detail17trampoline_kernelINS0_14default_configENS1_22reduce_config_selectorIiEEZNS1_11reduce_implILb1ES3_PiS7_iN6hipcub16HIPCUB_304000_NS6detail34convert_binary_result_type_wrapperINS9_3SumENS9_22TransformInputIteratorIbN2at6native12_GLOBAL__N_19NonZeroOpIN3c107complexIfEEEEPKSK_lEEiEEEE10hipError_tPvRmT1_T2_T3_mT4_P12ihipStream_tbEUlT_E1_NS1_11comp_targetILNS1_3genE10ELNS1_11target_archE1200ELNS1_3gpuE4ELNS1_3repE0EEENS1_30default_config_static_selectorELNS0_4arch9wavefront6targetE0EEEvST_
; %bb.0:
	.section	.rodata,"a",@progbits
	.p2align	6, 0x0
	.amdhsa_kernel _ZN7rocprim17ROCPRIM_400000_NS6detail17trampoline_kernelINS0_14default_configENS1_22reduce_config_selectorIiEEZNS1_11reduce_implILb1ES3_PiS7_iN6hipcub16HIPCUB_304000_NS6detail34convert_binary_result_type_wrapperINS9_3SumENS9_22TransformInputIteratorIbN2at6native12_GLOBAL__N_19NonZeroOpIN3c107complexIfEEEEPKSK_lEEiEEEE10hipError_tPvRmT1_T2_T3_mT4_P12ihipStream_tbEUlT_E1_NS1_11comp_targetILNS1_3genE10ELNS1_11target_archE1200ELNS1_3gpuE4ELNS1_3repE0EEENS1_30default_config_static_selectorELNS0_4arch9wavefront6targetE0EEEvST_
		.amdhsa_group_segment_fixed_size 0
		.amdhsa_private_segment_fixed_size 0
		.amdhsa_kernarg_size 40
		.amdhsa_user_sgpr_count 2
		.amdhsa_user_sgpr_dispatch_ptr 0
		.amdhsa_user_sgpr_queue_ptr 0
		.amdhsa_user_sgpr_kernarg_segment_ptr 1
		.amdhsa_user_sgpr_dispatch_id 0
		.amdhsa_user_sgpr_private_segment_size 0
		.amdhsa_wavefront_size32 1
		.amdhsa_uses_dynamic_stack 0
		.amdhsa_enable_private_segment 0
		.amdhsa_system_sgpr_workgroup_id_x 1
		.amdhsa_system_sgpr_workgroup_id_y 0
		.amdhsa_system_sgpr_workgroup_id_z 0
		.amdhsa_system_sgpr_workgroup_info 0
		.amdhsa_system_vgpr_workitem_id 0
		.amdhsa_next_free_vgpr 1
		.amdhsa_next_free_sgpr 1
		.amdhsa_reserve_vcc 0
		.amdhsa_float_round_mode_32 0
		.amdhsa_float_round_mode_16_64 0
		.amdhsa_float_denorm_mode_32 3
		.amdhsa_float_denorm_mode_16_64 3
		.amdhsa_fp16_overflow 0
		.amdhsa_workgroup_processor_mode 1
		.amdhsa_memory_ordered 1
		.amdhsa_forward_progress 1
		.amdhsa_inst_pref_size 0
		.amdhsa_round_robin_scheduling 0
		.amdhsa_exception_fp_ieee_invalid_op 0
		.amdhsa_exception_fp_denorm_src 0
		.amdhsa_exception_fp_ieee_div_zero 0
		.amdhsa_exception_fp_ieee_overflow 0
		.amdhsa_exception_fp_ieee_underflow 0
		.amdhsa_exception_fp_ieee_inexact 0
		.amdhsa_exception_int_div_zero 0
	.end_amdhsa_kernel
	.section	.text._ZN7rocprim17ROCPRIM_400000_NS6detail17trampoline_kernelINS0_14default_configENS1_22reduce_config_selectorIiEEZNS1_11reduce_implILb1ES3_PiS7_iN6hipcub16HIPCUB_304000_NS6detail34convert_binary_result_type_wrapperINS9_3SumENS9_22TransformInputIteratorIbN2at6native12_GLOBAL__N_19NonZeroOpIN3c107complexIfEEEEPKSK_lEEiEEEE10hipError_tPvRmT1_T2_T3_mT4_P12ihipStream_tbEUlT_E1_NS1_11comp_targetILNS1_3genE10ELNS1_11target_archE1200ELNS1_3gpuE4ELNS1_3repE0EEENS1_30default_config_static_selectorELNS0_4arch9wavefront6targetE0EEEvST_,"axG",@progbits,_ZN7rocprim17ROCPRIM_400000_NS6detail17trampoline_kernelINS0_14default_configENS1_22reduce_config_selectorIiEEZNS1_11reduce_implILb1ES3_PiS7_iN6hipcub16HIPCUB_304000_NS6detail34convert_binary_result_type_wrapperINS9_3SumENS9_22TransformInputIteratorIbN2at6native12_GLOBAL__N_19NonZeroOpIN3c107complexIfEEEEPKSK_lEEiEEEE10hipError_tPvRmT1_T2_T3_mT4_P12ihipStream_tbEUlT_E1_NS1_11comp_targetILNS1_3genE10ELNS1_11target_archE1200ELNS1_3gpuE4ELNS1_3repE0EEENS1_30default_config_static_selectorELNS0_4arch9wavefront6targetE0EEEvST_,comdat
.Lfunc_end573:
	.size	_ZN7rocprim17ROCPRIM_400000_NS6detail17trampoline_kernelINS0_14default_configENS1_22reduce_config_selectorIiEEZNS1_11reduce_implILb1ES3_PiS7_iN6hipcub16HIPCUB_304000_NS6detail34convert_binary_result_type_wrapperINS9_3SumENS9_22TransformInputIteratorIbN2at6native12_GLOBAL__N_19NonZeroOpIN3c107complexIfEEEEPKSK_lEEiEEEE10hipError_tPvRmT1_T2_T3_mT4_P12ihipStream_tbEUlT_E1_NS1_11comp_targetILNS1_3genE10ELNS1_11target_archE1200ELNS1_3gpuE4ELNS1_3repE0EEENS1_30default_config_static_selectorELNS0_4arch9wavefront6targetE0EEEvST_, .Lfunc_end573-_ZN7rocprim17ROCPRIM_400000_NS6detail17trampoline_kernelINS0_14default_configENS1_22reduce_config_selectorIiEEZNS1_11reduce_implILb1ES3_PiS7_iN6hipcub16HIPCUB_304000_NS6detail34convert_binary_result_type_wrapperINS9_3SumENS9_22TransformInputIteratorIbN2at6native12_GLOBAL__N_19NonZeroOpIN3c107complexIfEEEEPKSK_lEEiEEEE10hipError_tPvRmT1_T2_T3_mT4_P12ihipStream_tbEUlT_E1_NS1_11comp_targetILNS1_3genE10ELNS1_11target_archE1200ELNS1_3gpuE4ELNS1_3repE0EEENS1_30default_config_static_selectorELNS0_4arch9wavefront6targetE0EEEvST_
                                        ; -- End function
	.set _ZN7rocprim17ROCPRIM_400000_NS6detail17trampoline_kernelINS0_14default_configENS1_22reduce_config_selectorIiEEZNS1_11reduce_implILb1ES3_PiS7_iN6hipcub16HIPCUB_304000_NS6detail34convert_binary_result_type_wrapperINS9_3SumENS9_22TransformInputIteratorIbN2at6native12_GLOBAL__N_19NonZeroOpIN3c107complexIfEEEEPKSK_lEEiEEEE10hipError_tPvRmT1_T2_T3_mT4_P12ihipStream_tbEUlT_E1_NS1_11comp_targetILNS1_3genE10ELNS1_11target_archE1200ELNS1_3gpuE4ELNS1_3repE0EEENS1_30default_config_static_selectorELNS0_4arch9wavefront6targetE0EEEvST_.num_vgpr, 0
	.set _ZN7rocprim17ROCPRIM_400000_NS6detail17trampoline_kernelINS0_14default_configENS1_22reduce_config_selectorIiEEZNS1_11reduce_implILb1ES3_PiS7_iN6hipcub16HIPCUB_304000_NS6detail34convert_binary_result_type_wrapperINS9_3SumENS9_22TransformInputIteratorIbN2at6native12_GLOBAL__N_19NonZeroOpIN3c107complexIfEEEEPKSK_lEEiEEEE10hipError_tPvRmT1_T2_T3_mT4_P12ihipStream_tbEUlT_E1_NS1_11comp_targetILNS1_3genE10ELNS1_11target_archE1200ELNS1_3gpuE4ELNS1_3repE0EEENS1_30default_config_static_selectorELNS0_4arch9wavefront6targetE0EEEvST_.num_agpr, 0
	.set _ZN7rocprim17ROCPRIM_400000_NS6detail17trampoline_kernelINS0_14default_configENS1_22reduce_config_selectorIiEEZNS1_11reduce_implILb1ES3_PiS7_iN6hipcub16HIPCUB_304000_NS6detail34convert_binary_result_type_wrapperINS9_3SumENS9_22TransformInputIteratorIbN2at6native12_GLOBAL__N_19NonZeroOpIN3c107complexIfEEEEPKSK_lEEiEEEE10hipError_tPvRmT1_T2_T3_mT4_P12ihipStream_tbEUlT_E1_NS1_11comp_targetILNS1_3genE10ELNS1_11target_archE1200ELNS1_3gpuE4ELNS1_3repE0EEENS1_30default_config_static_selectorELNS0_4arch9wavefront6targetE0EEEvST_.numbered_sgpr, 0
	.set _ZN7rocprim17ROCPRIM_400000_NS6detail17trampoline_kernelINS0_14default_configENS1_22reduce_config_selectorIiEEZNS1_11reduce_implILb1ES3_PiS7_iN6hipcub16HIPCUB_304000_NS6detail34convert_binary_result_type_wrapperINS9_3SumENS9_22TransformInputIteratorIbN2at6native12_GLOBAL__N_19NonZeroOpIN3c107complexIfEEEEPKSK_lEEiEEEE10hipError_tPvRmT1_T2_T3_mT4_P12ihipStream_tbEUlT_E1_NS1_11comp_targetILNS1_3genE10ELNS1_11target_archE1200ELNS1_3gpuE4ELNS1_3repE0EEENS1_30default_config_static_selectorELNS0_4arch9wavefront6targetE0EEEvST_.num_named_barrier, 0
	.set _ZN7rocprim17ROCPRIM_400000_NS6detail17trampoline_kernelINS0_14default_configENS1_22reduce_config_selectorIiEEZNS1_11reduce_implILb1ES3_PiS7_iN6hipcub16HIPCUB_304000_NS6detail34convert_binary_result_type_wrapperINS9_3SumENS9_22TransformInputIteratorIbN2at6native12_GLOBAL__N_19NonZeroOpIN3c107complexIfEEEEPKSK_lEEiEEEE10hipError_tPvRmT1_T2_T3_mT4_P12ihipStream_tbEUlT_E1_NS1_11comp_targetILNS1_3genE10ELNS1_11target_archE1200ELNS1_3gpuE4ELNS1_3repE0EEENS1_30default_config_static_selectorELNS0_4arch9wavefront6targetE0EEEvST_.private_seg_size, 0
	.set _ZN7rocprim17ROCPRIM_400000_NS6detail17trampoline_kernelINS0_14default_configENS1_22reduce_config_selectorIiEEZNS1_11reduce_implILb1ES3_PiS7_iN6hipcub16HIPCUB_304000_NS6detail34convert_binary_result_type_wrapperINS9_3SumENS9_22TransformInputIteratorIbN2at6native12_GLOBAL__N_19NonZeroOpIN3c107complexIfEEEEPKSK_lEEiEEEE10hipError_tPvRmT1_T2_T3_mT4_P12ihipStream_tbEUlT_E1_NS1_11comp_targetILNS1_3genE10ELNS1_11target_archE1200ELNS1_3gpuE4ELNS1_3repE0EEENS1_30default_config_static_selectorELNS0_4arch9wavefront6targetE0EEEvST_.uses_vcc, 0
	.set _ZN7rocprim17ROCPRIM_400000_NS6detail17trampoline_kernelINS0_14default_configENS1_22reduce_config_selectorIiEEZNS1_11reduce_implILb1ES3_PiS7_iN6hipcub16HIPCUB_304000_NS6detail34convert_binary_result_type_wrapperINS9_3SumENS9_22TransformInputIteratorIbN2at6native12_GLOBAL__N_19NonZeroOpIN3c107complexIfEEEEPKSK_lEEiEEEE10hipError_tPvRmT1_T2_T3_mT4_P12ihipStream_tbEUlT_E1_NS1_11comp_targetILNS1_3genE10ELNS1_11target_archE1200ELNS1_3gpuE4ELNS1_3repE0EEENS1_30default_config_static_selectorELNS0_4arch9wavefront6targetE0EEEvST_.uses_flat_scratch, 0
	.set _ZN7rocprim17ROCPRIM_400000_NS6detail17trampoline_kernelINS0_14default_configENS1_22reduce_config_selectorIiEEZNS1_11reduce_implILb1ES3_PiS7_iN6hipcub16HIPCUB_304000_NS6detail34convert_binary_result_type_wrapperINS9_3SumENS9_22TransformInputIteratorIbN2at6native12_GLOBAL__N_19NonZeroOpIN3c107complexIfEEEEPKSK_lEEiEEEE10hipError_tPvRmT1_T2_T3_mT4_P12ihipStream_tbEUlT_E1_NS1_11comp_targetILNS1_3genE10ELNS1_11target_archE1200ELNS1_3gpuE4ELNS1_3repE0EEENS1_30default_config_static_selectorELNS0_4arch9wavefront6targetE0EEEvST_.has_dyn_sized_stack, 0
	.set _ZN7rocprim17ROCPRIM_400000_NS6detail17trampoline_kernelINS0_14default_configENS1_22reduce_config_selectorIiEEZNS1_11reduce_implILb1ES3_PiS7_iN6hipcub16HIPCUB_304000_NS6detail34convert_binary_result_type_wrapperINS9_3SumENS9_22TransformInputIteratorIbN2at6native12_GLOBAL__N_19NonZeroOpIN3c107complexIfEEEEPKSK_lEEiEEEE10hipError_tPvRmT1_T2_T3_mT4_P12ihipStream_tbEUlT_E1_NS1_11comp_targetILNS1_3genE10ELNS1_11target_archE1200ELNS1_3gpuE4ELNS1_3repE0EEENS1_30default_config_static_selectorELNS0_4arch9wavefront6targetE0EEEvST_.has_recursion, 0
	.set _ZN7rocprim17ROCPRIM_400000_NS6detail17trampoline_kernelINS0_14default_configENS1_22reduce_config_selectorIiEEZNS1_11reduce_implILb1ES3_PiS7_iN6hipcub16HIPCUB_304000_NS6detail34convert_binary_result_type_wrapperINS9_3SumENS9_22TransformInputIteratorIbN2at6native12_GLOBAL__N_19NonZeroOpIN3c107complexIfEEEEPKSK_lEEiEEEE10hipError_tPvRmT1_T2_T3_mT4_P12ihipStream_tbEUlT_E1_NS1_11comp_targetILNS1_3genE10ELNS1_11target_archE1200ELNS1_3gpuE4ELNS1_3repE0EEENS1_30default_config_static_selectorELNS0_4arch9wavefront6targetE0EEEvST_.has_indirect_call, 0
	.section	.AMDGPU.csdata,"",@progbits
; Kernel info:
; codeLenInByte = 0
; TotalNumSgprs: 0
; NumVgprs: 0
; ScratchSize: 0
; MemoryBound: 0
; FloatMode: 240
; IeeeMode: 1
; LDSByteSize: 0 bytes/workgroup (compile time only)
; SGPRBlocks: 0
; VGPRBlocks: 0
; NumSGPRsForWavesPerEU: 1
; NumVGPRsForWavesPerEU: 1
; Occupancy: 16
; WaveLimiterHint : 0
; COMPUTE_PGM_RSRC2:SCRATCH_EN: 0
; COMPUTE_PGM_RSRC2:USER_SGPR: 2
; COMPUTE_PGM_RSRC2:TRAP_HANDLER: 0
; COMPUTE_PGM_RSRC2:TGID_X_EN: 1
; COMPUTE_PGM_RSRC2:TGID_Y_EN: 0
; COMPUTE_PGM_RSRC2:TGID_Z_EN: 0
; COMPUTE_PGM_RSRC2:TIDIG_COMP_CNT: 0
	.section	.text._ZN7rocprim17ROCPRIM_400000_NS6detail17trampoline_kernelINS0_14default_configENS1_22reduce_config_selectorIiEEZNS1_11reduce_implILb1ES3_PiS7_iN6hipcub16HIPCUB_304000_NS6detail34convert_binary_result_type_wrapperINS9_3SumENS9_22TransformInputIteratorIbN2at6native12_GLOBAL__N_19NonZeroOpIN3c107complexIfEEEEPKSK_lEEiEEEE10hipError_tPvRmT1_T2_T3_mT4_P12ihipStream_tbEUlT_E1_NS1_11comp_targetILNS1_3genE9ELNS1_11target_archE1100ELNS1_3gpuE3ELNS1_3repE0EEENS1_30default_config_static_selectorELNS0_4arch9wavefront6targetE0EEEvST_,"axG",@progbits,_ZN7rocprim17ROCPRIM_400000_NS6detail17trampoline_kernelINS0_14default_configENS1_22reduce_config_selectorIiEEZNS1_11reduce_implILb1ES3_PiS7_iN6hipcub16HIPCUB_304000_NS6detail34convert_binary_result_type_wrapperINS9_3SumENS9_22TransformInputIteratorIbN2at6native12_GLOBAL__N_19NonZeroOpIN3c107complexIfEEEEPKSK_lEEiEEEE10hipError_tPvRmT1_T2_T3_mT4_P12ihipStream_tbEUlT_E1_NS1_11comp_targetILNS1_3genE9ELNS1_11target_archE1100ELNS1_3gpuE3ELNS1_3repE0EEENS1_30default_config_static_selectorELNS0_4arch9wavefront6targetE0EEEvST_,comdat
	.globl	_ZN7rocprim17ROCPRIM_400000_NS6detail17trampoline_kernelINS0_14default_configENS1_22reduce_config_selectorIiEEZNS1_11reduce_implILb1ES3_PiS7_iN6hipcub16HIPCUB_304000_NS6detail34convert_binary_result_type_wrapperINS9_3SumENS9_22TransformInputIteratorIbN2at6native12_GLOBAL__N_19NonZeroOpIN3c107complexIfEEEEPKSK_lEEiEEEE10hipError_tPvRmT1_T2_T3_mT4_P12ihipStream_tbEUlT_E1_NS1_11comp_targetILNS1_3genE9ELNS1_11target_archE1100ELNS1_3gpuE3ELNS1_3repE0EEENS1_30default_config_static_selectorELNS0_4arch9wavefront6targetE0EEEvST_ ; -- Begin function _ZN7rocprim17ROCPRIM_400000_NS6detail17trampoline_kernelINS0_14default_configENS1_22reduce_config_selectorIiEEZNS1_11reduce_implILb1ES3_PiS7_iN6hipcub16HIPCUB_304000_NS6detail34convert_binary_result_type_wrapperINS9_3SumENS9_22TransformInputIteratorIbN2at6native12_GLOBAL__N_19NonZeroOpIN3c107complexIfEEEEPKSK_lEEiEEEE10hipError_tPvRmT1_T2_T3_mT4_P12ihipStream_tbEUlT_E1_NS1_11comp_targetILNS1_3genE9ELNS1_11target_archE1100ELNS1_3gpuE3ELNS1_3repE0EEENS1_30default_config_static_selectorELNS0_4arch9wavefront6targetE0EEEvST_
	.p2align	8
	.type	_ZN7rocprim17ROCPRIM_400000_NS6detail17trampoline_kernelINS0_14default_configENS1_22reduce_config_selectorIiEEZNS1_11reduce_implILb1ES3_PiS7_iN6hipcub16HIPCUB_304000_NS6detail34convert_binary_result_type_wrapperINS9_3SumENS9_22TransformInputIteratorIbN2at6native12_GLOBAL__N_19NonZeroOpIN3c107complexIfEEEEPKSK_lEEiEEEE10hipError_tPvRmT1_T2_T3_mT4_P12ihipStream_tbEUlT_E1_NS1_11comp_targetILNS1_3genE9ELNS1_11target_archE1100ELNS1_3gpuE3ELNS1_3repE0EEENS1_30default_config_static_selectorELNS0_4arch9wavefront6targetE0EEEvST_,@function
_ZN7rocprim17ROCPRIM_400000_NS6detail17trampoline_kernelINS0_14default_configENS1_22reduce_config_selectorIiEEZNS1_11reduce_implILb1ES3_PiS7_iN6hipcub16HIPCUB_304000_NS6detail34convert_binary_result_type_wrapperINS9_3SumENS9_22TransformInputIteratorIbN2at6native12_GLOBAL__N_19NonZeroOpIN3c107complexIfEEEEPKSK_lEEiEEEE10hipError_tPvRmT1_T2_T3_mT4_P12ihipStream_tbEUlT_E1_NS1_11comp_targetILNS1_3genE9ELNS1_11target_archE1100ELNS1_3gpuE3ELNS1_3repE0EEENS1_30default_config_static_selectorELNS0_4arch9wavefront6targetE0EEEvST_: ; @_ZN7rocprim17ROCPRIM_400000_NS6detail17trampoline_kernelINS0_14default_configENS1_22reduce_config_selectorIiEEZNS1_11reduce_implILb1ES3_PiS7_iN6hipcub16HIPCUB_304000_NS6detail34convert_binary_result_type_wrapperINS9_3SumENS9_22TransformInputIteratorIbN2at6native12_GLOBAL__N_19NonZeroOpIN3c107complexIfEEEEPKSK_lEEiEEEE10hipError_tPvRmT1_T2_T3_mT4_P12ihipStream_tbEUlT_E1_NS1_11comp_targetILNS1_3genE9ELNS1_11target_archE1100ELNS1_3gpuE3ELNS1_3repE0EEENS1_30default_config_static_selectorELNS0_4arch9wavefront6targetE0EEEvST_
; %bb.0:
	.section	.rodata,"a",@progbits
	.p2align	6, 0x0
	.amdhsa_kernel _ZN7rocprim17ROCPRIM_400000_NS6detail17trampoline_kernelINS0_14default_configENS1_22reduce_config_selectorIiEEZNS1_11reduce_implILb1ES3_PiS7_iN6hipcub16HIPCUB_304000_NS6detail34convert_binary_result_type_wrapperINS9_3SumENS9_22TransformInputIteratorIbN2at6native12_GLOBAL__N_19NonZeroOpIN3c107complexIfEEEEPKSK_lEEiEEEE10hipError_tPvRmT1_T2_T3_mT4_P12ihipStream_tbEUlT_E1_NS1_11comp_targetILNS1_3genE9ELNS1_11target_archE1100ELNS1_3gpuE3ELNS1_3repE0EEENS1_30default_config_static_selectorELNS0_4arch9wavefront6targetE0EEEvST_
		.amdhsa_group_segment_fixed_size 0
		.amdhsa_private_segment_fixed_size 0
		.amdhsa_kernarg_size 40
		.amdhsa_user_sgpr_count 2
		.amdhsa_user_sgpr_dispatch_ptr 0
		.amdhsa_user_sgpr_queue_ptr 0
		.amdhsa_user_sgpr_kernarg_segment_ptr 1
		.amdhsa_user_sgpr_dispatch_id 0
		.amdhsa_user_sgpr_private_segment_size 0
		.amdhsa_wavefront_size32 1
		.amdhsa_uses_dynamic_stack 0
		.amdhsa_enable_private_segment 0
		.amdhsa_system_sgpr_workgroup_id_x 1
		.amdhsa_system_sgpr_workgroup_id_y 0
		.amdhsa_system_sgpr_workgroup_id_z 0
		.amdhsa_system_sgpr_workgroup_info 0
		.amdhsa_system_vgpr_workitem_id 0
		.amdhsa_next_free_vgpr 1
		.amdhsa_next_free_sgpr 1
		.amdhsa_reserve_vcc 0
		.amdhsa_float_round_mode_32 0
		.amdhsa_float_round_mode_16_64 0
		.amdhsa_float_denorm_mode_32 3
		.amdhsa_float_denorm_mode_16_64 3
		.amdhsa_fp16_overflow 0
		.amdhsa_workgroup_processor_mode 1
		.amdhsa_memory_ordered 1
		.amdhsa_forward_progress 1
		.amdhsa_inst_pref_size 0
		.amdhsa_round_robin_scheduling 0
		.amdhsa_exception_fp_ieee_invalid_op 0
		.amdhsa_exception_fp_denorm_src 0
		.amdhsa_exception_fp_ieee_div_zero 0
		.amdhsa_exception_fp_ieee_overflow 0
		.amdhsa_exception_fp_ieee_underflow 0
		.amdhsa_exception_fp_ieee_inexact 0
		.amdhsa_exception_int_div_zero 0
	.end_amdhsa_kernel
	.section	.text._ZN7rocprim17ROCPRIM_400000_NS6detail17trampoline_kernelINS0_14default_configENS1_22reduce_config_selectorIiEEZNS1_11reduce_implILb1ES3_PiS7_iN6hipcub16HIPCUB_304000_NS6detail34convert_binary_result_type_wrapperINS9_3SumENS9_22TransformInputIteratorIbN2at6native12_GLOBAL__N_19NonZeroOpIN3c107complexIfEEEEPKSK_lEEiEEEE10hipError_tPvRmT1_T2_T3_mT4_P12ihipStream_tbEUlT_E1_NS1_11comp_targetILNS1_3genE9ELNS1_11target_archE1100ELNS1_3gpuE3ELNS1_3repE0EEENS1_30default_config_static_selectorELNS0_4arch9wavefront6targetE0EEEvST_,"axG",@progbits,_ZN7rocprim17ROCPRIM_400000_NS6detail17trampoline_kernelINS0_14default_configENS1_22reduce_config_selectorIiEEZNS1_11reduce_implILb1ES3_PiS7_iN6hipcub16HIPCUB_304000_NS6detail34convert_binary_result_type_wrapperINS9_3SumENS9_22TransformInputIteratorIbN2at6native12_GLOBAL__N_19NonZeroOpIN3c107complexIfEEEEPKSK_lEEiEEEE10hipError_tPvRmT1_T2_T3_mT4_P12ihipStream_tbEUlT_E1_NS1_11comp_targetILNS1_3genE9ELNS1_11target_archE1100ELNS1_3gpuE3ELNS1_3repE0EEENS1_30default_config_static_selectorELNS0_4arch9wavefront6targetE0EEEvST_,comdat
.Lfunc_end574:
	.size	_ZN7rocprim17ROCPRIM_400000_NS6detail17trampoline_kernelINS0_14default_configENS1_22reduce_config_selectorIiEEZNS1_11reduce_implILb1ES3_PiS7_iN6hipcub16HIPCUB_304000_NS6detail34convert_binary_result_type_wrapperINS9_3SumENS9_22TransformInputIteratorIbN2at6native12_GLOBAL__N_19NonZeroOpIN3c107complexIfEEEEPKSK_lEEiEEEE10hipError_tPvRmT1_T2_T3_mT4_P12ihipStream_tbEUlT_E1_NS1_11comp_targetILNS1_3genE9ELNS1_11target_archE1100ELNS1_3gpuE3ELNS1_3repE0EEENS1_30default_config_static_selectorELNS0_4arch9wavefront6targetE0EEEvST_, .Lfunc_end574-_ZN7rocprim17ROCPRIM_400000_NS6detail17trampoline_kernelINS0_14default_configENS1_22reduce_config_selectorIiEEZNS1_11reduce_implILb1ES3_PiS7_iN6hipcub16HIPCUB_304000_NS6detail34convert_binary_result_type_wrapperINS9_3SumENS9_22TransformInputIteratorIbN2at6native12_GLOBAL__N_19NonZeroOpIN3c107complexIfEEEEPKSK_lEEiEEEE10hipError_tPvRmT1_T2_T3_mT4_P12ihipStream_tbEUlT_E1_NS1_11comp_targetILNS1_3genE9ELNS1_11target_archE1100ELNS1_3gpuE3ELNS1_3repE0EEENS1_30default_config_static_selectorELNS0_4arch9wavefront6targetE0EEEvST_
                                        ; -- End function
	.set _ZN7rocprim17ROCPRIM_400000_NS6detail17trampoline_kernelINS0_14default_configENS1_22reduce_config_selectorIiEEZNS1_11reduce_implILb1ES3_PiS7_iN6hipcub16HIPCUB_304000_NS6detail34convert_binary_result_type_wrapperINS9_3SumENS9_22TransformInputIteratorIbN2at6native12_GLOBAL__N_19NonZeroOpIN3c107complexIfEEEEPKSK_lEEiEEEE10hipError_tPvRmT1_T2_T3_mT4_P12ihipStream_tbEUlT_E1_NS1_11comp_targetILNS1_3genE9ELNS1_11target_archE1100ELNS1_3gpuE3ELNS1_3repE0EEENS1_30default_config_static_selectorELNS0_4arch9wavefront6targetE0EEEvST_.num_vgpr, 0
	.set _ZN7rocprim17ROCPRIM_400000_NS6detail17trampoline_kernelINS0_14default_configENS1_22reduce_config_selectorIiEEZNS1_11reduce_implILb1ES3_PiS7_iN6hipcub16HIPCUB_304000_NS6detail34convert_binary_result_type_wrapperINS9_3SumENS9_22TransformInputIteratorIbN2at6native12_GLOBAL__N_19NonZeroOpIN3c107complexIfEEEEPKSK_lEEiEEEE10hipError_tPvRmT1_T2_T3_mT4_P12ihipStream_tbEUlT_E1_NS1_11comp_targetILNS1_3genE9ELNS1_11target_archE1100ELNS1_3gpuE3ELNS1_3repE0EEENS1_30default_config_static_selectorELNS0_4arch9wavefront6targetE0EEEvST_.num_agpr, 0
	.set _ZN7rocprim17ROCPRIM_400000_NS6detail17trampoline_kernelINS0_14default_configENS1_22reduce_config_selectorIiEEZNS1_11reduce_implILb1ES3_PiS7_iN6hipcub16HIPCUB_304000_NS6detail34convert_binary_result_type_wrapperINS9_3SumENS9_22TransformInputIteratorIbN2at6native12_GLOBAL__N_19NonZeroOpIN3c107complexIfEEEEPKSK_lEEiEEEE10hipError_tPvRmT1_T2_T3_mT4_P12ihipStream_tbEUlT_E1_NS1_11comp_targetILNS1_3genE9ELNS1_11target_archE1100ELNS1_3gpuE3ELNS1_3repE0EEENS1_30default_config_static_selectorELNS0_4arch9wavefront6targetE0EEEvST_.numbered_sgpr, 0
	.set _ZN7rocprim17ROCPRIM_400000_NS6detail17trampoline_kernelINS0_14default_configENS1_22reduce_config_selectorIiEEZNS1_11reduce_implILb1ES3_PiS7_iN6hipcub16HIPCUB_304000_NS6detail34convert_binary_result_type_wrapperINS9_3SumENS9_22TransformInputIteratorIbN2at6native12_GLOBAL__N_19NonZeroOpIN3c107complexIfEEEEPKSK_lEEiEEEE10hipError_tPvRmT1_T2_T3_mT4_P12ihipStream_tbEUlT_E1_NS1_11comp_targetILNS1_3genE9ELNS1_11target_archE1100ELNS1_3gpuE3ELNS1_3repE0EEENS1_30default_config_static_selectorELNS0_4arch9wavefront6targetE0EEEvST_.num_named_barrier, 0
	.set _ZN7rocprim17ROCPRIM_400000_NS6detail17trampoline_kernelINS0_14default_configENS1_22reduce_config_selectorIiEEZNS1_11reduce_implILb1ES3_PiS7_iN6hipcub16HIPCUB_304000_NS6detail34convert_binary_result_type_wrapperINS9_3SumENS9_22TransformInputIteratorIbN2at6native12_GLOBAL__N_19NonZeroOpIN3c107complexIfEEEEPKSK_lEEiEEEE10hipError_tPvRmT1_T2_T3_mT4_P12ihipStream_tbEUlT_E1_NS1_11comp_targetILNS1_3genE9ELNS1_11target_archE1100ELNS1_3gpuE3ELNS1_3repE0EEENS1_30default_config_static_selectorELNS0_4arch9wavefront6targetE0EEEvST_.private_seg_size, 0
	.set _ZN7rocprim17ROCPRIM_400000_NS6detail17trampoline_kernelINS0_14default_configENS1_22reduce_config_selectorIiEEZNS1_11reduce_implILb1ES3_PiS7_iN6hipcub16HIPCUB_304000_NS6detail34convert_binary_result_type_wrapperINS9_3SumENS9_22TransformInputIteratorIbN2at6native12_GLOBAL__N_19NonZeroOpIN3c107complexIfEEEEPKSK_lEEiEEEE10hipError_tPvRmT1_T2_T3_mT4_P12ihipStream_tbEUlT_E1_NS1_11comp_targetILNS1_3genE9ELNS1_11target_archE1100ELNS1_3gpuE3ELNS1_3repE0EEENS1_30default_config_static_selectorELNS0_4arch9wavefront6targetE0EEEvST_.uses_vcc, 0
	.set _ZN7rocprim17ROCPRIM_400000_NS6detail17trampoline_kernelINS0_14default_configENS1_22reduce_config_selectorIiEEZNS1_11reduce_implILb1ES3_PiS7_iN6hipcub16HIPCUB_304000_NS6detail34convert_binary_result_type_wrapperINS9_3SumENS9_22TransformInputIteratorIbN2at6native12_GLOBAL__N_19NonZeroOpIN3c107complexIfEEEEPKSK_lEEiEEEE10hipError_tPvRmT1_T2_T3_mT4_P12ihipStream_tbEUlT_E1_NS1_11comp_targetILNS1_3genE9ELNS1_11target_archE1100ELNS1_3gpuE3ELNS1_3repE0EEENS1_30default_config_static_selectorELNS0_4arch9wavefront6targetE0EEEvST_.uses_flat_scratch, 0
	.set _ZN7rocprim17ROCPRIM_400000_NS6detail17trampoline_kernelINS0_14default_configENS1_22reduce_config_selectorIiEEZNS1_11reduce_implILb1ES3_PiS7_iN6hipcub16HIPCUB_304000_NS6detail34convert_binary_result_type_wrapperINS9_3SumENS9_22TransformInputIteratorIbN2at6native12_GLOBAL__N_19NonZeroOpIN3c107complexIfEEEEPKSK_lEEiEEEE10hipError_tPvRmT1_T2_T3_mT4_P12ihipStream_tbEUlT_E1_NS1_11comp_targetILNS1_3genE9ELNS1_11target_archE1100ELNS1_3gpuE3ELNS1_3repE0EEENS1_30default_config_static_selectorELNS0_4arch9wavefront6targetE0EEEvST_.has_dyn_sized_stack, 0
	.set _ZN7rocprim17ROCPRIM_400000_NS6detail17trampoline_kernelINS0_14default_configENS1_22reduce_config_selectorIiEEZNS1_11reduce_implILb1ES3_PiS7_iN6hipcub16HIPCUB_304000_NS6detail34convert_binary_result_type_wrapperINS9_3SumENS9_22TransformInputIteratorIbN2at6native12_GLOBAL__N_19NonZeroOpIN3c107complexIfEEEEPKSK_lEEiEEEE10hipError_tPvRmT1_T2_T3_mT4_P12ihipStream_tbEUlT_E1_NS1_11comp_targetILNS1_3genE9ELNS1_11target_archE1100ELNS1_3gpuE3ELNS1_3repE0EEENS1_30default_config_static_selectorELNS0_4arch9wavefront6targetE0EEEvST_.has_recursion, 0
	.set _ZN7rocprim17ROCPRIM_400000_NS6detail17trampoline_kernelINS0_14default_configENS1_22reduce_config_selectorIiEEZNS1_11reduce_implILb1ES3_PiS7_iN6hipcub16HIPCUB_304000_NS6detail34convert_binary_result_type_wrapperINS9_3SumENS9_22TransformInputIteratorIbN2at6native12_GLOBAL__N_19NonZeroOpIN3c107complexIfEEEEPKSK_lEEiEEEE10hipError_tPvRmT1_T2_T3_mT4_P12ihipStream_tbEUlT_E1_NS1_11comp_targetILNS1_3genE9ELNS1_11target_archE1100ELNS1_3gpuE3ELNS1_3repE0EEENS1_30default_config_static_selectorELNS0_4arch9wavefront6targetE0EEEvST_.has_indirect_call, 0
	.section	.AMDGPU.csdata,"",@progbits
; Kernel info:
; codeLenInByte = 0
; TotalNumSgprs: 0
; NumVgprs: 0
; ScratchSize: 0
; MemoryBound: 0
; FloatMode: 240
; IeeeMode: 1
; LDSByteSize: 0 bytes/workgroup (compile time only)
; SGPRBlocks: 0
; VGPRBlocks: 0
; NumSGPRsForWavesPerEU: 1
; NumVGPRsForWavesPerEU: 1
; Occupancy: 16
; WaveLimiterHint : 0
; COMPUTE_PGM_RSRC2:SCRATCH_EN: 0
; COMPUTE_PGM_RSRC2:USER_SGPR: 2
; COMPUTE_PGM_RSRC2:TRAP_HANDLER: 0
; COMPUTE_PGM_RSRC2:TGID_X_EN: 1
; COMPUTE_PGM_RSRC2:TGID_Y_EN: 0
; COMPUTE_PGM_RSRC2:TGID_Z_EN: 0
; COMPUTE_PGM_RSRC2:TIDIG_COMP_CNT: 0
	.section	.text._ZN7rocprim17ROCPRIM_400000_NS6detail17trampoline_kernelINS0_14default_configENS1_22reduce_config_selectorIiEEZNS1_11reduce_implILb1ES3_PiS7_iN6hipcub16HIPCUB_304000_NS6detail34convert_binary_result_type_wrapperINS9_3SumENS9_22TransformInputIteratorIbN2at6native12_GLOBAL__N_19NonZeroOpIN3c107complexIfEEEEPKSK_lEEiEEEE10hipError_tPvRmT1_T2_T3_mT4_P12ihipStream_tbEUlT_E1_NS1_11comp_targetILNS1_3genE8ELNS1_11target_archE1030ELNS1_3gpuE2ELNS1_3repE0EEENS1_30default_config_static_selectorELNS0_4arch9wavefront6targetE0EEEvST_,"axG",@progbits,_ZN7rocprim17ROCPRIM_400000_NS6detail17trampoline_kernelINS0_14default_configENS1_22reduce_config_selectorIiEEZNS1_11reduce_implILb1ES3_PiS7_iN6hipcub16HIPCUB_304000_NS6detail34convert_binary_result_type_wrapperINS9_3SumENS9_22TransformInputIteratorIbN2at6native12_GLOBAL__N_19NonZeroOpIN3c107complexIfEEEEPKSK_lEEiEEEE10hipError_tPvRmT1_T2_T3_mT4_P12ihipStream_tbEUlT_E1_NS1_11comp_targetILNS1_3genE8ELNS1_11target_archE1030ELNS1_3gpuE2ELNS1_3repE0EEENS1_30default_config_static_selectorELNS0_4arch9wavefront6targetE0EEEvST_,comdat
	.globl	_ZN7rocprim17ROCPRIM_400000_NS6detail17trampoline_kernelINS0_14default_configENS1_22reduce_config_selectorIiEEZNS1_11reduce_implILb1ES3_PiS7_iN6hipcub16HIPCUB_304000_NS6detail34convert_binary_result_type_wrapperINS9_3SumENS9_22TransformInputIteratorIbN2at6native12_GLOBAL__N_19NonZeroOpIN3c107complexIfEEEEPKSK_lEEiEEEE10hipError_tPvRmT1_T2_T3_mT4_P12ihipStream_tbEUlT_E1_NS1_11comp_targetILNS1_3genE8ELNS1_11target_archE1030ELNS1_3gpuE2ELNS1_3repE0EEENS1_30default_config_static_selectorELNS0_4arch9wavefront6targetE0EEEvST_ ; -- Begin function _ZN7rocprim17ROCPRIM_400000_NS6detail17trampoline_kernelINS0_14default_configENS1_22reduce_config_selectorIiEEZNS1_11reduce_implILb1ES3_PiS7_iN6hipcub16HIPCUB_304000_NS6detail34convert_binary_result_type_wrapperINS9_3SumENS9_22TransformInputIteratorIbN2at6native12_GLOBAL__N_19NonZeroOpIN3c107complexIfEEEEPKSK_lEEiEEEE10hipError_tPvRmT1_T2_T3_mT4_P12ihipStream_tbEUlT_E1_NS1_11comp_targetILNS1_3genE8ELNS1_11target_archE1030ELNS1_3gpuE2ELNS1_3repE0EEENS1_30default_config_static_selectorELNS0_4arch9wavefront6targetE0EEEvST_
	.p2align	8
	.type	_ZN7rocprim17ROCPRIM_400000_NS6detail17trampoline_kernelINS0_14default_configENS1_22reduce_config_selectorIiEEZNS1_11reduce_implILb1ES3_PiS7_iN6hipcub16HIPCUB_304000_NS6detail34convert_binary_result_type_wrapperINS9_3SumENS9_22TransformInputIteratorIbN2at6native12_GLOBAL__N_19NonZeroOpIN3c107complexIfEEEEPKSK_lEEiEEEE10hipError_tPvRmT1_T2_T3_mT4_P12ihipStream_tbEUlT_E1_NS1_11comp_targetILNS1_3genE8ELNS1_11target_archE1030ELNS1_3gpuE2ELNS1_3repE0EEENS1_30default_config_static_selectorELNS0_4arch9wavefront6targetE0EEEvST_,@function
_ZN7rocprim17ROCPRIM_400000_NS6detail17trampoline_kernelINS0_14default_configENS1_22reduce_config_selectorIiEEZNS1_11reduce_implILb1ES3_PiS7_iN6hipcub16HIPCUB_304000_NS6detail34convert_binary_result_type_wrapperINS9_3SumENS9_22TransformInputIteratorIbN2at6native12_GLOBAL__N_19NonZeroOpIN3c107complexIfEEEEPKSK_lEEiEEEE10hipError_tPvRmT1_T2_T3_mT4_P12ihipStream_tbEUlT_E1_NS1_11comp_targetILNS1_3genE8ELNS1_11target_archE1030ELNS1_3gpuE2ELNS1_3repE0EEENS1_30default_config_static_selectorELNS0_4arch9wavefront6targetE0EEEvST_: ; @_ZN7rocprim17ROCPRIM_400000_NS6detail17trampoline_kernelINS0_14default_configENS1_22reduce_config_selectorIiEEZNS1_11reduce_implILb1ES3_PiS7_iN6hipcub16HIPCUB_304000_NS6detail34convert_binary_result_type_wrapperINS9_3SumENS9_22TransformInputIteratorIbN2at6native12_GLOBAL__N_19NonZeroOpIN3c107complexIfEEEEPKSK_lEEiEEEE10hipError_tPvRmT1_T2_T3_mT4_P12ihipStream_tbEUlT_E1_NS1_11comp_targetILNS1_3genE8ELNS1_11target_archE1030ELNS1_3gpuE2ELNS1_3repE0EEENS1_30default_config_static_selectorELNS0_4arch9wavefront6targetE0EEEvST_
; %bb.0:
	.section	.rodata,"a",@progbits
	.p2align	6, 0x0
	.amdhsa_kernel _ZN7rocprim17ROCPRIM_400000_NS6detail17trampoline_kernelINS0_14default_configENS1_22reduce_config_selectorIiEEZNS1_11reduce_implILb1ES3_PiS7_iN6hipcub16HIPCUB_304000_NS6detail34convert_binary_result_type_wrapperINS9_3SumENS9_22TransformInputIteratorIbN2at6native12_GLOBAL__N_19NonZeroOpIN3c107complexIfEEEEPKSK_lEEiEEEE10hipError_tPvRmT1_T2_T3_mT4_P12ihipStream_tbEUlT_E1_NS1_11comp_targetILNS1_3genE8ELNS1_11target_archE1030ELNS1_3gpuE2ELNS1_3repE0EEENS1_30default_config_static_selectorELNS0_4arch9wavefront6targetE0EEEvST_
		.amdhsa_group_segment_fixed_size 0
		.amdhsa_private_segment_fixed_size 0
		.amdhsa_kernarg_size 40
		.amdhsa_user_sgpr_count 2
		.amdhsa_user_sgpr_dispatch_ptr 0
		.amdhsa_user_sgpr_queue_ptr 0
		.amdhsa_user_sgpr_kernarg_segment_ptr 1
		.amdhsa_user_sgpr_dispatch_id 0
		.amdhsa_user_sgpr_private_segment_size 0
		.amdhsa_wavefront_size32 1
		.amdhsa_uses_dynamic_stack 0
		.amdhsa_enable_private_segment 0
		.amdhsa_system_sgpr_workgroup_id_x 1
		.amdhsa_system_sgpr_workgroup_id_y 0
		.amdhsa_system_sgpr_workgroup_id_z 0
		.amdhsa_system_sgpr_workgroup_info 0
		.amdhsa_system_vgpr_workitem_id 0
		.amdhsa_next_free_vgpr 1
		.amdhsa_next_free_sgpr 1
		.amdhsa_reserve_vcc 0
		.amdhsa_float_round_mode_32 0
		.amdhsa_float_round_mode_16_64 0
		.amdhsa_float_denorm_mode_32 3
		.amdhsa_float_denorm_mode_16_64 3
		.amdhsa_fp16_overflow 0
		.amdhsa_workgroup_processor_mode 1
		.amdhsa_memory_ordered 1
		.amdhsa_forward_progress 1
		.amdhsa_inst_pref_size 0
		.amdhsa_round_robin_scheduling 0
		.amdhsa_exception_fp_ieee_invalid_op 0
		.amdhsa_exception_fp_denorm_src 0
		.amdhsa_exception_fp_ieee_div_zero 0
		.amdhsa_exception_fp_ieee_overflow 0
		.amdhsa_exception_fp_ieee_underflow 0
		.amdhsa_exception_fp_ieee_inexact 0
		.amdhsa_exception_int_div_zero 0
	.end_amdhsa_kernel
	.section	.text._ZN7rocprim17ROCPRIM_400000_NS6detail17trampoline_kernelINS0_14default_configENS1_22reduce_config_selectorIiEEZNS1_11reduce_implILb1ES3_PiS7_iN6hipcub16HIPCUB_304000_NS6detail34convert_binary_result_type_wrapperINS9_3SumENS9_22TransformInputIteratorIbN2at6native12_GLOBAL__N_19NonZeroOpIN3c107complexIfEEEEPKSK_lEEiEEEE10hipError_tPvRmT1_T2_T3_mT4_P12ihipStream_tbEUlT_E1_NS1_11comp_targetILNS1_3genE8ELNS1_11target_archE1030ELNS1_3gpuE2ELNS1_3repE0EEENS1_30default_config_static_selectorELNS0_4arch9wavefront6targetE0EEEvST_,"axG",@progbits,_ZN7rocprim17ROCPRIM_400000_NS6detail17trampoline_kernelINS0_14default_configENS1_22reduce_config_selectorIiEEZNS1_11reduce_implILb1ES3_PiS7_iN6hipcub16HIPCUB_304000_NS6detail34convert_binary_result_type_wrapperINS9_3SumENS9_22TransformInputIteratorIbN2at6native12_GLOBAL__N_19NonZeroOpIN3c107complexIfEEEEPKSK_lEEiEEEE10hipError_tPvRmT1_T2_T3_mT4_P12ihipStream_tbEUlT_E1_NS1_11comp_targetILNS1_3genE8ELNS1_11target_archE1030ELNS1_3gpuE2ELNS1_3repE0EEENS1_30default_config_static_selectorELNS0_4arch9wavefront6targetE0EEEvST_,comdat
.Lfunc_end575:
	.size	_ZN7rocprim17ROCPRIM_400000_NS6detail17trampoline_kernelINS0_14default_configENS1_22reduce_config_selectorIiEEZNS1_11reduce_implILb1ES3_PiS7_iN6hipcub16HIPCUB_304000_NS6detail34convert_binary_result_type_wrapperINS9_3SumENS9_22TransformInputIteratorIbN2at6native12_GLOBAL__N_19NonZeroOpIN3c107complexIfEEEEPKSK_lEEiEEEE10hipError_tPvRmT1_T2_T3_mT4_P12ihipStream_tbEUlT_E1_NS1_11comp_targetILNS1_3genE8ELNS1_11target_archE1030ELNS1_3gpuE2ELNS1_3repE0EEENS1_30default_config_static_selectorELNS0_4arch9wavefront6targetE0EEEvST_, .Lfunc_end575-_ZN7rocprim17ROCPRIM_400000_NS6detail17trampoline_kernelINS0_14default_configENS1_22reduce_config_selectorIiEEZNS1_11reduce_implILb1ES3_PiS7_iN6hipcub16HIPCUB_304000_NS6detail34convert_binary_result_type_wrapperINS9_3SumENS9_22TransformInputIteratorIbN2at6native12_GLOBAL__N_19NonZeroOpIN3c107complexIfEEEEPKSK_lEEiEEEE10hipError_tPvRmT1_T2_T3_mT4_P12ihipStream_tbEUlT_E1_NS1_11comp_targetILNS1_3genE8ELNS1_11target_archE1030ELNS1_3gpuE2ELNS1_3repE0EEENS1_30default_config_static_selectorELNS0_4arch9wavefront6targetE0EEEvST_
                                        ; -- End function
	.set _ZN7rocprim17ROCPRIM_400000_NS6detail17trampoline_kernelINS0_14default_configENS1_22reduce_config_selectorIiEEZNS1_11reduce_implILb1ES3_PiS7_iN6hipcub16HIPCUB_304000_NS6detail34convert_binary_result_type_wrapperINS9_3SumENS9_22TransformInputIteratorIbN2at6native12_GLOBAL__N_19NonZeroOpIN3c107complexIfEEEEPKSK_lEEiEEEE10hipError_tPvRmT1_T2_T3_mT4_P12ihipStream_tbEUlT_E1_NS1_11comp_targetILNS1_3genE8ELNS1_11target_archE1030ELNS1_3gpuE2ELNS1_3repE0EEENS1_30default_config_static_selectorELNS0_4arch9wavefront6targetE0EEEvST_.num_vgpr, 0
	.set _ZN7rocprim17ROCPRIM_400000_NS6detail17trampoline_kernelINS0_14default_configENS1_22reduce_config_selectorIiEEZNS1_11reduce_implILb1ES3_PiS7_iN6hipcub16HIPCUB_304000_NS6detail34convert_binary_result_type_wrapperINS9_3SumENS9_22TransformInputIteratorIbN2at6native12_GLOBAL__N_19NonZeroOpIN3c107complexIfEEEEPKSK_lEEiEEEE10hipError_tPvRmT1_T2_T3_mT4_P12ihipStream_tbEUlT_E1_NS1_11comp_targetILNS1_3genE8ELNS1_11target_archE1030ELNS1_3gpuE2ELNS1_3repE0EEENS1_30default_config_static_selectorELNS0_4arch9wavefront6targetE0EEEvST_.num_agpr, 0
	.set _ZN7rocprim17ROCPRIM_400000_NS6detail17trampoline_kernelINS0_14default_configENS1_22reduce_config_selectorIiEEZNS1_11reduce_implILb1ES3_PiS7_iN6hipcub16HIPCUB_304000_NS6detail34convert_binary_result_type_wrapperINS9_3SumENS9_22TransformInputIteratorIbN2at6native12_GLOBAL__N_19NonZeroOpIN3c107complexIfEEEEPKSK_lEEiEEEE10hipError_tPvRmT1_T2_T3_mT4_P12ihipStream_tbEUlT_E1_NS1_11comp_targetILNS1_3genE8ELNS1_11target_archE1030ELNS1_3gpuE2ELNS1_3repE0EEENS1_30default_config_static_selectorELNS0_4arch9wavefront6targetE0EEEvST_.numbered_sgpr, 0
	.set _ZN7rocprim17ROCPRIM_400000_NS6detail17trampoline_kernelINS0_14default_configENS1_22reduce_config_selectorIiEEZNS1_11reduce_implILb1ES3_PiS7_iN6hipcub16HIPCUB_304000_NS6detail34convert_binary_result_type_wrapperINS9_3SumENS9_22TransformInputIteratorIbN2at6native12_GLOBAL__N_19NonZeroOpIN3c107complexIfEEEEPKSK_lEEiEEEE10hipError_tPvRmT1_T2_T3_mT4_P12ihipStream_tbEUlT_E1_NS1_11comp_targetILNS1_3genE8ELNS1_11target_archE1030ELNS1_3gpuE2ELNS1_3repE0EEENS1_30default_config_static_selectorELNS0_4arch9wavefront6targetE0EEEvST_.num_named_barrier, 0
	.set _ZN7rocprim17ROCPRIM_400000_NS6detail17trampoline_kernelINS0_14default_configENS1_22reduce_config_selectorIiEEZNS1_11reduce_implILb1ES3_PiS7_iN6hipcub16HIPCUB_304000_NS6detail34convert_binary_result_type_wrapperINS9_3SumENS9_22TransformInputIteratorIbN2at6native12_GLOBAL__N_19NonZeroOpIN3c107complexIfEEEEPKSK_lEEiEEEE10hipError_tPvRmT1_T2_T3_mT4_P12ihipStream_tbEUlT_E1_NS1_11comp_targetILNS1_3genE8ELNS1_11target_archE1030ELNS1_3gpuE2ELNS1_3repE0EEENS1_30default_config_static_selectorELNS0_4arch9wavefront6targetE0EEEvST_.private_seg_size, 0
	.set _ZN7rocprim17ROCPRIM_400000_NS6detail17trampoline_kernelINS0_14default_configENS1_22reduce_config_selectorIiEEZNS1_11reduce_implILb1ES3_PiS7_iN6hipcub16HIPCUB_304000_NS6detail34convert_binary_result_type_wrapperINS9_3SumENS9_22TransformInputIteratorIbN2at6native12_GLOBAL__N_19NonZeroOpIN3c107complexIfEEEEPKSK_lEEiEEEE10hipError_tPvRmT1_T2_T3_mT4_P12ihipStream_tbEUlT_E1_NS1_11comp_targetILNS1_3genE8ELNS1_11target_archE1030ELNS1_3gpuE2ELNS1_3repE0EEENS1_30default_config_static_selectorELNS0_4arch9wavefront6targetE0EEEvST_.uses_vcc, 0
	.set _ZN7rocprim17ROCPRIM_400000_NS6detail17trampoline_kernelINS0_14default_configENS1_22reduce_config_selectorIiEEZNS1_11reduce_implILb1ES3_PiS7_iN6hipcub16HIPCUB_304000_NS6detail34convert_binary_result_type_wrapperINS9_3SumENS9_22TransformInputIteratorIbN2at6native12_GLOBAL__N_19NonZeroOpIN3c107complexIfEEEEPKSK_lEEiEEEE10hipError_tPvRmT1_T2_T3_mT4_P12ihipStream_tbEUlT_E1_NS1_11comp_targetILNS1_3genE8ELNS1_11target_archE1030ELNS1_3gpuE2ELNS1_3repE0EEENS1_30default_config_static_selectorELNS0_4arch9wavefront6targetE0EEEvST_.uses_flat_scratch, 0
	.set _ZN7rocprim17ROCPRIM_400000_NS6detail17trampoline_kernelINS0_14default_configENS1_22reduce_config_selectorIiEEZNS1_11reduce_implILb1ES3_PiS7_iN6hipcub16HIPCUB_304000_NS6detail34convert_binary_result_type_wrapperINS9_3SumENS9_22TransformInputIteratorIbN2at6native12_GLOBAL__N_19NonZeroOpIN3c107complexIfEEEEPKSK_lEEiEEEE10hipError_tPvRmT1_T2_T3_mT4_P12ihipStream_tbEUlT_E1_NS1_11comp_targetILNS1_3genE8ELNS1_11target_archE1030ELNS1_3gpuE2ELNS1_3repE0EEENS1_30default_config_static_selectorELNS0_4arch9wavefront6targetE0EEEvST_.has_dyn_sized_stack, 0
	.set _ZN7rocprim17ROCPRIM_400000_NS6detail17trampoline_kernelINS0_14default_configENS1_22reduce_config_selectorIiEEZNS1_11reduce_implILb1ES3_PiS7_iN6hipcub16HIPCUB_304000_NS6detail34convert_binary_result_type_wrapperINS9_3SumENS9_22TransformInputIteratorIbN2at6native12_GLOBAL__N_19NonZeroOpIN3c107complexIfEEEEPKSK_lEEiEEEE10hipError_tPvRmT1_T2_T3_mT4_P12ihipStream_tbEUlT_E1_NS1_11comp_targetILNS1_3genE8ELNS1_11target_archE1030ELNS1_3gpuE2ELNS1_3repE0EEENS1_30default_config_static_selectorELNS0_4arch9wavefront6targetE0EEEvST_.has_recursion, 0
	.set _ZN7rocprim17ROCPRIM_400000_NS6detail17trampoline_kernelINS0_14default_configENS1_22reduce_config_selectorIiEEZNS1_11reduce_implILb1ES3_PiS7_iN6hipcub16HIPCUB_304000_NS6detail34convert_binary_result_type_wrapperINS9_3SumENS9_22TransformInputIteratorIbN2at6native12_GLOBAL__N_19NonZeroOpIN3c107complexIfEEEEPKSK_lEEiEEEE10hipError_tPvRmT1_T2_T3_mT4_P12ihipStream_tbEUlT_E1_NS1_11comp_targetILNS1_3genE8ELNS1_11target_archE1030ELNS1_3gpuE2ELNS1_3repE0EEENS1_30default_config_static_selectorELNS0_4arch9wavefront6targetE0EEEvST_.has_indirect_call, 0
	.section	.AMDGPU.csdata,"",@progbits
; Kernel info:
; codeLenInByte = 0
; TotalNumSgprs: 0
; NumVgprs: 0
; ScratchSize: 0
; MemoryBound: 0
; FloatMode: 240
; IeeeMode: 1
; LDSByteSize: 0 bytes/workgroup (compile time only)
; SGPRBlocks: 0
; VGPRBlocks: 0
; NumSGPRsForWavesPerEU: 1
; NumVGPRsForWavesPerEU: 1
; Occupancy: 16
; WaveLimiterHint : 0
; COMPUTE_PGM_RSRC2:SCRATCH_EN: 0
; COMPUTE_PGM_RSRC2:USER_SGPR: 2
; COMPUTE_PGM_RSRC2:TRAP_HANDLER: 0
; COMPUTE_PGM_RSRC2:TGID_X_EN: 1
; COMPUTE_PGM_RSRC2:TGID_Y_EN: 0
; COMPUTE_PGM_RSRC2:TGID_Z_EN: 0
; COMPUTE_PGM_RSRC2:TIDIG_COMP_CNT: 0
	.section	.text._ZN7rocprim17ROCPRIM_400000_NS6detail17trampoline_kernelINS0_14default_configENS1_22reduce_config_selectorIbEEZNS1_11reduce_implILb1ES3_N6hipcub16HIPCUB_304000_NS22TransformInputIteratorIbN2at6native12_GLOBAL__N_19NonZeroOpIN3c107complexIfEEEEPKSG_lEEPiiNS8_6detail34convert_binary_result_type_wrapperINS8_3SumESK_iEEEE10hipError_tPvRmT1_T2_T3_mT4_P12ihipStream_tbEUlT_E0_NS1_11comp_targetILNS1_3genE0ELNS1_11target_archE4294967295ELNS1_3gpuE0ELNS1_3repE0EEENS1_30default_config_static_selectorELNS0_4arch9wavefront6targetE0EEEvST_,"axG",@progbits,_ZN7rocprim17ROCPRIM_400000_NS6detail17trampoline_kernelINS0_14default_configENS1_22reduce_config_selectorIbEEZNS1_11reduce_implILb1ES3_N6hipcub16HIPCUB_304000_NS22TransformInputIteratorIbN2at6native12_GLOBAL__N_19NonZeroOpIN3c107complexIfEEEEPKSG_lEEPiiNS8_6detail34convert_binary_result_type_wrapperINS8_3SumESK_iEEEE10hipError_tPvRmT1_T2_T3_mT4_P12ihipStream_tbEUlT_E0_NS1_11comp_targetILNS1_3genE0ELNS1_11target_archE4294967295ELNS1_3gpuE0ELNS1_3repE0EEENS1_30default_config_static_selectorELNS0_4arch9wavefront6targetE0EEEvST_,comdat
	.globl	_ZN7rocprim17ROCPRIM_400000_NS6detail17trampoline_kernelINS0_14default_configENS1_22reduce_config_selectorIbEEZNS1_11reduce_implILb1ES3_N6hipcub16HIPCUB_304000_NS22TransformInputIteratorIbN2at6native12_GLOBAL__N_19NonZeroOpIN3c107complexIfEEEEPKSG_lEEPiiNS8_6detail34convert_binary_result_type_wrapperINS8_3SumESK_iEEEE10hipError_tPvRmT1_T2_T3_mT4_P12ihipStream_tbEUlT_E0_NS1_11comp_targetILNS1_3genE0ELNS1_11target_archE4294967295ELNS1_3gpuE0ELNS1_3repE0EEENS1_30default_config_static_selectorELNS0_4arch9wavefront6targetE0EEEvST_ ; -- Begin function _ZN7rocprim17ROCPRIM_400000_NS6detail17trampoline_kernelINS0_14default_configENS1_22reduce_config_selectorIbEEZNS1_11reduce_implILb1ES3_N6hipcub16HIPCUB_304000_NS22TransformInputIteratorIbN2at6native12_GLOBAL__N_19NonZeroOpIN3c107complexIfEEEEPKSG_lEEPiiNS8_6detail34convert_binary_result_type_wrapperINS8_3SumESK_iEEEE10hipError_tPvRmT1_T2_T3_mT4_P12ihipStream_tbEUlT_E0_NS1_11comp_targetILNS1_3genE0ELNS1_11target_archE4294967295ELNS1_3gpuE0ELNS1_3repE0EEENS1_30default_config_static_selectorELNS0_4arch9wavefront6targetE0EEEvST_
	.p2align	8
	.type	_ZN7rocprim17ROCPRIM_400000_NS6detail17trampoline_kernelINS0_14default_configENS1_22reduce_config_selectorIbEEZNS1_11reduce_implILb1ES3_N6hipcub16HIPCUB_304000_NS22TransformInputIteratorIbN2at6native12_GLOBAL__N_19NonZeroOpIN3c107complexIfEEEEPKSG_lEEPiiNS8_6detail34convert_binary_result_type_wrapperINS8_3SumESK_iEEEE10hipError_tPvRmT1_T2_T3_mT4_P12ihipStream_tbEUlT_E0_NS1_11comp_targetILNS1_3genE0ELNS1_11target_archE4294967295ELNS1_3gpuE0ELNS1_3repE0EEENS1_30default_config_static_selectorELNS0_4arch9wavefront6targetE0EEEvST_,@function
_ZN7rocprim17ROCPRIM_400000_NS6detail17trampoline_kernelINS0_14default_configENS1_22reduce_config_selectorIbEEZNS1_11reduce_implILb1ES3_N6hipcub16HIPCUB_304000_NS22TransformInputIteratorIbN2at6native12_GLOBAL__N_19NonZeroOpIN3c107complexIfEEEEPKSG_lEEPiiNS8_6detail34convert_binary_result_type_wrapperINS8_3SumESK_iEEEE10hipError_tPvRmT1_T2_T3_mT4_P12ihipStream_tbEUlT_E0_NS1_11comp_targetILNS1_3genE0ELNS1_11target_archE4294967295ELNS1_3gpuE0ELNS1_3repE0EEENS1_30default_config_static_selectorELNS0_4arch9wavefront6targetE0EEEvST_: ; @_ZN7rocprim17ROCPRIM_400000_NS6detail17trampoline_kernelINS0_14default_configENS1_22reduce_config_selectorIbEEZNS1_11reduce_implILb1ES3_N6hipcub16HIPCUB_304000_NS22TransformInputIteratorIbN2at6native12_GLOBAL__N_19NonZeroOpIN3c107complexIfEEEEPKSG_lEEPiiNS8_6detail34convert_binary_result_type_wrapperINS8_3SumESK_iEEEE10hipError_tPvRmT1_T2_T3_mT4_P12ihipStream_tbEUlT_E0_NS1_11comp_targetILNS1_3genE0ELNS1_11target_archE4294967295ELNS1_3gpuE0ELNS1_3repE0EEENS1_30default_config_static_selectorELNS0_4arch9wavefront6targetE0EEEvST_
; %bb.0:
	.section	.rodata,"a",@progbits
	.p2align	6, 0x0
	.amdhsa_kernel _ZN7rocprim17ROCPRIM_400000_NS6detail17trampoline_kernelINS0_14default_configENS1_22reduce_config_selectorIbEEZNS1_11reduce_implILb1ES3_N6hipcub16HIPCUB_304000_NS22TransformInputIteratorIbN2at6native12_GLOBAL__N_19NonZeroOpIN3c107complexIfEEEEPKSG_lEEPiiNS8_6detail34convert_binary_result_type_wrapperINS8_3SumESK_iEEEE10hipError_tPvRmT1_T2_T3_mT4_P12ihipStream_tbEUlT_E0_NS1_11comp_targetILNS1_3genE0ELNS1_11target_archE4294967295ELNS1_3gpuE0ELNS1_3repE0EEENS1_30default_config_static_selectorELNS0_4arch9wavefront6targetE0EEEvST_
		.amdhsa_group_segment_fixed_size 0
		.amdhsa_private_segment_fixed_size 0
		.amdhsa_kernarg_size 64
		.amdhsa_user_sgpr_count 2
		.amdhsa_user_sgpr_dispatch_ptr 0
		.amdhsa_user_sgpr_queue_ptr 0
		.amdhsa_user_sgpr_kernarg_segment_ptr 1
		.amdhsa_user_sgpr_dispatch_id 0
		.amdhsa_user_sgpr_private_segment_size 0
		.amdhsa_wavefront_size32 1
		.amdhsa_uses_dynamic_stack 0
		.amdhsa_enable_private_segment 0
		.amdhsa_system_sgpr_workgroup_id_x 1
		.amdhsa_system_sgpr_workgroup_id_y 0
		.amdhsa_system_sgpr_workgroup_id_z 0
		.amdhsa_system_sgpr_workgroup_info 0
		.amdhsa_system_vgpr_workitem_id 0
		.amdhsa_next_free_vgpr 1
		.amdhsa_next_free_sgpr 1
		.amdhsa_reserve_vcc 0
		.amdhsa_float_round_mode_32 0
		.amdhsa_float_round_mode_16_64 0
		.amdhsa_float_denorm_mode_32 3
		.amdhsa_float_denorm_mode_16_64 3
		.amdhsa_fp16_overflow 0
		.amdhsa_workgroup_processor_mode 1
		.amdhsa_memory_ordered 1
		.amdhsa_forward_progress 1
		.amdhsa_inst_pref_size 0
		.amdhsa_round_robin_scheduling 0
		.amdhsa_exception_fp_ieee_invalid_op 0
		.amdhsa_exception_fp_denorm_src 0
		.amdhsa_exception_fp_ieee_div_zero 0
		.amdhsa_exception_fp_ieee_overflow 0
		.amdhsa_exception_fp_ieee_underflow 0
		.amdhsa_exception_fp_ieee_inexact 0
		.amdhsa_exception_int_div_zero 0
	.end_amdhsa_kernel
	.section	.text._ZN7rocprim17ROCPRIM_400000_NS6detail17trampoline_kernelINS0_14default_configENS1_22reduce_config_selectorIbEEZNS1_11reduce_implILb1ES3_N6hipcub16HIPCUB_304000_NS22TransformInputIteratorIbN2at6native12_GLOBAL__N_19NonZeroOpIN3c107complexIfEEEEPKSG_lEEPiiNS8_6detail34convert_binary_result_type_wrapperINS8_3SumESK_iEEEE10hipError_tPvRmT1_T2_T3_mT4_P12ihipStream_tbEUlT_E0_NS1_11comp_targetILNS1_3genE0ELNS1_11target_archE4294967295ELNS1_3gpuE0ELNS1_3repE0EEENS1_30default_config_static_selectorELNS0_4arch9wavefront6targetE0EEEvST_,"axG",@progbits,_ZN7rocprim17ROCPRIM_400000_NS6detail17trampoline_kernelINS0_14default_configENS1_22reduce_config_selectorIbEEZNS1_11reduce_implILb1ES3_N6hipcub16HIPCUB_304000_NS22TransformInputIteratorIbN2at6native12_GLOBAL__N_19NonZeroOpIN3c107complexIfEEEEPKSG_lEEPiiNS8_6detail34convert_binary_result_type_wrapperINS8_3SumESK_iEEEE10hipError_tPvRmT1_T2_T3_mT4_P12ihipStream_tbEUlT_E0_NS1_11comp_targetILNS1_3genE0ELNS1_11target_archE4294967295ELNS1_3gpuE0ELNS1_3repE0EEENS1_30default_config_static_selectorELNS0_4arch9wavefront6targetE0EEEvST_,comdat
.Lfunc_end576:
	.size	_ZN7rocprim17ROCPRIM_400000_NS6detail17trampoline_kernelINS0_14default_configENS1_22reduce_config_selectorIbEEZNS1_11reduce_implILb1ES3_N6hipcub16HIPCUB_304000_NS22TransformInputIteratorIbN2at6native12_GLOBAL__N_19NonZeroOpIN3c107complexIfEEEEPKSG_lEEPiiNS8_6detail34convert_binary_result_type_wrapperINS8_3SumESK_iEEEE10hipError_tPvRmT1_T2_T3_mT4_P12ihipStream_tbEUlT_E0_NS1_11comp_targetILNS1_3genE0ELNS1_11target_archE4294967295ELNS1_3gpuE0ELNS1_3repE0EEENS1_30default_config_static_selectorELNS0_4arch9wavefront6targetE0EEEvST_, .Lfunc_end576-_ZN7rocprim17ROCPRIM_400000_NS6detail17trampoline_kernelINS0_14default_configENS1_22reduce_config_selectorIbEEZNS1_11reduce_implILb1ES3_N6hipcub16HIPCUB_304000_NS22TransformInputIteratorIbN2at6native12_GLOBAL__N_19NonZeroOpIN3c107complexIfEEEEPKSG_lEEPiiNS8_6detail34convert_binary_result_type_wrapperINS8_3SumESK_iEEEE10hipError_tPvRmT1_T2_T3_mT4_P12ihipStream_tbEUlT_E0_NS1_11comp_targetILNS1_3genE0ELNS1_11target_archE4294967295ELNS1_3gpuE0ELNS1_3repE0EEENS1_30default_config_static_selectorELNS0_4arch9wavefront6targetE0EEEvST_
                                        ; -- End function
	.set _ZN7rocprim17ROCPRIM_400000_NS6detail17trampoline_kernelINS0_14default_configENS1_22reduce_config_selectorIbEEZNS1_11reduce_implILb1ES3_N6hipcub16HIPCUB_304000_NS22TransformInputIteratorIbN2at6native12_GLOBAL__N_19NonZeroOpIN3c107complexIfEEEEPKSG_lEEPiiNS8_6detail34convert_binary_result_type_wrapperINS8_3SumESK_iEEEE10hipError_tPvRmT1_T2_T3_mT4_P12ihipStream_tbEUlT_E0_NS1_11comp_targetILNS1_3genE0ELNS1_11target_archE4294967295ELNS1_3gpuE0ELNS1_3repE0EEENS1_30default_config_static_selectorELNS0_4arch9wavefront6targetE0EEEvST_.num_vgpr, 0
	.set _ZN7rocprim17ROCPRIM_400000_NS6detail17trampoline_kernelINS0_14default_configENS1_22reduce_config_selectorIbEEZNS1_11reduce_implILb1ES3_N6hipcub16HIPCUB_304000_NS22TransformInputIteratorIbN2at6native12_GLOBAL__N_19NonZeroOpIN3c107complexIfEEEEPKSG_lEEPiiNS8_6detail34convert_binary_result_type_wrapperINS8_3SumESK_iEEEE10hipError_tPvRmT1_T2_T3_mT4_P12ihipStream_tbEUlT_E0_NS1_11comp_targetILNS1_3genE0ELNS1_11target_archE4294967295ELNS1_3gpuE0ELNS1_3repE0EEENS1_30default_config_static_selectorELNS0_4arch9wavefront6targetE0EEEvST_.num_agpr, 0
	.set _ZN7rocprim17ROCPRIM_400000_NS6detail17trampoline_kernelINS0_14default_configENS1_22reduce_config_selectorIbEEZNS1_11reduce_implILb1ES3_N6hipcub16HIPCUB_304000_NS22TransformInputIteratorIbN2at6native12_GLOBAL__N_19NonZeroOpIN3c107complexIfEEEEPKSG_lEEPiiNS8_6detail34convert_binary_result_type_wrapperINS8_3SumESK_iEEEE10hipError_tPvRmT1_T2_T3_mT4_P12ihipStream_tbEUlT_E0_NS1_11comp_targetILNS1_3genE0ELNS1_11target_archE4294967295ELNS1_3gpuE0ELNS1_3repE0EEENS1_30default_config_static_selectorELNS0_4arch9wavefront6targetE0EEEvST_.numbered_sgpr, 0
	.set _ZN7rocprim17ROCPRIM_400000_NS6detail17trampoline_kernelINS0_14default_configENS1_22reduce_config_selectorIbEEZNS1_11reduce_implILb1ES3_N6hipcub16HIPCUB_304000_NS22TransformInputIteratorIbN2at6native12_GLOBAL__N_19NonZeroOpIN3c107complexIfEEEEPKSG_lEEPiiNS8_6detail34convert_binary_result_type_wrapperINS8_3SumESK_iEEEE10hipError_tPvRmT1_T2_T3_mT4_P12ihipStream_tbEUlT_E0_NS1_11comp_targetILNS1_3genE0ELNS1_11target_archE4294967295ELNS1_3gpuE0ELNS1_3repE0EEENS1_30default_config_static_selectorELNS0_4arch9wavefront6targetE0EEEvST_.num_named_barrier, 0
	.set _ZN7rocprim17ROCPRIM_400000_NS6detail17trampoline_kernelINS0_14default_configENS1_22reduce_config_selectorIbEEZNS1_11reduce_implILb1ES3_N6hipcub16HIPCUB_304000_NS22TransformInputIteratorIbN2at6native12_GLOBAL__N_19NonZeroOpIN3c107complexIfEEEEPKSG_lEEPiiNS8_6detail34convert_binary_result_type_wrapperINS8_3SumESK_iEEEE10hipError_tPvRmT1_T2_T3_mT4_P12ihipStream_tbEUlT_E0_NS1_11comp_targetILNS1_3genE0ELNS1_11target_archE4294967295ELNS1_3gpuE0ELNS1_3repE0EEENS1_30default_config_static_selectorELNS0_4arch9wavefront6targetE0EEEvST_.private_seg_size, 0
	.set _ZN7rocprim17ROCPRIM_400000_NS6detail17trampoline_kernelINS0_14default_configENS1_22reduce_config_selectorIbEEZNS1_11reduce_implILb1ES3_N6hipcub16HIPCUB_304000_NS22TransformInputIteratorIbN2at6native12_GLOBAL__N_19NonZeroOpIN3c107complexIfEEEEPKSG_lEEPiiNS8_6detail34convert_binary_result_type_wrapperINS8_3SumESK_iEEEE10hipError_tPvRmT1_T2_T3_mT4_P12ihipStream_tbEUlT_E0_NS1_11comp_targetILNS1_3genE0ELNS1_11target_archE4294967295ELNS1_3gpuE0ELNS1_3repE0EEENS1_30default_config_static_selectorELNS0_4arch9wavefront6targetE0EEEvST_.uses_vcc, 0
	.set _ZN7rocprim17ROCPRIM_400000_NS6detail17trampoline_kernelINS0_14default_configENS1_22reduce_config_selectorIbEEZNS1_11reduce_implILb1ES3_N6hipcub16HIPCUB_304000_NS22TransformInputIteratorIbN2at6native12_GLOBAL__N_19NonZeroOpIN3c107complexIfEEEEPKSG_lEEPiiNS8_6detail34convert_binary_result_type_wrapperINS8_3SumESK_iEEEE10hipError_tPvRmT1_T2_T3_mT4_P12ihipStream_tbEUlT_E0_NS1_11comp_targetILNS1_3genE0ELNS1_11target_archE4294967295ELNS1_3gpuE0ELNS1_3repE0EEENS1_30default_config_static_selectorELNS0_4arch9wavefront6targetE0EEEvST_.uses_flat_scratch, 0
	.set _ZN7rocprim17ROCPRIM_400000_NS6detail17trampoline_kernelINS0_14default_configENS1_22reduce_config_selectorIbEEZNS1_11reduce_implILb1ES3_N6hipcub16HIPCUB_304000_NS22TransformInputIteratorIbN2at6native12_GLOBAL__N_19NonZeroOpIN3c107complexIfEEEEPKSG_lEEPiiNS8_6detail34convert_binary_result_type_wrapperINS8_3SumESK_iEEEE10hipError_tPvRmT1_T2_T3_mT4_P12ihipStream_tbEUlT_E0_NS1_11comp_targetILNS1_3genE0ELNS1_11target_archE4294967295ELNS1_3gpuE0ELNS1_3repE0EEENS1_30default_config_static_selectorELNS0_4arch9wavefront6targetE0EEEvST_.has_dyn_sized_stack, 0
	.set _ZN7rocprim17ROCPRIM_400000_NS6detail17trampoline_kernelINS0_14default_configENS1_22reduce_config_selectorIbEEZNS1_11reduce_implILb1ES3_N6hipcub16HIPCUB_304000_NS22TransformInputIteratorIbN2at6native12_GLOBAL__N_19NonZeroOpIN3c107complexIfEEEEPKSG_lEEPiiNS8_6detail34convert_binary_result_type_wrapperINS8_3SumESK_iEEEE10hipError_tPvRmT1_T2_T3_mT4_P12ihipStream_tbEUlT_E0_NS1_11comp_targetILNS1_3genE0ELNS1_11target_archE4294967295ELNS1_3gpuE0ELNS1_3repE0EEENS1_30default_config_static_selectorELNS0_4arch9wavefront6targetE0EEEvST_.has_recursion, 0
	.set _ZN7rocprim17ROCPRIM_400000_NS6detail17trampoline_kernelINS0_14default_configENS1_22reduce_config_selectorIbEEZNS1_11reduce_implILb1ES3_N6hipcub16HIPCUB_304000_NS22TransformInputIteratorIbN2at6native12_GLOBAL__N_19NonZeroOpIN3c107complexIfEEEEPKSG_lEEPiiNS8_6detail34convert_binary_result_type_wrapperINS8_3SumESK_iEEEE10hipError_tPvRmT1_T2_T3_mT4_P12ihipStream_tbEUlT_E0_NS1_11comp_targetILNS1_3genE0ELNS1_11target_archE4294967295ELNS1_3gpuE0ELNS1_3repE0EEENS1_30default_config_static_selectorELNS0_4arch9wavefront6targetE0EEEvST_.has_indirect_call, 0
	.section	.AMDGPU.csdata,"",@progbits
; Kernel info:
; codeLenInByte = 0
; TotalNumSgprs: 0
; NumVgprs: 0
; ScratchSize: 0
; MemoryBound: 0
; FloatMode: 240
; IeeeMode: 1
; LDSByteSize: 0 bytes/workgroup (compile time only)
; SGPRBlocks: 0
; VGPRBlocks: 0
; NumSGPRsForWavesPerEU: 1
; NumVGPRsForWavesPerEU: 1
; Occupancy: 16
; WaveLimiterHint : 0
; COMPUTE_PGM_RSRC2:SCRATCH_EN: 0
; COMPUTE_PGM_RSRC2:USER_SGPR: 2
; COMPUTE_PGM_RSRC2:TRAP_HANDLER: 0
; COMPUTE_PGM_RSRC2:TGID_X_EN: 1
; COMPUTE_PGM_RSRC2:TGID_Y_EN: 0
; COMPUTE_PGM_RSRC2:TGID_Z_EN: 0
; COMPUTE_PGM_RSRC2:TIDIG_COMP_CNT: 0
	.section	.text._ZN7rocprim17ROCPRIM_400000_NS6detail17trampoline_kernelINS0_14default_configENS1_22reduce_config_selectorIbEEZNS1_11reduce_implILb1ES3_N6hipcub16HIPCUB_304000_NS22TransformInputIteratorIbN2at6native12_GLOBAL__N_19NonZeroOpIN3c107complexIfEEEEPKSG_lEEPiiNS8_6detail34convert_binary_result_type_wrapperINS8_3SumESK_iEEEE10hipError_tPvRmT1_T2_T3_mT4_P12ihipStream_tbEUlT_E0_NS1_11comp_targetILNS1_3genE5ELNS1_11target_archE942ELNS1_3gpuE9ELNS1_3repE0EEENS1_30default_config_static_selectorELNS0_4arch9wavefront6targetE0EEEvST_,"axG",@progbits,_ZN7rocprim17ROCPRIM_400000_NS6detail17trampoline_kernelINS0_14default_configENS1_22reduce_config_selectorIbEEZNS1_11reduce_implILb1ES3_N6hipcub16HIPCUB_304000_NS22TransformInputIteratorIbN2at6native12_GLOBAL__N_19NonZeroOpIN3c107complexIfEEEEPKSG_lEEPiiNS8_6detail34convert_binary_result_type_wrapperINS8_3SumESK_iEEEE10hipError_tPvRmT1_T2_T3_mT4_P12ihipStream_tbEUlT_E0_NS1_11comp_targetILNS1_3genE5ELNS1_11target_archE942ELNS1_3gpuE9ELNS1_3repE0EEENS1_30default_config_static_selectorELNS0_4arch9wavefront6targetE0EEEvST_,comdat
	.globl	_ZN7rocprim17ROCPRIM_400000_NS6detail17trampoline_kernelINS0_14default_configENS1_22reduce_config_selectorIbEEZNS1_11reduce_implILb1ES3_N6hipcub16HIPCUB_304000_NS22TransformInputIteratorIbN2at6native12_GLOBAL__N_19NonZeroOpIN3c107complexIfEEEEPKSG_lEEPiiNS8_6detail34convert_binary_result_type_wrapperINS8_3SumESK_iEEEE10hipError_tPvRmT1_T2_T3_mT4_P12ihipStream_tbEUlT_E0_NS1_11comp_targetILNS1_3genE5ELNS1_11target_archE942ELNS1_3gpuE9ELNS1_3repE0EEENS1_30default_config_static_selectorELNS0_4arch9wavefront6targetE0EEEvST_ ; -- Begin function _ZN7rocprim17ROCPRIM_400000_NS6detail17trampoline_kernelINS0_14default_configENS1_22reduce_config_selectorIbEEZNS1_11reduce_implILb1ES3_N6hipcub16HIPCUB_304000_NS22TransformInputIteratorIbN2at6native12_GLOBAL__N_19NonZeroOpIN3c107complexIfEEEEPKSG_lEEPiiNS8_6detail34convert_binary_result_type_wrapperINS8_3SumESK_iEEEE10hipError_tPvRmT1_T2_T3_mT4_P12ihipStream_tbEUlT_E0_NS1_11comp_targetILNS1_3genE5ELNS1_11target_archE942ELNS1_3gpuE9ELNS1_3repE0EEENS1_30default_config_static_selectorELNS0_4arch9wavefront6targetE0EEEvST_
	.p2align	8
	.type	_ZN7rocprim17ROCPRIM_400000_NS6detail17trampoline_kernelINS0_14default_configENS1_22reduce_config_selectorIbEEZNS1_11reduce_implILb1ES3_N6hipcub16HIPCUB_304000_NS22TransformInputIteratorIbN2at6native12_GLOBAL__N_19NonZeroOpIN3c107complexIfEEEEPKSG_lEEPiiNS8_6detail34convert_binary_result_type_wrapperINS8_3SumESK_iEEEE10hipError_tPvRmT1_T2_T3_mT4_P12ihipStream_tbEUlT_E0_NS1_11comp_targetILNS1_3genE5ELNS1_11target_archE942ELNS1_3gpuE9ELNS1_3repE0EEENS1_30default_config_static_selectorELNS0_4arch9wavefront6targetE0EEEvST_,@function
_ZN7rocprim17ROCPRIM_400000_NS6detail17trampoline_kernelINS0_14default_configENS1_22reduce_config_selectorIbEEZNS1_11reduce_implILb1ES3_N6hipcub16HIPCUB_304000_NS22TransformInputIteratorIbN2at6native12_GLOBAL__N_19NonZeroOpIN3c107complexIfEEEEPKSG_lEEPiiNS8_6detail34convert_binary_result_type_wrapperINS8_3SumESK_iEEEE10hipError_tPvRmT1_T2_T3_mT4_P12ihipStream_tbEUlT_E0_NS1_11comp_targetILNS1_3genE5ELNS1_11target_archE942ELNS1_3gpuE9ELNS1_3repE0EEENS1_30default_config_static_selectorELNS0_4arch9wavefront6targetE0EEEvST_: ; @_ZN7rocprim17ROCPRIM_400000_NS6detail17trampoline_kernelINS0_14default_configENS1_22reduce_config_selectorIbEEZNS1_11reduce_implILb1ES3_N6hipcub16HIPCUB_304000_NS22TransformInputIteratorIbN2at6native12_GLOBAL__N_19NonZeroOpIN3c107complexIfEEEEPKSG_lEEPiiNS8_6detail34convert_binary_result_type_wrapperINS8_3SumESK_iEEEE10hipError_tPvRmT1_T2_T3_mT4_P12ihipStream_tbEUlT_E0_NS1_11comp_targetILNS1_3genE5ELNS1_11target_archE942ELNS1_3gpuE9ELNS1_3repE0EEENS1_30default_config_static_selectorELNS0_4arch9wavefront6targetE0EEEvST_
; %bb.0:
	.section	.rodata,"a",@progbits
	.p2align	6, 0x0
	.amdhsa_kernel _ZN7rocprim17ROCPRIM_400000_NS6detail17trampoline_kernelINS0_14default_configENS1_22reduce_config_selectorIbEEZNS1_11reduce_implILb1ES3_N6hipcub16HIPCUB_304000_NS22TransformInputIteratorIbN2at6native12_GLOBAL__N_19NonZeroOpIN3c107complexIfEEEEPKSG_lEEPiiNS8_6detail34convert_binary_result_type_wrapperINS8_3SumESK_iEEEE10hipError_tPvRmT1_T2_T3_mT4_P12ihipStream_tbEUlT_E0_NS1_11comp_targetILNS1_3genE5ELNS1_11target_archE942ELNS1_3gpuE9ELNS1_3repE0EEENS1_30default_config_static_selectorELNS0_4arch9wavefront6targetE0EEEvST_
		.amdhsa_group_segment_fixed_size 0
		.amdhsa_private_segment_fixed_size 0
		.amdhsa_kernarg_size 64
		.amdhsa_user_sgpr_count 2
		.amdhsa_user_sgpr_dispatch_ptr 0
		.amdhsa_user_sgpr_queue_ptr 0
		.amdhsa_user_sgpr_kernarg_segment_ptr 1
		.amdhsa_user_sgpr_dispatch_id 0
		.amdhsa_user_sgpr_private_segment_size 0
		.amdhsa_wavefront_size32 1
		.amdhsa_uses_dynamic_stack 0
		.amdhsa_enable_private_segment 0
		.amdhsa_system_sgpr_workgroup_id_x 1
		.amdhsa_system_sgpr_workgroup_id_y 0
		.amdhsa_system_sgpr_workgroup_id_z 0
		.amdhsa_system_sgpr_workgroup_info 0
		.amdhsa_system_vgpr_workitem_id 0
		.amdhsa_next_free_vgpr 1
		.amdhsa_next_free_sgpr 1
		.amdhsa_reserve_vcc 0
		.amdhsa_float_round_mode_32 0
		.amdhsa_float_round_mode_16_64 0
		.amdhsa_float_denorm_mode_32 3
		.amdhsa_float_denorm_mode_16_64 3
		.amdhsa_fp16_overflow 0
		.amdhsa_workgroup_processor_mode 1
		.amdhsa_memory_ordered 1
		.amdhsa_forward_progress 1
		.amdhsa_inst_pref_size 0
		.amdhsa_round_robin_scheduling 0
		.amdhsa_exception_fp_ieee_invalid_op 0
		.amdhsa_exception_fp_denorm_src 0
		.amdhsa_exception_fp_ieee_div_zero 0
		.amdhsa_exception_fp_ieee_overflow 0
		.amdhsa_exception_fp_ieee_underflow 0
		.amdhsa_exception_fp_ieee_inexact 0
		.amdhsa_exception_int_div_zero 0
	.end_amdhsa_kernel
	.section	.text._ZN7rocprim17ROCPRIM_400000_NS6detail17trampoline_kernelINS0_14default_configENS1_22reduce_config_selectorIbEEZNS1_11reduce_implILb1ES3_N6hipcub16HIPCUB_304000_NS22TransformInputIteratorIbN2at6native12_GLOBAL__N_19NonZeroOpIN3c107complexIfEEEEPKSG_lEEPiiNS8_6detail34convert_binary_result_type_wrapperINS8_3SumESK_iEEEE10hipError_tPvRmT1_T2_T3_mT4_P12ihipStream_tbEUlT_E0_NS1_11comp_targetILNS1_3genE5ELNS1_11target_archE942ELNS1_3gpuE9ELNS1_3repE0EEENS1_30default_config_static_selectorELNS0_4arch9wavefront6targetE0EEEvST_,"axG",@progbits,_ZN7rocprim17ROCPRIM_400000_NS6detail17trampoline_kernelINS0_14default_configENS1_22reduce_config_selectorIbEEZNS1_11reduce_implILb1ES3_N6hipcub16HIPCUB_304000_NS22TransformInputIteratorIbN2at6native12_GLOBAL__N_19NonZeroOpIN3c107complexIfEEEEPKSG_lEEPiiNS8_6detail34convert_binary_result_type_wrapperINS8_3SumESK_iEEEE10hipError_tPvRmT1_T2_T3_mT4_P12ihipStream_tbEUlT_E0_NS1_11comp_targetILNS1_3genE5ELNS1_11target_archE942ELNS1_3gpuE9ELNS1_3repE0EEENS1_30default_config_static_selectorELNS0_4arch9wavefront6targetE0EEEvST_,comdat
.Lfunc_end577:
	.size	_ZN7rocprim17ROCPRIM_400000_NS6detail17trampoline_kernelINS0_14default_configENS1_22reduce_config_selectorIbEEZNS1_11reduce_implILb1ES3_N6hipcub16HIPCUB_304000_NS22TransformInputIteratorIbN2at6native12_GLOBAL__N_19NonZeroOpIN3c107complexIfEEEEPKSG_lEEPiiNS8_6detail34convert_binary_result_type_wrapperINS8_3SumESK_iEEEE10hipError_tPvRmT1_T2_T3_mT4_P12ihipStream_tbEUlT_E0_NS1_11comp_targetILNS1_3genE5ELNS1_11target_archE942ELNS1_3gpuE9ELNS1_3repE0EEENS1_30default_config_static_selectorELNS0_4arch9wavefront6targetE0EEEvST_, .Lfunc_end577-_ZN7rocprim17ROCPRIM_400000_NS6detail17trampoline_kernelINS0_14default_configENS1_22reduce_config_selectorIbEEZNS1_11reduce_implILb1ES3_N6hipcub16HIPCUB_304000_NS22TransformInputIteratorIbN2at6native12_GLOBAL__N_19NonZeroOpIN3c107complexIfEEEEPKSG_lEEPiiNS8_6detail34convert_binary_result_type_wrapperINS8_3SumESK_iEEEE10hipError_tPvRmT1_T2_T3_mT4_P12ihipStream_tbEUlT_E0_NS1_11comp_targetILNS1_3genE5ELNS1_11target_archE942ELNS1_3gpuE9ELNS1_3repE0EEENS1_30default_config_static_selectorELNS0_4arch9wavefront6targetE0EEEvST_
                                        ; -- End function
	.set _ZN7rocprim17ROCPRIM_400000_NS6detail17trampoline_kernelINS0_14default_configENS1_22reduce_config_selectorIbEEZNS1_11reduce_implILb1ES3_N6hipcub16HIPCUB_304000_NS22TransformInputIteratorIbN2at6native12_GLOBAL__N_19NonZeroOpIN3c107complexIfEEEEPKSG_lEEPiiNS8_6detail34convert_binary_result_type_wrapperINS8_3SumESK_iEEEE10hipError_tPvRmT1_T2_T3_mT4_P12ihipStream_tbEUlT_E0_NS1_11comp_targetILNS1_3genE5ELNS1_11target_archE942ELNS1_3gpuE9ELNS1_3repE0EEENS1_30default_config_static_selectorELNS0_4arch9wavefront6targetE0EEEvST_.num_vgpr, 0
	.set _ZN7rocprim17ROCPRIM_400000_NS6detail17trampoline_kernelINS0_14default_configENS1_22reduce_config_selectorIbEEZNS1_11reduce_implILb1ES3_N6hipcub16HIPCUB_304000_NS22TransformInputIteratorIbN2at6native12_GLOBAL__N_19NonZeroOpIN3c107complexIfEEEEPKSG_lEEPiiNS8_6detail34convert_binary_result_type_wrapperINS8_3SumESK_iEEEE10hipError_tPvRmT1_T2_T3_mT4_P12ihipStream_tbEUlT_E0_NS1_11comp_targetILNS1_3genE5ELNS1_11target_archE942ELNS1_3gpuE9ELNS1_3repE0EEENS1_30default_config_static_selectorELNS0_4arch9wavefront6targetE0EEEvST_.num_agpr, 0
	.set _ZN7rocprim17ROCPRIM_400000_NS6detail17trampoline_kernelINS0_14default_configENS1_22reduce_config_selectorIbEEZNS1_11reduce_implILb1ES3_N6hipcub16HIPCUB_304000_NS22TransformInputIteratorIbN2at6native12_GLOBAL__N_19NonZeroOpIN3c107complexIfEEEEPKSG_lEEPiiNS8_6detail34convert_binary_result_type_wrapperINS8_3SumESK_iEEEE10hipError_tPvRmT1_T2_T3_mT4_P12ihipStream_tbEUlT_E0_NS1_11comp_targetILNS1_3genE5ELNS1_11target_archE942ELNS1_3gpuE9ELNS1_3repE0EEENS1_30default_config_static_selectorELNS0_4arch9wavefront6targetE0EEEvST_.numbered_sgpr, 0
	.set _ZN7rocprim17ROCPRIM_400000_NS6detail17trampoline_kernelINS0_14default_configENS1_22reduce_config_selectorIbEEZNS1_11reduce_implILb1ES3_N6hipcub16HIPCUB_304000_NS22TransformInputIteratorIbN2at6native12_GLOBAL__N_19NonZeroOpIN3c107complexIfEEEEPKSG_lEEPiiNS8_6detail34convert_binary_result_type_wrapperINS8_3SumESK_iEEEE10hipError_tPvRmT1_T2_T3_mT4_P12ihipStream_tbEUlT_E0_NS1_11comp_targetILNS1_3genE5ELNS1_11target_archE942ELNS1_3gpuE9ELNS1_3repE0EEENS1_30default_config_static_selectorELNS0_4arch9wavefront6targetE0EEEvST_.num_named_barrier, 0
	.set _ZN7rocprim17ROCPRIM_400000_NS6detail17trampoline_kernelINS0_14default_configENS1_22reduce_config_selectorIbEEZNS1_11reduce_implILb1ES3_N6hipcub16HIPCUB_304000_NS22TransformInputIteratorIbN2at6native12_GLOBAL__N_19NonZeroOpIN3c107complexIfEEEEPKSG_lEEPiiNS8_6detail34convert_binary_result_type_wrapperINS8_3SumESK_iEEEE10hipError_tPvRmT1_T2_T3_mT4_P12ihipStream_tbEUlT_E0_NS1_11comp_targetILNS1_3genE5ELNS1_11target_archE942ELNS1_3gpuE9ELNS1_3repE0EEENS1_30default_config_static_selectorELNS0_4arch9wavefront6targetE0EEEvST_.private_seg_size, 0
	.set _ZN7rocprim17ROCPRIM_400000_NS6detail17trampoline_kernelINS0_14default_configENS1_22reduce_config_selectorIbEEZNS1_11reduce_implILb1ES3_N6hipcub16HIPCUB_304000_NS22TransformInputIteratorIbN2at6native12_GLOBAL__N_19NonZeroOpIN3c107complexIfEEEEPKSG_lEEPiiNS8_6detail34convert_binary_result_type_wrapperINS8_3SumESK_iEEEE10hipError_tPvRmT1_T2_T3_mT4_P12ihipStream_tbEUlT_E0_NS1_11comp_targetILNS1_3genE5ELNS1_11target_archE942ELNS1_3gpuE9ELNS1_3repE0EEENS1_30default_config_static_selectorELNS0_4arch9wavefront6targetE0EEEvST_.uses_vcc, 0
	.set _ZN7rocprim17ROCPRIM_400000_NS6detail17trampoline_kernelINS0_14default_configENS1_22reduce_config_selectorIbEEZNS1_11reduce_implILb1ES3_N6hipcub16HIPCUB_304000_NS22TransformInputIteratorIbN2at6native12_GLOBAL__N_19NonZeroOpIN3c107complexIfEEEEPKSG_lEEPiiNS8_6detail34convert_binary_result_type_wrapperINS8_3SumESK_iEEEE10hipError_tPvRmT1_T2_T3_mT4_P12ihipStream_tbEUlT_E0_NS1_11comp_targetILNS1_3genE5ELNS1_11target_archE942ELNS1_3gpuE9ELNS1_3repE0EEENS1_30default_config_static_selectorELNS0_4arch9wavefront6targetE0EEEvST_.uses_flat_scratch, 0
	.set _ZN7rocprim17ROCPRIM_400000_NS6detail17trampoline_kernelINS0_14default_configENS1_22reduce_config_selectorIbEEZNS1_11reduce_implILb1ES3_N6hipcub16HIPCUB_304000_NS22TransformInputIteratorIbN2at6native12_GLOBAL__N_19NonZeroOpIN3c107complexIfEEEEPKSG_lEEPiiNS8_6detail34convert_binary_result_type_wrapperINS8_3SumESK_iEEEE10hipError_tPvRmT1_T2_T3_mT4_P12ihipStream_tbEUlT_E0_NS1_11comp_targetILNS1_3genE5ELNS1_11target_archE942ELNS1_3gpuE9ELNS1_3repE0EEENS1_30default_config_static_selectorELNS0_4arch9wavefront6targetE0EEEvST_.has_dyn_sized_stack, 0
	.set _ZN7rocprim17ROCPRIM_400000_NS6detail17trampoline_kernelINS0_14default_configENS1_22reduce_config_selectorIbEEZNS1_11reduce_implILb1ES3_N6hipcub16HIPCUB_304000_NS22TransformInputIteratorIbN2at6native12_GLOBAL__N_19NonZeroOpIN3c107complexIfEEEEPKSG_lEEPiiNS8_6detail34convert_binary_result_type_wrapperINS8_3SumESK_iEEEE10hipError_tPvRmT1_T2_T3_mT4_P12ihipStream_tbEUlT_E0_NS1_11comp_targetILNS1_3genE5ELNS1_11target_archE942ELNS1_3gpuE9ELNS1_3repE0EEENS1_30default_config_static_selectorELNS0_4arch9wavefront6targetE0EEEvST_.has_recursion, 0
	.set _ZN7rocprim17ROCPRIM_400000_NS6detail17trampoline_kernelINS0_14default_configENS1_22reduce_config_selectorIbEEZNS1_11reduce_implILb1ES3_N6hipcub16HIPCUB_304000_NS22TransformInputIteratorIbN2at6native12_GLOBAL__N_19NonZeroOpIN3c107complexIfEEEEPKSG_lEEPiiNS8_6detail34convert_binary_result_type_wrapperINS8_3SumESK_iEEEE10hipError_tPvRmT1_T2_T3_mT4_P12ihipStream_tbEUlT_E0_NS1_11comp_targetILNS1_3genE5ELNS1_11target_archE942ELNS1_3gpuE9ELNS1_3repE0EEENS1_30default_config_static_selectorELNS0_4arch9wavefront6targetE0EEEvST_.has_indirect_call, 0
	.section	.AMDGPU.csdata,"",@progbits
; Kernel info:
; codeLenInByte = 0
; TotalNumSgprs: 0
; NumVgprs: 0
; ScratchSize: 0
; MemoryBound: 0
; FloatMode: 240
; IeeeMode: 1
; LDSByteSize: 0 bytes/workgroup (compile time only)
; SGPRBlocks: 0
; VGPRBlocks: 0
; NumSGPRsForWavesPerEU: 1
; NumVGPRsForWavesPerEU: 1
; Occupancy: 16
; WaveLimiterHint : 0
; COMPUTE_PGM_RSRC2:SCRATCH_EN: 0
; COMPUTE_PGM_RSRC2:USER_SGPR: 2
; COMPUTE_PGM_RSRC2:TRAP_HANDLER: 0
; COMPUTE_PGM_RSRC2:TGID_X_EN: 1
; COMPUTE_PGM_RSRC2:TGID_Y_EN: 0
; COMPUTE_PGM_RSRC2:TGID_Z_EN: 0
; COMPUTE_PGM_RSRC2:TIDIG_COMP_CNT: 0
	.section	.text._ZN7rocprim17ROCPRIM_400000_NS6detail17trampoline_kernelINS0_14default_configENS1_22reduce_config_selectorIbEEZNS1_11reduce_implILb1ES3_N6hipcub16HIPCUB_304000_NS22TransformInputIteratorIbN2at6native12_GLOBAL__N_19NonZeroOpIN3c107complexIfEEEEPKSG_lEEPiiNS8_6detail34convert_binary_result_type_wrapperINS8_3SumESK_iEEEE10hipError_tPvRmT1_T2_T3_mT4_P12ihipStream_tbEUlT_E0_NS1_11comp_targetILNS1_3genE4ELNS1_11target_archE910ELNS1_3gpuE8ELNS1_3repE0EEENS1_30default_config_static_selectorELNS0_4arch9wavefront6targetE0EEEvST_,"axG",@progbits,_ZN7rocprim17ROCPRIM_400000_NS6detail17trampoline_kernelINS0_14default_configENS1_22reduce_config_selectorIbEEZNS1_11reduce_implILb1ES3_N6hipcub16HIPCUB_304000_NS22TransformInputIteratorIbN2at6native12_GLOBAL__N_19NonZeroOpIN3c107complexIfEEEEPKSG_lEEPiiNS8_6detail34convert_binary_result_type_wrapperINS8_3SumESK_iEEEE10hipError_tPvRmT1_T2_T3_mT4_P12ihipStream_tbEUlT_E0_NS1_11comp_targetILNS1_3genE4ELNS1_11target_archE910ELNS1_3gpuE8ELNS1_3repE0EEENS1_30default_config_static_selectorELNS0_4arch9wavefront6targetE0EEEvST_,comdat
	.globl	_ZN7rocprim17ROCPRIM_400000_NS6detail17trampoline_kernelINS0_14default_configENS1_22reduce_config_selectorIbEEZNS1_11reduce_implILb1ES3_N6hipcub16HIPCUB_304000_NS22TransformInputIteratorIbN2at6native12_GLOBAL__N_19NonZeroOpIN3c107complexIfEEEEPKSG_lEEPiiNS8_6detail34convert_binary_result_type_wrapperINS8_3SumESK_iEEEE10hipError_tPvRmT1_T2_T3_mT4_P12ihipStream_tbEUlT_E0_NS1_11comp_targetILNS1_3genE4ELNS1_11target_archE910ELNS1_3gpuE8ELNS1_3repE0EEENS1_30default_config_static_selectorELNS0_4arch9wavefront6targetE0EEEvST_ ; -- Begin function _ZN7rocprim17ROCPRIM_400000_NS6detail17trampoline_kernelINS0_14default_configENS1_22reduce_config_selectorIbEEZNS1_11reduce_implILb1ES3_N6hipcub16HIPCUB_304000_NS22TransformInputIteratorIbN2at6native12_GLOBAL__N_19NonZeroOpIN3c107complexIfEEEEPKSG_lEEPiiNS8_6detail34convert_binary_result_type_wrapperINS8_3SumESK_iEEEE10hipError_tPvRmT1_T2_T3_mT4_P12ihipStream_tbEUlT_E0_NS1_11comp_targetILNS1_3genE4ELNS1_11target_archE910ELNS1_3gpuE8ELNS1_3repE0EEENS1_30default_config_static_selectorELNS0_4arch9wavefront6targetE0EEEvST_
	.p2align	8
	.type	_ZN7rocprim17ROCPRIM_400000_NS6detail17trampoline_kernelINS0_14default_configENS1_22reduce_config_selectorIbEEZNS1_11reduce_implILb1ES3_N6hipcub16HIPCUB_304000_NS22TransformInputIteratorIbN2at6native12_GLOBAL__N_19NonZeroOpIN3c107complexIfEEEEPKSG_lEEPiiNS8_6detail34convert_binary_result_type_wrapperINS8_3SumESK_iEEEE10hipError_tPvRmT1_T2_T3_mT4_P12ihipStream_tbEUlT_E0_NS1_11comp_targetILNS1_3genE4ELNS1_11target_archE910ELNS1_3gpuE8ELNS1_3repE0EEENS1_30default_config_static_selectorELNS0_4arch9wavefront6targetE0EEEvST_,@function
_ZN7rocprim17ROCPRIM_400000_NS6detail17trampoline_kernelINS0_14default_configENS1_22reduce_config_selectorIbEEZNS1_11reduce_implILb1ES3_N6hipcub16HIPCUB_304000_NS22TransformInputIteratorIbN2at6native12_GLOBAL__N_19NonZeroOpIN3c107complexIfEEEEPKSG_lEEPiiNS8_6detail34convert_binary_result_type_wrapperINS8_3SumESK_iEEEE10hipError_tPvRmT1_T2_T3_mT4_P12ihipStream_tbEUlT_E0_NS1_11comp_targetILNS1_3genE4ELNS1_11target_archE910ELNS1_3gpuE8ELNS1_3repE0EEENS1_30default_config_static_selectorELNS0_4arch9wavefront6targetE0EEEvST_: ; @_ZN7rocprim17ROCPRIM_400000_NS6detail17trampoline_kernelINS0_14default_configENS1_22reduce_config_selectorIbEEZNS1_11reduce_implILb1ES3_N6hipcub16HIPCUB_304000_NS22TransformInputIteratorIbN2at6native12_GLOBAL__N_19NonZeroOpIN3c107complexIfEEEEPKSG_lEEPiiNS8_6detail34convert_binary_result_type_wrapperINS8_3SumESK_iEEEE10hipError_tPvRmT1_T2_T3_mT4_P12ihipStream_tbEUlT_E0_NS1_11comp_targetILNS1_3genE4ELNS1_11target_archE910ELNS1_3gpuE8ELNS1_3repE0EEENS1_30default_config_static_selectorELNS0_4arch9wavefront6targetE0EEEvST_
; %bb.0:
	.section	.rodata,"a",@progbits
	.p2align	6, 0x0
	.amdhsa_kernel _ZN7rocprim17ROCPRIM_400000_NS6detail17trampoline_kernelINS0_14default_configENS1_22reduce_config_selectorIbEEZNS1_11reduce_implILb1ES3_N6hipcub16HIPCUB_304000_NS22TransformInputIteratorIbN2at6native12_GLOBAL__N_19NonZeroOpIN3c107complexIfEEEEPKSG_lEEPiiNS8_6detail34convert_binary_result_type_wrapperINS8_3SumESK_iEEEE10hipError_tPvRmT1_T2_T3_mT4_P12ihipStream_tbEUlT_E0_NS1_11comp_targetILNS1_3genE4ELNS1_11target_archE910ELNS1_3gpuE8ELNS1_3repE0EEENS1_30default_config_static_selectorELNS0_4arch9wavefront6targetE0EEEvST_
		.amdhsa_group_segment_fixed_size 0
		.amdhsa_private_segment_fixed_size 0
		.amdhsa_kernarg_size 64
		.amdhsa_user_sgpr_count 2
		.amdhsa_user_sgpr_dispatch_ptr 0
		.amdhsa_user_sgpr_queue_ptr 0
		.amdhsa_user_sgpr_kernarg_segment_ptr 1
		.amdhsa_user_sgpr_dispatch_id 0
		.amdhsa_user_sgpr_private_segment_size 0
		.amdhsa_wavefront_size32 1
		.amdhsa_uses_dynamic_stack 0
		.amdhsa_enable_private_segment 0
		.amdhsa_system_sgpr_workgroup_id_x 1
		.amdhsa_system_sgpr_workgroup_id_y 0
		.amdhsa_system_sgpr_workgroup_id_z 0
		.amdhsa_system_sgpr_workgroup_info 0
		.amdhsa_system_vgpr_workitem_id 0
		.amdhsa_next_free_vgpr 1
		.amdhsa_next_free_sgpr 1
		.amdhsa_reserve_vcc 0
		.amdhsa_float_round_mode_32 0
		.amdhsa_float_round_mode_16_64 0
		.amdhsa_float_denorm_mode_32 3
		.amdhsa_float_denorm_mode_16_64 3
		.amdhsa_fp16_overflow 0
		.amdhsa_workgroup_processor_mode 1
		.amdhsa_memory_ordered 1
		.amdhsa_forward_progress 1
		.amdhsa_inst_pref_size 0
		.amdhsa_round_robin_scheduling 0
		.amdhsa_exception_fp_ieee_invalid_op 0
		.amdhsa_exception_fp_denorm_src 0
		.amdhsa_exception_fp_ieee_div_zero 0
		.amdhsa_exception_fp_ieee_overflow 0
		.amdhsa_exception_fp_ieee_underflow 0
		.amdhsa_exception_fp_ieee_inexact 0
		.amdhsa_exception_int_div_zero 0
	.end_amdhsa_kernel
	.section	.text._ZN7rocprim17ROCPRIM_400000_NS6detail17trampoline_kernelINS0_14default_configENS1_22reduce_config_selectorIbEEZNS1_11reduce_implILb1ES3_N6hipcub16HIPCUB_304000_NS22TransformInputIteratorIbN2at6native12_GLOBAL__N_19NonZeroOpIN3c107complexIfEEEEPKSG_lEEPiiNS8_6detail34convert_binary_result_type_wrapperINS8_3SumESK_iEEEE10hipError_tPvRmT1_T2_T3_mT4_P12ihipStream_tbEUlT_E0_NS1_11comp_targetILNS1_3genE4ELNS1_11target_archE910ELNS1_3gpuE8ELNS1_3repE0EEENS1_30default_config_static_selectorELNS0_4arch9wavefront6targetE0EEEvST_,"axG",@progbits,_ZN7rocprim17ROCPRIM_400000_NS6detail17trampoline_kernelINS0_14default_configENS1_22reduce_config_selectorIbEEZNS1_11reduce_implILb1ES3_N6hipcub16HIPCUB_304000_NS22TransformInputIteratorIbN2at6native12_GLOBAL__N_19NonZeroOpIN3c107complexIfEEEEPKSG_lEEPiiNS8_6detail34convert_binary_result_type_wrapperINS8_3SumESK_iEEEE10hipError_tPvRmT1_T2_T3_mT4_P12ihipStream_tbEUlT_E0_NS1_11comp_targetILNS1_3genE4ELNS1_11target_archE910ELNS1_3gpuE8ELNS1_3repE0EEENS1_30default_config_static_selectorELNS0_4arch9wavefront6targetE0EEEvST_,comdat
.Lfunc_end578:
	.size	_ZN7rocprim17ROCPRIM_400000_NS6detail17trampoline_kernelINS0_14default_configENS1_22reduce_config_selectorIbEEZNS1_11reduce_implILb1ES3_N6hipcub16HIPCUB_304000_NS22TransformInputIteratorIbN2at6native12_GLOBAL__N_19NonZeroOpIN3c107complexIfEEEEPKSG_lEEPiiNS8_6detail34convert_binary_result_type_wrapperINS8_3SumESK_iEEEE10hipError_tPvRmT1_T2_T3_mT4_P12ihipStream_tbEUlT_E0_NS1_11comp_targetILNS1_3genE4ELNS1_11target_archE910ELNS1_3gpuE8ELNS1_3repE0EEENS1_30default_config_static_selectorELNS0_4arch9wavefront6targetE0EEEvST_, .Lfunc_end578-_ZN7rocprim17ROCPRIM_400000_NS6detail17trampoline_kernelINS0_14default_configENS1_22reduce_config_selectorIbEEZNS1_11reduce_implILb1ES3_N6hipcub16HIPCUB_304000_NS22TransformInputIteratorIbN2at6native12_GLOBAL__N_19NonZeroOpIN3c107complexIfEEEEPKSG_lEEPiiNS8_6detail34convert_binary_result_type_wrapperINS8_3SumESK_iEEEE10hipError_tPvRmT1_T2_T3_mT4_P12ihipStream_tbEUlT_E0_NS1_11comp_targetILNS1_3genE4ELNS1_11target_archE910ELNS1_3gpuE8ELNS1_3repE0EEENS1_30default_config_static_selectorELNS0_4arch9wavefront6targetE0EEEvST_
                                        ; -- End function
	.set _ZN7rocprim17ROCPRIM_400000_NS6detail17trampoline_kernelINS0_14default_configENS1_22reduce_config_selectorIbEEZNS1_11reduce_implILb1ES3_N6hipcub16HIPCUB_304000_NS22TransformInputIteratorIbN2at6native12_GLOBAL__N_19NonZeroOpIN3c107complexIfEEEEPKSG_lEEPiiNS8_6detail34convert_binary_result_type_wrapperINS8_3SumESK_iEEEE10hipError_tPvRmT1_T2_T3_mT4_P12ihipStream_tbEUlT_E0_NS1_11comp_targetILNS1_3genE4ELNS1_11target_archE910ELNS1_3gpuE8ELNS1_3repE0EEENS1_30default_config_static_selectorELNS0_4arch9wavefront6targetE0EEEvST_.num_vgpr, 0
	.set _ZN7rocprim17ROCPRIM_400000_NS6detail17trampoline_kernelINS0_14default_configENS1_22reduce_config_selectorIbEEZNS1_11reduce_implILb1ES3_N6hipcub16HIPCUB_304000_NS22TransformInputIteratorIbN2at6native12_GLOBAL__N_19NonZeroOpIN3c107complexIfEEEEPKSG_lEEPiiNS8_6detail34convert_binary_result_type_wrapperINS8_3SumESK_iEEEE10hipError_tPvRmT1_T2_T3_mT4_P12ihipStream_tbEUlT_E0_NS1_11comp_targetILNS1_3genE4ELNS1_11target_archE910ELNS1_3gpuE8ELNS1_3repE0EEENS1_30default_config_static_selectorELNS0_4arch9wavefront6targetE0EEEvST_.num_agpr, 0
	.set _ZN7rocprim17ROCPRIM_400000_NS6detail17trampoline_kernelINS0_14default_configENS1_22reduce_config_selectorIbEEZNS1_11reduce_implILb1ES3_N6hipcub16HIPCUB_304000_NS22TransformInputIteratorIbN2at6native12_GLOBAL__N_19NonZeroOpIN3c107complexIfEEEEPKSG_lEEPiiNS8_6detail34convert_binary_result_type_wrapperINS8_3SumESK_iEEEE10hipError_tPvRmT1_T2_T3_mT4_P12ihipStream_tbEUlT_E0_NS1_11comp_targetILNS1_3genE4ELNS1_11target_archE910ELNS1_3gpuE8ELNS1_3repE0EEENS1_30default_config_static_selectorELNS0_4arch9wavefront6targetE0EEEvST_.numbered_sgpr, 0
	.set _ZN7rocprim17ROCPRIM_400000_NS6detail17trampoline_kernelINS0_14default_configENS1_22reduce_config_selectorIbEEZNS1_11reduce_implILb1ES3_N6hipcub16HIPCUB_304000_NS22TransformInputIteratorIbN2at6native12_GLOBAL__N_19NonZeroOpIN3c107complexIfEEEEPKSG_lEEPiiNS8_6detail34convert_binary_result_type_wrapperINS8_3SumESK_iEEEE10hipError_tPvRmT1_T2_T3_mT4_P12ihipStream_tbEUlT_E0_NS1_11comp_targetILNS1_3genE4ELNS1_11target_archE910ELNS1_3gpuE8ELNS1_3repE0EEENS1_30default_config_static_selectorELNS0_4arch9wavefront6targetE0EEEvST_.num_named_barrier, 0
	.set _ZN7rocprim17ROCPRIM_400000_NS6detail17trampoline_kernelINS0_14default_configENS1_22reduce_config_selectorIbEEZNS1_11reduce_implILb1ES3_N6hipcub16HIPCUB_304000_NS22TransformInputIteratorIbN2at6native12_GLOBAL__N_19NonZeroOpIN3c107complexIfEEEEPKSG_lEEPiiNS8_6detail34convert_binary_result_type_wrapperINS8_3SumESK_iEEEE10hipError_tPvRmT1_T2_T3_mT4_P12ihipStream_tbEUlT_E0_NS1_11comp_targetILNS1_3genE4ELNS1_11target_archE910ELNS1_3gpuE8ELNS1_3repE0EEENS1_30default_config_static_selectorELNS0_4arch9wavefront6targetE0EEEvST_.private_seg_size, 0
	.set _ZN7rocprim17ROCPRIM_400000_NS6detail17trampoline_kernelINS0_14default_configENS1_22reduce_config_selectorIbEEZNS1_11reduce_implILb1ES3_N6hipcub16HIPCUB_304000_NS22TransformInputIteratorIbN2at6native12_GLOBAL__N_19NonZeroOpIN3c107complexIfEEEEPKSG_lEEPiiNS8_6detail34convert_binary_result_type_wrapperINS8_3SumESK_iEEEE10hipError_tPvRmT1_T2_T3_mT4_P12ihipStream_tbEUlT_E0_NS1_11comp_targetILNS1_3genE4ELNS1_11target_archE910ELNS1_3gpuE8ELNS1_3repE0EEENS1_30default_config_static_selectorELNS0_4arch9wavefront6targetE0EEEvST_.uses_vcc, 0
	.set _ZN7rocprim17ROCPRIM_400000_NS6detail17trampoline_kernelINS0_14default_configENS1_22reduce_config_selectorIbEEZNS1_11reduce_implILb1ES3_N6hipcub16HIPCUB_304000_NS22TransformInputIteratorIbN2at6native12_GLOBAL__N_19NonZeroOpIN3c107complexIfEEEEPKSG_lEEPiiNS8_6detail34convert_binary_result_type_wrapperINS8_3SumESK_iEEEE10hipError_tPvRmT1_T2_T3_mT4_P12ihipStream_tbEUlT_E0_NS1_11comp_targetILNS1_3genE4ELNS1_11target_archE910ELNS1_3gpuE8ELNS1_3repE0EEENS1_30default_config_static_selectorELNS0_4arch9wavefront6targetE0EEEvST_.uses_flat_scratch, 0
	.set _ZN7rocprim17ROCPRIM_400000_NS6detail17trampoline_kernelINS0_14default_configENS1_22reduce_config_selectorIbEEZNS1_11reduce_implILb1ES3_N6hipcub16HIPCUB_304000_NS22TransformInputIteratorIbN2at6native12_GLOBAL__N_19NonZeroOpIN3c107complexIfEEEEPKSG_lEEPiiNS8_6detail34convert_binary_result_type_wrapperINS8_3SumESK_iEEEE10hipError_tPvRmT1_T2_T3_mT4_P12ihipStream_tbEUlT_E0_NS1_11comp_targetILNS1_3genE4ELNS1_11target_archE910ELNS1_3gpuE8ELNS1_3repE0EEENS1_30default_config_static_selectorELNS0_4arch9wavefront6targetE0EEEvST_.has_dyn_sized_stack, 0
	.set _ZN7rocprim17ROCPRIM_400000_NS6detail17trampoline_kernelINS0_14default_configENS1_22reduce_config_selectorIbEEZNS1_11reduce_implILb1ES3_N6hipcub16HIPCUB_304000_NS22TransformInputIteratorIbN2at6native12_GLOBAL__N_19NonZeroOpIN3c107complexIfEEEEPKSG_lEEPiiNS8_6detail34convert_binary_result_type_wrapperINS8_3SumESK_iEEEE10hipError_tPvRmT1_T2_T3_mT4_P12ihipStream_tbEUlT_E0_NS1_11comp_targetILNS1_3genE4ELNS1_11target_archE910ELNS1_3gpuE8ELNS1_3repE0EEENS1_30default_config_static_selectorELNS0_4arch9wavefront6targetE0EEEvST_.has_recursion, 0
	.set _ZN7rocprim17ROCPRIM_400000_NS6detail17trampoline_kernelINS0_14default_configENS1_22reduce_config_selectorIbEEZNS1_11reduce_implILb1ES3_N6hipcub16HIPCUB_304000_NS22TransformInputIteratorIbN2at6native12_GLOBAL__N_19NonZeroOpIN3c107complexIfEEEEPKSG_lEEPiiNS8_6detail34convert_binary_result_type_wrapperINS8_3SumESK_iEEEE10hipError_tPvRmT1_T2_T3_mT4_P12ihipStream_tbEUlT_E0_NS1_11comp_targetILNS1_3genE4ELNS1_11target_archE910ELNS1_3gpuE8ELNS1_3repE0EEENS1_30default_config_static_selectorELNS0_4arch9wavefront6targetE0EEEvST_.has_indirect_call, 0
	.section	.AMDGPU.csdata,"",@progbits
; Kernel info:
; codeLenInByte = 0
; TotalNumSgprs: 0
; NumVgprs: 0
; ScratchSize: 0
; MemoryBound: 0
; FloatMode: 240
; IeeeMode: 1
; LDSByteSize: 0 bytes/workgroup (compile time only)
; SGPRBlocks: 0
; VGPRBlocks: 0
; NumSGPRsForWavesPerEU: 1
; NumVGPRsForWavesPerEU: 1
; Occupancy: 16
; WaveLimiterHint : 0
; COMPUTE_PGM_RSRC2:SCRATCH_EN: 0
; COMPUTE_PGM_RSRC2:USER_SGPR: 2
; COMPUTE_PGM_RSRC2:TRAP_HANDLER: 0
; COMPUTE_PGM_RSRC2:TGID_X_EN: 1
; COMPUTE_PGM_RSRC2:TGID_Y_EN: 0
; COMPUTE_PGM_RSRC2:TGID_Z_EN: 0
; COMPUTE_PGM_RSRC2:TIDIG_COMP_CNT: 0
	.section	.text._ZN7rocprim17ROCPRIM_400000_NS6detail17trampoline_kernelINS0_14default_configENS1_22reduce_config_selectorIbEEZNS1_11reduce_implILb1ES3_N6hipcub16HIPCUB_304000_NS22TransformInputIteratorIbN2at6native12_GLOBAL__N_19NonZeroOpIN3c107complexIfEEEEPKSG_lEEPiiNS8_6detail34convert_binary_result_type_wrapperINS8_3SumESK_iEEEE10hipError_tPvRmT1_T2_T3_mT4_P12ihipStream_tbEUlT_E0_NS1_11comp_targetILNS1_3genE3ELNS1_11target_archE908ELNS1_3gpuE7ELNS1_3repE0EEENS1_30default_config_static_selectorELNS0_4arch9wavefront6targetE0EEEvST_,"axG",@progbits,_ZN7rocprim17ROCPRIM_400000_NS6detail17trampoline_kernelINS0_14default_configENS1_22reduce_config_selectorIbEEZNS1_11reduce_implILb1ES3_N6hipcub16HIPCUB_304000_NS22TransformInputIteratorIbN2at6native12_GLOBAL__N_19NonZeroOpIN3c107complexIfEEEEPKSG_lEEPiiNS8_6detail34convert_binary_result_type_wrapperINS8_3SumESK_iEEEE10hipError_tPvRmT1_T2_T3_mT4_P12ihipStream_tbEUlT_E0_NS1_11comp_targetILNS1_3genE3ELNS1_11target_archE908ELNS1_3gpuE7ELNS1_3repE0EEENS1_30default_config_static_selectorELNS0_4arch9wavefront6targetE0EEEvST_,comdat
	.globl	_ZN7rocprim17ROCPRIM_400000_NS6detail17trampoline_kernelINS0_14default_configENS1_22reduce_config_selectorIbEEZNS1_11reduce_implILb1ES3_N6hipcub16HIPCUB_304000_NS22TransformInputIteratorIbN2at6native12_GLOBAL__N_19NonZeroOpIN3c107complexIfEEEEPKSG_lEEPiiNS8_6detail34convert_binary_result_type_wrapperINS8_3SumESK_iEEEE10hipError_tPvRmT1_T2_T3_mT4_P12ihipStream_tbEUlT_E0_NS1_11comp_targetILNS1_3genE3ELNS1_11target_archE908ELNS1_3gpuE7ELNS1_3repE0EEENS1_30default_config_static_selectorELNS0_4arch9wavefront6targetE0EEEvST_ ; -- Begin function _ZN7rocprim17ROCPRIM_400000_NS6detail17trampoline_kernelINS0_14default_configENS1_22reduce_config_selectorIbEEZNS1_11reduce_implILb1ES3_N6hipcub16HIPCUB_304000_NS22TransformInputIteratorIbN2at6native12_GLOBAL__N_19NonZeroOpIN3c107complexIfEEEEPKSG_lEEPiiNS8_6detail34convert_binary_result_type_wrapperINS8_3SumESK_iEEEE10hipError_tPvRmT1_T2_T3_mT4_P12ihipStream_tbEUlT_E0_NS1_11comp_targetILNS1_3genE3ELNS1_11target_archE908ELNS1_3gpuE7ELNS1_3repE0EEENS1_30default_config_static_selectorELNS0_4arch9wavefront6targetE0EEEvST_
	.p2align	8
	.type	_ZN7rocprim17ROCPRIM_400000_NS6detail17trampoline_kernelINS0_14default_configENS1_22reduce_config_selectorIbEEZNS1_11reduce_implILb1ES3_N6hipcub16HIPCUB_304000_NS22TransformInputIteratorIbN2at6native12_GLOBAL__N_19NonZeroOpIN3c107complexIfEEEEPKSG_lEEPiiNS8_6detail34convert_binary_result_type_wrapperINS8_3SumESK_iEEEE10hipError_tPvRmT1_T2_T3_mT4_P12ihipStream_tbEUlT_E0_NS1_11comp_targetILNS1_3genE3ELNS1_11target_archE908ELNS1_3gpuE7ELNS1_3repE0EEENS1_30default_config_static_selectorELNS0_4arch9wavefront6targetE0EEEvST_,@function
_ZN7rocprim17ROCPRIM_400000_NS6detail17trampoline_kernelINS0_14default_configENS1_22reduce_config_selectorIbEEZNS1_11reduce_implILb1ES3_N6hipcub16HIPCUB_304000_NS22TransformInputIteratorIbN2at6native12_GLOBAL__N_19NonZeroOpIN3c107complexIfEEEEPKSG_lEEPiiNS8_6detail34convert_binary_result_type_wrapperINS8_3SumESK_iEEEE10hipError_tPvRmT1_T2_T3_mT4_P12ihipStream_tbEUlT_E0_NS1_11comp_targetILNS1_3genE3ELNS1_11target_archE908ELNS1_3gpuE7ELNS1_3repE0EEENS1_30default_config_static_selectorELNS0_4arch9wavefront6targetE0EEEvST_: ; @_ZN7rocprim17ROCPRIM_400000_NS6detail17trampoline_kernelINS0_14default_configENS1_22reduce_config_selectorIbEEZNS1_11reduce_implILb1ES3_N6hipcub16HIPCUB_304000_NS22TransformInputIteratorIbN2at6native12_GLOBAL__N_19NonZeroOpIN3c107complexIfEEEEPKSG_lEEPiiNS8_6detail34convert_binary_result_type_wrapperINS8_3SumESK_iEEEE10hipError_tPvRmT1_T2_T3_mT4_P12ihipStream_tbEUlT_E0_NS1_11comp_targetILNS1_3genE3ELNS1_11target_archE908ELNS1_3gpuE7ELNS1_3repE0EEENS1_30default_config_static_selectorELNS0_4arch9wavefront6targetE0EEEvST_
; %bb.0:
	.section	.rodata,"a",@progbits
	.p2align	6, 0x0
	.amdhsa_kernel _ZN7rocprim17ROCPRIM_400000_NS6detail17trampoline_kernelINS0_14default_configENS1_22reduce_config_selectorIbEEZNS1_11reduce_implILb1ES3_N6hipcub16HIPCUB_304000_NS22TransformInputIteratorIbN2at6native12_GLOBAL__N_19NonZeroOpIN3c107complexIfEEEEPKSG_lEEPiiNS8_6detail34convert_binary_result_type_wrapperINS8_3SumESK_iEEEE10hipError_tPvRmT1_T2_T3_mT4_P12ihipStream_tbEUlT_E0_NS1_11comp_targetILNS1_3genE3ELNS1_11target_archE908ELNS1_3gpuE7ELNS1_3repE0EEENS1_30default_config_static_selectorELNS0_4arch9wavefront6targetE0EEEvST_
		.amdhsa_group_segment_fixed_size 0
		.amdhsa_private_segment_fixed_size 0
		.amdhsa_kernarg_size 64
		.amdhsa_user_sgpr_count 2
		.amdhsa_user_sgpr_dispatch_ptr 0
		.amdhsa_user_sgpr_queue_ptr 0
		.amdhsa_user_sgpr_kernarg_segment_ptr 1
		.amdhsa_user_sgpr_dispatch_id 0
		.amdhsa_user_sgpr_private_segment_size 0
		.amdhsa_wavefront_size32 1
		.amdhsa_uses_dynamic_stack 0
		.amdhsa_enable_private_segment 0
		.amdhsa_system_sgpr_workgroup_id_x 1
		.amdhsa_system_sgpr_workgroup_id_y 0
		.amdhsa_system_sgpr_workgroup_id_z 0
		.amdhsa_system_sgpr_workgroup_info 0
		.amdhsa_system_vgpr_workitem_id 0
		.amdhsa_next_free_vgpr 1
		.amdhsa_next_free_sgpr 1
		.amdhsa_reserve_vcc 0
		.amdhsa_float_round_mode_32 0
		.amdhsa_float_round_mode_16_64 0
		.amdhsa_float_denorm_mode_32 3
		.amdhsa_float_denorm_mode_16_64 3
		.amdhsa_fp16_overflow 0
		.amdhsa_workgroup_processor_mode 1
		.amdhsa_memory_ordered 1
		.amdhsa_forward_progress 1
		.amdhsa_inst_pref_size 0
		.amdhsa_round_robin_scheduling 0
		.amdhsa_exception_fp_ieee_invalid_op 0
		.amdhsa_exception_fp_denorm_src 0
		.amdhsa_exception_fp_ieee_div_zero 0
		.amdhsa_exception_fp_ieee_overflow 0
		.amdhsa_exception_fp_ieee_underflow 0
		.amdhsa_exception_fp_ieee_inexact 0
		.amdhsa_exception_int_div_zero 0
	.end_amdhsa_kernel
	.section	.text._ZN7rocprim17ROCPRIM_400000_NS6detail17trampoline_kernelINS0_14default_configENS1_22reduce_config_selectorIbEEZNS1_11reduce_implILb1ES3_N6hipcub16HIPCUB_304000_NS22TransformInputIteratorIbN2at6native12_GLOBAL__N_19NonZeroOpIN3c107complexIfEEEEPKSG_lEEPiiNS8_6detail34convert_binary_result_type_wrapperINS8_3SumESK_iEEEE10hipError_tPvRmT1_T2_T3_mT4_P12ihipStream_tbEUlT_E0_NS1_11comp_targetILNS1_3genE3ELNS1_11target_archE908ELNS1_3gpuE7ELNS1_3repE0EEENS1_30default_config_static_selectorELNS0_4arch9wavefront6targetE0EEEvST_,"axG",@progbits,_ZN7rocprim17ROCPRIM_400000_NS6detail17trampoline_kernelINS0_14default_configENS1_22reduce_config_selectorIbEEZNS1_11reduce_implILb1ES3_N6hipcub16HIPCUB_304000_NS22TransformInputIteratorIbN2at6native12_GLOBAL__N_19NonZeroOpIN3c107complexIfEEEEPKSG_lEEPiiNS8_6detail34convert_binary_result_type_wrapperINS8_3SumESK_iEEEE10hipError_tPvRmT1_T2_T3_mT4_P12ihipStream_tbEUlT_E0_NS1_11comp_targetILNS1_3genE3ELNS1_11target_archE908ELNS1_3gpuE7ELNS1_3repE0EEENS1_30default_config_static_selectorELNS0_4arch9wavefront6targetE0EEEvST_,comdat
.Lfunc_end579:
	.size	_ZN7rocprim17ROCPRIM_400000_NS6detail17trampoline_kernelINS0_14default_configENS1_22reduce_config_selectorIbEEZNS1_11reduce_implILb1ES3_N6hipcub16HIPCUB_304000_NS22TransformInputIteratorIbN2at6native12_GLOBAL__N_19NonZeroOpIN3c107complexIfEEEEPKSG_lEEPiiNS8_6detail34convert_binary_result_type_wrapperINS8_3SumESK_iEEEE10hipError_tPvRmT1_T2_T3_mT4_P12ihipStream_tbEUlT_E0_NS1_11comp_targetILNS1_3genE3ELNS1_11target_archE908ELNS1_3gpuE7ELNS1_3repE0EEENS1_30default_config_static_selectorELNS0_4arch9wavefront6targetE0EEEvST_, .Lfunc_end579-_ZN7rocprim17ROCPRIM_400000_NS6detail17trampoline_kernelINS0_14default_configENS1_22reduce_config_selectorIbEEZNS1_11reduce_implILb1ES3_N6hipcub16HIPCUB_304000_NS22TransformInputIteratorIbN2at6native12_GLOBAL__N_19NonZeroOpIN3c107complexIfEEEEPKSG_lEEPiiNS8_6detail34convert_binary_result_type_wrapperINS8_3SumESK_iEEEE10hipError_tPvRmT1_T2_T3_mT4_P12ihipStream_tbEUlT_E0_NS1_11comp_targetILNS1_3genE3ELNS1_11target_archE908ELNS1_3gpuE7ELNS1_3repE0EEENS1_30default_config_static_selectorELNS0_4arch9wavefront6targetE0EEEvST_
                                        ; -- End function
	.set _ZN7rocprim17ROCPRIM_400000_NS6detail17trampoline_kernelINS0_14default_configENS1_22reduce_config_selectorIbEEZNS1_11reduce_implILb1ES3_N6hipcub16HIPCUB_304000_NS22TransformInputIteratorIbN2at6native12_GLOBAL__N_19NonZeroOpIN3c107complexIfEEEEPKSG_lEEPiiNS8_6detail34convert_binary_result_type_wrapperINS8_3SumESK_iEEEE10hipError_tPvRmT1_T2_T3_mT4_P12ihipStream_tbEUlT_E0_NS1_11comp_targetILNS1_3genE3ELNS1_11target_archE908ELNS1_3gpuE7ELNS1_3repE0EEENS1_30default_config_static_selectorELNS0_4arch9wavefront6targetE0EEEvST_.num_vgpr, 0
	.set _ZN7rocprim17ROCPRIM_400000_NS6detail17trampoline_kernelINS0_14default_configENS1_22reduce_config_selectorIbEEZNS1_11reduce_implILb1ES3_N6hipcub16HIPCUB_304000_NS22TransformInputIteratorIbN2at6native12_GLOBAL__N_19NonZeroOpIN3c107complexIfEEEEPKSG_lEEPiiNS8_6detail34convert_binary_result_type_wrapperINS8_3SumESK_iEEEE10hipError_tPvRmT1_T2_T3_mT4_P12ihipStream_tbEUlT_E0_NS1_11comp_targetILNS1_3genE3ELNS1_11target_archE908ELNS1_3gpuE7ELNS1_3repE0EEENS1_30default_config_static_selectorELNS0_4arch9wavefront6targetE0EEEvST_.num_agpr, 0
	.set _ZN7rocprim17ROCPRIM_400000_NS6detail17trampoline_kernelINS0_14default_configENS1_22reduce_config_selectorIbEEZNS1_11reduce_implILb1ES3_N6hipcub16HIPCUB_304000_NS22TransformInputIteratorIbN2at6native12_GLOBAL__N_19NonZeroOpIN3c107complexIfEEEEPKSG_lEEPiiNS8_6detail34convert_binary_result_type_wrapperINS8_3SumESK_iEEEE10hipError_tPvRmT1_T2_T3_mT4_P12ihipStream_tbEUlT_E0_NS1_11comp_targetILNS1_3genE3ELNS1_11target_archE908ELNS1_3gpuE7ELNS1_3repE0EEENS1_30default_config_static_selectorELNS0_4arch9wavefront6targetE0EEEvST_.numbered_sgpr, 0
	.set _ZN7rocprim17ROCPRIM_400000_NS6detail17trampoline_kernelINS0_14default_configENS1_22reduce_config_selectorIbEEZNS1_11reduce_implILb1ES3_N6hipcub16HIPCUB_304000_NS22TransformInputIteratorIbN2at6native12_GLOBAL__N_19NonZeroOpIN3c107complexIfEEEEPKSG_lEEPiiNS8_6detail34convert_binary_result_type_wrapperINS8_3SumESK_iEEEE10hipError_tPvRmT1_T2_T3_mT4_P12ihipStream_tbEUlT_E0_NS1_11comp_targetILNS1_3genE3ELNS1_11target_archE908ELNS1_3gpuE7ELNS1_3repE0EEENS1_30default_config_static_selectorELNS0_4arch9wavefront6targetE0EEEvST_.num_named_barrier, 0
	.set _ZN7rocprim17ROCPRIM_400000_NS6detail17trampoline_kernelINS0_14default_configENS1_22reduce_config_selectorIbEEZNS1_11reduce_implILb1ES3_N6hipcub16HIPCUB_304000_NS22TransformInputIteratorIbN2at6native12_GLOBAL__N_19NonZeroOpIN3c107complexIfEEEEPKSG_lEEPiiNS8_6detail34convert_binary_result_type_wrapperINS8_3SumESK_iEEEE10hipError_tPvRmT1_T2_T3_mT4_P12ihipStream_tbEUlT_E0_NS1_11comp_targetILNS1_3genE3ELNS1_11target_archE908ELNS1_3gpuE7ELNS1_3repE0EEENS1_30default_config_static_selectorELNS0_4arch9wavefront6targetE0EEEvST_.private_seg_size, 0
	.set _ZN7rocprim17ROCPRIM_400000_NS6detail17trampoline_kernelINS0_14default_configENS1_22reduce_config_selectorIbEEZNS1_11reduce_implILb1ES3_N6hipcub16HIPCUB_304000_NS22TransformInputIteratorIbN2at6native12_GLOBAL__N_19NonZeroOpIN3c107complexIfEEEEPKSG_lEEPiiNS8_6detail34convert_binary_result_type_wrapperINS8_3SumESK_iEEEE10hipError_tPvRmT1_T2_T3_mT4_P12ihipStream_tbEUlT_E0_NS1_11comp_targetILNS1_3genE3ELNS1_11target_archE908ELNS1_3gpuE7ELNS1_3repE0EEENS1_30default_config_static_selectorELNS0_4arch9wavefront6targetE0EEEvST_.uses_vcc, 0
	.set _ZN7rocprim17ROCPRIM_400000_NS6detail17trampoline_kernelINS0_14default_configENS1_22reduce_config_selectorIbEEZNS1_11reduce_implILb1ES3_N6hipcub16HIPCUB_304000_NS22TransformInputIteratorIbN2at6native12_GLOBAL__N_19NonZeroOpIN3c107complexIfEEEEPKSG_lEEPiiNS8_6detail34convert_binary_result_type_wrapperINS8_3SumESK_iEEEE10hipError_tPvRmT1_T2_T3_mT4_P12ihipStream_tbEUlT_E0_NS1_11comp_targetILNS1_3genE3ELNS1_11target_archE908ELNS1_3gpuE7ELNS1_3repE0EEENS1_30default_config_static_selectorELNS0_4arch9wavefront6targetE0EEEvST_.uses_flat_scratch, 0
	.set _ZN7rocprim17ROCPRIM_400000_NS6detail17trampoline_kernelINS0_14default_configENS1_22reduce_config_selectorIbEEZNS1_11reduce_implILb1ES3_N6hipcub16HIPCUB_304000_NS22TransformInputIteratorIbN2at6native12_GLOBAL__N_19NonZeroOpIN3c107complexIfEEEEPKSG_lEEPiiNS8_6detail34convert_binary_result_type_wrapperINS8_3SumESK_iEEEE10hipError_tPvRmT1_T2_T3_mT4_P12ihipStream_tbEUlT_E0_NS1_11comp_targetILNS1_3genE3ELNS1_11target_archE908ELNS1_3gpuE7ELNS1_3repE0EEENS1_30default_config_static_selectorELNS0_4arch9wavefront6targetE0EEEvST_.has_dyn_sized_stack, 0
	.set _ZN7rocprim17ROCPRIM_400000_NS6detail17trampoline_kernelINS0_14default_configENS1_22reduce_config_selectorIbEEZNS1_11reduce_implILb1ES3_N6hipcub16HIPCUB_304000_NS22TransformInputIteratorIbN2at6native12_GLOBAL__N_19NonZeroOpIN3c107complexIfEEEEPKSG_lEEPiiNS8_6detail34convert_binary_result_type_wrapperINS8_3SumESK_iEEEE10hipError_tPvRmT1_T2_T3_mT4_P12ihipStream_tbEUlT_E0_NS1_11comp_targetILNS1_3genE3ELNS1_11target_archE908ELNS1_3gpuE7ELNS1_3repE0EEENS1_30default_config_static_selectorELNS0_4arch9wavefront6targetE0EEEvST_.has_recursion, 0
	.set _ZN7rocprim17ROCPRIM_400000_NS6detail17trampoline_kernelINS0_14default_configENS1_22reduce_config_selectorIbEEZNS1_11reduce_implILb1ES3_N6hipcub16HIPCUB_304000_NS22TransformInputIteratorIbN2at6native12_GLOBAL__N_19NonZeroOpIN3c107complexIfEEEEPKSG_lEEPiiNS8_6detail34convert_binary_result_type_wrapperINS8_3SumESK_iEEEE10hipError_tPvRmT1_T2_T3_mT4_P12ihipStream_tbEUlT_E0_NS1_11comp_targetILNS1_3genE3ELNS1_11target_archE908ELNS1_3gpuE7ELNS1_3repE0EEENS1_30default_config_static_selectorELNS0_4arch9wavefront6targetE0EEEvST_.has_indirect_call, 0
	.section	.AMDGPU.csdata,"",@progbits
; Kernel info:
; codeLenInByte = 0
; TotalNumSgprs: 0
; NumVgprs: 0
; ScratchSize: 0
; MemoryBound: 0
; FloatMode: 240
; IeeeMode: 1
; LDSByteSize: 0 bytes/workgroup (compile time only)
; SGPRBlocks: 0
; VGPRBlocks: 0
; NumSGPRsForWavesPerEU: 1
; NumVGPRsForWavesPerEU: 1
; Occupancy: 16
; WaveLimiterHint : 0
; COMPUTE_PGM_RSRC2:SCRATCH_EN: 0
; COMPUTE_PGM_RSRC2:USER_SGPR: 2
; COMPUTE_PGM_RSRC2:TRAP_HANDLER: 0
; COMPUTE_PGM_RSRC2:TGID_X_EN: 1
; COMPUTE_PGM_RSRC2:TGID_Y_EN: 0
; COMPUTE_PGM_RSRC2:TGID_Z_EN: 0
; COMPUTE_PGM_RSRC2:TIDIG_COMP_CNT: 0
	.section	.text._ZN7rocprim17ROCPRIM_400000_NS6detail17trampoline_kernelINS0_14default_configENS1_22reduce_config_selectorIbEEZNS1_11reduce_implILb1ES3_N6hipcub16HIPCUB_304000_NS22TransformInputIteratorIbN2at6native12_GLOBAL__N_19NonZeroOpIN3c107complexIfEEEEPKSG_lEEPiiNS8_6detail34convert_binary_result_type_wrapperINS8_3SumESK_iEEEE10hipError_tPvRmT1_T2_T3_mT4_P12ihipStream_tbEUlT_E0_NS1_11comp_targetILNS1_3genE2ELNS1_11target_archE906ELNS1_3gpuE6ELNS1_3repE0EEENS1_30default_config_static_selectorELNS0_4arch9wavefront6targetE0EEEvST_,"axG",@progbits,_ZN7rocprim17ROCPRIM_400000_NS6detail17trampoline_kernelINS0_14default_configENS1_22reduce_config_selectorIbEEZNS1_11reduce_implILb1ES3_N6hipcub16HIPCUB_304000_NS22TransformInputIteratorIbN2at6native12_GLOBAL__N_19NonZeroOpIN3c107complexIfEEEEPKSG_lEEPiiNS8_6detail34convert_binary_result_type_wrapperINS8_3SumESK_iEEEE10hipError_tPvRmT1_T2_T3_mT4_P12ihipStream_tbEUlT_E0_NS1_11comp_targetILNS1_3genE2ELNS1_11target_archE906ELNS1_3gpuE6ELNS1_3repE0EEENS1_30default_config_static_selectorELNS0_4arch9wavefront6targetE0EEEvST_,comdat
	.globl	_ZN7rocprim17ROCPRIM_400000_NS6detail17trampoline_kernelINS0_14default_configENS1_22reduce_config_selectorIbEEZNS1_11reduce_implILb1ES3_N6hipcub16HIPCUB_304000_NS22TransformInputIteratorIbN2at6native12_GLOBAL__N_19NonZeroOpIN3c107complexIfEEEEPKSG_lEEPiiNS8_6detail34convert_binary_result_type_wrapperINS8_3SumESK_iEEEE10hipError_tPvRmT1_T2_T3_mT4_P12ihipStream_tbEUlT_E0_NS1_11comp_targetILNS1_3genE2ELNS1_11target_archE906ELNS1_3gpuE6ELNS1_3repE0EEENS1_30default_config_static_selectorELNS0_4arch9wavefront6targetE0EEEvST_ ; -- Begin function _ZN7rocprim17ROCPRIM_400000_NS6detail17trampoline_kernelINS0_14default_configENS1_22reduce_config_selectorIbEEZNS1_11reduce_implILb1ES3_N6hipcub16HIPCUB_304000_NS22TransformInputIteratorIbN2at6native12_GLOBAL__N_19NonZeroOpIN3c107complexIfEEEEPKSG_lEEPiiNS8_6detail34convert_binary_result_type_wrapperINS8_3SumESK_iEEEE10hipError_tPvRmT1_T2_T3_mT4_P12ihipStream_tbEUlT_E0_NS1_11comp_targetILNS1_3genE2ELNS1_11target_archE906ELNS1_3gpuE6ELNS1_3repE0EEENS1_30default_config_static_selectorELNS0_4arch9wavefront6targetE0EEEvST_
	.p2align	8
	.type	_ZN7rocprim17ROCPRIM_400000_NS6detail17trampoline_kernelINS0_14default_configENS1_22reduce_config_selectorIbEEZNS1_11reduce_implILb1ES3_N6hipcub16HIPCUB_304000_NS22TransformInputIteratorIbN2at6native12_GLOBAL__N_19NonZeroOpIN3c107complexIfEEEEPKSG_lEEPiiNS8_6detail34convert_binary_result_type_wrapperINS8_3SumESK_iEEEE10hipError_tPvRmT1_T2_T3_mT4_P12ihipStream_tbEUlT_E0_NS1_11comp_targetILNS1_3genE2ELNS1_11target_archE906ELNS1_3gpuE6ELNS1_3repE0EEENS1_30default_config_static_selectorELNS0_4arch9wavefront6targetE0EEEvST_,@function
_ZN7rocprim17ROCPRIM_400000_NS6detail17trampoline_kernelINS0_14default_configENS1_22reduce_config_selectorIbEEZNS1_11reduce_implILb1ES3_N6hipcub16HIPCUB_304000_NS22TransformInputIteratorIbN2at6native12_GLOBAL__N_19NonZeroOpIN3c107complexIfEEEEPKSG_lEEPiiNS8_6detail34convert_binary_result_type_wrapperINS8_3SumESK_iEEEE10hipError_tPvRmT1_T2_T3_mT4_P12ihipStream_tbEUlT_E0_NS1_11comp_targetILNS1_3genE2ELNS1_11target_archE906ELNS1_3gpuE6ELNS1_3repE0EEENS1_30default_config_static_selectorELNS0_4arch9wavefront6targetE0EEEvST_: ; @_ZN7rocprim17ROCPRIM_400000_NS6detail17trampoline_kernelINS0_14default_configENS1_22reduce_config_selectorIbEEZNS1_11reduce_implILb1ES3_N6hipcub16HIPCUB_304000_NS22TransformInputIteratorIbN2at6native12_GLOBAL__N_19NonZeroOpIN3c107complexIfEEEEPKSG_lEEPiiNS8_6detail34convert_binary_result_type_wrapperINS8_3SumESK_iEEEE10hipError_tPvRmT1_T2_T3_mT4_P12ihipStream_tbEUlT_E0_NS1_11comp_targetILNS1_3genE2ELNS1_11target_archE906ELNS1_3gpuE6ELNS1_3repE0EEENS1_30default_config_static_selectorELNS0_4arch9wavefront6targetE0EEEvST_
; %bb.0:
	.section	.rodata,"a",@progbits
	.p2align	6, 0x0
	.amdhsa_kernel _ZN7rocprim17ROCPRIM_400000_NS6detail17trampoline_kernelINS0_14default_configENS1_22reduce_config_selectorIbEEZNS1_11reduce_implILb1ES3_N6hipcub16HIPCUB_304000_NS22TransformInputIteratorIbN2at6native12_GLOBAL__N_19NonZeroOpIN3c107complexIfEEEEPKSG_lEEPiiNS8_6detail34convert_binary_result_type_wrapperINS8_3SumESK_iEEEE10hipError_tPvRmT1_T2_T3_mT4_P12ihipStream_tbEUlT_E0_NS1_11comp_targetILNS1_3genE2ELNS1_11target_archE906ELNS1_3gpuE6ELNS1_3repE0EEENS1_30default_config_static_selectorELNS0_4arch9wavefront6targetE0EEEvST_
		.amdhsa_group_segment_fixed_size 0
		.amdhsa_private_segment_fixed_size 0
		.amdhsa_kernarg_size 64
		.amdhsa_user_sgpr_count 2
		.amdhsa_user_sgpr_dispatch_ptr 0
		.amdhsa_user_sgpr_queue_ptr 0
		.amdhsa_user_sgpr_kernarg_segment_ptr 1
		.amdhsa_user_sgpr_dispatch_id 0
		.amdhsa_user_sgpr_private_segment_size 0
		.amdhsa_wavefront_size32 1
		.amdhsa_uses_dynamic_stack 0
		.amdhsa_enable_private_segment 0
		.amdhsa_system_sgpr_workgroup_id_x 1
		.amdhsa_system_sgpr_workgroup_id_y 0
		.amdhsa_system_sgpr_workgroup_id_z 0
		.amdhsa_system_sgpr_workgroup_info 0
		.amdhsa_system_vgpr_workitem_id 0
		.amdhsa_next_free_vgpr 1
		.amdhsa_next_free_sgpr 1
		.amdhsa_reserve_vcc 0
		.amdhsa_float_round_mode_32 0
		.amdhsa_float_round_mode_16_64 0
		.amdhsa_float_denorm_mode_32 3
		.amdhsa_float_denorm_mode_16_64 3
		.amdhsa_fp16_overflow 0
		.amdhsa_workgroup_processor_mode 1
		.amdhsa_memory_ordered 1
		.amdhsa_forward_progress 1
		.amdhsa_inst_pref_size 0
		.amdhsa_round_robin_scheduling 0
		.amdhsa_exception_fp_ieee_invalid_op 0
		.amdhsa_exception_fp_denorm_src 0
		.amdhsa_exception_fp_ieee_div_zero 0
		.amdhsa_exception_fp_ieee_overflow 0
		.amdhsa_exception_fp_ieee_underflow 0
		.amdhsa_exception_fp_ieee_inexact 0
		.amdhsa_exception_int_div_zero 0
	.end_amdhsa_kernel
	.section	.text._ZN7rocprim17ROCPRIM_400000_NS6detail17trampoline_kernelINS0_14default_configENS1_22reduce_config_selectorIbEEZNS1_11reduce_implILb1ES3_N6hipcub16HIPCUB_304000_NS22TransformInputIteratorIbN2at6native12_GLOBAL__N_19NonZeroOpIN3c107complexIfEEEEPKSG_lEEPiiNS8_6detail34convert_binary_result_type_wrapperINS8_3SumESK_iEEEE10hipError_tPvRmT1_T2_T3_mT4_P12ihipStream_tbEUlT_E0_NS1_11comp_targetILNS1_3genE2ELNS1_11target_archE906ELNS1_3gpuE6ELNS1_3repE0EEENS1_30default_config_static_selectorELNS0_4arch9wavefront6targetE0EEEvST_,"axG",@progbits,_ZN7rocprim17ROCPRIM_400000_NS6detail17trampoline_kernelINS0_14default_configENS1_22reduce_config_selectorIbEEZNS1_11reduce_implILb1ES3_N6hipcub16HIPCUB_304000_NS22TransformInputIteratorIbN2at6native12_GLOBAL__N_19NonZeroOpIN3c107complexIfEEEEPKSG_lEEPiiNS8_6detail34convert_binary_result_type_wrapperINS8_3SumESK_iEEEE10hipError_tPvRmT1_T2_T3_mT4_P12ihipStream_tbEUlT_E0_NS1_11comp_targetILNS1_3genE2ELNS1_11target_archE906ELNS1_3gpuE6ELNS1_3repE0EEENS1_30default_config_static_selectorELNS0_4arch9wavefront6targetE0EEEvST_,comdat
.Lfunc_end580:
	.size	_ZN7rocprim17ROCPRIM_400000_NS6detail17trampoline_kernelINS0_14default_configENS1_22reduce_config_selectorIbEEZNS1_11reduce_implILb1ES3_N6hipcub16HIPCUB_304000_NS22TransformInputIteratorIbN2at6native12_GLOBAL__N_19NonZeroOpIN3c107complexIfEEEEPKSG_lEEPiiNS8_6detail34convert_binary_result_type_wrapperINS8_3SumESK_iEEEE10hipError_tPvRmT1_T2_T3_mT4_P12ihipStream_tbEUlT_E0_NS1_11comp_targetILNS1_3genE2ELNS1_11target_archE906ELNS1_3gpuE6ELNS1_3repE0EEENS1_30default_config_static_selectorELNS0_4arch9wavefront6targetE0EEEvST_, .Lfunc_end580-_ZN7rocprim17ROCPRIM_400000_NS6detail17trampoline_kernelINS0_14default_configENS1_22reduce_config_selectorIbEEZNS1_11reduce_implILb1ES3_N6hipcub16HIPCUB_304000_NS22TransformInputIteratorIbN2at6native12_GLOBAL__N_19NonZeroOpIN3c107complexIfEEEEPKSG_lEEPiiNS8_6detail34convert_binary_result_type_wrapperINS8_3SumESK_iEEEE10hipError_tPvRmT1_T2_T3_mT4_P12ihipStream_tbEUlT_E0_NS1_11comp_targetILNS1_3genE2ELNS1_11target_archE906ELNS1_3gpuE6ELNS1_3repE0EEENS1_30default_config_static_selectorELNS0_4arch9wavefront6targetE0EEEvST_
                                        ; -- End function
	.set _ZN7rocprim17ROCPRIM_400000_NS6detail17trampoline_kernelINS0_14default_configENS1_22reduce_config_selectorIbEEZNS1_11reduce_implILb1ES3_N6hipcub16HIPCUB_304000_NS22TransformInputIteratorIbN2at6native12_GLOBAL__N_19NonZeroOpIN3c107complexIfEEEEPKSG_lEEPiiNS8_6detail34convert_binary_result_type_wrapperINS8_3SumESK_iEEEE10hipError_tPvRmT1_T2_T3_mT4_P12ihipStream_tbEUlT_E0_NS1_11comp_targetILNS1_3genE2ELNS1_11target_archE906ELNS1_3gpuE6ELNS1_3repE0EEENS1_30default_config_static_selectorELNS0_4arch9wavefront6targetE0EEEvST_.num_vgpr, 0
	.set _ZN7rocprim17ROCPRIM_400000_NS6detail17trampoline_kernelINS0_14default_configENS1_22reduce_config_selectorIbEEZNS1_11reduce_implILb1ES3_N6hipcub16HIPCUB_304000_NS22TransformInputIteratorIbN2at6native12_GLOBAL__N_19NonZeroOpIN3c107complexIfEEEEPKSG_lEEPiiNS8_6detail34convert_binary_result_type_wrapperINS8_3SumESK_iEEEE10hipError_tPvRmT1_T2_T3_mT4_P12ihipStream_tbEUlT_E0_NS1_11comp_targetILNS1_3genE2ELNS1_11target_archE906ELNS1_3gpuE6ELNS1_3repE0EEENS1_30default_config_static_selectorELNS0_4arch9wavefront6targetE0EEEvST_.num_agpr, 0
	.set _ZN7rocprim17ROCPRIM_400000_NS6detail17trampoline_kernelINS0_14default_configENS1_22reduce_config_selectorIbEEZNS1_11reduce_implILb1ES3_N6hipcub16HIPCUB_304000_NS22TransformInputIteratorIbN2at6native12_GLOBAL__N_19NonZeroOpIN3c107complexIfEEEEPKSG_lEEPiiNS8_6detail34convert_binary_result_type_wrapperINS8_3SumESK_iEEEE10hipError_tPvRmT1_T2_T3_mT4_P12ihipStream_tbEUlT_E0_NS1_11comp_targetILNS1_3genE2ELNS1_11target_archE906ELNS1_3gpuE6ELNS1_3repE0EEENS1_30default_config_static_selectorELNS0_4arch9wavefront6targetE0EEEvST_.numbered_sgpr, 0
	.set _ZN7rocprim17ROCPRIM_400000_NS6detail17trampoline_kernelINS0_14default_configENS1_22reduce_config_selectorIbEEZNS1_11reduce_implILb1ES3_N6hipcub16HIPCUB_304000_NS22TransformInputIteratorIbN2at6native12_GLOBAL__N_19NonZeroOpIN3c107complexIfEEEEPKSG_lEEPiiNS8_6detail34convert_binary_result_type_wrapperINS8_3SumESK_iEEEE10hipError_tPvRmT1_T2_T3_mT4_P12ihipStream_tbEUlT_E0_NS1_11comp_targetILNS1_3genE2ELNS1_11target_archE906ELNS1_3gpuE6ELNS1_3repE0EEENS1_30default_config_static_selectorELNS0_4arch9wavefront6targetE0EEEvST_.num_named_barrier, 0
	.set _ZN7rocprim17ROCPRIM_400000_NS6detail17trampoline_kernelINS0_14default_configENS1_22reduce_config_selectorIbEEZNS1_11reduce_implILb1ES3_N6hipcub16HIPCUB_304000_NS22TransformInputIteratorIbN2at6native12_GLOBAL__N_19NonZeroOpIN3c107complexIfEEEEPKSG_lEEPiiNS8_6detail34convert_binary_result_type_wrapperINS8_3SumESK_iEEEE10hipError_tPvRmT1_T2_T3_mT4_P12ihipStream_tbEUlT_E0_NS1_11comp_targetILNS1_3genE2ELNS1_11target_archE906ELNS1_3gpuE6ELNS1_3repE0EEENS1_30default_config_static_selectorELNS0_4arch9wavefront6targetE0EEEvST_.private_seg_size, 0
	.set _ZN7rocprim17ROCPRIM_400000_NS6detail17trampoline_kernelINS0_14default_configENS1_22reduce_config_selectorIbEEZNS1_11reduce_implILb1ES3_N6hipcub16HIPCUB_304000_NS22TransformInputIteratorIbN2at6native12_GLOBAL__N_19NonZeroOpIN3c107complexIfEEEEPKSG_lEEPiiNS8_6detail34convert_binary_result_type_wrapperINS8_3SumESK_iEEEE10hipError_tPvRmT1_T2_T3_mT4_P12ihipStream_tbEUlT_E0_NS1_11comp_targetILNS1_3genE2ELNS1_11target_archE906ELNS1_3gpuE6ELNS1_3repE0EEENS1_30default_config_static_selectorELNS0_4arch9wavefront6targetE0EEEvST_.uses_vcc, 0
	.set _ZN7rocprim17ROCPRIM_400000_NS6detail17trampoline_kernelINS0_14default_configENS1_22reduce_config_selectorIbEEZNS1_11reduce_implILb1ES3_N6hipcub16HIPCUB_304000_NS22TransformInputIteratorIbN2at6native12_GLOBAL__N_19NonZeroOpIN3c107complexIfEEEEPKSG_lEEPiiNS8_6detail34convert_binary_result_type_wrapperINS8_3SumESK_iEEEE10hipError_tPvRmT1_T2_T3_mT4_P12ihipStream_tbEUlT_E0_NS1_11comp_targetILNS1_3genE2ELNS1_11target_archE906ELNS1_3gpuE6ELNS1_3repE0EEENS1_30default_config_static_selectorELNS0_4arch9wavefront6targetE0EEEvST_.uses_flat_scratch, 0
	.set _ZN7rocprim17ROCPRIM_400000_NS6detail17trampoline_kernelINS0_14default_configENS1_22reduce_config_selectorIbEEZNS1_11reduce_implILb1ES3_N6hipcub16HIPCUB_304000_NS22TransformInputIteratorIbN2at6native12_GLOBAL__N_19NonZeroOpIN3c107complexIfEEEEPKSG_lEEPiiNS8_6detail34convert_binary_result_type_wrapperINS8_3SumESK_iEEEE10hipError_tPvRmT1_T2_T3_mT4_P12ihipStream_tbEUlT_E0_NS1_11comp_targetILNS1_3genE2ELNS1_11target_archE906ELNS1_3gpuE6ELNS1_3repE0EEENS1_30default_config_static_selectorELNS0_4arch9wavefront6targetE0EEEvST_.has_dyn_sized_stack, 0
	.set _ZN7rocprim17ROCPRIM_400000_NS6detail17trampoline_kernelINS0_14default_configENS1_22reduce_config_selectorIbEEZNS1_11reduce_implILb1ES3_N6hipcub16HIPCUB_304000_NS22TransformInputIteratorIbN2at6native12_GLOBAL__N_19NonZeroOpIN3c107complexIfEEEEPKSG_lEEPiiNS8_6detail34convert_binary_result_type_wrapperINS8_3SumESK_iEEEE10hipError_tPvRmT1_T2_T3_mT4_P12ihipStream_tbEUlT_E0_NS1_11comp_targetILNS1_3genE2ELNS1_11target_archE906ELNS1_3gpuE6ELNS1_3repE0EEENS1_30default_config_static_selectorELNS0_4arch9wavefront6targetE0EEEvST_.has_recursion, 0
	.set _ZN7rocprim17ROCPRIM_400000_NS6detail17trampoline_kernelINS0_14default_configENS1_22reduce_config_selectorIbEEZNS1_11reduce_implILb1ES3_N6hipcub16HIPCUB_304000_NS22TransformInputIteratorIbN2at6native12_GLOBAL__N_19NonZeroOpIN3c107complexIfEEEEPKSG_lEEPiiNS8_6detail34convert_binary_result_type_wrapperINS8_3SumESK_iEEEE10hipError_tPvRmT1_T2_T3_mT4_P12ihipStream_tbEUlT_E0_NS1_11comp_targetILNS1_3genE2ELNS1_11target_archE906ELNS1_3gpuE6ELNS1_3repE0EEENS1_30default_config_static_selectorELNS0_4arch9wavefront6targetE0EEEvST_.has_indirect_call, 0
	.section	.AMDGPU.csdata,"",@progbits
; Kernel info:
; codeLenInByte = 0
; TotalNumSgprs: 0
; NumVgprs: 0
; ScratchSize: 0
; MemoryBound: 0
; FloatMode: 240
; IeeeMode: 1
; LDSByteSize: 0 bytes/workgroup (compile time only)
; SGPRBlocks: 0
; VGPRBlocks: 0
; NumSGPRsForWavesPerEU: 1
; NumVGPRsForWavesPerEU: 1
; Occupancy: 16
; WaveLimiterHint : 0
; COMPUTE_PGM_RSRC2:SCRATCH_EN: 0
; COMPUTE_PGM_RSRC2:USER_SGPR: 2
; COMPUTE_PGM_RSRC2:TRAP_HANDLER: 0
; COMPUTE_PGM_RSRC2:TGID_X_EN: 1
; COMPUTE_PGM_RSRC2:TGID_Y_EN: 0
; COMPUTE_PGM_RSRC2:TGID_Z_EN: 0
; COMPUTE_PGM_RSRC2:TIDIG_COMP_CNT: 0
	.section	.text._ZN7rocprim17ROCPRIM_400000_NS6detail17trampoline_kernelINS0_14default_configENS1_22reduce_config_selectorIbEEZNS1_11reduce_implILb1ES3_N6hipcub16HIPCUB_304000_NS22TransformInputIteratorIbN2at6native12_GLOBAL__N_19NonZeroOpIN3c107complexIfEEEEPKSG_lEEPiiNS8_6detail34convert_binary_result_type_wrapperINS8_3SumESK_iEEEE10hipError_tPvRmT1_T2_T3_mT4_P12ihipStream_tbEUlT_E0_NS1_11comp_targetILNS1_3genE10ELNS1_11target_archE1201ELNS1_3gpuE5ELNS1_3repE0EEENS1_30default_config_static_selectorELNS0_4arch9wavefront6targetE0EEEvST_,"axG",@progbits,_ZN7rocprim17ROCPRIM_400000_NS6detail17trampoline_kernelINS0_14default_configENS1_22reduce_config_selectorIbEEZNS1_11reduce_implILb1ES3_N6hipcub16HIPCUB_304000_NS22TransformInputIteratorIbN2at6native12_GLOBAL__N_19NonZeroOpIN3c107complexIfEEEEPKSG_lEEPiiNS8_6detail34convert_binary_result_type_wrapperINS8_3SumESK_iEEEE10hipError_tPvRmT1_T2_T3_mT4_P12ihipStream_tbEUlT_E0_NS1_11comp_targetILNS1_3genE10ELNS1_11target_archE1201ELNS1_3gpuE5ELNS1_3repE0EEENS1_30default_config_static_selectorELNS0_4arch9wavefront6targetE0EEEvST_,comdat
	.globl	_ZN7rocprim17ROCPRIM_400000_NS6detail17trampoline_kernelINS0_14default_configENS1_22reduce_config_selectorIbEEZNS1_11reduce_implILb1ES3_N6hipcub16HIPCUB_304000_NS22TransformInputIteratorIbN2at6native12_GLOBAL__N_19NonZeroOpIN3c107complexIfEEEEPKSG_lEEPiiNS8_6detail34convert_binary_result_type_wrapperINS8_3SumESK_iEEEE10hipError_tPvRmT1_T2_T3_mT4_P12ihipStream_tbEUlT_E0_NS1_11comp_targetILNS1_3genE10ELNS1_11target_archE1201ELNS1_3gpuE5ELNS1_3repE0EEENS1_30default_config_static_selectorELNS0_4arch9wavefront6targetE0EEEvST_ ; -- Begin function _ZN7rocprim17ROCPRIM_400000_NS6detail17trampoline_kernelINS0_14default_configENS1_22reduce_config_selectorIbEEZNS1_11reduce_implILb1ES3_N6hipcub16HIPCUB_304000_NS22TransformInputIteratorIbN2at6native12_GLOBAL__N_19NonZeroOpIN3c107complexIfEEEEPKSG_lEEPiiNS8_6detail34convert_binary_result_type_wrapperINS8_3SumESK_iEEEE10hipError_tPvRmT1_T2_T3_mT4_P12ihipStream_tbEUlT_E0_NS1_11comp_targetILNS1_3genE10ELNS1_11target_archE1201ELNS1_3gpuE5ELNS1_3repE0EEENS1_30default_config_static_selectorELNS0_4arch9wavefront6targetE0EEEvST_
	.p2align	8
	.type	_ZN7rocprim17ROCPRIM_400000_NS6detail17trampoline_kernelINS0_14default_configENS1_22reduce_config_selectorIbEEZNS1_11reduce_implILb1ES3_N6hipcub16HIPCUB_304000_NS22TransformInputIteratorIbN2at6native12_GLOBAL__N_19NonZeroOpIN3c107complexIfEEEEPKSG_lEEPiiNS8_6detail34convert_binary_result_type_wrapperINS8_3SumESK_iEEEE10hipError_tPvRmT1_T2_T3_mT4_P12ihipStream_tbEUlT_E0_NS1_11comp_targetILNS1_3genE10ELNS1_11target_archE1201ELNS1_3gpuE5ELNS1_3repE0EEENS1_30default_config_static_selectorELNS0_4arch9wavefront6targetE0EEEvST_,@function
_ZN7rocprim17ROCPRIM_400000_NS6detail17trampoline_kernelINS0_14default_configENS1_22reduce_config_selectorIbEEZNS1_11reduce_implILb1ES3_N6hipcub16HIPCUB_304000_NS22TransformInputIteratorIbN2at6native12_GLOBAL__N_19NonZeroOpIN3c107complexIfEEEEPKSG_lEEPiiNS8_6detail34convert_binary_result_type_wrapperINS8_3SumESK_iEEEE10hipError_tPvRmT1_T2_T3_mT4_P12ihipStream_tbEUlT_E0_NS1_11comp_targetILNS1_3genE10ELNS1_11target_archE1201ELNS1_3gpuE5ELNS1_3repE0EEENS1_30default_config_static_selectorELNS0_4arch9wavefront6targetE0EEEvST_: ; @_ZN7rocprim17ROCPRIM_400000_NS6detail17trampoline_kernelINS0_14default_configENS1_22reduce_config_selectorIbEEZNS1_11reduce_implILb1ES3_N6hipcub16HIPCUB_304000_NS22TransformInputIteratorIbN2at6native12_GLOBAL__N_19NonZeroOpIN3c107complexIfEEEEPKSG_lEEPiiNS8_6detail34convert_binary_result_type_wrapperINS8_3SumESK_iEEEE10hipError_tPvRmT1_T2_T3_mT4_P12ihipStream_tbEUlT_E0_NS1_11comp_targetILNS1_3genE10ELNS1_11target_archE1201ELNS1_3gpuE5ELNS1_3repE0EEENS1_30default_config_static_selectorELNS0_4arch9wavefront6targetE0EEEvST_
; %bb.0:
	s_clause 0x2
	s_load_b256 s[36:43], s[0:1], 0x10
	s_load_b64 s[2:3], s[0:1], 0x0
	s_load_b64 s[44:45], s[0:1], 0x30
	s_lshl_b32 s46, ttmp9, 12
	s_mov_b32 s47, 0
	v_mbcnt_lo_u32_b32 v18, -1, 0
	v_lshlrev_b32_e32 v19, 3, v0
	s_mov_b32 s34, ttmp9
	s_mov_b32 s35, s47
	s_wait_kmcnt 0x0
	s_lshl_b64 s[4:5], s[36:37], 3
	s_lshr_b64 s[6:7], s[38:39], 12
	s_add_nc_u64 s[2:3], s[2:3], s[4:5]
	s_lshl_b64 s[4:5], s[46:47], 3
	s_cmp_lg_u64 s[6:7], s[34:35]
	s_add_nc_u64 s[36:37], s[2:3], s[4:5]
	s_cbranch_scc0 .LBB581_6
; %bb.1:
	s_clause 0xf
	global_load_b64 v[1:2], v19, s[36:37]
	global_load_b64 v[3:4], v19, s[36:37] offset:2048
	global_load_b64 v[5:6], v19, s[36:37] offset:4096
	;; [unrolled: 1-line block ×15, first 2 shown]
	s_wait_loadcnt 0xf
	v_cmp_neq_f32_e32 vcc_lo, 0, v1
	v_cmp_neq_f32_e64 s2, 0, v2
	s_wait_loadcnt 0xe
	v_cmp_neq_f32_e64 s3, 0, v3
	v_cmp_neq_f32_e64 s4, 0, v4
	s_wait_loadcnt 0xd
	v_cmp_neq_f32_e64 s5, 0, v5
	v_cmp_neq_f32_e64 s6, 0, v6
	s_or_b32 s2, vcc_lo, s2
	s_wait_loadcnt 0xc
	v_cmp_neq_f32_e64 s7, 0, v7
	v_cndmask_b32_e64 v1, 0, 1, s2
	v_cmp_neq_f32_e64 s8, 0, v8
	s_wait_loadcnt 0xb
	v_cmp_neq_f32_e64 s9, 0, v9
	v_cmp_neq_f32_e64 s10, 0, v10
	s_or_b32 s2, s5, s6
	s_or_b32 vcc_lo, s3, s4
	s_wait_alu 0xfffe
	v_cndmask_b32_e64 v2, 0, 1, s2
	v_add_co_ci_u32_e64 v1, null, 0, v1, vcc_lo
	s_wait_loadcnt 0xa
	v_cmp_neq_f32_e64 s11, 0, v11
	v_cmp_neq_f32_e64 s12, 0, v12
	s_wait_loadcnt 0x9
	v_cmp_neq_f32_e64 s13, 0, v13
	v_cmp_neq_f32_e64 s14, 0, v14
	s_or_b32 s2, s9, s10
	s_or_b32 vcc_lo, s7, s8
	s_wait_alu 0xfffe
	v_cndmask_b32_e64 v3, 0, 1, s2
	v_add_co_ci_u32_e64 v1, null, v1, v2, vcc_lo
	s_wait_loadcnt 0x8
	v_cmp_neq_f32_e64 s15, 0, v15
	;; [unrolled: 11-line block ×6, first 2 shown]
	v_cmp_neq_f32_e64 s33, 0, v35
	s_or_b32 s2, s29, s30
	s_or_b32 vcc_lo, s27, s28
	s_wait_alu 0xfffe
	v_cndmask_b32_e64 v2, 0, 1, s2
	v_add_co_ci_u32_e64 v1, null, v1, v3, vcc_lo
	s_or_b32 vcc_lo, s31, s33
	s_mov_b32 s2, exec_lo
	s_wait_alu 0xfffe
	v_add_co_ci_u32_e64 v1, null, v1, v2, vcc_lo
	s_delay_alu instid0(VALU_DEP_1) | instskip(NEXT) | instid1(VALU_DEP_1)
	v_mov_b32_dpp v2, v1 quad_perm:[1,0,3,2] row_mask:0xf bank_mask:0xf
	v_add_nc_u32_e32 v1, v1, v2
	s_delay_alu instid0(VALU_DEP_1) | instskip(NEXT) | instid1(VALU_DEP_1)
	v_mov_b32_dpp v2, v1 quad_perm:[2,3,0,1] row_mask:0xf bank_mask:0xf
	v_add_nc_u32_e32 v1, v1, v2
	s_delay_alu instid0(VALU_DEP_1) | instskip(NEXT) | instid1(VALU_DEP_1)
	v_mov_b32_dpp v2, v1 row_ror:4 row_mask:0xf bank_mask:0xf
	v_add_nc_u32_e32 v1, v1, v2
	s_delay_alu instid0(VALU_DEP_1) | instskip(NEXT) | instid1(VALU_DEP_1)
	v_mov_b32_dpp v2, v1 row_ror:8 row_mask:0xf bank_mask:0xf
	v_add_nc_u32_e32 v1, v1, v2
	ds_swizzle_b32 v2, v1 offset:swizzle(BROADCAST,32,15)
	s_wait_dscnt 0x0
	v_dual_mov_b32 v2, 0 :: v_dual_add_nc_u32 v1, v1, v2
	ds_bpermute_b32 v1, v2, v1 offset:124
	v_cmpx_eq_u32_e32 0, v18
	s_cbranch_execz .LBB581_3
; %bb.2:
	v_lshrrev_b32_e32 v2, 3, v0
	s_delay_alu instid0(VALU_DEP_1)
	v_and_b32_e32 v2, 28, v2
	s_wait_dscnt 0x0
	ds_store_b32 v2, v1
.LBB581_3:
	s_or_b32 exec_lo, exec_lo, s2
	s_delay_alu instid0(SALU_CYCLE_1)
	s_mov_b32 s2, exec_lo
	s_wait_dscnt 0x0
	s_barrier_signal -1
	s_barrier_wait -1
	global_inv scope:SCOPE_SE
	v_cmpx_gt_u32_e32 32, v0
	s_cbranch_execz .LBB581_5
; %bb.4:
	v_and_b32_e32 v1, 7, v18
	s_delay_alu instid0(VALU_DEP_1)
	v_lshlrev_b32_e32 v2, 2, v1
	v_cmp_ne_u32_e32 vcc_lo, 7, v1
	ds_load_b32 v2, v2
	s_wait_alu 0xfffd
	v_add_co_ci_u32_e64 v3, null, 0, v18, vcc_lo
	v_cmp_gt_u32_e32 vcc_lo, 6, v1
	s_delay_alu instid0(VALU_DEP_2) | instskip(SKIP_2) | instid1(VALU_DEP_1)
	v_lshlrev_b32_e32 v3, 2, v3
	s_wait_alu 0xfffd
	v_cndmask_b32_e64 v1, 0, 2, vcc_lo
	v_add_lshl_u32 v1, v1, v18, 2
	s_wait_dscnt 0x0
	ds_bpermute_b32 v3, v3, v2
	s_wait_dscnt 0x0
	v_add_nc_u32_e32 v2, v3, v2
	v_lshlrev_b32_e32 v3, 2, v18
	ds_bpermute_b32 v1, v1, v2
	s_wait_dscnt 0x0
	v_add_nc_u32_e32 v1, v1, v2
	v_or_b32_e32 v2, 16, v3
	ds_bpermute_b32 v2, v2, v1
	s_wait_dscnt 0x0
	v_add_nc_u32_e32 v1, v2, v1
.LBB581_5:
	s_wait_alu 0xfffe
	s_or_b32 exec_lo, exec_lo, s2
	s_branch .LBB581_44
.LBB581_6:
                                        ; implicit-def: $vgpr1
	s_cbranch_execz .LBB581_44
; %bb.7:
	v_mov_b32_e32 v1, 0
	s_sub_co_i32 s18, s38, s46
	s_mov_b32 s3, exec_lo
	s_delay_alu instid0(VALU_DEP_1)
	v_dual_mov_b32 v2, v1 :: v_dual_mov_b32 v3, v1
	v_dual_mov_b32 v4, v1 :: v_dual_mov_b32 v5, v1
	;; [unrolled: 1-line block ×7, first 2 shown]
	v_mov_b32_e32 v16, v1
	v_cmpx_gt_u32_e64 s18, v0
	s_cbranch_execz .LBB581_9
; %bb.8:
	global_load_b64 v[9:10], v19, s[36:37]
	v_dual_mov_b32 v3, v1 :: v_dual_mov_b32 v4, v1
	v_dual_mov_b32 v5, v1 :: v_dual_mov_b32 v6, v1
	;; [unrolled: 1-line block ×6, first 2 shown]
	v_mov_b32_e32 v17, v1
	s_wait_loadcnt 0x0
	v_cmp_neq_f32_e32 vcc_lo, 0, v9
	v_cmp_neq_f32_e64 s2, 0, v10
	v_dual_mov_b32 v9, v1 :: v_dual_mov_b32 v10, v1
	s_or_b32 s2, vcc_lo, s2
	s_delay_alu instid0(SALU_CYCLE_1) | instskip(NEXT) | instid1(VALU_DEP_1)
	v_cndmask_b32_e64 v2, 0, 1, s2
	v_and_b32_e32 v2, 0xffff, v2
	s_delay_alu instid0(VALU_DEP_1)
	v_mov_b32_e32 v1, v2
	v_mov_b32_e32 v2, v3
	;; [unrolled: 1-line block ×16, first 2 shown]
.LBB581_9:
	s_or_b32 exec_lo, exec_lo, s3
	v_or_b32_e32 v17, 0x100, v0
	s_delay_alu instid0(VALU_DEP_1)
	v_cmp_gt_u32_e32 vcc_lo, s18, v17
	s_and_saveexec_b32 s4, vcc_lo
	s_cbranch_execz .LBB581_11
; %bb.10:
	global_load_b64 v[20:21], v19, s[36:37] offset:2048
	s_wait_loadcnt 0x0
	v_cmp_neq_f32_e64 s2, 0, v20
	v_cmp_neq_f32_e64 s3, 0, v21
	s_or_b32 s2, s2, s3
	s_wait_alu 0xfffe
	v_cndmask_b32_e64 v2, 0, 1, s2
.LBB581_11:
	s_or_b32 exec_lo, exec_lo, s4
	v_or_b32_e32 v17, 0x200, v0
	s_delay_alu instid0(VALU_DEP_1)
	v_cmp_gt_u32_e64 s2, s18, v17
	s_and_saveexec_b32 s5, s2
	s_cbranch_execz .LBB581_13
; %bb.12:
	global_load_b64 v[20:21], v19, s[36:37] offset:4096
	s_wait_loadcnt 0x0
	v_cmp_neq_f32_e64 s3, 0, v20
	v_cmp_neq_f32_e64 s4, 0, v21
	s_or_b32 s3, s3, s4
	s_wait_alu 0xfffe
	v_cndmask_b32_e64 v3, 0, 1, s3
.LBB581_13:
	s_or_b32 exec_lo, exec_lo, s5
	v_or_b32_e32 v17, 0x300, v0
	s_delay_alu instid0(VALU_DEP_1)
	v_cmp_gt_u32_e64 s3, s18, v17
	s_and_saveexec_b32 s6, s3
	s_cbranch_execz .LBB581_15
; %bb.14:
	global_load_b64 v[20:21], v19, s[36:37] offset:6144
	s_wait_loadcnt 0x0
	v_cmp_neq_f32_e64 s4, 0, v20
	v_cmp_neq_f32_e64 s5, 0, v21
	s_or_b32 s4, s4, s5
	s_delay_alu instid0(SALU_CYCLE_1)
	v_cndmask_b32_e64 v4, 0, 1, s4
.LBB581_15:
	s_or_b32 exec_lo, exec_lo, s6
	v_or_b32_e32 v17, 0x400, v0
	s_delay_alu instid0(VALU_DEP_1)
	v_cmp_gt_u32_e64 s4, s18, v17
	s_and_saveexec_b32 s7, s4
	s_cbranch_execz .LBB581_17
; %bb.16:
	global_load_b64 v[20:21], v19, s[36:37] offset:8192
	s_wait_loadcnt 0x0
	v_cmp_neq_f32_e64 s5, 0, v20
	v_cmp_neq_f32_e64 s6, 0, v21
	s_or_b32 s5, s5, s6
	s_wait_alu 0xfffe
	v_cndmask_b32_e64 v5, 0, 1, s5
.LBB581_17:
	s_or_b32 exec_lo, exec_lo, s7
	v_or_b32_e32 v17, 0x500, v0
	s_delay_alu instid0(VALU_DEP_1)
	v_cmp_gt_u32_e64 s5, s18, v17
	s_and_saveexec_b32 s8, s5
	s_cbranch_execz .LBB581_19
; %bb.18:
	global_load_b64 v[20:21], v19, s[36:37] offset:10240
	s_wait_loadcnt 0x0
	v_cmp_neq_f32_e64 s6, 0, v20
	v_cmp_neq_f32_e64 s7, 0, v21
	s_or_b32 s6, s6, s7
	s_delay_alu instid0(SALU_CYCLE_1)
	v_cndmask_b32_e64 v6, 0, 1, s6
.LBB581_19:
	s_or_b32 exec_lo, exec_lo, s8
	v_or_b32_e32 v17, 0x600, v0
	s_delay_alu instid0(VALU_DEP_1)
	v_cmp_gt_u32_e64 s6, s18, v17
	s_and_saveexec_b32 s9, s6
	s_cbranch_execz .LBB581_21
; %bb.20:
	global_load_b64 v[20:21], v19, s[36:37] offset:12288
	s_wait_loadcnt 0x0
	v_cmp_neq_f32_e64 s7, 0, v20
	v_cmp_neq_f32_e64 s8, 0, v21
	s_or_b32 s7, s7, s8
	s_wait_alu 0xfffe
	v_cndmask_b32_e64 v7, 0, 1, s7
.LBB581_21:
	s_or_b32 exec_lo, exec_lo, s9
	v_or_b32_e32 v17, 0x700, v0
	s_delay_alu instid0(VALU_DEP_1)
	v_cmp_gt_u32_e64 s7, s18, v17
	s_and_saveexec_b32 s10, s7
	s_cbranch_execz .LBB581_23
; %bb.22:
	global_load_b64 v[20:21], v19, s[36:37] offset:14336
	s_wait_loadcnt 0x0
	v_cmp_neq_f32_e64 s8, 0, v20
	v_cmp_neq_f32_e64 s9, 0, v21
	s_or_b32 s8, s8, s9
	s_delay_alu instid0(SALU_CYCLE_1)
	v_cndmask_b32_e64 v8, 0, 1, s8
.LBB581_23:
	s_or_b32 exec_lo, exec_lo, s10
	v_or_b32_e32 v17, 0x800, v0
	s_delay_alu instid0(VALU_DEP_1)
	v_cmp_gt_u32_e64 s8, s18, v17
	s_and_saveexec_b32 s11, s8
	s_cbranch_execz .LBB581_25
; %bb.24:
	global_load_b64 v[20:21], v19, s[36:37] offset:16384
	s_wait_loadcnt 0x0
	v_cmp_neq_f32_e64 s9, 0, v20
	v_cmp_neq_f32_e64 s10, 0, v21
	s_or_b32 s9, s9, s10
	s_wait_alu 0xfffe
	v_cndmask_b32_e64 v9, 0, 1, s9
.LBB581_25:
	s_or_b32 exec_lo, exec_lo, s11
	v_or_b32_e32 v17, 0x900, v0
	s_delay_alu instid0(VALU_DEP_1)
	v_cmp_gt_u32_e64 s9, s18, v17
	s_and_saveexec_b32 s12, s9
	s_cbranch_execz .LBB581_27
; %bb.26:
	global_load_b64 v[20:21], v19, s[36:37] offset:18432
	s_wait_loadcnt 0x0
	v_cmp_neq_f32_e64 s10, 0, v20
	v_cmp_neq_f32_e64 s11, 0, v21
	s_or_b32 s10, s10, s11
	s_delay_alu instid0(SALU_CYCLE_1)
	v_cndmask_b32_e64 v10, 0, 1, s10
.LBB581_27:
	s_or_b32 exec_lo, exec_lo, s12
	v_or_b32_e32 v17, 0xa00, v0
	s_delay_alu instid0(VALU_DEP_1)
	v_cmp_gt_u32_e64 s10, s18, v17
	s_and_saveexec_b32 s13, s10
	s_cbranch_execz .LBB581_29
; %bb.28:
	global_load_b64 v[20:21], v19, s[36:37] offset:20480
	s_wait_loadcnt 0x0
	v_cmp_neq_f32_e64 s11, 0, v20
	v_cmp_neq_f32_e64 s12, 0, v21
	s_or_b32 s11, s11, s12
	s_wait_alu 0xfffe
	v_cndmask_b32_e64 v11, 0, 1, s11
.LBB581_29:
	s_or_b32 exec_lo, exec_lo, s13
	v_or_b32_e32 v17, 0xb00, v0
	s_delay_alu instid0(VALU_DEP_1)
	v_cmp_gt_u32_e64 s11, s18, v17
	s_and_saveexec_b32 s14, s11
	s_cbranch_execz .LBB581_31
; %bb.30:
	global_load_b64 v[20:21], v19, s[36:37] offset:22528
	s_wait_loadcnt 0x0
	v_cmp_neq_f32_e64 s12, 0, v20
	v_cmp_neq_f32_e64 s13, 0, v21
	s_or_b32 s12, s12, s13
	s_delay_alu instid0(SALU_CYCLE_1)
	v_cndmask_b32_e64 v12, 0, 1, s12
.LBB581_31:
	s_or_b32 exec_lo, exec_lo, s14
	v_or_b32_e32 v17, 0xc00, v0
	s_delay_alu instid0(VALU_DEP_1)
	v_cmp_gt_u32_e64 s12, s18, v17
	s_and_saveexec_b32 s15, s12
	s_cbranch_execz .LBB581_33
; %bb.32:
	global_load_b64 v[20:21], v19, s[36:37] offset:24576
	s_wait_loadcnt 0x0
	v_cmp_neq_f32_e64 s13, 0, v20
	v_cmp_neq_f32_e64 s14, 0, v21
	s_or_b32 s13, s13, s14
	s_wait_alu 0xfffe
	v_cndmask_b32_e64 v13, 0, 1, s13
.LBB581_33:
	s_or_b32 exec_lo, exec_lo, s15
	v_or_b32_e32 v17, 0xd00, v0
	s_delay_alu instid0(VALU_DEP_1)
	v_cmp_gt_u32_e64 s13, s18, v17
	s_and_saveexec_b32 s16, s13
	s_cbranch_execz .LBB581_35
; %bb.34:
	global_load_b64 v[20:21], v19, s[36:37] offset:26624
	s_wait_loadcnt 0x0
	v_cmp_neq_f32_e64 s14, 0, v20
	v_cmp_neq_f32_e64 s15, 0, v21
	s_or_b32 s14, s14, s15
	s_delay_alu instid0(SALU_CYCLE_1)
	v_cndmask_b32_e64 v14, 0, 1, s14
.LBB581_35:
	s_or_b32 exec_lo, exec_lo, s16
	v_or_b32_e32 v17, 0xe00, v0
	s_delay_alu instid0(VALU_DEP_1)
	v_cmp_gt_u32_e64 s14, s18, v17
	s_and_saveexec_b32 s17, s14
	s_cbranch_execz .LBB581_37
; %bb.36:
	global_load_b64 v[20:21], v19, s[36:37] offset:28672
	s_wait_loadcnt 0x0
	v_cmp_neq_f32_e64 s15, 0, v20
	v_cmp_neq_f32_e64 s16, 0, v21
	s_or_b32 s15, s15, s16
	s_wait_alu 0xfffe
	v_cndmask_b32_e64 v15, 0, 1, s15
.LBB581_37:
	s_or_b32 exec_lo, exec_lo, s17
	v_or_b32_e32 v17, 0xf00, v0
	s_delay_alu instid0(VALU_DEP_1)
	v_cmp_gt_u32_e64 s15, s18, v17
	s_and_saveexec_b32 s19, s15
	s_cbranch_execz .LBB581_39
; %bb.38:
	global_load_b64 v[16:17], v19, s[36:37] offset:30720
	s_wait_loadcnt 0x0
	v_cmp_neq_f32_e64 s16, 0, v16
	v_cmp_neq_f32_e64 s17, 0, v17
	s_or_b32 s16, s16, s17
	s_delay_alu instid0(SALU_CYCLE_1)
	v_cndmask_b32_e64 v16, 0, 1, s16
.LBB581_39:
	s_wait_alu 0xfffe
	s_or_b32 exec_lo, exec_lo, s19
	v_cndmask_b32_e32 v2, 0, v2, vcc_lo
	v_cndmask_b32_e64 v3, 0, v3, s2
	v_cndmask_b32_e64 v4, 0, v4, s3
	v_cmp_ne_u32_e32 vcc_lo, 31, v18
	s_min_u32 s2, s18, 0x100
	v_add_nc_u32_e32 v1, v2, v1
	v_cndmask_b32_e64 v2, 0, v5, s4
	v_cndmask_b32_e64 v5, 0, v6, s5
	;; [unrolled: 1-line block ×3, first 2 shown]
	s_mov_b32 s3, exec_lo
	v_add3_u32 v1, v1, v3, v4
	v_cndmask_b32_e64 v3, 0, v7, s6
	v_cndmask_b32_e64 v4, 0, v8, s7
	s_delay_alu instid0(VALU_DEP_3) | instskip(SKIP_2) | instid1(VALU_DEP_3)
	v_add3_u32 v1, v1, v2, v5
	v_cndmask_b32_e64 v2, 0, v9, s8
	v_cndmask_b32_e64 v5, 0, v10, s9
	v_add3_u32 v1, v1, v3, v4
	v_cndmask_b32_e64 v3, 0, v11, s10
	v_cndmask_b32_e64 v4, 0, v12, s11
	s_delay_alu instid0(VALU_DEP_3) | instskip(SKIP_2) | instid1(VALU_DEP_3)
	v_add3_u32 v1, v1, v2, v5
	v_cndmask_b32_e64 v2, 0, v13, s12
	v_cndmask_b32_e64 v5, 0, v14, s13
	v_add3_u32 v1, v1, v3, v4
	v_cndmask_b32_e64 v3, 0, v16, s15
	s_wait_alu 0xfffd
	v_add_co_ci_u32_e64 v4, null, 0, v18, vcc_lo
	v_cmp_gt_u32_e32 vcc_lo, 30, v18
	v_add3_u32 v1, v1, v2, v5
	s_delay_alu instid0(VALU_DEP_3)
	v_lshlrev_b32_e32 v2, 2, v4
	v_add_nc_u32_e32 v4, 1, v18
	s_wait_alu 0xfffd
	v_cndmask_b32_e64 v5, 0, 2, vcc_lo
	v_add3_u32 v1, v1, v6, v3
	v_and_b32_e32 v3, 0xe0, v0
	ds_bpermute_b32 v2, v2, v1
	s_wait_alu 0xfffe
	v_sub_nc_u32_e64 v3, s2, v3 clamp
	s_delay_alu instid0(VALU_DEP_1)
	v_cmp_lt_u32_e32 vcc_lo, v4, v3
	v_add_lshl_u32 v4, v5, v18, 2
	s_wait_dscnt 0x0
	s_wait_alu 0xfffd
	v_cndmask_b32_e32 v2, 0, v2, vcc_lo
	v_cmp_gt_u32_e32 vcc_lo, 28, v18
	s_delay_alu instid0(VALU_DEP_2) | instskip(SKIP_4) | instid1(VALU_DEP_1)
	v_add_nc_u32_e32 v1, v1, v2
	s_wait_alu 0xfffd
	v_cndmask_b32_e64 v5, 0, 4, vcc_lo
	ds_bpermute_b32 v2, v4, v1
	v_add_nc_u32_e32 v4, 2, v18
	v_cmp_lt_u32_e32 vcc_lo, v4, v3
	v_add_lshl_u32 v4, v5, v18, 2
	s_wait_dscnt 0x0
	s_wait_alu 0xfffd
	v_cndmask_b32_e32 v2, 0, v2, vcc_lo
	v_cmp_gt_u32_e32 vcc_lo, 24, v18
	s_delay_alu instid0(VALU_DEP_2) | instskip(SKIP_4) | instid1(VALU_DEP_1)
	v_add_nc_u32_e32 v1, v1, v2
	s_wait_alu 0xfffd
	v_cndmask_b32_e64 v5, 0, 8, vcc_lo
	ds_bpermute_b32 v2, v4, v1
	v_add_nc_u32_e32 v4, 4, v18
	v_cmp_lt_u32_e32 vcc_lo, v4, v3
	v_add_lshl_u32 v4, v5, v18, 2
	v_add_nc_u32_e32 v5, 8, v18
	s_wait_dscnt 0x0
	s_wait_alu 0xfffd
	v_cndmask_b32_e32 v2, 0, v2, vcc_lo
	s_delay_alu instid0(VALU_DEP_2) | instskip(NEXT) | instid1(VALU_DEP_2)
	v_cmp_lt_u32_e32 vcc_lo, v5, v3
	v_add_nc_u32_e32 v1, v1, v2
	v_lshlrev_b32_e32 v2, 2, v18
	ds_bpermute_b32 v4, v4, v1
	v_or_b32_e32 v5, 64, v2
	s_wait_dscnt 0x0
	s_wait_alu 0xfffd
	v_cndmask_b32_e32 v4, 0, v4, vcc_lo
	s_delay_alu instid0(VALU_DEP_1) | instskip(SKIP_2) | instid1(VALU_DEP_1)
	v_add_nc_u32_e32 v1, v1, v4
	ds_bpermute_b32 v4, v5, v1
	v_add_nc_u32_e32 v5, 16, v18
	v_cmp_lt_u32_e32 vcc_lo, v5, v3
	s_wait_dscnt 0x0
	s_wait_alu 0xfffd
	v_cndmask_b32_e32 v3, 0, v4, vcc_lo
	s_delay_alu instid0(VALU_DEP_1)
	v_add_nc_u32_e32 v1, v1, v3
	v_cmpx_eq_u32_e32 0, v18
; %bb.40:
	v_lshrrev_b32_e32 v3, 3, v0
	s_delay_alu instid0(VALU_DEP_1)
	v_and_b32_e32 v3, 28, v3
	ds_store_b32 v3, v1 offset:32
; %bb.41:
	s_or_b32 exec_lo, exec_lo, s3
	s_delay_alu instid0(SALU_CYCLE_1)
	s_mov_b32 s3, exec_lo
	s_wait_loadcnt_dscnt 0x0
	s_barrier_signal -1
	s_barrier_wait -1
	global_inv scope:SCOPE_SE
	v_cmpx_gt_u32_e32 8, v0
	s_cbranch_execz .LBB581_43
; %bb.42:
	ds_load_b32 v1, v2 offset:32
	v_and_b32_e32 v3, 7, v18
	s_add_co_i32 s2, s2, 31
	v_or_b32_e32 v2, 16, v2
	s_wait_alu 0xfffe
	s_lshr_b32 s2, s2, 5
	v_cmp_ne_u32_e32 vcc_lo, 7, v3
	v_add_nc_u32_e32 v5, 1, v3
	s_wait_alu 0xfffd
	v_add_co_ci_u32_e64 v4, null, 0, v18, vcc_lo
	v_cmp_gt_u32_e32 vcc_lo, 6, v3
	s_delay_alu instid0(VALU_DEP_2)
	v_lshlrev_b32_e32 v4, 2, v4
	s_wait_alu 0xfffd
	v_cndmask_b32_e64 v6, 0, 2, vcc_lo
	s_wait_alu 0xfffe
	v_cmp_gt_u32_e32 vcc_lo, s2, v5
	s_wait_dscnt 0x0
	ds_bpermute_b32 v4, v4, v1
	v_add_lshl_u32 v5, v6, v18, 2
	s_wait_dscnt 0x0
	s_wait_alu 0xfffd
	v_cndmask_b32_e32 v4, 0, v4, vcc_lo
	s_delay_alu instid0(VALU_DEP_1) | instskip(SKIP_3) | instid1(VALU_DEP_2)
	v_add_nc_u32_e32 v1, v4, v1
	ds_bpermute_b32 v4, v5, v1
	v_add_nc_u32_e32 v5, 2, v3
	v_add_nc_u32_e32 v3, 4, v3
	v_cmp_gt_u32_e32 vcc_lo, s2, v5
	s_wait_dscnt 0x0
	s_wait_alu 0xfffd
	v_cndmask_b32_e32 v4, 0, v4, vcc_lo
	v_cmp_gt_u32_e32 vcc_lo, s2, v3
	s_delay_alu instid0(VALU_DEP_2) | instskip(SKIP_4) | instid1(VALU_DEP_1)
	v_add_nc_u32_e32 v1, v1, v4
	ds_bpermute_b32 v2, v2, v1
	s_wait_dscnt 0x0
	s_wait_alu 0xfffd
	v_cndmask_b32_e32 v2, 0, v2, vcc_lo
	v_add_nc_u32_e32 v1, v1, v2
.LBB581_43:
	s_wait_alu 0xfffe
	s_or_b32 exec_lo, exec_lo, s3
.LBB581_44:
	s_load_b32 s0, s[0:1], 0x38
	s_mov_b32 s1, exec_lo
	v_cmpx_eq_u32_e32 0, v0
	s_cbranch_execz .LBB581_46
; %bb.45:
	s_mul_u64 s[2:3], s[44:45], s[42:43]
	s_wait_alu 0xfffe
	s_lshl_b64 s[2:3], s[2:3], 2
	s_cmp_eq_u64 s[38:39], 0
	s_wait_alu 0xfffe
	s_add_nc_u64 s[2:3], s[40:41], s[2:3]
	s_cselect_b32 s1, -1, 0
	s_wait_kmcnt 0x0
	v_cndmask_b32_e64 v0, v1, s0, s1
	v_mov_b32_e32 v1, 0
	s_lshl_b64 s[0:1], s[34:35], 2
	s_wait_alu 0xfffe
	s_add_nc_u64 s[0:1], s[2:3], s[0:1]
	global_store_b32 v1, v0, s[0:1]
.LBB581_46:
	s_endpgm
	.section	.rodata,"a",@progbits
	.p2align	6, 0x0
	.amdhsa_kernel _ZN7rocprim17ROCPRIM_400000_NS6detail17trampoline_kernelINS0_14default_configENS1_22reduce_config_selectorIbEEZNS1_11reduce_implILb1ES3_N6hipcub16HIPCUB_304000_NS22TransformInputIteratorIbN2at6native12_GLOBAL__N_19NonZeroOpIN3c107complexIfEEEEPKSG_lEEPiiNS8_6detail34convert_binary_result_type_wrapperINS8_3SumESK_iEEEE10hipError_tPvRmT1_T2_T3_mT4_P12ihipStream_tbEUlT_E0_NS1_11comp_targetILNS1_3genE10ELNS1_11target_archE1201ELNS1_3gpuE5ELNS1_3repE0EEENS1_30default_config_static_selectorELNS0_4arch9wavefront6targetE0EEEvST_
		.amdhsa_group_segment_fixed_size 64
		.amdhsa_private_segment_fixed_size 0
		.amdhsa_kernarg_size 64
		.amdhsa_user_sgpr_count 2
		.amdhsa_user_sgpr_dispatch_ptr 0
		.amdhsa_user_sgpr_queue_ptr 0
		.amdhsa_user_sgpr_kernarg_segment_ptr 1
		.amdhsa_user_sgpr_dispatch_id 0
		.amdhsa_user_sgpr_private_segment_size 0
		.amdhsa_wavefront_size32 1
		.amdhsa_uses_dynamic_stack 0
		.amdhsa_enable_private_segment 0
		.amdhsa_system_sgpr_workgroup_id_x 1
		.amdhsa_system_sgpr_workgroup_id_y 0
		.amdhsa_system_sgpr_workgroup_id_z 0
		.amdhsa_system_sgpr_workgroup_info 0
		.amdhsa_system_vgpr_workitem_id 0
		.amdhsa_next_free_vgpr 36
		.amdhsa_next_free_sgpr 48
		.amdhsa_reserve_vcc 1
		.amdhsa_float_round_mode_32 0
		.amdhsa_float_round_mode_16_64 0
		.amdhsa_float_denorm_mode_32 3
		.amdhsa_float_denorm_mode_16_64 3
		.amdhsa_fp16_overflow 0
		.amdhsa_workgroup_processor_mode 1
		.amdhsa_memory_ordered 1
		.amdhsa_forward_progress 1
		.amdhsa_inst_pref_size 28
		.amdhsa_round_robin_scheduling 0
		.amdhsa_exception_fp_ieee_invalid_op 0
		.amdhsa_exception_fp_denorm_src 0
		.amdhsa_exception_fp_ieee_div_zero 0
		.amdhsa_exception_fp_ieee_overflow 0
		.amdhsa_exception_fp_ieee_underflow 0
		.amdhsa_exception_fp_ieee_inexact 0
		.amdhsa_exception_int_div_zero 0
	.end_amdhsa_kernel
	.section	.text._ZN7rocprim17ROCPRIM_400000_NS6detail17trampoline_kernelINS0_14default_configENS1_22reduce_config_selectorIbEEZNS1_11reduce_implILb1ES3_N6hipcub16HIPCUB_304000_NS22TransformInputIteratorIbN2at6native12_GLOBAL__N_19NonZeroOpIN3c107complexIfEEEEPKSG_lEEPiiNS8_6detail34convert_binary_result_type_wrapperINS8_3SumESK_iEEEE10hipError_tPvRmT1_T2_T3_mT4_P12ihipStream_tbEUlT_E0_NS1_11comp_targetILNS1_3genE10ELNS1_11target_archE1201ELNS1_3gpuE5ELNS1_3repE0EEENS1_30default_config_static_selectorELNS0_4arch9wavefront6targetE0EEEvST_,"axG",@progbits,_ZN7rocprim17ROCPRIM_400000_NS6detail17trampoline_kernelINS0_14default_configENS1_22reduce_config_selectorIbEEZNS1_11reduce_implILb1ES3_N6hipcub16HIPCUB_304000_NS22TransformInputIteratorIbN2at6native12_GLOBAL__N_19NonZeroOpIN3c107complexIfEEEEPKSG_lEEPiiNS8_6detail34convert_binary_result_type_wrapperINS8_3SumESK_iEEEE10hipError_tPvRmT1_T2_T3_mT4_P12ihipStream_tbEUlT_E0_NS1_11comp_targetILNS1_3genE10ELNS1_11target_archE1201ELNS1_3gpuE5ELNS1_3repE0EEENS1_30default_config_static_selectorELNS0_4arch9wavefront6targetE0EEEvST_,comdat
.Lfunc_end581:
	.size	_ZN7rocprim17ROCPRIM_400000_NS6detail17trampoline_kernelINS0_14default_configENS1_22reduce_config_selectorIbEEZNS1_11reduce_implILb1ES3_N6hipcub16HIPCUB_304000_NS22TransformInputIteratorIbN2at6native12_GLOBAL__N_19NonZeroOpIN3c107complexIfEEEEPKSG_lEEPiiNS8_6detail34convert_binary_result_type_wrapperINS8_3SumESK_iEEEE10hipError_tPvRmT1_T2_T3_mT4_P12ihipStream_tbEUlT_E0_NS1_11comp_targetILNS1_3genE10ELNS1_11target_archE1201ELNS1_3gpuE5ELNS1_3repE0EEENS1_30default_config_static_selectorELNS0_4arch9wavefront6targetE0EEEvST_, .Lfunc_end581-_ZN7rocprim17ROCPRIM_400000_NS6detail17trampoline_kernelINS0_14default_configENS1_22reduce_config_selectorIbEEZNS1_11reduce_implILb1ES3_N6hipcub16HIPCUB_304000_NS22TransformInputIteratorIbN2at6native12_GLOBAL__N_19NonZeroOpIN3c107complexIfEEEEPKSG_lEEPiiNS8_6detail34convert_binary_result_type_wrapperINS8_3SumESK_iEEEE10hipError_tPvRmT1_T2_T3_mT4_P12ihipStream_tbEUlT_E0_NS1_11comp_targetILNS1_3genE10ELNS1_11target_archE1201ELNS1_3gpuE5ELNS1_3repE0EEENS1_30default_config_static_selectorELNS0_4arch9wavefront6targetE0EEEvST_
                                        ; -- End function
	.set _ZN7rocprim17ROCPRIM_400000_NS6detail17trampoline_kernelINS0_14default_configENS1_22reduce_config_selectorIbEEZNS1_11reduce_implILb1ES3_N6hipcub16HIPCUB_304000_NS22TransformInputIteratorIbN2at6native12_GLOBAL__N_19NonZeroOpIN3c107complexIfEEEEPKSG_lEEPiiNS8_6detail34convert_binary_result_type_wrapperINS8_3SumESK_iEEEE10hipError_tPvRmT1_T2_T3_mT4_P12ihipStream_tbEUlT_E0_NS1_11comp_targetILNS1_3genE10ELNS1_11target_archE1201ELNS1_3gpuE5ELNS1_3repE0EEENS1_30default_config_static_selectorELNS0_4arch9wavefront6targetE0EEEvST_.num_vgpr, 36
	.set _ZN7rocprim17ROCPRIM_400000_NS6detail17trampoline_kernelINS0_14default_configENS1_22reduce_config_selectorIbEEZNS1_11reduce_implILb1ES3_N6hipcub16HIPCUB_304000_NS22TransformInputIteratorIbN2at6native12_GLOBAL__N_19NonZeroOpIN3c107complexIfEEEEPKSG_lEEPiiNS8_6detail34convert_binary_result_type_wrapperINS8_3SumESK_iEEEE10hipError_tPvRmT1_T2_T3_mT4_P12ihipStream_tbEUlT_E0_NS1_11comp_targetILNS1_3genE10ELNS1_11target_archE1201ELNS1_3gpuE5ELNS1_3repE0EEENS1_30default_config_static_selectorELNS0_4arch9wavefront6targetE0EEEvST_.num_agpr, 0
	.set _ZN7rocprim17ROCPRIM_400000_NS6detail17trampoline_kernelINS0_14default_configENS1_22reduce_config_selectorIbEEZNS1_11reduce_implILb1ES3_N6hipcub16HIPCUB_304000_NS22TransformInputIteratorIbN2at6native12_GLOBAL__N_19NonZeroOpIN3c107complexIfEEEEPKSG_lEEPiiNS8_6detail34convert_binary_result_type_wrapperINS8_3SumESK_iEEEE10hipError_tPvRmT1_T2_T3_mT4_P12ihipStream_tbEUlT_E0_NS1_11comp_targetILNS1_3genE10ELNS1_11target_archE1201ELNS1_3gpuE5ELNS1_3repE0EEENS1_30default_config_static_selectorELNS0_4arch9wavefront6targetE0EEEvST_.numbered_sgpr, 48
	.set _ZN7rocprim17ROCPRIM_400000_NS6detail17trampoline_kernelINS0_14default_configENS1_22reduce_config_selectorIbEEZNS1_11reduce_implILb1ES3_N6hipcub16HIPCUB_304000_NS22TransformInputIteratorIbN2at6native12_GLOBAL__N_19NonZeroOpIN3c107complexIfEEEEPKSG_lEEPiiNS8_6detail34convert_binary_result_type_wrapperINS8_3SumESK_iEEEE10hipError_tPvRmT1_T2_T3_mT4_P12ihipStream_tbEUlT_E0_NS1_11comp_targetILNS1_3genE10ELNS1_11target_archE1201ELNS1_3gpuE5ELNS1_3repE0EEENS1_30default_config_static_selectorELNS0_4arch9wavefront6targetE0EEEvST_.num_named_barrier, 0
	.set _ZN7rocprim17ROCPRIM_400000_NS6detail17trampoline_kernelINS0_14default_configENS1_22reduce_config_selectorIbEEZNS1_11reduce_implILb1ES3_N6hipcub16HIPCUB_304000_NS22TransformInputIteratorIbN2at6native12_GLOBAL__N_19NonZeroOpIN3c107complexIfEEEEPKSG_lEEPiiNS8_6detail34convert_binary_result_type_wrapperINS8_3SumESK_iEEEE10hipError_tPvRmT1_T2_T3_mT4_P12ihipStream_tbEUlT_E0_NS1_11comp_targetILNS1_3genE10ELNS1_11target_archE1201ELNS1_3gpuE5ELNS1_3repE0EEENS1_30default_config_static_selectorELNS0_4arch9wavefront6targetE0EEEvST_.private_seg_size, 0
	.set _ZN7rocprim17ROCPRIM_400000_NS6detail17trampoline_kernelINS0_14default_configENS1_22reduce_config_selectorIbEEZNS1_11reduce_implILb1ES3_N6hipcub16HIPCUB_304000_NS22TransformInputIteratorIbN2at6native12_GLOBAL__N_19NonZeroOpIN3c107complexIfEEEEPKSG_lEEPiiNS8_6detail34convert_binary_result_type_wrapperINS8_3SumESK_iEEEE10hipError_tPvRmT1_T2_T3_mT4_P12ihipStream_tbEUlT_E0_NS1_11comp_targetILNS1_3genE10ELNS1_11target_archE1201ELNS1_3gpuE5ELNS1_3repE0EEENS1_30default_config_static_selectorELNS0_4arch9wavefront6targetE0EEEvST_.uses_vcc, 1
	.set _ZN7rocprim17ROCPRIM_400000_NS6detail17trampoline_kernelINS0_14default_configENS1_22reduce_config_selectorIbEEZNS1_11reduce_implILb1ES3_N6hipcub16HIPCUB_304000_NS22TransformInputIteratorIbN2at6native12_GLOBAL__N_19NonZeroOpIN3c107complexIfEEEEPKSG_lEEPiiNS8_6detail34convert_binary_result_type_wrapperINS8_3SumESK_iEEEE10hipError_tPvRmT1_T2_T3_mT4_P12ihipStream_tbEUlT_E0_NS1_11comp_targetILNS1_3genE10ELNS1_11target_archE1201ELNS1_3gpuE5ELNS1_3repE0EEENS1_30default_config_static_selectorELNS0_4arch9wavefront6targetE0EEEvST_.uses_flat_scratch, 0
	.set _ZN7rocprim17ROCPRIM_400000_NS6detail17trampoline_kernelINS0_14default_configENS1_22reduce_config_selectorIbEEZNS1_11reduce_implILb1ES3_N6hipcub16HIPCUB_304000_NS22TransformInputIteratorIbN2at6native12_GLOBAL__N_19NonZeroOpIN3c107complexIfEEEEPKSG_lEEPiiNS8_6detail34convert_binary_result_type_wrapperINS8_3SumESK_iEEEE10hipError_tPvRmT1_T2_T3_mT4_P12ihipStream_tbEUlT_E0_NS1_11comp_targetILNS1_3genE10ELNS1_11target_archE1201ELNS1_3gpuE5ELNS1_3repE0EEENS1_30default_config_static_selectorELNS0_4arch9wavefront6targetE0EEEvST_.has_dyn_sized_stack, 0
	.set _ZN7rocprim17ROCPRIM_400000_NS6detail17trampoline_kernelINS0_14default_configENS1_22reduce_config_selectorIbEEZNS1_11reduce_implILb1ES3_N6hipcub16HIPCUB_304000_NS22TransformInputIteratorIbN2at6native12_GLOBAL__N_19NonZeroOpIN3c107complexIfEEEEPKSG_lEEPiiNS8_6detail34convert_binary_result_type_wrapperINS8_3SumESK_iEEEE10hipError_tPvRmT1_T2_T3_mT4_P12ihipStream_tbEUlT_E0_NS1_11comp_targetILNS1_3genE10ELNS1_11target_archE1201ELNS1_3gpuE5ELNS1_3repE0EEENS1_30default_config_static_selectorELNS0_4arch9wavefront6targetE0EEEvST_.has_recursion, 0
	.set _ZN7rocprim17ROCPRIM_400000_NS6detail17trampoline_kernelINS0_14default_configENS1_22reduce_config_selectorIbEEZNS1_11reduce_implILb1ES3_N6hipcub16HIPCUB_304000_NS22TransformInputIteratorIbN2at6native12_GLOBAL__N_19NonZeroOpIN3c107complexIfEEEEPKSG_lEEPiiNS8_6detail34convert_binary_result_type_wrapperINS8_3SumESK_iEEEE10hipError_tPvRmT1_T2_T3_mT4_P12ihipStream_tbEUlT_E0_NS1_11comp_targetILNS1_3genE10ELNS1_11target_archE1201ELNS1_3gpuE5ELNS1_3repE0EEENS1_30default_config_static_selectorELNS0_4arch9wavefront6targetE0EEEvST_.has_indirect_call, 0
	.section	.AMDGPU.csdata,"",@progbits
; Kernel info:
; codeLenInByte = 3472
; TotalNumSgprs: 50
; NumVgprs: 36
; ScratchSize: 0
; MemoryBound: 0
; FloatMode: 240
; IeeeMode: 1
; LDSByteSize: 64 bytes/workgroup (compile time only)
; SGPRBlocks: 0
; VGPRBlocks: 4
; NumSGPRsForWavesPerEU: 50
; NumVGPRsForWavesPerEU: 36
; Occupancy: 16
; WaveLimiterHint : 1
; COMPUTE_PGM_RSRC2:SCRATCH_EN: 0
; COMPUTE_PGM_RSRC2:USER_SGPR: 2
; COMPUTE_PGM_RSRC2:TRAP_HANDLER: 0
; COMPUTE_PGM_RSRC2:TGID_X_EN: 1
; COMPUTE_PGM_RSRC2:TGID_Y_EN: 0
; COMPUTE_PGM_RSRC2:TGID_Z_EN: 0
; COMPUTE_PGM_RSRC2:TIDIG_COMP_CNT: 0
	.section	.text._ZN7rocprim17ROCPRIM_400000_NS6detail17trampoline_kernelINS0_14default_configENS1_22reduce_config_selectorIbEEZNS1_11reduce_implILb1ES3_N6hipcub16HIPCUB_304000_NS22TransformInputIteratorIbN2at6native12_GLOBAL__N_19NonZeroOpIN3c107complexIfEEEEPKSG_lEEPiiNS8_6detail34convert_binary_result_type_wrapperINS8_3SumESK_iEEEE10hipError_tPvRmT1_T2_T3_mT4_P12ihipStream_tbEUlT_E0_NS1_11comp_targetILNS1_3genE10ELNS1_11target_archE1200ELNS1_3gpuE4ELNS1_3repE0EEENS1_30default_config_static_selectorELNS0_4arch9wavefront6targetE0EEEvST_,"axG",@progbits,_ZN7rocprim17ROCPRIM_400000_NS6detail17trampoline_kernelINS0_14default_configENS1_22reduce_config_selectorIbEEZNS1_11reduce_implILb1ES3_N6hipcub16HIPCUB_304000_NS22TransformInputIteratorIbN2at6native12_GLOBAL__N_19NonZeroOpIN3c107complexIfEEEEPKSG_lEEPiiNS8_6detail34convert_binary_result_type_wrapperINS8_3SumESK_iEEEE10hipError_tPvRmT1_T2_T3_mT4_P12ihipStream_tbEUlT_E0_NS1_11comp_targetILNS1_3genE10ELNS1_11target_archE1200ELNS1_3gpuE4ELNS1_3repE0EEENS1_30default_config_static_selectorELNS0_4arch9wavefront6targetE0EEEvST_,comdat
	.globl	_ZN7rocprim17ROCPRIM_400000_NS6detail17trampoline_kernelINS0_14default_configENS1_22reduce_config_selectorIbEEZNS1_11reduce_implILb1ES3_N6hipcub16HIPCUB_304000_NS22TransformInputIteratorIbN2at6native12_GLOBAL__N_19NonZeroOpIN3c107complexIfEEEEPKSG_lEEPiiNS8_6detail34convert_binary_result_type_wrapperINS8_3SumESK_iEEEE10hipError_tPvRmT1_T2_T3_mT4_P12ihipStream_tbEUlT_E0_NS1_11comp_targetILNS1_3genE10ELNS1_11target_archE1200ELNS1_3gpuE4ELNS1_3repE0EEENS1_30default_config_static_selectorELNS0_4arch9wavefront6targetE0EEEvST_ ; -- Begin function _ZN7rocprim17ROCPRIM_400000_NS6detail17trampoline_kernelINS0_14default_configENS1_22reduce_config_selectorIbEEZNS1_11reduce_implILb1ES3_N6hipcub16HIPCUB_304000_NS22TransformInputIteratorIbN2at6native12_GLOBAL__N_19NonZeroOpIN3c107complexIfEEEEPKSG_lEEPiiNS8_6detail34convert_binary_result_type_wrapperINS8_3SumESK_iEEEE10hipError_tPvRmT1_T2_T3_mT4_P12ihipStream_tbEUlT_E0_NS1_11comp_targetILNS1_3genE10ELNS1_11target_archE1200ELNS1_3gpuE4ELNS1_3repE0EEENS1_30default_config_static_selectorELNS0_4arch9wavefront6targetE0EEEvST_
	.p2align	8
	.type	_ZN7rocprim17ROCPRIM_400000_NS6detail17trampoline_kernelINS0_14default_configENS1_22reduce_config_selectorIbEEZNS1_11reduce_implILb1ES3_N6hipcub16HIPCUB_304000_NS22TransformInputIteratorIbN2at6native12_GLOBAL__N_19NonZeroOpIN3c107complexIfEEEEPKSG_lEEPiiNS8_6detail34convert_binary_result_type_wrapperINS8_3SumESK_iEEEE10hipError_tPvRmT1_T2_T3_mT4_P12ihipStream_tbEUlT_E0_NS1_11comp_targetILNS1_3genE10ELNS1_11target_archE1200ELNS1_3gpuE4ELNS1_3repE0EEENS1_30default_config_static_selectorELNS0_4arch9wavefront6targetE0EEEvST_,@function
_ZN7rocprim17ROCPRIM_400000_NS6detail17trampoline_kernelINS0_14default_configENS1_22reduce_config_selectorIbEEZNS1_11reduce_implILb1ES3_N6hipcub16HIPCUB_304000_NS22TransformInputIteratorIbN2at6native12_GLOBAL__N_19NonZeroOpIN3c107complexIfEEEEPKSG_lEEPiiNS8_6detail34convert_binary_result_type_wrapperINS8_3SumESK_iEEEE10hipError_tPvRmT1_T2_T3_mT4_P12ihipStream_tbEUlT_E0_NS1_11comp_targetILNS1_3genE10ELNS1_11target_archE1200ELNS1_3gpuE4ELNS1_3repE0EEENS1_30default_config_static_selectorELNS0_4arch9wavefront6targetE0EEEvST_: ; @_ZN7rocprim17ROCPRIM_400000_NS6detail17trampoline_kernelINS0_14default_configENS1_22reduce_config_selectorIbEEZNS1_11reduce_implILb1ES3_N6hipcub16HIPCUB_304000_NS22TransformInputIteratorIbN2at6native12_GLOBAL__N_19NonZeroOpIN3c107complexIfEEEEPKSG_lEEPiiNS8_6detail34convert_binary_result_type_wrapperINS8_3SumESK_iEEEE10hipError_tPvRmT1_T2_T3_mT4_P12ihipStream_tbEUlT_E0_NS1_11comp_targetILNS1_3genE10ELNS1_11target_archE1200ELNS1_3gpuE4ELNS1_3repE0EEENS1_30default_config_static_selectorELNS0_4arch9wavefront6targetE0EEEvST_
; %bb.0:
	.section	.rodata,"a",@progbits
	.p2align	6, 0x0
	.amdhsa_kernel _ZN7rocprim17ROCPRIM_400000_NS6detail17trampoline_kernelINS0_14default_configENS1_22reduce_config_selectorIbEEZNS1_11reduce_implILb1ES3_N6hipcub16HIPCUB_304000_NS22TransformInputIteratorIbN2at6native12_GLOBAL__N_19NonZeroOpIN3c107complexIfEEEEPKSG_lEEPiiNS8_6detail34convert_binary_result_type_wrapperINS8_3SumESK_iEEEE10hipError_tPvRmT1_T2_T3_mT4_P12ihipStream_tbEUlT_E0_NS1_11comp_targetILNS1_3genE10ELNS1_11target_archE1200ELNS1_3gpuE4ELNS1_3repE0EEENS1_30default_config_static_selectorELNS0_4arch9wavefront6targetE0EEEvST_
		.amdhsa_group_segment_fixed_size 0
		.amdhsa_private_segment_fixed_size 0
		.amdhsa_kernarg_size 64
		.amdhsa_user_sgpr_count 2
		.amdhsa_user_sgpr_dispatch_ptr 0
		.amdhsa_user_sgpr_queue_ptr 0
		.amdhsa_user_sgpr_kernarg_segment_ptr 1
		.amdhsa_user_sgpr_dispatch_id 0
		.amdhsa_user_sgpr_private_segment_size 0
		.amdhsa_wavefront_size32 1
		.amdhsa_uses_dynamic_stack 0
		.amdhsa_enable_private_segment 0
		.amdhsa_system_sgpr_workgroup_id_x 1
		.amdhsa_system_sgpr_workgroup_id_y 0
		.amdhsa_system_sgpr_workgroup_id_z 0
		.amdhsa_system_sgpr_workgroup_info 0
		.amdhsa_system_vgpr_workitem_id 0
		.amdhsa_next_free_vgpr 1
		.amdhsa_next_free_sgpr 1
		.amdhsa_reserve_vcc 0
		.amdhsa_float_round_mode_32 0
		.amdhsa_float_round_mode_16_64 0
		.amdhsa_float_denorm_mode_32 3
		.amdhsa_float_denorm_mode_16_64 3
		.amdhsa_fp16_overflow 0
		.amdhsa_workgroup_processor_mode 1
		.amdhsa_memory_ordered 1
		.amdhsa_forward_progress 1
		.amdhsa_inst_pref_size 0
		.amdhsa_round_robin_scheduling 0
		.amdhsa_exception_fp_ieee_invalid_op 0
		.amdhsa_exception_fp_denorm_src 0
		.amdhsa_exception_fp_ieee_div_zero 0
		.amdhsa_exception_fp_ieee_overflow 0
		.amdhsa_exception_fp_ieee_underflow 0
		.amdhsa_exception_fp_ieee_inexact 0
		.amdhsa_exception_int_div_zero 0
	.end_amdhsa_kernel
	.section	.text._ZN7rocprim17ROCPRIM_400000_NS6detail17trampoline_kernelINS0_14default_configENS1_22reduce_config_selectorIbEEZNS1_11reduce_implILb1ES3_N6hipcub16HIPCUB_304000_NS22TransformInputIteratorIbN2at6native12_GLOBAL__N_19NonZeroOpIN3c107complexIfEEEEPKSG_lEEPiiNS8_6detail34convert_binary_result_type_wrapperINS8_3SumESK_iEEEE10hipError_tPvRmT1_T2_T3_mT4_P12ihipStream_tbEUlT_E0_NS1_11comp_targetILNS1_3genE10ELNS1_11target_archE1200ELNS1_3gpuE4ELNS1_3repE0EEENS1_30default_config_static_selectorELNS0_4arch9wavefront6targetE0EEEvST_,"axG",@progbits,_ZN7rocprim17ROCPRIM_400000_NS6detail17trampoline_kernelINS0_14default_configENS1_22reduce_config_selectorIbEEZNS1_11reduce_implILb1ES3_N6hipcub16HIPCUB_304000_NS22TransformInputIteratorIbN2at6native12_GLOBAL__N_19NonZeroOpIN3c107complexIfEEEEPKSG_lEEPiiNS8_6detail34convert_binary_result_type_wrapperINS8_3SumESK_iEEEE10hipError_tPvRmT1_T2_T3_mT4_P12ihipStream_tbEUlT_E0_NS1_11comp_targetILNS1_3genE10ELNS1_11target_archE1200ELNS1_3gpuE4ELNS1_3repE0EEENS1_30default_config_static_selectorELNS0_4arch9wavefront6targetE0EEEvST_,comdat
.Lfunc_end582:
	.size	_ZN7rocprim17ROCPRIM_400000_NS6detail17trampoline_kernelINS0_14default_configENS1_22reduce_config_selectorIbEEZNS1_11reduce_implILb1ES3_N6hipcub16HIPCUB_304000_NS22TransformInputIteratorIbN2at6native12_GLOBAL__N_19NonZeroOpIN3c107complexIfEEEEPKSG_lEEPiiNS8_6detail34convert_binary_result_type_wrapperINS8_3SumESK_iEEEE10hipError_tPvRmT1_T2_T3_mT4_P12ihipStream_tbEUlT_E0_NS1_11comp_targetILNS1_3genE10ELNS1_11target_archE1200ELNS1_3gpuE4ELNS1_3repE0EEENS1_30default_config_static_selectorELNS0_4arch9wavefront6targetE0EEEvST_, .Lfunc_end582-_ZN7rocprim17ROCPRIM_400000_NS6detail17trampoline_kernelINS0_14default_configENS1_22reduce_config_selectorIbEEZNS1_11reduce_implILb1ES3_N6hipcub16HIPCUB_304000_NS22TransformInputIteratorIbN2at6native12_GLOBAL__N_19NonZeroOpIN3c107complexIfEEEEPKSG_lEEPiiNS8_6detail34convert_binary_result_type_wrapperINS8_3SumESK_iEEEE10hipError_tPvRmT1_T2_T3_mT4_P12ihipStream_tbEUlT_E0_NS1_11comp_targetILNS1_3genE10ELNS1_11target_archE1200ELNS1_3gpuE4ELNS1_3repE0EEENS1_30default_config_static_selectorELNS0_4arch9wavefront6targetE0EEEvST_
                                        ; -- End function
	.set _ZN7rocprim17ROCPRIM_400000_NS6detail17trampoline_kernelINS0_14default_configENS1_22reduce_config_selectorIbEEZNS1_11reduce_implILb1ES3_N6hipcub16HIPCUB_304000_NS22TransformInputIteratorIbN2at6native12_GLOBAL__N_19NonZeroOpIN3c107complexIfEEEEPKSG_lEEPiiNS8_6detail34convert_binary_result_type_wrapperINS8_3SumESK_iEEEE10hipError_tPvRmT1_T2_T3_mT4_P12ihipStream_tbEUlT_E0_NS1_11comp_targetILNS1_3genE10ELNS1_11target_archE1200ELNS1_3gpuE4ELNS1_3repE0EEENS1_30default_config_static_selectorELNS0_4arch9wavefront6targetE0EEEvST_.num_vgpr, 0
	.set _ZN7rocprim17ROCPRIM_400000_NS6detail17trampoline_kernelINS0_14default_configENS1_22reduce_config_selectorIbEEZNS1_11reduce_implILb1ES3_N6hipcub16HIPCUB_304000_NS22TransformInputIteratorIbN2at6native12_GLOBAL__N_19NonZeroOpIN3c107complexIfEEEEPKSG_lEEPiiNS8_6detail34convert_binary_result_type_wrapperINS8_3SumESK_iEEEE10hipError_tPvRmT1_T2_T3_mT4_P12ihipStream_tbEUlT_E0_NS1_11comp_targetILNS1_3genE10ELNS1_11target_archE1200ELNS1_3gpuE4ELNS1_3repE0EEENS1_30default_config_static_selectorELNS0_4arch9wavefront6targetE0EEEvST_.num_agpr, 0
	.set _ZN7rocprim17ROCPRIM_400000_NS6detail17trampoline_kernelINS0_14default_configENS1_22reduce_config_selectorIbEEZNS1_11reduce_implILb1ES3_N6hipcub16HIPCUB_304000_NS22TransformInputIteratorIbN2at6native12_GLOBAL__N_19NonZeroOpIN3c107complexIfEEEEPKSG_lEEPiiNS8_6detail34convert_binary_result_type_wrapperINS8_3SumESK_iEEEE10hipError_tPvRmT1_T2_T3_mT4_P12ihipStream_tbEUlT_E0_NS1_11comp_targetILNS1_3genE10ELNS1_11target_archE1200ELNS1_3gpuE4ELNS1_3repE0EEENS1_30default_config_static_selectorELNS0_4arch9wavefront6targetE0EEEvST_.numbered_sgpr, 0
	.set _ZN7rocprim17ROCPRIM_400000_NS6detail17trampoline_kernelINS0_14default_configENS1_22reduce_config_selectorIbEEZNS1_11reduce_implILb1ES3_N6hipcub16HIPCUB_304000_NS22TransformInputIteratorIbN2at6native12_GLOBAL__N_19NonZeroOpIN3c107complexIfEEEEPKSG_lEEPiiNS8_6detail34convert_binary_result_type_wrapperINS8_3SumESK_iEEEE10hipError_tPvRmT1_T2_T3_mT4_P12ihipStream_tbEUlT_E0_NS1_11comp_targetILNS1_3genE10ELNS1_11target_archE1200ELNS1_3gpuE4ELNS1_3repE0EEENS1_30default_config_static_selectorELNS0_4arch9wavefront6targetE0EEEvST_.num_named_barrier, 0
	.set _ZN7rocprim17ROCPRIM_400000_NS6detail17trampoline_kernelINS0_14default_configENS1_22reduce_config_selectorIbEEZNS1_11reduce_implILb1ES3_N6hipcub16HIPCUB_304000_NS22TransformInputIteratorIbN2at6native12_GLOBAL__N_19NonZeroOpIN3c107complexIfEEEEPKSG_lEEPiiNS8_6detail34convert_binary_result_type_wrapperINS8_3SumESK_iEEEE10hipError_tPvRmT1_T2_T3_mT4_P12ihipStream_tbEUlT_E0_NS1_11comp_targetILNS1_3genE10ELNS1_11target_archE1200ELNS1_3gpuE4ELNS1_3repE0EEENS1_30default_config_static_selectorELNS0_4arch9wavefront6targetE0EEEvST_.private_seg_size, 0
	.set _ZN7rocprim17ROCPRIM_400000_NS6detail17trampoline_kernelINS0_14default_configENS1_22reduce_config_selectorIbEEZNS1_11reduce_implILb1ES3_N6hipcub16HIPCUB_304000_NS22TransformInputIteratorIbN2at6native12_GLOBAL__N_19NonZeroOpIN3c107complexIfEEEEPKSG_lEEPiiNS8_6detail34convert_binary_result_type_wrapperINS8_3SumESK_iEEEE10hipError_tPvRmT1_T2_T3_mT4_P12ihipStream_tbEUlT_E0_NS1_11comp_targetILNS1_3genE10ELNS1_11target_archE1200ELNS1_3gpuE4ELNS1_3repE0EEENS1_30default_config_static_selectorELNS0_4arch9wavefront6targetE0EEEvST_.uses_vcc, 0
	.set _ZN7rocprim17ROCPRIM_400000_NS6detail17trampoline_kernelINS0_14default_configENS1_22reduce_config_selectorIbEEZNS1_11reduce_implILb1ES3_N6hipcub16HIPCUB_304000_NS22TransformInputIteratorIbN2at6native12_GLOBAL__N_19NonZeroOpIN3c107complexIfEEEEPKSG_lEEPiiNS8_6detail34convert_binary_result_type_wrapperINS8_3SumESK_iEEEE10hipError_tPvRmT1_T2_T3_mT4_P12ihipStream_tbEUlT_E0_NS1_11comp_targetILNS1_3genE10ELNS1_11target_archE1200ELNS1_3gpuE4ELNS1_3repE0EEENS1_30default_config_static_selectorELNS0_4arch9wavefront6targetE0EEEvST_.uses_flat_scratch, 0
	.set _ZN7rocprim17ROCPRIM_400000_NS6detail17trampoline_kernelINS0_14default_configENS1_22reduce_config_selectorIbEEZNS1_11reduce_implILb1ES3_N6hipcub16HIPCUB_304000_NS22TransformInputIteratorIbN2at6native12_GLOBAL__N_19NonZeroOpIN3c107complexIfEEEEPKSG_lEEPiiNS8_6detail34convert_binary_result_type_wrapperINS8_3SumESK_iEEEE10hipError_tPvRmT1_T2_T3_mT4_P12ihipStream_tbEUlT_E0_NS1_11comp_targetILNS1_3genE10ELNS1_11target_archE1200ELNS1_3gpuE4ELNS1_3repE0EEENS1_30default_config_static_selectorELNS0_4arch9wavefront6targetE0EEEvST_.has_dyn_sized_stack, 0
	.set _ZN7rocprim17ROCPRIM_400000_NS6detail17trampoline_kernelINS0_14default_configENS1_22reduce_config_selectorIbEEZNS1_11reduce_implILb1ES3_N6hipcub16HIPCUB_304000_NS22TransformInputIteratorIbN2at6native12_GLOBAL__N_19NonZeroOpIN3c107complexIfEEEEPKSG_lEEPiiNS8_6detail34convert_binary_result_type_wrapperINS8_3SumESK_iEEEE10hipError_tPvRmT1_T2_T3_mT4_P12ihipStream_tbEUlT_E0_NS1_11comp_targetILNS1_3genE10ELNS1_11target_archE1200ELNS1_3gpuE4ELNS1_3repE0EEENS1_30default_config_static_selectorELNS0_4arch9wavefront6targetE0EEEvST_.has_recursion, 0
	.set _ZN7rocprim17ROCPRIM_400000_NS6detail17trampoline_kernelINS0_14default_configENS1_22reduce_config_selectorIbEEZNS1_11reduce_implILb1ES3_N6hipcub16HIPCUB_304000_NS22TransformInputIteratorIbN2at6native12_GLOBAL__N_19NonZeroOpIN3c107complexIfEEEEPKSG_lEEPiiNS8_6detail34convert_binary_result_type_wrapperINS8_3SumESK_iEEEE10hipError_tPvRmT1_T2_T3_mT4_P12ihipStream_tbEUlT_E0_NS1_11comp_targetILNS1_3genE10ELNS1_11target_archE1200ELNS1_3gpuE4ELNS1_3repE0EEENS1_30default_config_static_selectorELNS0_4arch9wavefront6targetE0EEEvST_.has_indirect_call, 0
	.section	.AMDGPU.csdata,"",@progbits
; Kernel info:
; codeLenInByte = 0
; TotalNumSgprs: 0
; NumVgprs: 0
; ScratchSize: 0
; MemoryBound: 0
; FloatMode: 240
; IeeeMode: 1
; LDSByteSize: 0 bytes/workgroup (compile time only)
; SGPRBlocks: 0
; VGPRBlocks: 0
; NumSGPRsForWavesPerEU: 1
; NumVGPRsForWavesPerEU: 1
; Occupancy: 16
; WaveLimiterHint : 0
; COMPUTE_PGM_RSRC2:SCRATCH_EN: 0
; COMPUTE_PGM_RSRC2:USER_SGPR: 2
; COMPUTE_PGM_RSRC2:TRAP_HANDLER: 0
; COMPUTE_PGM_RSRC2:TGID_X_EN: 1
; COMPUTE_PGM_RSRC2:TGID_Y_EN: 0
; COMPUTE_PGM_RSRC2:TGID_Z_EN: 0
; COMPUTE_PGM_RSRC2:TIDIG_COMP_CNT: 0
	.section	.text._ZN7rocprim17ROCPRIM_400000_NS6detail17trampoline_kernelINS0_14default_configENS1_22reduce_config_selectorIbEEZNS1_11reduce_implILb1ES3_N6hipcub16HIPCUB_304000_NS22TransformInputIteratorIbN2at6native12_GLOBAL__N_19NonZeroOpIN3c107complexIfEEEEPKSG_lEEPiiNS8_6detail34convert_binary_result_type_wrapperINS8_3SumESK_iEEEE10hipError_tPvRmT1_T2_T3_mT4_P12ihipStream_tbEUlT_E0_NS1_11comp_targetILNS1_3genE9ELNS1_11target_archE1100ELNS1_3gpuE3ELNS1_3repE0EEENS1_30default_config_static_selectorELNS0_4arch9wavefront6targetE0EEEvST_,"axG",@progbits,_ZN7rocprim17ROCPRIM_400000_NS6detail17trampoline_kernelINS0_14default_configENS1_22reduce_config_selectorIbEEZNS1_11reduce_implILb1ES3_N6hipcub16HIPCUB_304000_NS22TransformInputIteratorIbN2at6native12_GLOBAL__N_19NonZeroOpIN3c107complexIfEEEEPKSG_lEEPiiNS8_6detail34convert_binary_result_type_wrapperINS8_3SumESK_iEEEE10hipError_tPvRmT1_T2_T3_mT4_P12ihipStream_tbEUlT_E0_NS1_11comp_targetILNS1_3genE9ELNS1_11target_archE1100ELNS1_3gpuE3ELNS1_3repE0EEENS1_30default_config_static_selectorELNS0_4arch9wavefront6targetE0EEEvST_,comdat
	.globl	_ZN7rocprim17ROCPRIM_400000_NS6detail17trampoline_kernelINS0_14default_configENS1_22reduce_config_selectorIbEEZNS1_11reduce_implILb1ES3_N6hipcub16HIPCUB_304000_NS22TransformInputIteratorIbN2at6native12_GLOBAL__N_19NonZeroOpIN3c107complexIfEEEEPKSG_lEEPiiNS8_6detail34convert_binary_result_type_wrapperINS8_3SumESK_iEEEE10hipError_tPvRmT1_T2_T3_mT4_P12ihipStream_tbEUlT_E0_NS1_11comp_targetILNS1_3genE9ELNS1_11target_archE1100ELNS1_3gpuE3ELNS1_3repE0EEENS1_30default_config_static_selectorELNS0_4arch9wavefront6targetE0EEEvST_ ; -- Begin function _ZN7rocprim17ROCPRIM_400000_NS6detail17trampoline_kernelINS0_14default_configENS1_22reduce_config_selectorIbEEZNS1_11reduce_implILb1ES3_N6hipcub16HIPCUB_304000_NS22TransformInputIteratorIbN2at6native12_GLOBAL__N_19NonZeroOpIN3c107complexIfEEEEPKSG_lEEPiiNS8_6detail34convert_binary_result_type_wrapperINS8_3SumESK_iEEEE10hipError_tPvRmT1_T2_T3_mT4_P12ihipStream_tbEUlT_E0_NS1_11comp_targetILNS1_3genE9ELNS1_11target_archE1100ELNS1_3gpuE3ELNS1_3repE0EEENS1_30default_config_static_selectorELNS0_4arch9wavefront6targetE0EEEvST_
	.p2align	8
	.type	_ZN7rocprim17ROCPRIM_400000_NS6detail17trampoline_kernelINS0_14default_configENS1_22reduce_config_selectorIbEEZNS1_11reduce_implILb1ES3_N6hipcub16HIPCUB_304000_NS22TransformInputIteratorIbN2at6native12_GLOBAL__N_19NonZeroOpIN3c107complexIfEEEEPKSG_lEEPiiNS8_6detail34convert_binary_result_type_wrapperINS8_3SumESK_iEEEE10hipError_tPvRmT1_T2_T3_mT4_P12ihipStream_tbEUlT_E0_NS1_11comp_targetILNS1_3genE9ELNS1_11target_archE1100ELNS1_3gpuE3ELNS1_3repE0EEENS1_30default_config_static_selectorELNS0_4arch9wavefront6targetE0EEEvST_,@function
_ZN7rocprim17ROCPRIM_400000_NS6detail17trampoline_kernelINS0_14default_configENS1_22reduce_config_selectorIbEEZNS1_11reduce_implILb1ES3_N6hipcub16HIPCUB_304000_NS22TransformInputIteratorIbN2at6native12_GLOBAL__N_19NonZeroOpIN3c107complexIfEEEEPKSG_lEEPiiNS8_6detail34convert_binary_result_type_wrapperINS8_3SumESK_iEEEE10hipError_tPvRmT1_T2_T3_mT4_P12ihipStream_tbEUlT_E0_NS1_11comp_targetILNS1_3genE9ELNS1_11target_archE1100ELNS1_3gpuE3ELNS1_3repE0EEENS1_30default_config_static_selectorELNS0_4arch9wavefront6targetE0EEEvST_: ; @_ZN7rocprim17ROCPRIM_400000_NS6detail17trampoline_kernelINS0_14default_configENS1_22reduce_config_selectorIbEEZNS1_11reduce_implILb1ES3_N6hipcub16HIPCUB_304000_NS22TransformInputIteratorIbN2at6native12_GLOBAL__N_19NonZeroOpIN3c107complexIfEEEEPKSG_lEEPiiNS8_6detail34convert_binary_result_type_wrapperINS8_3SumESK_iEEEE10hipError_tPvRmT1_T2_T3_mT4_P12ihipStream_tbEUlT_E0_NS1_11comp_targetILNS1_3genE9ELNS1_11target_archE1100ELNS1_3gpuE3ELNS1_3repE0EEENS1_30default_config_static_selectorELNS0_4arch9wavefront6targetE0EEEvST_
; %bb.0:
	.section	.rodata,"a",@progbits
	.p2align	6, 0x0
	.amdhsa_kernel _ZN7rocprim17ROCPRIM_400000_NS6detail17trampoline_kernelINS0_14default_configENS1_22reduce_config_selectorIbEEZNS1_11reduce_implILb1ES3_N6hipcub16HIPCUB_304000_NS22TransformInputIteratorIbN2at6native12_GLOBAL__N_19NonZeroOpIN3c107complexIfEEEEPKSG_lEEPiiNS8_6detail34convert_binary_result_type_wrapperINS8_3SumESK_iEEEE10hipError_tPvRmT1_T2_T3_mT4_P12ihipStream_tbEUlT_E0_NS1_11comp_targetILNS1_3genE9ELNS1_11target_archE1100ELNS1_3gpuE3ELNS1_3repE0EEENS1_30default_config_static_selectorELNS0_4arch9wavefront6targetE0EEEvST_
		.amdhsa_group_segment_fixed_size 0
		.amdhsa_private_segment_fixed_size 0
		.amdhsa_kernarg_size 64
		.amdhsa_user_sgpr_count 2
		.amdhsa_user_sgpr_dispatch_ptr 0
		.amdhsa_user_sgpr_queue_ptr 0
		.amdhsa_user_sgpr_kernarg_segment_ptr 1
		.amdhsa_user_sgpr_dispatch_id 0
		.amdhsa_user_sgpr_private_segment_size 0
		.amdhsa_wavefront_size32 1
		.amdhsa_uses_dynamic_stack 0
		.amdhsa_enable_private_segment 0
		.amdhsa_system_sgpr_workgroup_id_x 1
		.amdhsa_system_sgpr_workgroup_id_y 0
		.amdhsa_system_sgpr_workgroup_id_z 0
		.amdhsa_system_sgpr_workgroup_info 0
		.amdhsa_system_vgpr_workitem_id 0
		.amdhsa_next_free_vgpr 1
		.amdhsa_next_free_sgpr 1
		.amdhsa_reserve_vcc 0
		.amdhsa_float_round_mode_32 0
		.amdhsa_float_round_mode_16_64 0
		.amdhsa_float_denorm_mode_32 3
		.amdhsa_float_denorm_mode_16_64 3
		.amdhsa_fp16_overflow 0
		.amdhsa_workgroup_processor_mode 1
		.amdhsa_memory_ordered 1
		.amdhsa_forward_progress 1
		.amdhsa_inst_pref_size 0
		.amdhsa_round_robin_scheduling 0
		.amdhsa_exception_fp_ieee_invalid_op 0
		.amdhsa_exception_fp_denorm_src 0
		.amdhsa_exception_fp_ieee_div_zero 0
		.amdhsa_exception_fp_ieee_overflow 0
		.amdhsa_exception_fp_ieee_underflow 0
		.amdhsa_exception_fp_ieee_inexact 0
		.amdhsa_exception_int_div_zero 0
	.end_amdhsa_kernel
	.section	.text._ZN7rocprim17ROCPRIM_400000_NS6detail17trampoline_kernelINS0_14default_configENS1_22reduce_config_selectorIbEEZNS1_11reduce_implILb1ES3_N6hipcub16HIPCUB_304000_NS22TransformInputIteratorIbN2at6native12_GLOBAL__N_19NonZeroOpIN3c107complexIfEEEEPKSG_lEEPiiNS8_6detail34convert_binary_result_type_wrapperINS8_3SumESK_iEEEE10hipError_tPvRmT1_T2_T3_mT4_P12ihipStream_tbEUlT_E0_NS1_11comp_targetILNS1_3genE9ELNS1_11target_archE1100ELNS1_3gpuE3ELNS1_3repE0EEENS1_30default_config_static_selectorELNS0_4arch9wavefront6targetE0EEEvST_,"axG",@progbits,_ZN7rocprim17ROCPRIM_400000_NS6detail17trampoline_kernelINS0_14default_configENS1_22reduce_config_selectorIbEEZNS1_11reduce_implILb1ES3_N6hipcub16HIPCUB_304000_NS22TransformInputIteratorIbN2at6native12_GLOBAL__N_19NonZeroOpIN3c107complexIfEEEEPKSG_lEEPiiNS8_6detail34convert_binary_result_type_wrapperINS8_3SumESK_iEEEE10hipError_tPvRmT1_T2_T3_mT4_P12ihipStream_tbEUlT_E0_NS1_11comp_targetILNS1_3genE9ELNS1_11target_archE1100ELNS1_3gpuE3ELNS1_3repE0EEENS1_30default_config_static_selectorELNS0_4arch9wavefront6targetE0EEEvST_,comdat
.Lfunc_end583:
	.size	_ZN7rocprim17ROCPRIM_400000_NS6detail17trampoline_kernelINS0_14default_configENS1_22reduce_config_selectorIbEEZNS1_11reduce_implILb1ES3_N6hipcub16HIPCUB_304000_NS22TransformInputIteratorIbN2at6native12_GLOBAL__N_19NonZeroOpIN3c107complexIfEEEEPKSG_lEEPiiNS8_6detail34convert_binary_result_type_wrapperINS8_3SumESK_iEEEE10hipError_tPvRmT1_T2_T3_mT4_P12ihipStream_tbEUlT_E0_NS1_11comp_targetILNS1_3genE9ELNS1_11target_archE1100ELNS1_3gpuE3ELNS1_3repE0EEENS1_30default_config_static_selectorELNS0_4arch9wavefront6targetE0EEEvST_, .Lfunc_end583-_ZN7rocprim17ROCPRIM_400000_NS6detail17trampoline_kernelINS0_14default_configENS1_22reduce_config_selectorIbEEZNS1_11reduce_implILb1ES3_N6hipcub16HIPCUB_304000_NS22TransformInputIteratorIbN2at6native12_GLOBAL__N_19NonZeroOpIN3c107complexIfEEEEPKSG_lEEPiiNS8_6detail34convert_binary_result_type_wrapperINS8_3SumESK_iEEEE10hipError_tPvRmT1_T2_T3_mT4_P12ihipStream_tbEUlT_E0_NS1_11comp_targetILNS1_3genE9ELNS1_11target_archE1100ELNS1_3gpuE3ELNS1_3repE0EEENS1_30default_config_static_selectorELNS0_4arch9wavefront6targetE0EEEvST_
                                        ; -- End function
	.set _ZN7rocprim17ROCPRIM_400000_NS6detail17trampoline_kernelINS0_14default_configENS1_22reduce_config_selectorIbEEZNS1_11reduce_implILb1ES3_N6hipcub16HIPCUB_304000_NS22TransformInputIteratorIbN2at6native12_GLOBAL__N_19NonZeroOpIN3c107complexIfEEEEPKSG_lEEPiiNS8_6detail34convert_binary_result_type_wrapperINS8_3SumESK_iEEEE10hipError_tPvRmT1_T2_T3_mT4_P12ihipStream_tbEUlT_E0_NS1_11comp_targetILNS1_3genE9ELNS1_11target_archE1100ELNS1_3gpuE3ELNS1_3repE0EEENS1_30default_config_static_selectorELNS0_4arch9wavefront6targetE0EEEvST_.num_vgpr, 0
	.set _ZN7rocprim17ROCPRIM_400000_NS6detail17trampoline_kernelINS0_14default_configENS1_22reduce_config_selectorIbEEZNS1_11reduce_implILb1ES3_N6hipcub16HIPCUB_304000_NS22TransformInputIteratorIbN2at6native12_GLOBAL__N_19NonZeroOpIN3c107complexIfEEEEPKSG_lEEPiiNS8_6detail34convert_binary_result_type_wrapperINS8_3SumESK_iEEEE10hipError_tPvRmT1_T2_T3_mT4_P12ihipStream_tbEUlT_E0_NS1_11comp_targetILNS1_3genE9ELNS1_11target_archE1100ELNS1_3gpuE3ELNS1_3repE0EEENS1_30default_config_static_selectorELNS0_4arch9wavefront6targetE0EEEvST_.num_agpr, 0
	.set _ZN7rocprim17ROCPRIM_400000_NS6detail17trampoline_kernelINS0_14default_configENS1_22reduce_config_selectorIbEEZNS1_11reduce_implILb1ES3_N6hipcub16HIPCUB_304000_NS22TransformInputIteratorIbN2at6native12_GLOBAL__N_19NonZeroOpIN3c107complexIfEEEEPKSG_lEEPiiNS8_6detail34convert_binary_result_type_wrapperINS8_3SumESK_iEEEE10hipError_tPvRmT1_T2_T3_mT4_P12ihipStream_tbEUlT_E0_NS1_11comp_targetILNS1_3genE9ELNS1_11target_archE1100ELNS1_3gpuE3ELNS1_3repE0EEENS1_30default_config_static_selectorELNS0_4arch9wavefront6targetE0EEEvST_.numbered_sgpr, 0
	.set _ZN7rocprim17ROCPRIM_400000_NS6detail17trampoline_kernelINS0_14default_configENS1_22reduce_config_selectorIbEEZNS1_11reduce_implILb1ES3_N6hipcub16HIPCUB_304000_NS22TransformInputIteratorIbN2at6native12_GLOBAL__N_19NonZeroOpIN3c107complexIfEEEEPKSG_lEEPiiNS8_6detail34convert_binary_result_type_wrapperINS8_3SumESK_iEEEE10hipError_tPvRmT1_T2_T3_mT4_P12ihipStream_tbEUlT_E0_NS1_11comp_targetILNS1_3genE9ELNS1_11target_archE1100ELNS1_3gpuE3ELNS1_3repE0EEENS1_30default_config_static_selectorELNS0_4arch9wavefront6targetE0EEEvST_.num_named_barrier, 0
	.set _ZN7rocprim17ROCPRIM_400000_NS6detail17trampoline_kernelINS0_14default_configENS1_22reduce_config_selectorIbEEZNS1_11reduce_implILb1ES3_N6hipcub16HIPCUB_304000_NS22TransformInputIteratorIbN2at6native12_GLOBAL__N_19NonZeroOpIN3c107complexIfEEEEPKSG_lEEPiiNS8_6detail34convert_binary_result_type_wrapperINS8_3SumESK_iEEEE10hipError_tPvRmT1_T2_T3_mT4_P12ihipStream_tbEUlT_E0_NS1_11comp_targetILNS1_3genE9ELNS1_11target_archE1100ELNS1_3gpuE3ELNS1_3repE0EEENS1_30default_config_static_selectorELNS0_4arch9wavefront6targetE0EEEvST_.private_seg_size, 0
	.set _ZN7rocprim17ROCPRIM_400000_NS6detail17trampoline_kernelINS0_14default_configENS1_22reduce_config_selectorIbEEZNS1_11reduce_implILb1ES3_N6hipcub16HIPCUB_304000_NS22TransformInputIteratorIbN2at6native12_GLOBAL__N_19NonZeroOpIN3c107complexIfEEEEPKSG_lEEPiiNS8_6detail34convert_binary_result_type_wrapperINS8_3SumESK_iEEEE10hipError_tPvRmT1_T2_T3_mT4_P12ihipStream_tbEUlT_E0_NS1_11comp_targetILNS1_3genE9ELNS1_11target_archE1100ELNS1_3gpuE3ELNS1_3repE0EEENS1_30default_config_static_selectorELNS0_4arch9wavefront6targetE0EEEvST_.uses_vcc, 0
	.set _ZN7rocprim17ROCPRIM_400000_NS6detail17trampoline_kernelINS0_14default_configENS1_22reduce_config_selectorIbEEZNS1_11reduce_implILb1ES3_N6hipcub16HIPCUB_304000_NS22TransformInputIteratorIbN2at6native12_GLOBAL__N_19NonZeroOpIN3c107complexIfEEEEPKSG_lEEPiiNS8_6detail34convert_binary_result_type_wrapperINS8_3SumESK_iEEEE10hipError_tPvRmT1_T2_T3_mT4_P12ihipStream_tbEUlT_E0_NS1_11comp_targetILNS1_3genE9ELNS1_11target_archE1100ELNS1_3gpuE3ELNS1_3repE0EEENS1_30default_config_static_selectorELNS0_4arch9wavefront6targetE0EEEvST_.uses_flat_scratch, 0
	.set _ZN7rocprim17ROCPRIM_400000_NS6detail17trampoline_kernelINS0_14default_configENS1_22reduce_config_selectorIbEEZNS1_11reduce_implILb1ES3_N6hipcub16HIPCUB_304000_NS22TransformInputIteratorIbN2at6native12_GLOBAL__N_19NonZeroOpIN3c107complexIfEEEEPKSG_lEEPiiNS8_6detail34convert_binary_result_type_wrapperINS8_3SumESK_iEEEE10hipError_tPvRmT1_T2_T3_mT4_P12ihipStream_tbEUlT_E0_NS1_11comp_targetILNS1_3genE9ELNS1_11target_archE1100ELNS1_3gpuE3ELNS1_3repE0EEENS1_30default_config_static_selectorELNS0_4arch9wavefront6targetE0EEEvST_.has_dyn_sized_stack, 0
	.set _ZN7rocprim17ROCPRIM_400000_NS6detail17trampoline_kernelINS0_14default_configENS1_22reduce_config_selectorIbEEZNS1_11reduce_implILb1ES3_N6hipcub16HIPCUB_304000_NS22TransformInputIteratorIbN2at6native12_GLOBAL__N_19NonZeroOpIN3c107complexIfEEEEPKSG_lEEPiiNS8_6detail34convert_binary_result_type_wrapperINS8_3SumESK_iEEEE10hipError_tPvRmT1_T2_T3_mT4_P12ihipStream_tbEUlT_E0_NS1_11comp_targetILNS1_3genE9ELNS1_11target_archE1100ELNS1_3gpuE3ELNS1_3repE0EEENS1_30default_config_static_selectorELNS0_4arch9wavefront6targetE0EEEvST_.has_recursion, 0
	.set _ZN7rocprim17ROCPRIM_400000_NS6detail17trampoline_kernelINS0_14default_configENS1_22reduce_config_selectorIbEEZNS1_11reduce_implILb1ES3_N6hipcub16HIPCUB_304000_NS22TransformInputIteratorIbN2at6native12_GLOBAL__N_19NonZeroOpIN3c107complexIfEEEEPKSG_lEEPiiNS8_6detail34convert_binary_result_type_wrapperINS8_3SumESK_iEEEE10hipError_tPvRmT1_T2_T3_mT4_P12ihipStream_tbEUlT_E0_NS1_11comp_targetILNS1_3genE9ELNS1_11target_archE1100ELNS1_3gpuE3ELNS1_3repE0EEENS1_30default_config_static_selectorELNS0_4arch9wavefront6targetE0EEEvST_.has_indirect_call, 0
	.section	.AMDGPU.csdata,"",@progbits
; Kernel info:
; codeLenInByte = 0
; TotalNumSgprs: 0
; NumVgprs: 0
; ScratchSize: 0
; MemoryBound: 0
; FloatMode: 240
; IeeeMode: 1
; LDSByteSize: 0 bytes/workgroup (compile time only)
; SGPRBlocks: 0
; VGPRBlocks: 0
; NumSGPRsForWavesPerEU: 1
; NumVGPRsForWavesPerEU: 1
; Occupancy: 16
; WaveLimiterHint : 0
; COMPUTE_PGM_RSRC2:SCRATCH_EN: 0
; COMPUTE_PGM_RSRC2:USER_SGPR: 2
; COMPUTE_PGM_RSRC2:TRAP_HANDLER: 0
; COMPUTE_PGM_RSRC2:TGID_X_EN: 1
; COMPUTE_PGM_RSRC2:TGID_Y_EN: 0
; COMPUTE_PGM_RSRC2:TGID_Z_EN: 0
; COMPUTE_PGM_RSRC2:TIDIG_COMP_CNT: 0
	.section	.text._ZN7rocprim17ROCPRIM_400000_NS6detail17trampoline_kernelINS0_14default_configENS1_22reduce_config_selectorIbEEZNS1_11reduce_implILb1ES3_N6hipcub16HIPCUB_304000_NS22TransformInputIteratorIbN2at6native12_GLOBAL__N_19NonZeroOpIN3c107complexIfEEEEPKSG_lEEPiiNS8_6detail34convert_binary_result_type_wrapperINS8_3SumESK_iEEEE10hipError_tPvRmT1_T2_T3_mT4_P12ihipStream_tbEUlT_E0_NS1_11comp_targetILNS1_3genE8ELNS1_11target_archE1030ELNS1_3gpuE2ELNS1_3repE0EEENS1_30default_config_static_selectorELNS0_4arch9wavefront6targetE0EEEvST_,"axG",@progbits,_ZN7rocprim17ROCPRIM_400000_NS6detail17trampoline_kernelINS0_14default_configENS1_22reduce_config_selectorIbEEZNS1_11reduce_implILb1ES3_N6hipcub16HIPCUB_304000_NS22TransformInputIteratorIbN2at6native12_GLOBAL__N_19NonZeroOpIN3c107complexIfEEEEPKSG_lEEPiiNS8_6detail34convert_binary_result_type_wrapperINS8_3SumESK_iEEEE10hipError_tPvRmT1_T2_T3_mT4_P12ihipStream_tbEUlT_E0_NS1_11comp_targetILNS1_3genE8ELNS1_11target_archE1030ELNS1_3gpuE2ELNS1_3repE0EEENS1_30default_config_static_selectorELNS0_4arch9wavefront6targetE0EEEvST_,comdat
	.globl	_ZN7rocprim17ROCPRIM_400000_NS6detail17trampoline_kernelINS0_14default_configENS1_22reduce_config_selectorIbEEZNS1_11reduce_implILb1ES3_N6hipcub16HIPCUB_304000_NS22TransformInputIteratorIbN2at6native12_GLOBAL__N_19NonZeroOpIN3c107complexIfEEEEPKSG_lEEPiiNS8_6detail34convert_binary_result_type_wrapperINS8_3SumESK_iEEEE10hipError_tPvRmT1_T2_T3_mT4_P12ihipStream_tbEUlT_E0_NS1_11comp_targetILNS1_3genE8ELNS1_11target_archE1030ELNS1_3gpuE2ELNS1_3repE0EEENS1_30default_config_static_selectorELNS0_4arch9wavefront6targetE0EEEvST_ ; -- Begin function _ZN7rocprim17ROCPRIM_400000_NS6detail17trampoline_kernelINS0_14default_configENS1_22reduce_config_selectorIbEEZNS1_11reduce_implILb1ES3_N6hipcub16HIPCUB_304000_NS22TransformInputIteratorIbN2at6native12_GLOBAL__N_19NonZeroOpIN3c107complexIfEEEEPKSG_lEEPiiNS8_6detail34convert_binary_result_type_wrapperINS8_3SumESK_iEEEE10hipError_tPvRmT1_T2_T3_mT4_P12ihipStream_tbEUlT_E0_NS1_11comp_targetILNS1_3genE8ELNS1_11target_archE1030ELNS1_3gpuE2ELNS1_3repE0EEENS1_30default_config_static_selectorELNS0_4arch9wavefront6targetE0EEEvST_
	.p2align	8
	.type	_ZN7rocprim17ROCPRIM_400000_NS6detail17trampoline_kernelINS0_14default_configENS1_22reduce_config_selectorIbEEZNS1_11reduce_implILb1ES3_N6hipcub16HIPCUB_304000_NS22TransformInputIteratorIbN2at6native12_GLOBAL__N_19NonZeroOpIN3c107complexIfEEEEPKSG_lEEPiiNS8_6detail34convert_binary_result_type_wrapperINS8_3SumESK_iEEEE10hipError_tPvRmT1_T2_T3_mT4_P12ihipStream_tbEUlT_E0_NS1_11comp_targetILNS1_3genE8ELNS1_11target_archE1030ELNS1_3gpuE2ELNS1_3repE0EEENS1_30default_config_static_selectorELNS0_4arch9wavefront6targetE0EEEvST_,@function
_ZN7rocprim17ROCPRIM_400000_NS6detail17trampoline_kernelINS0_14default_configENS1_22reduce_config_selectorIbEEZNS1_11reduce_implILb1ES3_N6hipcub16HIPCUB_304000_NS22TransformInputIteratorIbN2at6native12_GLOBAL__N_19NonZeroOpIN3c107complexIfEEEEPKSG_lEEPiiNS8_6detail34convert_binary_result_type_wrapperINS8_3SumESK_iEEEE10hipError_tPvRmT1_T2_T3_mT4_P12ihipStream_tbEUlT_E0_NS1_11comp_targetILNS1_3genE8ELNS1_11target_archE1030ELNS1_3gpuE2ELNS1_3repE0EEENS1_30default_config_static_selectorELNS0_4arch9wavefront6targetE0EEEvST_: ; @_ZN7rocprim17ROCPRIM_400000_NS6detail17trampoline_kernelINS0_14default_configENS1_22reduce_config_selectorIbEEZNS1_11reduce_implILb1ES3_N6hipcub16HIPCUB_304000_NS22TransformInputIteratorIbN2at6native12_GLOBAL__N_19NonZeroOpIN3c107complexIfEEEEPKSG_lEEPiiNS8_6detail34convert_binary_result_type_wrapperINS8_3SumESK_iEEEE10hipError_tPvRmT1_T2_T3_mT4_P12ihipStream_tbEUlT_E0_NS1_11comp_targetILNS1_3genE8ELNS1_11target_archE1030ELNS1_3gpuE2ELNS1_3repE0EEENS1_30default_config_static_selectorELNS0_4arch9wavefront6targetE0EEEvST_
; %bb.0:
	.section	.rodata,"a",@progbits
	.p2align	6, 0x0
	.amdhsa_kernel _ZN7rocprim17ROCPRIM_400000_NS6detail17trampoline_kernelINS0_14default_configENS1_22reduce_config_selectorIbEEZNS1_11reduce_implILb1ES3_N6hipcub16HIPCUB_304000_NS22TransformInputIteratorIbN2at6native12_GLOBAL__N_19NonZeroOpIN3c107complexIfEEEEPKSG_lEEPiiNS8_6detail34convert_binary_result_type_wrapperINS8_3SumESK_iEEEE10hipError_tPvRmT1_T2_T3_mT4_P12ihipStream_tbEUlT_E0_NS1_11comp_targetILNS1_3genE8ELNS1_11target_archE1030ELNS1_3gpuE2ELNS1_3repE0EEENS1_30default_config_static_selectorELNS0_4arch9wavefront6targetE0EEEvST_
		.amdhsa_group_segment_fixed_size 0
		.amdhsa_private_segment_fixed_size 0
		.amdhsa_kernarg_size 64
		.amdhsa_user_sgpr_count 2
		.amdhsa_user_sgpr_dispatch_ptr 0
		.amdhsa_user_sgpr_queue_ptr 0
		.amdhsa_user_sgpr_kernarg_segment_ptr 1
		.amdhsa_user_sgpr_dispatch_id 0
		.amdhsa_user_sgpr_private_segment_size 0
		.amdhsa_wavefront_size32 1
		.amdhsa_uses_dynamic_stack 0
		.amdhsa_enable_private_segment 0
		.amdhsa_system_sgpr_workgroup_id_x 1
		.amdhsa_system_sgpr_workgroup_id_y 0
		.amdhsa_system_sgpr_workgroup_id_z 0
		.amdhsa_system_sgpr_workgroup_info 0
		.amdhsa_system_vgpr_workitem_id 0
		.amdhsa_next_free_vgpr 1
		.amdhsa_next_free_sgpr 1
		.amdhsa_reserve_vcc 0
		.amdhsa_float_round_mode_32 0
		.amdhsa_float_round_mode_16_64 0
		.amdhsa_float_denorm_mode_32 3
		.amdhsa_float_denorm_mode_16_64 3
		.amdhsa_fp16_overflow 0
		.amdhsa_workgroup_processor_mode 1
		.amdhsa_memory_ordered 1
		.amdhsa_forward_progress 1
		.amdhsa_inst_pref_size 0
		.amdhsa_round_robin_scheduling 0
		.amdhsa_exception_fp_ieee_invalid_op 0
		.amdhsa_exception_fp_denorm_src 0
		.amdhsa_exception_fp_ieee_div_zero 0
		.amdhsa_exception_fp_ieee_overflow 0
		.amdhsa_exception_fp_ieee_underflow 0
		.amdhsa_exception_fp_ieee_inexact 0
		.amdhsa_exception_int_div_zero 0
	.end_amdhsa_kernel
	.section	.text._ZN7rocprim17ROCPRIM_400000_NS6detail17trampoline_kernelINS0_14default_configENS1_22reduce_config_selectorIbEEZNS1_11reduce_implILb1ES3_N6hipcub16HIPCUB_304000_NS22TransformInputIteratorIbN2at6native12_GLOBAL__N_19NonZeroOpIN3c107complexIfEEEEPKSG_lEEPiiNS8_6detail34convert_binary_result_type_wrapperINS8_3SumESK_iEEEE10hipError_tPvRmT1_T2_T3_mT4_P12ihipStream_tbEUlT_E0_NS1_11comp_targetILNS1_3genE8ELNS1_11target_archE1030ELNS1_3gpuE2ELNS1_3repE0EEENS1_30default_config_static_selectorELNS0_4arch9wavefront6targetE0EEEvST_,"axG",@progbits,_ZN7rocprim17ROCPRIM_400000_NS6detail17trampoline_kernelINS0_14default_configENS1_22reduce_config_selectorIbEEZNS1_11reduce_implILb1ES3_N6hipcub16HIPCUB_304000_NS22TransformInputIteratorIbN2at6native12_GLOBAL__N_19NonZeroOpIN3c107complexIfEEEEPKSG_lEEPiiNS8_6detail34convert_binary_result_type_wrapperINS8_3SumESK_iEEEE10hipError_tPvRmT1_T2_T3_mT4_P12ihipStream_tbEUlT_E0_NS1_11comp_targetILNS1_3genE8ELNS1_11target_archE1030ELNS1_3gpuE2ELNS1_3repE0EEENS1_30default_config_static_selectorELNS0_4arch9wavefront6targetE0EEEvST_,comdat
.Lfunc_end584:
	.size	_ZN7rocprim17ROCPRIM_400000_NS6detail17trampoline_kernelINS0_14default_configENS1_22reduce_config_selectorIbEEZNS1_11reduce_implILb1ES3_N6hipcub16HIPCUB_304000_NS22TransformInputIteratorIbN2at6native12_GLOBAL__N_19NonZeroOpIN3c107complexIfEEEEPKSG_lEEPiiNS8_6detail34convert_binary_result_type_wrapperINS8_3SumESK_iEEEE10hipError_tPvRmT1_T2_T3_mT4_P12ihipStream_tbEUlT_E0_NS1_11comp_targetILNS1_3genE8ELNS1_11target_archE1030ELNS1_3gpuE2ELNS1_3repE0EEENS1_30default_config_static_selectorELNS0_4arch9wavefront6targetE0EEEvST_, .Lfunc_end584-_ZN7rocprim17ROCPRIM_400000_NS6detail17trampoline_kernelINS0_14default_configENS1_22reduce_config_selectorIbEEZNS1_11reduce_implILb1ES3_N6hipcub16HIPCUB_304000_NS22TransformInputIteratorIbN2at6native12_GLOBAL__N_19NonZeroOpIN3c107complexIfEEEEPKSG_lEEPiiNS8_6detail34convert_binary_result_type_wrapperINS8_3SumESK_iEEEE10hipError_tPvRmT1_T2_T3_mT4_P12ihipStream_tbEUlT_E0_NS1_11comp_targetILNS1_3genE8ELNS1_11target_archE1030ELNS1_3gpuE2ELNS1_3repE0EEENS1_30default_config_static_selectorELNS0_4arch9wavefront6targetE0EEEvST_
                                        ; -- End function
	.set _ZN7rocprim17ROCPRIM_400000_NS6detail17trampoline_kernelINS0_14default_configENS1_22reduce_config_selectorIbEEZNS1_11reduce_implILb1ES3_N6hipcub16HIPCUB_304000_NS22TransformInputIteratorIbN2at6native12_GLOBAL__N_19NonZeroOpIN3c107complexIfEEEEPKSG_lEEPiiNS8_6detail34convert_binary_result_type_wrapperINS8_3SumESK_iEEEE10hipError_tPvRmT1_T2_T3_mT4_P12ihipStream_tbEUlT_E0_NS1_11comp_targetILNS1_3genE8ELNS1_11target_archE1030ELNS1_3gpuE2ELNS1_3repE0EEENS1_30default_config_static_selectorELNS0_4arch9wavefront6targetE0EEEvST_.num_vgpr, 0
	.set _ZN7rocprim17ROCPRIM_400000_NS6detail17trampoline_kernelINS0_14default_configENS1_22reduce_config_selectorIbEEZNS1_11reduce_implILb1ES3_N6hipcub16HIPCUB_304000_NS22TransformInputIteratorIbN2at6native12_GLOBAL__N_19NonZeroOpIN3c107complexIfEEEEPKSG_lEEPiiNS8_6detail34convert_binary_result_type_wrapperINS8_3SumESK_iEEEE10hipError_tPvRmT1_T2_T3_mT4_P12ihipStream_tbEUlT_E0_NS1_11comp_targetILNS1_3genE8ELNS1_11target_archE1030ELNS1_3gpuE2ELNS1_3repE0EEENS1_30default_config_static_selectorELNS0_4arch9wavefront6targetE0EEEvST_.num_agpr, 0
	.set _ZN7rocprim17ROCPRIM_400000_NS6detail17trampoline_kernelINS0_14default_configENS1_22reduce_config_selectorIbEEZNS1_11reduce_implILb1ES3_N6hipcub16HIPCUB_304000_NS22TransformInputIteratorIbN2at6native12_GLOBAL__N_19NonZeroOpIN3c107complexIfEEEEPKSG_lEEPiiNS8_6detail34convert_binary_result_type_wrapperINS8_3SumESK_iEEEE10hipError_tPvRmT1_T2_T3_mT4_P12ihipStream_tbEUlT_E0_NS1_11comp_targetILNS1_3genE8ELNS1_11target_archE1030ELNS1_3gpuE2ELNS1_3repE0EEENS1_30default_config_static_selectorELNS0_4arch9wavefront6targetE0EEEvST_.numbered_sgpr, 0
	.set _ZN7rocprim17ROCPRIM_400000_NS6detail17trampoline_kernelINS0_14default_configENS1_22reduce_config_selectorIbEEZNS1_11reduce_implILb1ES3_N6hipcub16HIPCUB_304000_NS22TransformInputIteratorIbN2at6native12_GLOBAL__N_19NonZeroOpIN3c107complexIfEEEEPKSG_lEEPiiNS8_6detail34convert_binary_result_type_wrapperINS8_3SumESK_iEEEE10hipError_tPvRmT1_T2_T3_mT4_P12ihipStream_tbEUlT_E0_NS1_11comp_targetILNS1_3genE8ELNS1_11target_archE1030ELNS1_3gpuE2ELNS1_3repE0EEENS1_30default_config_static_selectorELNS0_4arch9wavefront6targetE0EEEvST_.num_named_barrier, 0
	.set _ZN7rocprim17ROCPRIM_400000_NS6detail17trampoline_kernelINS0_14default_configENS1_22reduce_config_selectorIbEEZNS1_11reduce_implILb1ES3_N6hipcub16HIPCUB_304000_NS22TransformInputIteratorIbN2at6native12_GLOBAL__N_19NonZeroOpIN3c107complexIfEEEEPKSG_lEEPiiNS8_6detail34convert_binary_result_type_wrapperINS8_3SumESK_iEEEE10hipError_tPvRmT1_T2_T3_mT4_P12ihipStream_tbEUlT_E0_NS1_11comp_targetILNS1_3genE8ELNS1_11target_archE1030ELNS1_3gpuE2ELNS1_3repE0EEENS1_30default_config_static_selectorELNS0_4arch9wavefront6targetE0EEEvST_.private_seg_size, 0
	.set _ZN7rocprim17ROCPRIM_400000_NS6detail17trampoline_kernelINS0_14default_configENS1_22reduce_config_selectorIbEEZNS1_11reduce_implILb1ES3_N6hipcub16HIPCUB_304000_NS22TransformInputIteratorIbN2at6native12_GLOBAL__N_19NonZeroOpIN3c107complexIfEEEEPKSG_lEEPiiNS8_6detail34convert_binary_result_type_wrapperINS8_3SumESK_iEEEE10hipError_tPvRmT1_T2_T3_mT4_P12ihipStream_tbEUlT_E0_NS1_11comp_targetILNS1_3genE8ELNS1_11target_archE1030ELNS1_3gpuE2ELNS1_3repE0EEENS1_30default_config_static_selectorELNS0_4arch9wavefront6targetE0EEEvST_.uses_vcc, 0
	.set _ZN7rocprim17ROCPRIM_400000_NS6detail17trampoline_kernelINS0_14default_configENS1_22reduce_config_selectorIbEEZNS1_11reduce_implILb1ES3_N6hipcub16HIPCUB_304000_NS22TransformInputIteratorIbN2at6native12_GLOBAL__N_19NonZeroOpIN3c107complexIfEEEEPKSG_lEEPiiNS8_6detail34convert_binary_result_type_wrapperINS8_3SumESK_iEEEE10hipError_tPvRmT1_T2_T3_mT4_P12ihipStream_tbEUlT_E0_NS1_11comp_targetILNS1_3genE8ELNS1_11target_archE1030ELNS1_3gpuE2ELNS1_3repE0EEENS1_30default_config_static_selectorELNS0_4arch9wavefront6targetE0EEEvST_.uses_flat_scratch, 0
	.set _ZN7rocprim17ROCPRIM_400000_NS6detail17trampoline_kernelINS0_14default_configENS1_22reduce_config_selectorIbEEZNS1_11reduce_implILb1ES3_N6hipcub16HIPCUB_304000_NS22TransformInputIteratorIbN2at6native12_GLOBAL__N_19NonZeroOpIN3c107complexIfEEEEPKSG_lEEPiiNS8_6detail34convert_binary_result_type_wrapperINS8_3SumESK_iEEEE10hipError_tPvRmT1_T2_T3_mT4_P12ihipStream_tbEUlT_E0_NS1_11comp_targetILNS1_3genE8ELNS1_11target_archE1030ELNS1_3gpuE2ELNS1_3repE0EEENS1_30default_config_static_selectorELNS0_4arch9wavefront6targetE0EEEvST_.has_dyn_sized_stack, 0
	.set _ZN7rocprim17ROCPRIM_400000_NS6detail17trampoline_kernelINS0_14default_configENS1_22reduce_config_selectorIbEEZNS1_11reduce_implILb1ES3_N6hipcub16HIPCUB_304000_NS22TransformInputIteratorIbN2at6native12_GLOBAL__N_19NonZeroOpIN3c107complexIfEEEEPKSG_lEEPiiNS8_6detail34convert_binary_result_type_wrapperINS8_3SumESK_iEEEE10hipError_tPvRmT1_T2_T3_mT4_P12ihipStream_tbEUlT_E0_NS1_11comp_targetILNS1_3genE8ELNS1_11target_archE1030ELNS1_3gpuE2ELNS1_3repE0EEENS1_30default_config_static_selectorELNS0_4arch9wavefront6targetE0EEEvST_.has_recursion, 0
	.set _ZN7rocprim17ROCPRIM_400000_NS6detail17trampoline_kernelINS0_14default_configENS1_22reduce_config_selectorIbEEZNS1_11reduce_implILb1ES3_N6hipcub16HIPCUB_304000_NS22TransformInputIteratorIbN2at6native12_GLOBAL__N_19NonZeroOpIN3c107complexIfEEEEPKSG_lEEPiiNS8_6detail34convert_binary_result_type_wrapperINS8_3SumESK_iEEEE10hipError_tPvRmT1_T2_T3_mT4_P12ihipStream_tbEUlT_E0_NS1_11comp_targetILNS1_3genE8ELNS1_11target_archE1030ELNS1_3gpuE2ELNS1_3repE0EEENS1_30default_config_static_selectorELNS0_4arch9wavefront6targetE0EEEvST_.has_indirect_call, 0
	.section	.AMDGPU.csdata,"",@progbits
; Kernel info:
; codeLenInByte = 0
; TotalNumSgprs: 0
; NumVgprs: 0
; ScratchSize: 0
; MemoryBound: 0
; FloatMode: 240
; IeeeMode: 1
; LDSByteSize: 0 bytes/workgroup (compile time only)
; SGPRBlocks: 0
; VGPRBlocks: 0
; NumSGPRsForWavesPerEU: 1
; NumVGPRsForWavesPerEU: 1
; Occupancy: 16
; WaveLimiterHint : 0
; COMPUTE_PGM_RSRC2:SCRATCH_EN: 0
; COMPUTE_PGM_RSRC2:USER_SGPR: 2
; COMPUTE_PGM_RSRC2:TRAP_HANDLER: 0
; COMPUTE_PGM_RSRC2:TGID_X_EN: 1
; COMPUTE_PGM_RSRC2:TGID_Y_EN: 0
; COMPUTE_PGM_RSRC2:TGID_Z_EN: 0
; COMPUTE_PGM_RSRC2:TIDIG_COMP_CNT: 0
	.section	.text._ZN7rocprim17ROCPRIM_400000_NS6detail17trampoline_kernelINS0_14default_configENS1_22reduce_config_selectorIbEEZNS1_11reduce_implILb1ES3_N6hipcub16HIPCUB_304000_NS22TransformInputIteratorIbN2at6native12_GLOBAL__N_19NonZeroOpIN3c107complexIfEEEEPKSG_lEEPiiNS8_6detail34convert_binary_result_type_wrapperINS8_3SumESK_iEEEE10hipError_tPvRmT1_T2_T3_mT4_P12ihipStream_tbEUlT_E1_NS1_11comp_targetILNS1_3genE0ELNS1_11target_archE4294967295ELNS1_3gpuE0ELNS1_3repE0EEENS1_30default_config_static_selectorELNS0_4arch9wavefront6targetE0EEEvST_,"axG",@progbits,_ZN7rocprim17ROCPRIM_400000_NS6detail17trampoline_kernelINS0_14default_configENS1_22reduce_config_selectorIbEEZNS1_11reduce_implILb1ES3_N6hipcub16HIPCUB_304000_NS22TransformInputIteratorIbN2at6native12_GLOBAL__N_19NonZeroOpIN3c107complexIfEEEEPKSG_lEEPiiNS8_6detail34convert_binary_result_type_wrapperINS8_3SumESK_iEEEE10hipError_tPvRmT1_T2_T3_mT4_P12ihipStream_tbEUlT_E1_NS1_11comp_targetILNS1_3genE0ELNS1_11target_archE4294967295ELNS1_3gpuE0ELNS1_3repE0EEENS1_30default_config_static_selectorELNS0_4arch9wavefront6targetE0EEEvST_,comdat
	.globl	_ZN7rocprim17ROCPRIM_400000_NS6detail17trampoline_kernelINS0_14default_configENS1_22reduce_config_selectorIbEEZNS1_11reduce_implILb1ES3_N6hipcub16HIPCUB_304000_NS22TransformInputIteratorIbN2at6native12_GLOBAL__N_19NonZeroOpIN3c107complexIfEEEEPKSG_lEEPiiNS8_6detail34convert_binary_result_type_wrapperINS8_3SumESK_iEEEE10hipError_tPvRmT1_T2_T3_mT4_P12ihipStream_tbEUlT_E1_NS1_11comp_targetILNS1_3genE0ELNS1_11target_archE4294967295ELNS1_3gpuE0ELNS1_3repE0EEENS1_30default_config_static_selectorELNS0_4arch9wavefront6targetE0EEEvST_ ; -- Begin function _ZN7rocprim17ROCPRIM_400000_NS6detail17trampoline_kernelINS0_14default_configENS1_22reduce_config_selectorIbEEZNS1_11reduce_implILb1ES3_N6hipcub16HIPCUB_304000_NS22TransformInputIteratorIbN2at6native12_GLOBAL__N_19NonZeroOpIN3c107complexIfEEEEPKSG_lEEPiiNS8_6detail34convert_binary_result_type_wrapperINS8_3SumESK_iEEEE10hipError_tPvRmT1_T2_T3_mT4_P12ihipStream_tbEUlT_E1_NS1_11comp_targetILNS1_3genE0ELNS1_11target_archE4294967295ELNS1_3gpuE0ELNS1_3repE0EEENS1_30default_config_static_selectorELNS0_4arch9wavefront6targetE0EEEvST_
	.p2align	8
	.type	_ZN7rocprim17ROCPRIM_400000_NS6detail17trampoline_kernelINS0_14default_configENS1_22reduce_config_selectorIbEEZNS1_11reduce_implILb1ES3_N6hipcub16HIPCUB_304000_NS22TransformInputIteratorIbN2at6native12_GLOBAL__N_19NonZeroOpIN3c107complexIfEEEEPKSG_lEEPiiNS8_6detail34convert_binary_result_type_wrapperINS8_3SumESK_iEEEE10hipError_tPvRmT1_T2_T3_mT4_P12ihipStream_tbEUlT_E1_NS1_11comp_targetILNS1_3genE0ELNS1_11target_archE4294967295ELNS1_3gpuE0ELNS1_3repE0EEENS1_30default_config_static_selectorELNS0_4arch9wavefront6targetE0EEEvST_,@function
_ZN7rocprim17ROCPRIM_400000_NS6detail17trampoline_kernelINS0_14default_configENS1_22reduce_config_selectorIbEEZNS1_11reduce_implILb1ES3_N6hipcub16HIPCUB_304000_NS22TransformInputIteratorIbN2at6native12_GLOBAL__N_19NonZeroOpIN3c107complexIfEEEEPKSG_lEEPiiNS8_6detail34convert_binary_result_type_wrapperINS8_3SumESK_iEEEE10hipError_tPvRmT1_T2_T3_mT4_P12ihipStream_tbEUlT_E1_NS1_11comp_targetILNS1_3genE0ELNS1_11target_archE4294967295ELNS1_3gpuE0ELNS1_3repE0EEENS1_30default_config_static_selectorELNS0_4arch9wavefront6targetE0EEEvST_: ; @_ZN7rocprim17ROCPRIM_400000_NS6detail17trampoline_kernelINS0_14default_configENS1_22reduce_config_selectorIbEEZNS1_11reduce_implILb1ES3_N6hipcub16HIPCUB_304000_NS22TransformInputIteratorIbN2at6native12_GLOBAL__N_19NonZeroOpIN3c107complexIfEEEEPKSG_lEEPiiNS8_6detail34convert_binary_result_type_wrapperINS8_3SumESK_iEEEE10hipError_tPvRmT1_T2_T3_mT4_P12ihipStream_tbEUlT_E1_NS1_11comp_targetILNS1_3genE0ELNS1_11target_archE4294967295ELNS1_3gpuE0ELNS1_3repE0EEENS1_30default_config_static_selectorELNS0_4arch9wavefront6targetE0EEEvST_
; %bb.0:
	.section	.rodata,"a",@progbits
	.p2align	6, 0x0
	.amdhsa_kernel _ZN7rocprim17ROCPRIM_400000_NS6detail17trampoline_kernelINS0_14default_configENS1_22reduce_config_selectorIbEEZNS1_11reduce_implILb1ES3_N6hipcub16HIPCUB_304000_NS22TransformInputIteratorIbN2at6native12_GLOBAL__N_19NonZeroOpIN3c107complexIfEEEEPKSG_lEEPiiNS8_6detail34convert_binary_result_type_wrapperINS8_3SumESK_iEEEE10hipError_tPvRmT1_T2_T3_mT4_P12ihipStream_tbEUlT_E1_NS1_11comp_targetILNS1_3genE0ELNS1_11target_archE4294967295ELNS1_3gpuE0ELNS1_3repE0EEENS1_30default_config_static_selectorELNS0_4arch9wavefront6targetE0EEEvST_
		.amdhsa_group_segment_fixed_size 0
		.amdhsa_private_segment_fixed_size 0
		.amdhsa_kernarg_size 48
		.amdhsa_user_sgpr_count 2
		.amdhsa_user_sgpr_dispatch_ptr 0
		.amdhsa_user_sgpr_queue_ptr 0
		.amdhsa_user_sgpr_kernarg_segment_ptr 1
		.amdhsa_user_sgpr_dispatch_id 0
		.amdhsa_user_sgpr_private_segment_size 0
		.amdhsa_wavefront_size32 1
		.amdhsa_uses_dynamic_stack 0
		.amdhsa_enable_private_segment 0
		.amdhsa_system_sgpr_workgroup_id_x 1
		.amdhsa_system_sgpr_workgroup_id_y 0
		.amdhsa_system_sgpr_workgroup_id_z 0
		.amdhsa_system_sgpr_workgroup_info 0
		.amdhsa_system_vgpr_workitem_id 0
		.amdhsa_next_free_vgpr 1
		.amdhsa_next_free_sgpr 1
		.amdhsa_reserve_vcc 0
		.amdhsa_float_round_mode_32 0
		.amdhsa_float_round_mode_16_64 0
		.amdhsa_float_denorm_mode_32 3
		.amdhsa_float_denorm_mode_16_64 3
		.amdhsa_fp16_overflow 0
		.amdhsa_workgroup_processor_mode 1
		.amdhsa_memory_ordered 1
		.amdhsa_forward_progress 1
		.amdhsa_inst_pref_size 0
		.amdhsa_round_robin_scheduling 0
		.amdhsa_exception_fp_ieee_invalid_op 0
		.amdhsa_exception_fp_denorm_src 0
		.amdhsa_exception_fp_ieee_div_zero 0
		.amdhsa_exception_fp_ieee_overflow 0
		.amdhsa_exception_fp_ieee_underflow 0
		.amdhsa_exception_fp_ieee_inexact 0
		.amdhsa_exception_int_div_zero 0
	.end_amdhsa_kernel
	.section	.text._ZN7rocprim17ROCPRIM_400000_NS6detail17trampoline_kernelINS0_14default_configENS1_22reduce_config_selectorIbEEZNS1_11reduce_implILb1ES3_N6hipcub16HIPCUB_304000_NS22TransformInputIteratorIbN2at6native12_GLOBAL__N_19NonZeroOpIN3c107complexIfEEEEPKSG_lEEPiiNS8_6detail34convert_binary_result_type_wrapperINS8_3SumESK_iEEEE10hipError_tPvRmT1_T2_T3_mT4_P12ihipStream_tbEUlT_E1_NS1_11comp_targetILNS1_3genE0ELNS1_11target_archE4294967295ELNS1_3gpuE0ELNS1_3repE0EEENS1_30default_config_static_selectorELNS0_4arch9wavefront6targetE0EEEvST_,"axG",@progbits,_ZN7rocprim17ROCPRIM_400000_NS6detail17trampoline_kernelINS0_14default_configENS1_22reduce_config_selectorIbEEZNS1_11reduce_implILb1ES3_N6hipcub16HIPCUB_304000_NS22TransformInputIteratorIbN2at6native12_GLOBAL__N_19NonZeroOpIN3c107complexIfEEEEPKSG_lEEPiiNS8_6detail34convert_binary_result_type_wrapperINS8_3SumESK_iEEEE10hipError_tPvRmT1_T2_T3_mT4_P12ihipStream_tbEUlT_E1_NS1_11comp_targetILNS1_3genE0ELNS1_11target_archE4294967295ELNS1_3gpuE0ELNS1_3repE0EEENS1_30default_config_static_selectorELNS0_4arch9wavefront6targetE0EEEvST_,comdat
.Lfunc_end585:
	.size	_ZN7rocprim17ROCPRIM_400000_NS6detail17trampoline_kernelINS0_14default_configENS1_22reduce_config_selectorIbEEZNS1_11reduce_implILb1ES3_N6hipcub16HIPCUB_304000_NS22TransformInputIteratorIbN2at6native12_GLOBAL__N_19NonZeroOpIN3c107complexIfEEEEPKSG_lEEPiiNS8_6detail34convert_binary_result_type_wrapperINS8_3SumESK_iEEEE10hipError_tPvRmT1_T2_T3_mT4_P12ihipStream_tbEUlT_E1_NS1_11comp_targetILNS1_3genE0ELNS1_11target_archE4294967295ELNS1_3gpuE0ELNS1_3repE0EEENS1_30default_config_static_selectorELNS0_4arch9wavefront6targetE0EEEvST_, .Lfunc_end585-_ZN7rocprim17ROCPRIM_400000_NS6detail17trampoline_kernelINS0_14default_configENS1_22reduce_config_selectorIbEEZNS1_11reduce_implILb1ES3_N6hipcub16HIPCUB_304000_NS22TransformInputIteratorIbN2at6native12_GLOBAL__N_19NonZeroOpIN3c107complexIfEEEEPKSG_lEEPiiNS8_6detail34convert_binary_result_type_wrapperINS8_3SumESK_iEEEE10hipError_tPvRmT1_T2_T3_mT4_P12ihipStream_tbEUlT_E1_NS1_11comp_targetILNS1_3genE0ELNS1_11target_archE4294967295ELNS1_3gpuE0ELNS1_3repE0EEENS1_30default_config_static_selectorELNS0_4arch9wavefront6targetE0EEEvST_
                                        ; -- End function
	.set _ZN7rocprim17ROCPRIM_400000_NS6detail17trampoline_kernelINS0_14default_configENS1_22reduce_config_selectorIbEEZNS1_11reduce_implILb1ES3_N6hipcub16HIPCUB_304000_NS22TransformInputIteratorIbN2at6native12_GLOBAL__N_19NonZeroOpIN3c107complexIfEEEEPKSG_lEEPiiNS8_6detail34convert_binary_result_type_wrapperINS8_3SumESK_iEEEE10hipError_tPvRmT1_T2_T3_mT4_P12ihipStream_tbEUlT_E1_NS1_11comp_targetILNS1_3genE0ELNS1_11target_archE4294967295ELNS1_3gpuE0ELNS1_3repE0EEENS1_30default_config_static_selectorELNS0_4arch9wavefront6targetE0EEEvST_.num_vgpr, 0
	.set _ZN7rocprim17ROCPRIM_400000_NS6detail17trampoline_kernelINS0_14default_configENS1_22reduce_config_selectorIbEEZNS1_11reduce_implILb1ES3_N6hipcub16HIPCUB_304000_NS22TransformInputIteratorIbN2at6native12_GLOBAL__N_19NonZeroOpIN3c107complexIfEEEEPKSG_lEEPiiNS8_6detail34convert_binary_result_type_wrapperINS8_3SumESK_iEEEE10hipError_tPvRmT1_T2_T3_mT4_P12ihipStream_tbEUlT_E1_NS1_11comp_targetILNS1_3genE0ELNS1_11target_archE4294967295ELNS1_3gpuE0ELNS1_3repE0EEENS1_30default_config_static_selectorELNS0_4arch9wavefront6targetE0EEEvST_.num_agpr, 0
	.set _ZN7rocprim17ROCPRIM_400000_NS6detail17trampoline_kernelINS0_14default_configENS1_22reduce_config_selectorIbEEZNS1_11reduce_implILb1ES3_N6hipcub16HIPCUB_304000_NS22TransformInputIteratorIbN2at6native12_GLOBAL__N_19NonZeroOpIN3c107complexIfEEEEPKSG_lEEPiiNS8_6detail34convert_binary_result_type_wrapperINS8_3SumESK_iEEEE10hipError_tPvRmT1_T2_T3_mT4_P12ihipStream_tbEUlT_E1_NS1_11comp_targetILNS1_3genE0ELNS1_11target_archE4294967295ELNS1_3gpuE0ELNS1_3repE0EEENS1_30default_config_static_selectorELNS0_4arch9wavefront6targetE0EEEvST_.numbered_sgpr, 0
	.set _ZN7rocprim17ROCPRIM_400000_NS6detail17trampoline_kernelINS0_14default_configENS1_22reduce_config_selectorIbEEZNS1_11reduce_implILb1ES3_N6hipcub16HIPCUB_304000_NS22TransformInputIteratorIbN2at6native12_GLOBAL__N_19NonZeroOpIN3c107complexIfEEEEPKSG_lEEPiiNS8_6detail34convert_binary_result_type_wrapperINS8_3SumESK_iEEEE10hipError_tPvRmT1_T2_T3_mT4_P12ihipStream_tbEUlT_E1_NS1_11comp_targetILNS1_3genE0ELNS1_11target_archE4294967295ELNS1_3gpuE0ELNS1_3repE0EEENS1_30default_config_static_selectorELNS0_4arch9wavefront6targetE0EEEvST_.num_named_barrier, 0
	.set _ZN7rocprim17ROCPRIM_400000_NS6detail17trampoline_kernelINS0_14default_configENS1_22reduce_config_selectorIbEEZNS1_11reduce_implILb1ES3_N6hipcub16HIPCUB_304000_NS22TransformInputIteratorIbN2at6native12_GLOBAL__N_19NonZeroOpIN3c107complexIfEEEEPKSG_lEEPiiNS8_6detail34convert_binary_result_type_wrapperINS8_3SumESK_iEEEE10hipError_tPvRmT1_T2_T3_mT4_P12ihipStream_tbEUlT_E1_NS1_11comp_targetILNS1_3genE0ELNS1_11target_archE4294967295ELNS1_3gpuE0ELNS1_3repE0EEENS1_30default_config_static_selectorELNS0_4arch9wavefront6targetE0EEEvST_.private_seg_size, 0
	.set _ZN7rocprim17ROCPRIM_400000_NS6detail17trampoline_kernelINS0_14default_configENS1_22reduce_config_selectorIbEEZNS1_11reduce_implILb1ES3_N6hipcub16HIPCUB_304000_NS22TransformInputIteratorIbN2at6native12_GLOBAL__N_19NonZeroOpIN3c107complexIfEEEEPKSG_lEEPiiNS8_6detail34convert_binary_result_type_wrapperINS8_3SumESK_iEEEE10hipError_tPvRmT1_T2_T3_mT4_P12ihipStream_tbEUlT_E1_NS1_11comp_targetILNS1_3genE0ELNS1_11target_archE4294967295ELNS1_3gpuE0ELNS1_3repE0EEENS1_30default_config_static_selectorELNS0_4arch9wavefront6targetE0EEEvST_.uses_vcc, 0
	.set _ZN7rocprim17ROCPRIM_400000_NS6detail17trampoline_kernelINS0_14default_configENS1_22reduce_config_selectorIbEEZNS1_11reduce_implILb1ES3_N6hipcub16HIPCUB_304000_NS22TransformInputIteratorIbN2at6native12_GLOBAL__N_19NonZeroOpIN3c107complexIfEEEEPKSG_lEEPiiNS8_6detail34convert_binary_result_type_wrapperINS8_3SumESK_iEEEE10hipError_tPvRmT1_T2_T3_mT4_P12ihipStream_tbEUlT_E1_NS1_11comp_targetILNS1_3genE0ELNS1_11target_archE4294967295ELNS1_3gpuE0ELNS1_3repE0EEENS1_30default_config_static_selectorELNS0_4arch9wavefront6targetE0EEEvST_.uses_flat_scratch, 0
	.set _ZN7rocprim17ROCPRIM_400000_NS6detail17trampoline_kernelINS0_14default_configENS1_22reduce_config_selectorIbEEZNS1_11reduce_implILb1ES3_N6hipcub16HIPCUB_304000_NS22TransformInputIteratorIbN2at6native12_GLOBAL__N_19NonZeroOpIN3c107complexIfEEEEPKSG_lEEPiiNS8_6detail34convert_binary_result_type_wrapperINS8_3SumESK_iEEEE10hipError_tPvRmT1_T2_T3_mT4_P12ihipStream_tbEUlT_E1_NS1_11comp_targetILNS1_3genE0ELNS1_11target_archE4294967295ELNS1_3gpuE0ELNS1_3repE0EEENS1_30default_config_static_selectorELNS0_4arch9wavefront6targetE0EEEvST_.has_dyn_sized_stack, 0
	.set _ZN7rocprim17ROCPRIM_400000_NS6detail17trampoline_kernelINS0_14default_configENS1_22reduce_config_selectorIbEEZNS1_11reduce_implILb1ES3_N6hipcub16HIPCUB_304000_NS22TransformInputIteratorIbN2at6native12_GLOBAL__N_19NonZeroOpIN3c107complexIfEEEEPKSG_lEEPiiNS8_6detail34convert_binary_result_type_wrapperINS8_3SumESK_iEEEE10hipError_tPvRmT1_T2_T3_mT4_P12ihipStream_tbEUlT_E1_NS1_11comp_targetILNS1_3genE0ELNS1_11target_archE4294967295ELNS1_3gpuE0ELNS1_3repE0EEENS1_30default_config_static_selectorELNS0_4arch9wavefront6targetE0EEEvST_.has_recursion, 0
	.set _ZN7rocprim17ROCPRIM_400000_NS6detail17trampoline_kernelINS0_14default_configENS1_22reduce_config_selectorIbEEZNS1_11reduce_implILb1ES3_N6hipcub16HIPCUB_304000_NS22TransformInputIteratorIbN2at6native12_GLOBAL__N_19NonZeroOpIN3c107complexIfEEEEPKSG_lEEPiiNS8_6detail34convert_binary_result_type_wrapperINS8_3SumESK_iEEEE10hipError_tPvRmT1_T2_T3_mT4_P12ihipStream_tbEUlT_E1_NS1_11comp_targetILNS1_3genE0ELNS1_11target_archE4294967295ELNS1_3gpuE0ELNS1_3repE0EEENS1_30default_config_static_selectorELNS0_4arch9wavefront6targetE0EEEvST_.has_indirect_call, 0
	.section	.AMDGPU.csdata,"",@progbits
; Kernel info:
; codeLenInByte = 0
; TotalNumSgprs: 0
; NumVgprs: 0
; ScratchSize: 0
; MemoryBound: 0
; FloatMode: 240
; IeeeMode: 1
; LDSByteSize: 0 bytes/workgroup (compile time only)
; SGPRBlocks: 0
; VGPRBlocks: 0
; NumSGPRsForWavesPerEU: 1
; NumVGPRsForWavesPerEU: 1
; Occupancy: 16
; WaveLimiterHint : 0
; COMPUTE_PGM_RSRC2:SCRATCH_EN: 0
; COMPUTE_PGM_RSRC2:USER_SGPR: 2
; COMPUTE_PGM_RSRC2:TRAP_HANDLER: 0
; COMPUTE_PGM_RSRC2:TGID_X_EN: 1
; COMPUTE_PGM_RSRC2:TGID_Y_EN: 0
; COMPUTE_PGM_RSRC2:TGID_Z_EN: 0
; COMPUTE_PGM_RSRC2:TIDIG_COMP_CNT: 0
	.section	.text._ZN7rocprim17ROCPRIM_400000_NS6detail17trampoline_kernelINS0_14default_configENS1_22reduce_config_selectorIbEEZNS1_11reduce_implILb1ES3_N6hipcub16HIPCUB_304000_NS22TransformInputIteratorIbN2at6native12_GLOBAL__N_19NonZeroOpIN3c107complexIfEEEEPKSG_lEEPiiNS8_6detail34convert_binary_result_type_wrapperINS8_3SumESK_iEEEE10hipError_tPvRmT1_T2_T3_mT4_P12ihipStream_tbEUlT_E1_NS1_11comp_targetILNS1_3genE5ELNS1_11target_archE942ELNS1_3gpuE9ELNS1_3repE0EEENS1_30default_config_static_selectorELNS0_4arch9wavefront6targetE0EEEvST_,"axG",@progbits,_ZN7rocprim17ROCPRIM_400000_NS6detail17trampoline_kernelINS0_14default_configENS1_22reduce_config_selectorIbEEZNS1_11reduce_implILb1ES3_N6hipcub16HIPCUB_304000_NS22TransformInputIteratorIbN2at6native12_GLOBAL__N_19NonZeroOpIN3c107complexIfEEEEPKSG_lEEPiiNS8_6detail34convert_binary_result_type_wrapperINS8_3SumESK_iEEEE10hipError_tPvRmT1_T2_T3_mT4_P12ihipStream_tbEUlT_E1_NS1_11comp_targetILNS1_3genE5ELNS1_11target_archE942ELNS1_3gpuE9ELNS1_3repE0EEENS1_30default_config_static_selectorELNS0_4arch9wavefront6targetE0EEEvST_,comdat
	.globl	_ZN7rocprim17ROCPRIM_400000_NS6detail17trampoline_kernelINS0_14default_configENS1_22reduce_config_selectorIbEEZNS1_11reduce_implILb1ES3_N6hipcub16HIPCUB_304000_NS22TransformInputIteratorIbN2at6native12_GLOBAL__N_19NonZeroOpIN3c107complexIfEEEEPKSG_lEEPiiNS8_6detail34convert_binary_result_type_wrapperINS8_3SumESK_iEEEE10hipError_tPvRmT1_T2_T3_mT4_P12ihipStream_tbEUlT_E1_NS1_11comp_targetILNS1_3genE5ELNS1_11target_archE942ELNS1_3gpuE9ELNS1_3repE0EEENS1_30default_config_static_selectorELNS0_4arch9wavefront6targetE0EEEvST_ ; -- Begin function _ZN7rocprim17ROCPRIM_400000_NS6detail17trampoline_kernelINS0_14default_configENS1_22reduce_config_selectorIbEEZNS1_11reduce_implILb1ES3_N6hipcub16HIPCUB_304000_NS22TransformInputIteratorIbN2at6native12_GLOBAL__N_19NonZeroOpIN3c107complexIfEEEEPKSG_lEEPiiNS8_6detail34convert_binary_result_type_wrapperINS8_3SumESK_iEEEE10hipError_tPvRmT1_T2_T3_mT4_P12ihipStream_tbEUlT_E1_NS1_11comp_targetILNS1_3genE5ELNS1_11target_archE942ELNS1_3gpuE9ELNS1_3repE0EEENS1_30default_config_static_selectorELNS0_4arch9wavefront6targetE0EEEvST_
	.p2align	8
	.type	_ZN7rocprim17ROCPRIM_400000_NS6detail17trampoline_kernelINS0_14default_configENS1_22reduce_config_selectorIbEEZNS1_11reduce_implILb1ES3_N6hipcub16HIPCUB_304000_NS22TransformInputIteratorIbN2at6native12_GLOBAL__N_19NonZeroOpIN3c107complexIfEEEEPKSG_lEEPiiNS8_6detail34convert_binary_result_type_wrapperINS8_3SumESK_iEEEE10hipError_tPvRmT1_T2_T3_mT4_P12ihipStream_tbEUlT_E1_NS1_11comp_targetILNS1_3genE5ELNS1_11target_archE942ELNS1_3gpuE9ELNS1_3repE0EEENS1_30default_config_static_selectorELNS0_4arch9wavefront6targetE0EEEvST_,@function
_ZN7rocprim17ROCPRIM_400000_NS6detail17trampoline_kernelINS0_14default_configENS1_22reduce_config_selectorIbEEZNS1_11reduce_implILb1ES3_N6hipcub16HIPCUB_304000_NS22TransformInputIteratorIbN2at6native12_GLOBAL__N_19NonZeroOpIN3c107complexIfEEEEPKSG_lEEPiiNS8_6detail34convert_binary_result_type_wrapperINS8_3SumESK_iEEEE10hipError_tPvRmT1_T2_T3_mT4_P12ihipStream_tbEUlT_E1_NS1_11comp_targetILNS1_3genE5ELNS1_11target_archE942ELNS1_3gpuE9ELNS1_3repE0EEENS1_30default_config_static_selectorELNS0_4arch9wavefront6targetE0EEEvST_: ; @_ZN7rocprim17ROCPRIM_400000_NS6detail17trampoline_kernelINS0_14default_configENS1_22reduce_config_selectorIbEEZNS1_11reduce_implILb1ES3_N6hipcub16HIPCUB_304000_NS22TransformInputIteratorIbN2at6native12_GLOBAL__N_19NonZeroOpIN3c107complexIfEEEEPKSG_lEEPiiNS8_6detail34convert_binary_result_type_wrapperINS8_3SumESK_iEEEE10hipError_tPvRmT1_T2_T3_mT4_P12ihipStream_tbEUlT_E1_NS1_11comp_targetILNS1_3genE5ELNS1_11target_archE942ELNS1_3gpuE9ELNS1_3repE0EEENS1_30default_config_static_selectorELNS0_4arch9wavefront6targetE0EEEvST_
; %bb.0:
	.section	.rodata,"a",@progbits
	.p2align	6, 0x0
	.amdhsa_kernel _ZN7rocprim17ROCPRIM_400000_NS6detail17trampoline_kernelINS0_14default_configENS1_22reduce_config_selectorIbEEZNS1_11reduce_implILb1ES3_N6hipcub16HIPCUB_304000_NS22TransformInputIteratorIbN2at6native12_GLOBAL__N_19NonZeroOpIN3c107complexIfEEEEPKSG_lEEPiiNS8_6detail34convert_binary_result_type_wrapperINS8_3SumESK_iEEEE10hipError_tPvRmT1_T2_T3_mT4_P12ihipStream_tbEUlT_E1_NS1_11comp_targetILNS1_3genE5ELNS1_11target_archE942ELNS1_3gpuE9ELNS1_3repE0EEENS1_30default_config_static_selectorELNS0_4arch9wavefront6targetE0EEEvST_
		.amdhsa_group_segment_fixed_size 0
		.amdhsa_private_segment_fixed_size 0
		.amdhsa_kernarg_size 48
		.amdhsa_user_sgpr_count 2
		.amdhsa_user_sgpr_dispatch_ptr 0
		.amdhsa_user_sgpr_queue_ptr 0
		.amdhsa_user_sgpr_kernarg_segment_ptr 1
		.amdhsa_user_sgpr_dispatch_id 0
		.amdhsa_user_sgpr_private_segment_size 0
		.amdhsa_wavefront_size32 1
		.amdhsa_uses_dynamic_stack 0
		.amdhsa_enable_private_segment 0
		.amdhsa_system_sgpr_workgroup_id_x 1
		.amdhsa_system_sgpr_workgroup_id_y 0
		.amdhsa_system_sgpr_workgroup_id_z 0
		.amdhsa_system_sgpr_workgroup_info 0
		.amdhsa_system_vgpr_workitem_id 0
		.amdhsa_next_free_vgpr 1
		.amdhsa_next_free_sgpr 1
		.amdhsa_reserve_vcc 0
		.amdhsa_float_round_mode_32 0
		.amdhsa_float_round_mode_16_64 0
		.amdhsa_float_denorm_mode_32 3
		.amdhsa_float_denorm_mode_16_64 3
		.amdhsa_fp16_overflow 0
		.amdhsa_workgroup_processor_mode 1
		.amdhsa_memory_ordered 1
		.amdhsa_forward_progress 1
		.amdhsa_inst_pref_size 0
		.amdhsa_round_robin_scheduling 0
		.amdhsa_exception_fp_ieee_invalid_op 0
		.amdhsa_exception_fp_denorm_src 0
		.amdhsa_exception_fp_ieee_div_zero 0
		.amdhsa_exception_fp_ieee_overflow 0
		.amdhsa_exception_fp_ieee_underflow 0
		.amdhsa_exception_fp_ieee_inexact 0
		.amdhsa_exception_int_div_zero 0
	.end_amdhsa_kernel
	.section	.text._ZN7rocprim17ROCPRIM_400000_NS6detail17trampoline_kernelINS0_14default_configENS1_22reduce_config_selectorIbEEZNS1_11reduce_implILb1ES3_N6hipcub16HIPCUB_304000_NS22TransformInputIteratorIbN2at6native12_GLOBAL__N_19NonZeroOpIN3c107complexIfEEEEPKSG_lEEPiiNS8_6detail34convert_binary_result_type_wrapperINS8_3SumESK_iEEEE10hipError_tPvRmT1_T2_T3_mT4_P12ihipStream_tbEUlT_E1_NS1_11comp_targetILNS1_3genE5ELNS1_11target_archE942ELNS1_3gpuE9ELNS1_3repE0EEENS1_30default_config_static_selectorELNS0_4arch9wavefront6targetE0EEEvST_,"axG",@progbits,_ZN7rocprim17ROCPRIM_400000_NS6detail17trampoline_kernelINS0_14default_configENS1_22reduce_config_selectorIbEEZNS1_11reduce_implILb1ES3_N6hipcub16HIPCUB_304000_NS22TransformInputIteratorIbN2at6native12_GLOBAL__N_19NonZeroOpIN3c107complexIfEEEEPKSG_lEEPiiNS8_6detail34convert_binary_result_type_wrapperINS8_3SumESK_iEEEE10hipError_tPvRmT1_T2_T3_mT4_P12ihipStream_tbEUlT_E1_NS1_11comp_targetILNS1_3genE5ELNS1_11target_archE942ELNS1_3gpuE9ELNS1_3repE0EEENS1_30default_config_static_selectorELNS0_4arch9wavefront6targetE0EEEvST_,comdat
.Lfunc_end586:
	.size	_ZN7rocprim17ROCPRIM_400000_NS6detail17trampoline_kernelINS0_14default_configENS1_22reduce_config_selectorIbEEZNS1_11reduce_implILb1ES3_N6hipcub16HIPCUB_304000_NS22TransformInputIteratorIbN2at6native12_GLOBAL__N_19NonZeroOpIN3c107complexIfEEEEPKSG_lEEPiiNS8_6detail34convert_binary_result_type_wrapperINS8_3SumESK_iEEEE10hipError_tPvRmT1_T2_T3_mT4_P12ihipStream_tbEUlT_E1_NS1_11comp_targetILNS1_3genE5ELNS1_11target_archE942ELNS1_3gpuE9ELNS1_3repE0EEENS1_30default_config_static_selectorELNS0_4arch9wavefront6targetE0EEEvST_, .Lfunc_end586-_ZN7rocprim17ROCPRIM_400000_NS6detail17trampoline_kernelINS0_14default_configENS1_22reduce_config_selectorIbEEZNS1_11reduce_implILb1ES3_N6hipcub16HIPCUB_304000_NS22TransformInputIteratorIbN2at6native12_GLOBAL__N_19NonZeroOpIN3c107complexIfEEEEPKSG_lEEPiiNS8_6detail34convert_binary_result_type_wrapperINS8_3SumESK_iEEEE10hipError_tPvRmT1_T2_T3_mT4_P12ihipStream_tbEUlT_E1_NS1_11comp_targetILNS1_3genE5ELNS1_11target_archE942ELNS1_3gpuE9ELNS1_3repE0EEENS1_30default_config_static_selectorELNS0_4arch9wavefront6targetE0EEEvST_
                                        ; -- End function
	.set _ZN7rocprim17ROCPRIM_400000_NS6detail17trampoline_kernelINS0_14default_configENS1_22reduce_config_selectorIbEEZNS1_11reduce_implILb1ES3_N6hipcub16HIPCUB_304000_NS22TransformInputIteratorIbN2at6native12_GLOBAL__N_19NonZeroOpIN3c107complexIfEEEEPKSG_lEEPiiNS8_6detail34convert_binary_result_type_wrapperINS8_3SumESK_iEEEE10hipError_tPvRmT1_T2_T3_mT4_P12ihipStream_tbEUlT_E1_NS1_11comp_targetILNS1_3genE5ELNS1_11target_archE942ELNS1_3gpuE9ELNS1_3repE0EEENS1_30default_config_static_selectorELNS0_4arch9wavefront6targetE0EEEvST_.num_vgpr, 0
	.set _ZN7rocprim17ROCPRIM_400000_NS6detail17trampoline_kernelINS0_14default_configENS1_22reduce_config_selectorIbEEZNS1_11reduce_implILb1ES3_N6hipcub16HIPCUB_304000_NS22TransformInputIteratorIbN2at6native12_GLOBAL__N_19NonZeroOpIN3c107complexIfEEEEPKSG_lEEPiiNS8_6detail34convert_binary_result_type_wrapperINS8_3SumESK_iEEEE10hipError_tPvRmT1_T2_T3_mT4_P12ihipStream_tbEUlT_E1_NS1_11comp_targetILNS1_3genE5ELNS1_11target_archE942ELNS1_3gpuE9ELNS1_3repE0EEENS1_30default_config_static_selectorELNS0_4arch9wavefront6targetE0EEEvST_.num_agpr, 0
	.set _ZN7rocprim17ROCPRIM_400000_NS6detail17trampoline_kernelINS0_14default_configENS1_22reduce_config_selectorIbEEZNS1_11reduce_implILb1ES3_N6hipcub16HIPCUB_304000_NS22TransformInputIteratorIbN2at6native12_GLOBAL__N_19NonZeroOpIN3c107complexIfEEEEPKSG_lEEPiiNS8_6detail34convert_binary_result_type_wrapperINS8_3SumESK_iEEEE10hipError_tPvRmT1_T2_T3_mT4_P12ihipStream_tbEUlT_E1_NS1_11comp_targetILNS1_3genE5ELNS1_11target_archE942ELNS1_3gpuE9ELNS1_3repE0EEENS1_30default_config_static_selectorELNS0_4arch9wavefront6targetE0EEEvST_.numbered_sgpr, 0
	.set _ZN7rocprim17ROCPRIM_400000_NS6detail17trampoline_kernelINS0_14default_configENS1_22reduce_config_selectorIbEEZNS1_11reduce_implILb1ES3_N6hipcub16HIPCUB_304000_NS22TransformInputIteratorIbN2at6native12_GLOBAL__N_19NonZeroOpIN3c107complexIfEEEEPKSG_lEEPiiNS8_6detail34convert_binary_result_type_wrapperINS8_3SumESK_iEEEE10hipError_tPvRmT1_T2_T3_mT4_P12ihipStream_tbEUlT_E1_NS1_11comp_targetILNS1_3genE5ELNS1_11target_archE942ELNS1_3gpuE9ELNS1_3repE0EEENS1_30default_config_static_selectorELNS0_4arch9wavefront6targetE0EEEvST_.num_named_barrier, 0
	.set _ZN7rocprim17ROCPRIM_400000_NS6detail17trampoline_kernelINS0_14default_configENS1_22reduce_config_selectorIbEEZNS1_11reduce_implILb1ES3_N6hipcub16HIPCUB_304000_NS22TransformInputIteratorIbN2at6native12_GLOBAL__N_19NonZeroOpIN3c107complexIfEEEEPKSG_lEEPiiNS8_6detail34convert_binary_result_type_wrapperINS8_3SumESK_iEEEE10hipError_tPvRmT1_T2_T3_mT4_P12ihipStream_tbEUlT_E1_NS1_11comp_targetILNS1_3genE5ELNS1_11target_archE942ELNS1_3gpuE9ELNS1_3repE0EEENS1_30default_config_static_selectorELNS0_4arch9wavefront6targetE0EEEvST_.private_seg_size, 0
	.set _ZN7rocprim17ROCPRIM_400000_NS6detail17trampoline_kernelINS0_14default_configENS1_22reduce_config_selectorIbEEZNS1_11reduce_implILb1ES3_N6hipcub16HIPCUB_304000_NS22TransformInputIteratorIbN2at6native12_GLOBAL__N_19NonZeroOpIN3c107complexIfEEEEPKSG_lEEPiiNS8_6detail34convert_binary_result_type_wrapperINS8_3SumESK_iEEEE10hipError_tPvRmT1_T2_T3_mT4_P12ihipStream_tbEUlT_E1_NS1_11comp_targetILNS1_3genE5ELNS1_11target_archE942ELNS1_3gpuE9ELNS1_3repE0EEENS1_30default_config_static_selectorELNS0_4arch9wavefront6targetE0EEEvST_.uses_vcc, 0
	.set _ZN7rocprim17ROCPRIM_400000_NS6detail17trampoline_kernelINS0_14default_configENS1_22reduce_config_selectorIbEEZNS1_11reduce_implILb1ES3_N6hipcub16HIPCUB_304000_NS22TransformInputIteratorIbN2at6native12_GLOBAL__N_19NonZeroOpIN3c107complexIfEEEEPKSG_lEEPiiNS8_6detail34convert_binary_result_type_wrapperINS8_3SumESK_iEEEE10hipError_tPvRmT1_T2_T3_mT4_P12ihipStream_tbEUlT_E1_NS1_11comp_targetILNS1_3genE5ELNS1_11target_archE942ELNS1_3gpuE9ELNS1_3repE0EEENS1_30default_config_static_selectorELNS0_4arch9wavefront6targetE0EEEvST_.uses_flat_scratch, 0
	.set _ZN7rocprim17ROCPRIM_400000_NS6detail17trampoline_kernelINS0_14default_configENS1_22reduce_config_selectorIbEEZNS1_11reduce_implILb1ES3_N6hipcub16HIPCUB_304000_NS22TransformInputIteratorIbN2at6native12_GLOBAL__N_19NonZeroOpIN3c107complexIfEEEEPKSG_lEEPiiNS8_6detail34convert_binary_result_type_wrapperINS8_3SumESK_iEEEE10hipError_tPvRmT1_T2_T3_mT4_P12ihipStream_tbEUlT_E1_NS1_11comp_targetILNS1_3genE5ELNS1_11target_archE942ELNS1_3gpuE9ELNS1_3repE0EEENS1_30default_config_static_selectorELNS0_4arch9wavefront6targetE0EEEvST_.has_dyn_sized_stack, 0
	.set _ZN7rocprim17ROCPRIM_400000_NS6detail17trampoline_kernelINS0_14default_configENS1_22reduce_config_selectorIbEEZNS1_11reduce_implILb1ES3_N6hipcub16HIPCUB_304000_NS22TransformInputIteratorIbN2at6native12_GLOBAL__N_19NonZeroOpIN3c107complexIfEEEEPKSG_lEEPiiNS8_6detail34convert_binary_result_type_wrapperINS8_3SumESK_iEEEE10hipError_tPvRmT1_T2_T3_mT4_P12ihipStream_tbEUlT_E1_NS1_11comp_targetILNS1_3genE5ELNS1_11target_archE942ELNS1_3gpuE9ELNS1_3repE0EEENS1_30default_config_static_selectorELNS0_4arch9wavefront6targetE0EEEvST_.has_recursion, 0
	.set _ZN7rocprim17ROCPRIM_400000_NS6detail17trampoline_kernelINS0_14default_configENS1_22reduce_config_selectorIbEEZNS1_11reduce_implILb1ES3_N6hipcub16HIPCUB_304000_NS22TransformInputIteratorIbN2at6native12_GLOBAL__N_19NonZeroOpIN3c107complexIfEEEEPKSG_lEEPiiNS8_6detail34convert_binary_result_type_wrapperINS8_3SumESK_iEEEE10hipError_tPvRmT1_T2_T3_mT4_P12ihipStream_tbEUlT_E1_NS1_11comp_targetILNS1_3genE5ELNS1_11target_archE942ELNS1_3gpuE9ELNS1_3repE0EEENS1_30default_config_static_selectorELNS0_4arch9wavefront6targetE0EEEvST_.has_indirect_call, 0
	.section	.AMDGPU.csdata,"",@progbits
; Kernel info:
; codeLenInByte = 0
; TotalNumSgprs: 0
; NumVgprs: 0
; ScratchSize: 0
; MemoryBound: 0
; FloatMode: 240
; IeeeMode: 1
; LDSByteSize: 0 bytes/workgroup (compile time only)
; SGPRBlocks: 0
; VGPRBlocks: 0
; NumSGPRsForWavesPerEU: 1
; NumVGPRsForWavesPerEU: 1
; Occupancy: 16
; WaveLimiterHint : 0
; COMPUTE_PGM_RSRC2:SCRATCH_EN: 0
; COMPUTE_PGM_RSRC2:USER_SGPR: 2
; COMPUTE_PGM_RSRC2:TRAP_HANDLER: 0
; COMPUTE_PGM_RSRC2:TGID_X_EN: 1
; COMPUTE_PGM_RSRC2:TGID_Y_EN: 0
; COMPUTE_PGM_RSRC2:TGID_Z_EN: 0
; COMPUTE_PGM_RSRC2:TIDIG_COMP_CNT: 0
	.section	.text._ZN7rocprim17ROCPRIM_400000_NS6detail17trampoline_kernelINS0_14default_configENS1_22reduce_config_selectorIbEEZNS1_11reduce_implILb1ES3_N6hipcub16HIPCUB_304000_NS22TransformInputIteratorIbN2at6native12_GLOBAL__N_19NonZeroOpIN3c107complexIfEEEEPKSG_lEEPiiNS8_6detail34convert_binary_result_type_wrapperINS8_3SumESK_iEEEE10hipError_tPvRmT1_T2_T3_mT4_P12ihipStream_tbEUlT_E1_NS1_11comp_targetILNS1_3genE4ELNS1_11target_archE910ELNS1_3gpuE8ELNS1_3repE0EEENS1_30default_config_static_selectorELNS0_4arch9wavefront6targetE0EEEvST_,"axG",@progbits,_ZN7rocprim17ROCPRIM_400000_NS6detail17trampoline_kernelINS0_14default_configENS1_22reduce_config_selectorIbEEZNS1_11reduce_implILb1ES3_N6hipcub16HIPCUB_304000_NS22TransformInputIteratorIbN2at6native12_GLOBAL__N_19NonZeroOpIN3c107complexIfEEEEPKSG_lEEPiiNS8_6detail34convert_binary_result_type_wrapperINS8_3SumESK_iEEEE10hipError_tPvRmT1_T2_T3_mT4_P12ihipStream_tbEUlT_E1_NS1_11comp_targetILNS1_3genE4ELNS1_11target_archE910ELNS1_3gpuE8ELNS1_3repE0EEENS1_30default_config_static_selectorELNS0_4arch9wavefront6targetE0EEEvST_,comdat
	.globl	_ZN7rocprim17ROCPRIM_400000_NS6detail17trampoline_kernelINS0_14default_configENS1_22reduce_config_selectorIbEEZNS1_11reduce_implILb1ES3_N6hipcub16HIPCUB_304000_NS22TransformInputIteratorIbN2at6native12_GLOBAL__N_19NonZeroOpIN3c107complexIfEEEEPKSG_lEEPiiNS8_6detail34convert_binary_result_type_wrapperINS8_3SumESK_iEEEE10hipError_tPvRmT1_T2_T3_mT4_P12ihipStream_tbEUlT_E1_NS1_11comp_targetILNS1_3genE4ELNS1_11target_archE910ELNS1_3gpuE8ELNS1_3repE0EEENS1_30default_config_static_selectorELNS0_4arch9wavefront6targetE0EEEvST_ ; -- Begin function _ZN7rocprim17ROCPRIM_400000_NS6detail17trampoline_kernelINS0_14default_configENS1_22reduce_config_selectorIbEEZNS1_11reduce_implILb1ES3_N6hipcub16HIPCUB_304000_NS22TransformInputIteratorIbN2at6native12_GLOBAL__N_19NonZeroOpIN3c107complexIfEEEEPKSG_lEEPiiNS8_6detail34convert_binary_result_type_wrapperINS8_3SumESK_iEEEE10hipError_tPvRmT1_T2_T3_mT4_P12ihipStream_tbEUlT_E1_NS1_11comp_targetILNS1_3genE4ELNS1_11target_archE910ELNS1_3gpuE8ELNS1_3repE0EEENS1_30default_config_static_selectorELNS0_4arch9wavefront6targetE0EEEvST_
	.p2align	8
	.type	_ZN7rocprim17ROCPRIM_400000_NS6detail17trampoline_kernelINS0_14default_configENS1_22reduce_config_selectorIbEEZNS1_11reduce_implILb1ES3_N6hipcub16HIPCUB_304000_NS22TransformInputIteratorIbN2at6native12_GLOBAL__N_19NonZeroOpIN3c107complexIfEEEEPKSG_lEEPiiNS8_6detail34convert_binary_result_type_wrapperINS8_3SumESK_iEEEE10hipError_tPvRmT1_T2_T3_mT4_P12ihipStream_tbEUlT_E1_NS1_11comp_targetILNS1_3genE4ELNS1_11target_archE910ELNS1_3gpuE8ELNS1_3repE0EEENS1_30default_config_static_selectorELNS0_4arch9wavefront6targetE0EEEvST_,@function
_ZN7rocprim17ROCPRIM_400000_NS6detail17trampoline_kernelINS0_14default_configENS1_22reduce_config_selectorIbEEZNS1_11reduce_implILb1ES3_N6hipcub16HIPCUB_304000_NS22TransformInputIteratorIbN2at6native12_GLOBAL__N_19NonZeroOpIN3c107complexIfEEEEPKSG_lEEPiiNS8_6detail34convert_binary_result_type_wrapperINS8_3SumESK_iEEEE10hipError_tPvRmT1_T2_T3_mT4_P12ihipStream_tbEUlT_E1_NS1_11comp_targetILNS1_3genE4ELNS1_11target_archE910ELNS1_3gpuE8ELNS1_3repE0EEENS1_30default_config_static_selectorELNS0_4arch9wavefront6targetE0EEEvST_: ; @_ZN7rocprim17ROCPRIM_400000_NS6detail17trampoline_kernelINS0_14default_configENS1_22reduce_config_selectorIbEEZNS1_11reduce_implILb1ES3_N6hipcub16HIPCUB_304000_NS22TransformInputIteratorIbN2at6native12_GLOBAL__N_19NonZeroOpIN3c107complexIfEEEEPKSG_lEEPiiNS8_6detail34convert_binary_result_type_wrapperINS8_3SumESK_iEEEE10hipError_tPvRmT1_T2_T3_mT4_P12ihipStream_tbEUlT_E1_NS1_11comp_targetILNS1_3genE4ELNS1_11target_archE910ELNS1_3gpuE8ELNS1_3repE0EEENS1_30default_config_static_selectorELNS0_4arch9wavefront6targetE0EEEvST_
; %bb.0:
	.section	.rodata,"a",@progbits
	.p2align	6, 0x0
	.amdhsa_kernel _ZN7rocprim17ROCPRIM_400000_NS6detail17trampoline_kernelINS0_14default_configENS1_22reduce_config_selectorIbEEZNS1_11reduce_implILb1ES3_N6hipcub16HIPCUB_304000_NS22TransformInputIteratorIbN2at6native12_GLOBAL__N_19NonZeroOpIN3c107complexIfEEEEPKSG_lEEPiiNS8_6detail34convert_binary_result_type_wrapperINS8_3SumESK_iEEEE10hipError_tPvRmT1_T2_T3_mT4_P12ihipStream_tbEUlT_E1_NS1_11comp_targetILNS1_3genE4ELNS1_11target_archE910ELNS1_3gpuE8ELNS1_3repE0EEENS1_30default_config_static_selectorELNS0_4arch9wavefront6targetE0EEEvST_
		.amdhsa_group_segment_fixed_size 0
		.amdhsa_private_segment_fixed_size 0
		.amdhsa_kernarg_size 48
		.amdhsa_user_sgpr_count 2
		.amdhsa_user_sgpr_dispatch_ptr 0
		.amdhsa_user_sgpr_queue_ptr 0
		.amdhsa_user_sgpr_kernarg_segment_ptr 1
		.amdhsa_user_sgpr_dispatch_id 0
		.amdhsa_user_sgpr_private_segment_size 0
		.amdhsa_wavefront_size32 1
		.amdhsa_uses_dynamic_stack 0
		.amdhsa_enable_private_segment 0
		.amdhsa_system_sgpr_workgroup_id_x 1
		.amdhsa_system_sgpr_workgroup_id_y 0
		.amdhsa_system_sgpr_workgroup_id_z 0
		.amdhsa_system_sgpr_workgroup_info 0
		.amdhsa_system_vgpr_workitem_id 0
		.amdhsa_next_free_vgpr 1
		.amdhsa_next_free_sgpr 1
		.amdhsa_reserve_vcc 0
		.amdhsa_float_round_mode_32 0
		.amdhsa_float_round_mode_16_64 0
		.amdhsa_float_denorm_mode_32 3
		.amdhsa_float_denorm_mode_16_64 3
		.amdhsa_fp16_overflow 0
		.amdhsa_workgroup_processor_mode 1
		.amdhsa_memory_ordered 1
		.amdhsa_forward_progress 1
		.amdhsa_inst_pref_size 0
		.amdhsa_round_robin_scheduling 0
		.amdhsa_exception_fp_ieee_invalid_op 0
		.amdhsa_exception_fp_denorm_src 0
		.amdhsa_exception_fp_ieee_div_zero 0
		.amdhsa_exception_fp_ieee_overflow 0
		.amdhsa_exception_fp_ieee_underflow 0
		.amdhsa_exception_fp_ieee_inexact 0
		.amdhsa_exception_int_div_zero 0
	.end_amdhsa_kernel
	.section	.text._ZN7rocprim17ROCPRIM_400000_NS6detail17trampoline_kernelINS0_14default_configENS1_22reduce_config_selectorIbEEZNS1_11reduce_implILb1ES3_N6hipcub16HIPCUB_304000_NS22TransformInputIteratorIbN2at6native12_GLOBAL__N_19NonZeroOpIN3c107complexIfEEEEPKSG_lEEPiiNS8_6detail34convert_binary_result_type_wrapperINS8_3SumESK_iEEEE10hipError_tPvRmT1_T2_T3_mT4_P12ihipStream_tbEUlT_E1_NS1_11comp_targetILNS1_3genE4ELNS1_11target_archE910ELNS1_3gpuE8ELNS1_3repE0EEENS1_30default_config_static_selectorELNS0_4arch9wavefront6targetE0EEEvST_,"axG",@progbits,_ZN7rocprim17ROCPRIM_400000_NS6detail17trampoline_kernelINS0_14default_configENS1_22reduce_config_selectorIbEEZNS1_11reduce_implILb1ES3_N6hipcub16HIPCUB_304000_NS22TransformInputIteratorIbN2at6native12_GLOBAL__N_19NonZeroOpIN3c107complexIfEEEEPKSG_lEEPiiNS8_6detail34convert_binary_result_type_wrapperINS8_3SumESK_iEEEE10hipError_tPvRmT1_T2_T3_mT4_P12ihipStream_tbEUlT_E1_NS1_11comp_targetILNS1_3genE4ELNS1_11target_archE910ELNS1_3gpuE8ELNS1_3repE0EEENS1_30default_config_static_selectorELNS0_4arch9wavefront6targetE0EEEvST_,comdat
.Lfunc_end587:
	.size	_ZN7rocprim17ROCPRIM_400000_NS6detail17trampoline_kernelINS0_14default_configENS1_22reduce_config_selectorIbEEZNS1_11reduce_implILb1ES3_N6hipcub16HIPCUB_304000_NS22TransformInputIteratorIbN2at6native12_GLOBAL__N_19NonZeroOpIN3c107complexIfEEEEPKSG_lEEPiiNS8_6detail34convert_binary_result_type_wrapperINS8_3SumESK_iEEEE10hipError_tPvRmT1_T2_T3_mT4_P12ihipStream_tbEUlT_E1_NS1_11comp_targetILNS1_3genE4ELNS1_11target_archE910ELNS1_3gpuE8ELNS1_3repE0EEENS1_30default_config_static_selectorELNS0_4arch9wavefront6targetE0EEEvST_, .Lfunc_end587-_ZN7rocprim17ROCPRIM_400000_NS6detail17trampoline_kernelINS0_14default_configENS1_22reduce_config_selectorIbEEZNS1_11reduce_implILb1ES3_N6hipcub16HIPCUB_304000_NS22TransformInputIteratorIbN2at6native12_GLOBAL__N_19NonZeroOpIN3c107complexIfEEEEPKSG_lEEPiiNS8_6detail34convert_binary_result_type_wrapperINS8_3SumESK_iEEEE10hipError_tPvRmT1_T2_T3_mT4_P12ihipStream_tbEUlT_E1_NS1_11comp_targetILNS1_3genE4ELNS1_11target_archE910ELNS1_3gpuE8ELNS1_3repE0EEENS1_30default_config_static_selectorELNS0_4arch9wavefront6targetE0EEEvST_
                                        ; -- End function
	.set _ZN7rocprim17ROCPRIM_400000_NS6detail17trampoline_kernelINS0_14default_configENS1_22reduce_config_selectorIbEEZNS1_11reduce_implILb1ES3_N6hipcub16HIPCUB_304000_NS22TransformInputIteratorIbN2at6native12_GLOBAL__N_19NonZeroOpIN3c107complexIfEEEEPKSG_lEEPiiNS8_6detail34convert_binary_result_type_wrapperINS8_3SumESK_iEEEE10hipError_tPvRmT1_T2_T3_mT4_P12ihipStream_tbEUlT_E1_NS1_11comp_targetILNS1_3genE4ELNS1_11target_archE910ELNS1_3gpuE8ELNS1_3repE0EEENS1_30default_config_static_selectorELNS0_4arch9wavefront6targetE0EEEvST_.num_vgpr, 0
	.set _ZN7rocprim17ROCPRIM_400000_NS6detail17trampoline_kernelINS0_14default_configENS1_22reduce_config_selectorIbEEZNS1_11reduce_implILb1ES3_N6hipcub16HIPCUB_304000_NS22TransformInputIteratorIbN2at6native12_GLOBAL__N_19NonZeroOpIN3c107complexIfEEEEPKSG_lEEPiiNS8_6detail34convert_binary_result_type_wrapperINS8_3SumESK_iEEEE10hipError_tPvRmT1_T2_T3_mT4_P12ihipStream_tbEUlT_E1_NS1_11comp_targetILNS1_3genE4ELNS1_11target_archE910ELNS1_3gpuE8ELNS1_3repE0EEENS1_30default_config_static_selectorELNS0_4arch9wavefront6targetE0EEEvST_.num_agpr, 0
	.set _ZN7rocprim17ROCPRIM_400000_NS6detail17trampoline_kernelINS0_14default_configENS1_22reduce_config_selectorIbEEZNS1_11reduce_implILb1ES3_N6hipcub16HIPCUB_304000_NS22TransformInputIteratorIbN2at6native12_GLOBAL__N_19NonZeroOpIN3c107complexIfEEEEPKSG_lEEPiiNS8_6detail34convert_binary_result_type_wrapperINS8_3SumESK_iEEEE10hipError_tPvRmT1_T2_T3_mT4_P12ihipStream_tbEUlT_E1_NS1_11comp_targetILNS1_3genE4ELNS1_11target_archE910ELNS1_3gpuE8ELNS1_3repE0EEENS1_30default_config_static_selectorELNS0_4arch9wavefront6targetE0EEEvST_.numbered_sgpr, 0
	.set _ZN7rocprim17ROCPRIM_400000_NS6detail17trampoline_kernelINS0_14default_configENS1_22reduce_config_selectorIbEEZNS1_11reduce_implILb1ES3_N6hipcub16HIPCUB_304000_NS22TransformInputIteratorIbN2at6native12_GLOBAL__N_19NonZeroOpIN3c107complexIfEEEEPKSG_lEEPiiNS8_6detail34convert_binary_result_type_wrapperINS8_3SumESK_iEEEE10hipError_tPvRmT1_T2_T3_mT4_P12ihipStream_tbEUlT_E1_NS1_11comp_targetILNS1_3genE4ELNS1_11target_archE910ELNS1_3gpuE8ELNS1_3repE0EEENS1_30default_config_static_selectorELNS0_4arch9wavefront6targetE0EEEvST_.num_named_barrier, 0
	.set _ZN7rocprim17ROCPRIM_400000_NS6detail17trampoline_kernelINS0_14default_configENS1_22reduce_config_selectorIbEEZNS1_11reduce_implILb1ES3_N6hipcub16HIPCUB_304000_NS22TransformInputIteratorIbN2at6native12_GLOBAL__N_19NonZeroOpIN3c107complexIfEEEEPKSG_lEEPiiNS8_6detail34convert_binary_result_type_wrapperINS8_3SumESK_iEEEE10hipError_tPvRmT1_T2_T3_mT4_P12ihipStream_tbEUlT_E1_NS1_11comp_targetILNS1_3genE4ELNS1_11target_archE910ELNS1_3gpuE8ELNS1_3repE0EEENS1_30default_config_static_selectorELNS0_4arch9wavefront6targetE0EEEvST_.private_seg_size, 0
	.set _ZN7rocprim17ROCPRIM_400000_NS6detail17trampoline_kernelINS0_14default_configENS1_22reduce_config_selectorIbEEZNS1_11reduce_implILb1ES3_N6hipcub16HIPCUB_304000_NS22TransformInputIteratorIbN2at6native12_GLOBAL__N_19NonZeroOpIN3c107complexIfEEEEPKSG_lEEPiiNS8_6detail34convert_binary_result_type_wrapperINS8_3SumESK_iEEEE10hipError_tPvRmT1_T2_T3_mT4_P12ihipStream_tbEUlT_E1_NS1_11comp_targetILNS1_3genE4ELNS1_11target_archE910ELNS1_3gpuE8ELNS1_3repE0EEENS1_30default_config_static_selectorELNS0_4arch9wavefront6targetE0EEEvST_.uses_vcc, 0
	.set _ZN7rocprim17ROCPRIM_400000_NS6detail17trampoline_kernelINS0_14default_configENS1_22reduce_config_selectorIbEEZNS1_11reduce_implILb1ES3_N6hipcub16HIPCUB_304000_NS22TransformInputIteratorIbN2at6native12_GLOBAL__N_19NonZeroOpIN3c107complexIfEEEEPKSG_lEEPiiNS8_6detail34convert_binary_result_type_wrapperINS8_3SumESK_iEEEE10hipError_tPvRmT1_T2_T3_mT4_P12ihipStream_tbEUlT_E1_NS1_11comp_targetILNS1_3genE4ELNS1_11target_archE910ELNS1_3gpuE8ELNS1_3repE0EEENS1_30default_config_static_selectorELNS0_4arch9wavefront6targetE0EEEvST_.uses_flat_scratch, 0
	.set _ZN7rocprim17ROCPRIM_400000_NS6detail17trampoline_kernelINS0_14default_configENS1_22reduce_config_selectorIbEEZNS1_11reduce_implILb1ES3_N6hipcub16HIPCUB_304000_NS22TransformInputIteratorIbN2at6native12_GLOBAL__N_19NonZeroOpIN3c107complexIfEEEEPKSG_lEEPiiNS8_6detail34convert_binary_result_type_wrapperINS8_3SumESK_iEEEE10hipError_tPvRmT1_T2_T3_mT4_P12ihipStream_tbEUlT_E1_NS1_11comp_targetILNS1_3genE4ELNS1_11target_archE910ELNS1_3gpuE8ELNS1_3repE0EEENS1_30default_config_static_selectorELNS0_4arch9wavefront6targetE0EEEvST_.has_dyn_sized_stack, 0
	.set _ZN7rocprim17ROCPRIM_400000_NS6detail17trampoline_kernelINS0_14default_configENS1_22reduce_config_selectorIbEEZNS1_11reduce_implILb1ES3_N6hipcub16HIPCUB_304000_NS22TransformInputIteratorIbN2at6native12_GLOBAL__N_19NonZeroOpIN3c107complexIfEEEEPKSG_lEEPiiNS8_6detail34convert_binary_result_type_wrapperINS8_3SumESK_iEEEE10hipError_tPvRmT1_T2_T3_mT4_P12ihipStream_tbEUlT_E1_NS1_11comp_targetILNS1_3genE4ELNS1_11target_archE910ELNS1_3gpuE8ELNS1_3repE0EEENS1_30default_config_static_selectorELNS0_4arch9wavefront6targetE0EEEvST_.has_recursion, 0
	.set _ZN7rocprim17ROCPRIM_400000_NS6detail17trampoline_kernelINS0_14default_configENS1_22reduce_config_selectorIbEEZNS1_11reduce_implILb1ES3_N6hipcub16HIPCUB_304000_NS22TransformInputIteratorIbN2at6native12_GLOBAL__N_19NonZeroOpIN3c107complexIfEEEEPKSG_lEEPiiNS8_6detail34convert_binary_result_type_wrapperINS8_3SumESK_iEEEE10hipError_tPvRmT1_T2_T3_mT4_P12ihipStream_tbEUlT_E1_NS1_11comp_targetILNS1_3genE4ELNS1_11target_archE910ELNS1_3gpuE8ELNS1_3repE0EEENS1_30default_config_static_selectorELNS0_4arch9wavefront6targetE0EEEvST_.has_indirect_call, 0
	.section	.AMDGPU.csdata,"",@progbits
; Kernel info:
; codeLenInByte = 0
; TotalNumSgprs: 0
; NumVgprs: 0
; ScratchSize: 0
; MemoryBound: 0
; FloatMode: 240
; IeeeMode: 1
; LDSByteSize: 0 bytes/workgroup (compile time only)
; SGPRBlocks: 0
; VGPRBlocks: 0
; NumSGPRsForWavesPerEU: 1
; NumVGPRsForWavesPerEU: 1
; Occupancy: 16
; WaveLimiterHint : 0
; COMPUTE_PGM_RSRC2:SCRATCH_EN: 0
; COMPUTE_PGM_RSRC2:USER_SGPR: 2
; COMPUTE_PGM_RSRC2:TRAP_HANDLER: 0
; COMPUTE_PGM_RSRC2:TGID_X_EN: 1
; COMPUTE_PGM_RSRC2:TGID_Y_EN: 0
; COMPUTE_PGM_RSRC2:TGID_Z_EN: 0
; COMPUTE_PGM_RSRC2:TIDIG_COMP_CNT: 0
	.section	.text._ZN7rocprim17ROCPRIM_400000_NS6detail17trampoline_kernelINS0_14default_configENS1_22reduce_config_selectorIbEEZNS1_11reduce_implILb1ES3_N6hipcub16HIPCUB_304000_NS22TransformInputIteratorIbN2at6native12_GLOBAL__N_19NonZeroOpIN3c107complexIfEEEEPKSG_lEEPiiNS8_6detail34convert_binary_result_type_wrapperINS8_3SumESK_iEEEE10hipError_tPvRmT1_T2_T3_mT4_P12ihipStream_tbEUlT_E1_NS1_11comp_targetILNS1_3genE3ELNS1_11target_archE908ELNS1_3gpuE7ELNS1_3repE0EEENS1_30default_config_static_selectorELNS0_4arch9wavefront6targetE0EEEvST_,"axG",@progbits,_ZN7rocprim17ROCPRIM_400000_NS6detail17trampoline_kernelINS0_14default_configENS1_22reduce_config_selectorIbEEZNS1_11reduce_implILb1ES3_N6hipcub16HIPCUB_304000_NS22TransformInputIteratorIbN2at6native12_GLOBAL__N_19NonZeroOpIN3c107complexIfEEEEPKSG_lEEPiiNS8_6detail34convert_binary_result_type_wrapperINS8_3SumESK_iEEEE10hipError_tPvRmT1_T2_T3_mT4_P12ihipStream_tbEUlT_E1_NS1_11comp_targetILNS1_3genE3ELNS1_11target_archE908ELNS1_3gpuE7ELNS1_3repE0EEENS1_30default_config_static_selectorELNS0_4arch9wavefront6targetE0EEEvST_,comdat
	.globl	_ZN7rocprim17ROCPRIM_400000_NS6detail17trampoline_kernelINS0_14default_configENS1_22reduce_config_selectorIbEEZNS1_11reduce_implILb1ES3_N6hipcub16HIPCUB_304000_NS22TransformInputIteratorIbN2at6native12_GLOBAL__N_19NonZeroOpIN3c107complexIfEEEEPKSG_lEEPiiNS8_6detail34convert_binary_result_type_wrapperINS8_3SumESK_iEEEE10hipError_tPvRmT1_T2_T3_mT4_P12ihipStream_tbEUlT_E1_NS1_11comp_targetILNS1_3genE3ELNS1_11target_archE908ELNS1_3gpuE7ELNS1_3repE0EEENS1_30default_config_static_selectorELNS0_4arch9wavefront6targetE0EEEvST_ ; -- Begin function _ZN7rocprim17ROCPRIM_400000_NS6detail17trampoline_kernelINS0_14default_configENS1_22reduce_config_selectorIbEEZNS1_11reduce_implILb1ES3_N6hipcub16HIPCUB_304000_NS22TransformInputIteratorIbN2at6native12_GLOBAL__N_19NonZeroOpIN3c107complexIfEEEEPKSG_lEEPiiNS8_6detail34convert_binary_result_type_wrapperINS8_3SumESK_iEEEE10hipError_tPvRmT1_T2_T3_mT4_P12ihipStream_tbEUlT_E1_NS1_11comp_targetILNS1_3genE3ELNS1_11target_archE908ELNS1_3gpuE7ELNS1_3repE0EEENS1_30default_config_static_selectorELNS0_4arch9wavefront6targetE0EEEvST_
	.p2align	8
	.type	_ZN7rocprim17ROCPRIM_400000_NS6detail17trampoline_kernelINS0_14default_configENS1_22reduce_config_selectorIbEEZNS1_11reduce_implILb1ES3_N6hipcub16HIPCUB_304000_NS22TransformInputIteratorIbN2at6native12_GLOBAL__N_19NonZeroOpIN3c107complexIfEEEEPKSG_lEEPiiNS8_6detail34convert_binary_result_type_wrapperINS8_3SumESK_iEEEE10hipError_tPvRmT1_T2_T3_mT4_P12ihipStream_tbEUlT_E1_NS1_11comp_targetILNS1_3genE3ELNS1_11target_archE908ELNS1_3gpuE7ELNS1_3repE0EEENS1_30default_config_static_selectorELNS0_4arch9wavefront6targetE0EEEvST_,@function
_ZN7rocprim17ROCPRIM_400000_NS6detail17trampoline_kernelINS0_14default_configENS1_22reduce_config_selectorIbEEZNS1_11reduce_implILb1ES3_N6hipcub16HIPCUB_304000_NS22TransformInputIteratorIbN2at6native12_GLOBAL__N_19NonZeroOpIN3c107complexIfEEEEPKSG_lEEPiiNS8_6detail34convert_binary_result_type_wrapperINS8_3SumESK_iEEEE10hipError_tPvRmT1_T2_T3_mT4_P12ihipStream_tbEUlT_E1_NS1_11comp_targetILNS1_3genE3ELNS1_11target_archE908ELNS1_3gpuE7ELNS1_3repE0EEENS1_30default_config_static_selectorELNS0_4arch9wavefront6targetE0EEEvST_: ; @_ZN7rocprim17ROCPRIM_400000_NS6detail17trampoline_kernelINS0_14default_configENS1_22reduce_config_selectorIbEEZNS1_11reduce_implILb1ES3_N6hipcub16HIPCUB_304000_NS22TransformInputIteratorIbN2at6native12_GLOBAL__N_19NonZeroOpIN3c107complexIfEEEEPKSG_lEEPiiNS8_6detail34convert_binary_result_type_wrapperINS8_3SumESK_iEEEE10hipError_tPvRmT1_T2_T3_mT4_P12ihipStream_tbEUlT_E1_NS1_11comp_targetILNS1_3genE3ELNS1_11target_archE908ELNS1_3gpuE7ELNS1_3repE0EEENS1_30default_config_static_selectorELNS0_4arch9wavefront6targetE0EEEvST_
; %bb.0:
	.section	.rodata,"a",@progbits
	.p2align	6, 0x0
	.amdhsa_kernel _ZN7rocprim17ROCPRIM_400000_NS6detail17trampoline_kernelINS0_14default_configENS1_22reduce_config_selectorIbEEZNS1_11reduce_implILb1ES3_N6hipcub16HIPCUB_304000_NS22TransformInputIteratorIbN2at6native12_GLOBAL__N_19NonZeroOpIN3c107complexIfEEEEPKSG_lEEPiiNS8_6detail34convert_binary_result_type_wrapperINS8_3SumESK_iEEEE10hipError_tPvRmT1_T2_T3_mT4_P12ihipStream_tbEUlT_E1_NS1_11comp_targetILNS1_3genE3ELNS1_11target_archE908ELNS1_3gpuE7ELNS1_3repE0EEENS1_30default_config_static_selectorELNS0_4arch9wavefront6targetE0EEEvST_
		.amdhsa_group_segment_fixed_size 0
		.amdhsa_private_segment_fixed_size 0
		.amdhsa_kernarg_size 48
		.amdhsa_user_sgpr_count 2
		.amdhsa_user_sgpr_dispatch_ptr 0
		.amdhsa_user_sgpr_queue_ptr 0
		.amdhsa_user_sgpr_kernarg_segment_ptr 1
		.amdhsa_user_sgpr_dispatch_id 0
		.amdhsa_user_sgpr_private_segment_size 0
		.amdhsa_wavefront_size32 1
		.amdhsa_uses_dynamic_stack 0
		.amdhsa_enable_private_segment 0
		.amdhsa_system_sgpr_workgroup_id_x 1
		.amdhsa_system_sgpr_workgroup_id_y 0
		.amdhsa_system_sgpr_workgroup_id_z 0
		.amdhsa_system_sgpr_workgroup_info 0
		.amdhsa_system_vgpr_workitem_id 0
		.amdhsa_next_free_vgpr 1
		.amdhsa_next_free_sgpr 1
		.amdhsa_reserve_vcc 0
		.amdhsa_float_round_mode_32 0
		.amdhsa_float_round_mode_16_64 0
		.amdhsa_float_denorm_mode_32 3
		.amdhsa_float_denorm_mode_16_64 3
		.amdhsa_fp16_overflow 0
		.amdhsa_workgroup_processor_mode 1
		.amdhsa_memory_ordered 1
		.amdhsa_forward_progress 1
		.amdhsa_inst_pref_size 0
		.amdhsa_round_robin_scheduling 0
		.amdhsa_exception_fp_ieee_invalid_op 0
		.amdhsa_exception_fp_denorm_src 0
		.amdhsa_exception_fp_ieee_div_zero 0
		.amdhsa_exception_fp_ieee_overflow 0
		.amdhsa_exception_fp_ieee_underflow 0
		.amdhsa_exception_fp_ieee_inexact 0
		.amdhsa_exception_int_div_zero 0
	.end_amdhsa_kernel
	.section	.text._ZN7rocprim17ROCPRIM_400000_NS6detail17trampoline_kernelINS0_14default_configENS1_22reduce_config_selectorIbEEZNS1_11reduce_implILb1ES3_N6hipcub16HIPCUB_304000_NS22TransformInputIteratorIbN2at6native12_GLOBAL__N_19NonZeroOpIN3c107complexIfEEEEPKSG_lEEPiiNS8_6detail34convert_binary_result_type_wrapperINS8_3SumESK_iEEEE10hipError_tPvRmT1_T2_T3_mT4_P12ihipStream_tbEUlT_E1_NS1_11comp_targetILNS1_3genE3ELNS1_11target_archE908ELNS1_3gpuE7ELNS1_3repE0EEENS1_30default_config_static_selectorELNS0_4arch9wavefront6targetE0EEEvST_,"axG",@progbits,_ZN7rocprim17ROCPRIM_400000_NS6detail17trampoline_kernelINS0_14default_configENS1_22reduce_config_selectorIbEEZNS1_11reduce_implILb1ES3_N6hipcub16HIPCUB_304000_NS22TransformInputIteratorIbN2at6native12_GLOBAL__N_19NonZeroOpIN3c107complexIfEEEEPKSG_lEEPiiNS8_6detail34convert_binary_result_type_wrapperINS8_3SumESK_iEEEE10hipError_tPvRmT1_T2_T3_mT4_P12ihipStream_tbEUlT_E1_NS1_11comp_targetILNS1_3genE3ELNS1_11target_archE908ELNS1_3gpuE7ELNS1_3repE0EEENS1_30default_config_static_selectorELNS0_4arch9wavefront6targetE0EEEvST_,comdat
.Lfunc_end588:
	.size	_ZN7rocprim17ROCPRIM_400000_NS6detail17trampoline_kernelINS0_14default_configENS1_22reduce_config_selectorIbEEZNS1_11reduce_implILb1ES3_N6hipcub16HIPCUB_304000_NS22TransformInputIteratorIbN2at6native12_GLOBAL__N_19NonZeroOpIN3c107complexIfEEEEPKSG_lEEPiiNS8_6detail34convert_binary_result_type_wrapperINS8_3SumESK_iEEEE10hipError_tPvRmT1_T2_T3_mT4_P12ihipStream_tbEUlT_E1_NS1_11comp_targetILNS1_3genE3ELNS1_11target_archE908ELNS1_3gpuE7ELNS1_3repE0EEENS1_30default_config_static_selectorELNS0_4arch9wavefront6targetE0EEEvST_, .Lfunc_end588-_ZN7rocprim17ROCPRIM_400000_NS6detail17trampoline_kernelINS0_14default_configENS1_22reduce_config_selectorIbEEZNS1_11reduce_implILb1ES3_N6hipcub16HIPCUB_304000_NS22TransformInputIteratorIbN2at6native12_GLOBAL__N_19NonZeroOpIN3c107complexIfEEEEPKSG_lEEPiiNS8_6detail34convert_binary_result_type_wrapperINS8_3SumESK_iEEEE10hipError_tPvRmT1_T2_T3_mT4_P12ihipStream_tbEUlT_E1_NS1_11comp_targetILNS1_3genE3ELNS1_11target_archE908ELNS1_3gpuE7ELNS1_3repE0EEENS1_30default_config_static_selectorELNS0_4arch9wavefront6targetE0EEEvST_
                                        ; -- End function
	.set _ZN7rocprim17ROCPRIM_400000_NS6detail17trampoline_kernelINS0_14default_configENS1_22reduce_config_selectorIbEEZNS1_11reduce_implILb1ES3_N6hipcub16HIPCUB_304000_NS22TransformInputIteratorIbN2at6native12_GLOBAL__N_19NonZeroOpIN3c107complexIfEEEEPKSG_lEEPiiNS8_6detail34convert_binary_result_type_wrapperINS8_3SumESK_iEEEE10hipError_tPvRmT1_T2_T3_mT4_P12ihipStream_tbEUlT_E1_NS1_11comp_targetILNS1_3genE3ELNS1_11target_archE908ELNS1_3gpuE7ELNS1_3repE0EEENS1_30default_config_static_selectorELNS0_4arch9wavefront6targetE0EEEvST_.num_vgpr, 0
	.set _ZN7rocprim17ROCPRIM_400000_NS6detail17trampoline_kernelINS0_14default_configENS1_22reduce_config_selectorIbEEZNS1_11reduce_implILb1ES3_N6hipcub16HIPCUB_304000_NS22TransformInputIteratorIbN2at6native12_GLOBAL__N_19NonZeroOpIN3c107complexIfEEEEPKSG_lEEPiiNS8_6detail34convert_binary_result_type_wrapperINS8_3SumESK_iEEEE10hipError_tPvRmT1_T2_T3_mT4_P12ihipStream_tbEUlT_E1_NS1_11comp_targetILNS1_3genE3ELNS1_11target_archE908ELNS1_3gpuE7ELNS1_3repE0EEENS1_30default_config_static_selectorELNS0_4arch9wavefront6targetE0EEEvST_.num_agpr, 0
	.set _ZN7rocprim17ROCPRIM_400000_NS6detail17trampoline_kernelINS0_14default_configENS1_22reduce_config_selectorIbEEZNS1_11reduce_implILb1ES3_N6hipcub16HIPCUB_304000_NS22TransformInputIteratorIbN2at6native12_GLOBAL__N_19NonZeroOpIN3c107complexIfEEEEPKSG_lEEPiiNS8_6detail34convert_binary_result_type_wrapperINS8_3SumESK_iEEEE10hipError_tPvRmT1_T2_T3_mT4_P12ihipStream_tbEUlT_E1_NS1_11comp_targetILNS1_3genE3ELNS1_11target_archE908ELNS1_3gpuE7ELNS1_3repE0EEENS1_30default_config_static_selectorELNS0_4arch9wavefront6targetE0EEEvST_.numbered_sgpr, 0
	.set _ZN7rocprim17ROCPRIM_400000_NS6detail17trampoline_kernelINS0_14default_configENS1_22reduce_config_selectorIbEEZNS1_11reduce_implILb1ES3_N6hipcub16HIPCUB_304000_NS22TransformInputIteratorIbN2at6native12_GLOBAL__N_19NonZeroOpIN3c107complexIfEEEEPKSG_lEEPiiNS8_6detail34convert_binary_result_type_wrapperINS8_3SumESK_iEEEE10hipError_tPvRmT1_T2_T3_mT4_P12ihipStream_tbEUlT_E1_NS1_11comp_targetILNS1_3genE3ELNS1_11target_archE908ELNS1_3gpuE7ELNS1_3repE0EEENS1_30default_config_static_selectorELNS0_4arch9wavefront6targetE0EEEvST_.num_named_barrier, 0
	.set _ZN7rocprim17ROCPRIM_400000_NS6detail17trampoline_kernelINS0_14default_configENS1_22reduce_config_selectorIbEEZNS1_11reduce_implILb1ES3_N6hipcub16HIPCUB_304000_NS22TransformInputIteratorIbN2at6native12_GLOBAL__N_19NonZeroOpIN3c107complexIfEEEEPKSG_lEEPiiNS8_6detail34convert_binary_result_type_wrapperINS8_3SumESK_iEEEE10hipError_tPvRmT1_T2_T3_mT4_P12ihipStream_tbEUlT_E1_NS1_11comp_targetILNS1_3genE3ELNS1_11target_archE908ELNS1_3gpuE7ELNS1_3repE0EEENS1_30default_config_static_selectorELNS0_4arch9wavefront6targetE0EEEvST_.private_seg_size, 0
	.set _ZN7rocprim17ROCPRIM_400000_NS6detail17trampoline_kernelINS0_14default_configENS1_22reduce_config_selectorIbEEZNS1_11reduce_implILb1ES3_N6hipcub16HIPCUB_304000_NS22TransformInputIteratorIbN2at6native12_GLOBAL__N_19NonZeroOpIN3c107complexIfEEEEPKSG_lEEPiiNS8_6detail34convert_binary_result_type_wrapperINS8_3SumESK_iEEEE10hipError_tPvRmT1_T2_T3_mT4_P12ihipStream_tbEUlT_E1_NS1_11comp_targetILNS1_3genE3ELNS1_11target_archE908ELNS1_3gpuE7ELNS1_3repE0EEENS1_30default_config_static_selectorELNS0_4arch9wavefront6targetE0EEEvST_.uses_vcc, 0
	.set _ZN7rocprim17ROCPRIM_400000_NS6detail17trampoline_kernelINS0_14default_configENS1_22reduce_config_selectorIbEEZNS1_11reduce_implILb1ES3_N6hipcub16HIPCUB_304000_NS22TransformInputIteratorIbN2at6native12_GLOBAL__N_19NonZeroOpIN3c107complexIfEEEEPKSG_lEEPiiNS8_6detail34convert_binary_result_type_wrapperINS8_3SumESK_iEEEE10hipError_tPvRmT1_T2_T3_mT4_P12ihipStream_tbEUlT_E1_NS1_11comp_targetILNS1_3genE3ELNS1_11target_archE908ELNS1_3gpuE7ELNS1_3repE0EEENS1_30default_config_static_selectorELNS0_4arch9wavefront6targetE0EEEvST_.uses_flat_scratch, 0
	.set _ZN7rocprim17ROCPRIM_400000_NS6detail17trampoline_kernelINS0_14default_configENS1_22reduce_config_selectorIbEEZNS1_11reduce_implILb1ES3_N6hipcub16HIPCUB_304000_NS22TransformInputIteratorIbN2at6native12_GLOBAL__N_19NonZeroOpIN3c107complexIfEEEEPKSG_lEEPiiNS8_6detail34convert_binary_result_type_wrapperINS8_3SumESK_iEEEE10hipError_tPvRmT1_T2_T3_mT4_P12ihipStream_tbEUlT_E1_NS1_11comp_targetILNS1_3genE3ELNS1_11target_archE908ELNS1_3gpuE7ELNS1_3repE0EEENS1_30default_config_static_selectorELNS0_4arch9wavefront6targetE0EEEvST_.has_dyn_sized_stack, 0
	.set _ZN7rocprim17ROCPRIM_400000_NS6detail17trampoline_kernelINS0_14default_configENS1_22reduce_config_selectorIbEEZNS1_11reduce_implILb1ES3_N6hipcub16HIPCUB_304000_NS22TransformInputIteratorIbN2at6native12_GLOBAL__N_19NonZeroOpIN3c107complexIfEEEEPKSG_lEEPiiNS8_6detail34convert_binary_result_type_wrapperINS8_3SumESK_iEEEE10hipError_tPvRmT1_T2_T3_mT4_P12ihipStream_tbEUlT_E1_NS1_11comp_targetILNS1_3genE3ELNS1_11target_archE908ELNS1_3gpuE7ELNS1_3repE0EEENS1_30default_config_static_selectorELNS0_4arch9wavefront6targetE0EEEvST_.has_recursion, 0
	.set _ZN7rocprim17ROCPRIM_400000_NS6detail17trampoline_kernelINS0_14default_configENS1_22reduce_config_selectorIbEEZNS1_11reduce_implILb1ES3_N6hipcub16HIPCUB_304000_NS22TransformInputIteratorIbN2at6native12_GLOBAL__N_19NonZeroOpIN3c107complexIfEEEEPKSG_lEEPiiNS8_6detail34convert_binary_result_type_wrapperINS8_3SumESK_iEEEE10hipError_tPvRmT1_T2_T3_mT4_P12ihipStream_tbEUlT_E1_NS1_11comp_targetILNS1_3genE3ELNS1_11target_archE908ELNS1_3gpuE7ELNS1_3repE0EEENS1_30default_config_static_selectorELNS0_4arch9wavefront6targetE0EEEvST_.has_indirect_call, 0
	.section	.AMDGPU.csdata,"",@progbits
; Kernel info:
; codeLenInByte = 0
; TotalNumSgprs: 0
; NumVgprs: 0
; ScratchSize: 0
; MemoryBound: 0
; FloatMode: 240
; IeeeMode: 1
; LDSByteSize: 0 bytes/workgroup (compile time only)
; SGPRBlocks: 0
; VGPRBlocks: 0
; NumSGPRsForWavesPerEU: 1
; NumVGPRsForWavesPerEU: 1
; Occupancy: 16
; WaveLimiterHint : 0
; COMPUTE_PGM_RSRC2:SCRATCH_EN: 0
; COMPUTE_PGM_RSRC2:USER_SGPR: 2
; COMPUTE_PGM_RSRC2:TRAP_HANDLER: 0
; COMPUTE_PGM_RSRC2:TGID_X_EN: 1
; COMPUTE_PGM_RSRC2:TGID_Y_EN: 0
; COMPUTE_PGM_RSRC2:TGID_Z_EN: 0
; COMPUTE_PGM_RSRC2:TIDIG_COMP_CNT: 0
	.section	.text._ZN7rocprim17ROCPRIM_400000_NS6detail17trampoline_kernelINS0_14default_configENS1_22reduce_config_selectorIbEEZNS1_11reduce_implILb1ES3_N6hipcub16HIPCUB_304000_NS22TransformInputIteratorIbN2at6native12_GLOBAL__N_19NonZeroOpIN3c107complexIfEEEEPKSG_lEEPiiNS8_6detail34convert_binary_result_type_wrapperINS8_3SumESK_iEEEE10hipError_tPvRmT1_T2_T3_mT4_P12ihipStream_tbEUlT_E1_NS1_11comp_targetILNS1_3genE2ELNS1_11target_archE906ELNS1_3gpuE6ELNS1_3repE0EEENS1_30default_config_static_selectorELNS0_4arch9wavefront6targetE0EEEvST_,"axG",@progbits,_ZN7rocprim17ROCPRIM_400000_NS6detail17trampoline_kernelINS0_14default_configENS1_22reduce_config_selectorIbEEZNS1_11reduce_implILb1ES3_N6hipcub16HIPCUB_304000_NS22TransformInputIteratorIbN2at6native12_GLOBAL__N_19NonZeroOpIN3c107complexIfEEEEPKSG_lEEPiiNS8_6detail34convert_binary_result_type_wrapperINS8_3SumESK_iEEEE10hipError_tPvRmT1_T2_T3_mT4_P12ihipStream_tbEUlT_E1_NS1_11comp_targetILNS1_3genE2ELNS1_11target_archE906ELNS1_3gpuE6ELNS1_3repE0EEENS1_30default_config_static_selectorELNS0_4arch9wavefront6targetE0EEEvST_,comdat
	.globl	_ZN7rocprim17ROCPRIM_400000_NS6detail17trampoline_kernelINS0_14default_configENS1_22reduce_config_selectorIbEEZNS1_11reduce_implILb1ES3_N6hipcub16HIPCUB_304000_NS22TransformInputIteratorIbN2at6native12_GLOBAL__N_19NonZeroOpIN3c107complexIfEEEEPKSG_lEEPiiNS8_6detail34convert_binary_result_type_wrapperINS8_3SumESK_iEEEE10hipError_tPvRmT1_T2_T3_mT4_P12ihipStream_tbEUlT_E1_NS1_11comp_targetILNS1_3genE2ELNS1_11target_archE906ELNS1_3gpuE6ELNS1_3repE0EEENS1_30default_config_static_selectorELNS0_4arch9wavefront6targetE0EEEvST_ ; -- Begin function _ZN7rocprim17ROCPRIM_400000_NS6detail17trampoline_kernelINS0_14default_configENS1_22reduce_config_selectorIbEEZNS1_11reduce_implILb1ES3_N6hipcub16HIPCUB_304000_NS22TransformInputIteratorIbN2at6native12_GLOBAL__N_19NonZeroOpIN3c107complexIfEEEEPKSG_lEEPiiNS8_6detail34convert_binary_result_type_wrapperINS8_3SumESK_iEEEE10hipError_tPvRmT1_T2_T3_mT4_P12ihipStream_tbEUlT_E1_NS1_11comp_targetILNS1_3genE2ELNS1_11target_archE906ELNS1_3gpuE6ELNS1_3repE0EEENS1_30default_config_static_selectorELNS0_4arch9wavefront6targetE0EEEvST_
	.p2align	8
	.type	_ZN7rocprim17ROCPRIM_400000_NS6detail17trampoline_kernelINS0_14default_configENS1_22reduce_config_selectorIbEEZNS1_11reduce_implILb1ES3_N6hipcub16HIPCUB_304000_NS22TransformInputIteratorIbN2at6native12_GLOBAL__N_19NonZeroOpIN3c107complexIfEEEEPKSG_lEEPiiNS8_6detail34convert_binary_result_type_wrapperINS8_3SumESK_iEEEE10hipError_tPvRmT1_T2_T3_mT4_P12ihipStream_tbEUlT_E1_NS1_11comp_targetILNS1_3genE2ELNS1_11target_archE906ELNS1_3gpuE6ELNS1_3repE0EEENS1_30default_config_static_selectorELNS0_4arch9wavefront6targetE0EEEvST_,@function
_ZN7rocprim17ROCPRIM_400000_NS6detail17trampoline_kernelINS0_14default_configENS1_22reduce_config_selectorIbEEZNS1_11reduce_implILb1ES3_N6hipcub16HIPCUB_304000_NS22TransformInputIteratorIbN2at6native12_GLOBAL__N_19NonZeroOpIN3c107complexIfEEEEPKSG_lEEPiiNS8_6detail34convert_binary_result_type_wrapperINS8_3SumESK_iEEEE10hipError_tPvRmT1_T2_T3_mT4_P12ihipStream_tbEUlT_E1_NS1_11comp_targetILNS1_3genE2ELNS1_11target_archE906ELNS1_3gpuE6ELNS1_3repE0EEENS1_30default_config_static_selectorELNS0_4arch9wavefront6targetE0EEEvST_: ; @_ZN7rocprim17ROCPRIM_400000_NS6detail17trampoline_kernelINS0_14default_configENS1_22reduce_config_selectorIbEEZNS1_11reduce_implILb1ES3_N6hipcub16HIPCUB_304000_NS22TransformInputIteratorIbN2at6native12_GLOBAL__N_19NonZeroOpIN3c107complexIfEEEEPKSG_lEEPiiNS8_6detail34convert_binary_result_type_wrapperINS8_3SumESK_iEEEE10hipError_tPvRmT1_T2_T3_mT4_P12ihipStream_tbEUlT_E1_NS1_11comp_targetILNS1_3genE2ELNS1_11target_archE906ELNS1_3gpuE6ELNS1_3repE0EEENS1_30default_config_static_selectorELNS0_4arch9wavefront6targetE0EEEvST_
; %bb.0:
	.section	.rodata,"a",@progbits
	.p2align	6, 0x0
	.amdhsa_kernel _ZN7rocprim17ROCPRIM_400000_NS6detail17trampoline_kernelINS0_14default_configENS1_22reduce_config_selectorIbEEZNS1_11reduce_implILb1ES3_N6hipcub16HIPCUB_304000_NS22TransformInputIteratorIbN2at6native12_GLOBAL__N_19NonZeroOpIN3c107complexIfEEEEPKSG_lEEPiiNS8_6detail34convert_binary_result_type_wrapperINS8_3SumESK_iEEEE10hipError_tPvRmT1_T2_T3_mT4_P12ihipStream_tbEUlT_E1_NS1_11comp_targetILNS1_3genE2ELNS1_11target_archE906ELNS1_3gpuE6ELNS1_3repE0EEENS1_30default_config_static_selectorELNS0_4arch9wavefront6targetE0EEEvST_
		.amdhsa_group_segment_fixed_size 0
		.amdhsa_private_segment_fixed_size 0
		.amdhsa_kernarg_size 48
		.amdhsa_user_sgpr_count 2
		.amdhsa_user_sgpr_dispatch_ptr 0
		.amdhsa_user_sgpr_queue_ptr 0
		.amdhsa_user_sgpr_kernarg_segment_ptr 1
		.amdhsa_user_sgpr_dispatch_id 0
		.amdhsa_user_sgpr_private_segment_size 0
		.amdhsa_wavefront_size32 1
		.amdhsa_uses_dynamic_stack 0
		.amdhsa_enable_private_segment 0
		.amdhsa_system_sgpr_workgroup_id_x 1
		.amdhsa_system_sgpr_workgroup_id_y 0
		.amdhsa_system_sgpr_workgroup_id_z 0
		.amdhsa_system_sgpr_workgroup_info 0
		.amdhsa_system_vgpr_workitem_id 0
		.amdhsa_next_free_vgpr 1
		.amdhsa_next_free_sgpr 1
		.amdhsa_reserve_vcc 0
		.amdhsa_float_round_mode_32 0
		.amdhsa_float_round_mode_16_64 0
		.amdhsa_float_denorm_mode_32 3
		.amdhsa_float_denorm_mode_16_64 3
		.amdhsa_fp16_overflow 0
		.amdhsa_workgroup_processor_mode 1
		.amdhsa_memory_ordered 1
		.amdhsa_forward_progress 1
		.amdhsa_inst_pref_size 0
		.amdhsa_round_robin_scheduling 0
		.amdhsa_exception_fp_ieee_invalid_op 0
		.amdhsa_exception_fp_denorm_src 0
		.amdhsa_exception_fp_ieee_div_zero 0
		.amdhsa_exception_fp_ieee_overflow 0
		.amdhsa_exception_fp_ieee_underflow 0
		.amdhsa_exception_fp_ieee_inexact 0
		.amdhsa_exception_int_div_zero 0
	.end_amdhsa_kernel
	.section	.text._ZN7rocprim17ROCPRIM_400000_NS6detail17trampoline_kernelINS0_14default_configENS1_22reduce_config_selectorIbEEZNS1_11reduce_implILb1ES3_N6hipcub16HIPCUB_304000_NS22TransformInputIteratorIbN2at6native12_GLOBAL__N_19NonZeroOpIN3c107complexIfEEEEPKSG_lEEPiiNS8_6detail34convert_binary_result_type_wrapperINS8_3SumESK_iEEEE10hipError_tPvRmT1_T2_T3_mT4_P12ihipStream_tbEUlT_E1_NS1_11comp_targetILNS1_3genE2ELNS1_11target_archE906ELNS1_3gpuE6ELNS1_3repE0EEENS1_30default_config_static_selectorELNS0_4arch9wavefront6targetE0EEEvST_,"axG",@progbits,_ZN7rocprim17ROCPRIM_400000_NS6detail17trampoline_kernelINS0_14default_configENS1_22reduce_config_selectorIbEEZNS1_11reduce_implILb1ES3_N6hipcub16HIPCUB_304000_NS22TransformInputIteratorIbN2at6native12_GLOBAL__N_19NonZeroOpIN3c107complexIfEEEEPKSG_lEEPiiNS8_6detail34convert_binary_result_type_wrapperINS8_3SumESK_iEEEE10hipError_tPvRmT1_T2_T3_mT4_P12ihipStream_tbEUlT_E1_NS1_11comp_targetILNS1_3genE2ELNS1_11target_archE906ELNS1_3gpuE6ELNS1_3repE0EEENS1_30default_config_static_selectorELNS0_4arch9wavefront6targetE0EEEvST_,comdat
.Lfunc_end589:
	.size	_ZN7rocprim17ROCPRIM_400000_NS6detail17trampoline_kernelINS0_14default_configENS1_22reduce_config_selectorIbEEZNS1_11reduce_implILb1ES3_N6hipcub16HIPCUB_304000_NS22TransformInputIteratorIbN2at6native12_GLOBAL__N_19NonZeroOpIN3c107complexIfEEEEPKSG_lEEPiiNS8_6detail34convert_binary_result_type_wrapperINS8_3SumESK_iEEEE10hipError_tPvRmT1_T2_T3_mT4_P12ihipStream_tbEUlT_E1_NS1_11comp_targetILNS1_3genE2ELNS1_11target_archE906ELNS1_3gpuE6ELNS1_3repE0EEENS1_30default_config_static_selectorELNS0_4arch9wavefront6targetE0EEEvST_, .Lfunc_end589-_ZN7rocprim17ROCPRIM_400000_NS6detail17trampoline_kernelINS0_14default_configENS1_22reduce_config_selectorIbEEZNS1_11reduce_implILb1ES3_N6hipcub16HIPCUB_304000_NS22TransformInputIteratorIbN2at6native12_GLOBAL__N_19NonZeroOpIN3c107complexIfEEEEPKSG_lEEPiiNS8_6detail34convert_binary_result_type_wrapperINS8_3SumESK_iEEEE10hipError_tPvRmT1_T2_T3_mT4_P12ihipStream_tbEUlT_E1_NS1_11comp_targetILNS1_3genE2ELNS1_11target_archE906ELNS1_3gpuE6ELNS1_3repE0EEENS1_30default_config_static_selectorELNS0_4arch9wavefront6targetE0EEEvST_
                                        ; -- End function
	.set _ZN7rocprim17ROCPRIM_400000_NS6detail17trampoline_kernelINS0_14default_configENS1_22reduce_config_selectorIbEEZNS1_11reduce_implILb1ES3_N6hipcub16HIPCUB_304000_NS22TransformInputIteratorIbN2at6native12_GLOBAL__N_19NonZeroOpIN3c107complexIfEEEEPKSG_lEEPiiNS8_6detail34convert_binary_result_type_wrapperINS8_3SumESK_iEEEE10hipError_tPvRmT1_T2_T3_mT4_P12ihipStream_tbEUlT_E1_NS1_11comp_targetILNS1_3genE2ELNS1_11target_archE906ELNS1_3gpuE6ELNS1_3repE0EEENS1_30default_config_static_selectorELNS0_4arch9wavefront6targetE0EEEvST_.num_vgpr, 0
	.set _ZN7rocprim17ROCPRIM_400000_NS6detail17trampoline_kernelINS0_14default_configENS1_22reduce_config_selectorIbEEZNS1_11reduce_implILb1ES3_N6hipcub16HIPCUB_304000_NS22TransformInputIteratorIbN2at6native12_GLOBAL__N_19NonZeroOpIN3c107complexIfEEEEPKSG_lEEPiiNS8_6detail34convert_binary_result_type_wrapperINS8_3SumESK_iEEEE10hipError_tPvRmT1_T2_T3_mT4_P12ihipStream_tbEUlT_E1_NS1_11comp_targetILNS1_3genE2ELNS1_11target_archE906ELNS1_3gpuE6ELNS1_3repE0EEENS1_30default_config_static_selectorELNS0_4arch9wavefront6targetE0EEEvST_.num_agpr, 0
	.set _ZN7rocprim17ROCPRIM_400000_NS6detail17trampoline_kernelINS0_14default_configENS1_22reduce_config_selectorIbEEZNS1_11reduce_implILb1ES3_N6hipcub16HIPCUB_304000_NS22TransformInputIteratorIbN2at6native12_GLOBAL__N_19NonZeroOpIN3c107complexIfEEEEPKSG_lEEPiiNS8_6detail34convert_binary_result_type_wrapperINS8_3SumESK_iEEEE10hipError_tPvRmT1_T2_T3_mT4_P12ihipStream_tbEUlT_E1_NS1_11comp_targetILNS1_3genE2ELNS1_11target_archE906ELNS1_3gpuE6ELNS1_3repE0EEENS1_30default_config_static_selectorELNS0_4arch9wavefront6targetE0EEEvST_.numbered_sgpr, 0
	.set _ZN7rocprim17ROCPRIM_400000_NS6detail17trampoline_kernelINS0_14default_configENS1_22reduce_config_selectorIbEEZNS1_11reduce_implILb1ES3_N6hipcub16HIPCUB_304000_NS22TransformInputIteratorIbN2at6native12_GLOBAL__N_19NonZeroOpIN3c107complexIfEEEEPKSG_lEEPiiNS8_6detail34convert_binary_result_type_wrapperINS8_3SumESK_iEEEE10hipError_tPvRmT1_T2_T3_mT4_P12ihipStream_tbEUlT_E1_NS1_11comp_targetILNS1_3genE2ELNS1_11target_archE906ELNS1_3gpuE6ELNS1_3repE0EEENS1_30default_config_static_selectorELNS0_4arch9wavefront6targetE0EEEvST_.num_named_barrier, 0
	.set _ZN7rocprim17ROCPRIM_400000_NS6detail17trampoline_kernelINS0_14default_configENS1_22reduce_config_selectorIbEEZNS1_11reduce_implILb1ES3_N6hipcub16HIPCUB_304000_NS22TransformInputIteratorIbN2at6native12_GLOBAL__N_19NonZeroOpIN3c107complexIfEEEEPKSG_lEEPiiNS8_6detail34convert_binary_result_type_wrapperINS8_3SumESK_iEEEE10hipError_tPvRmT1_T2_T3_mT4_P12ihipStream_tbEUlT_E1_NS1_11comp_targetILNS1_3genE2ELNS1_11target_archE906ELNS1_3gpuE6ELNS1_3repE0EEENS1_30default_config_static_selectorELNS0_4arch9wavefront6targetE0EEEvST_.private_seg_size, 0
	.set _ZN7rocprim17ROCPRIM_400000_NS6detail17trampoline_kernelINS0_14default_configENS1_22reduce_config_selectorIbEEZNS1_11reduce_implILb1ES3_N6hipcub16HIPCUB_304000_NS22TransformInputIteratorIbN2at6native12_GLOBAL__N_19NonZeroOpIN3c107complexIfEEEEPKSG_lEEPiiNS8_6detail34convert_binary_result_type_wrapperINS8_3SumESK_iEEEE10hipError_tPvRmT1_T2_T3_mT4_P12ihipStream_tbEUlT_E1_NS1_11comp_targetILNS1_3genE2ELNS1_11target_archE906ELNS1_3gpuE6ELNS1_3repE0EEENS1_30default_config_static_selectorELNS0_4arch9wavefront6targetE0EEEvST_.uses_vcc, 0
	.set _ZN7rocprim17ROCPRIM_400000_NS6detail17trampoline_kernelINS0_14default_configENS1_22reduce_config_selectorIbEEZNS1_11reduce_implILb1ES3_N6hipcub16HIPCUB_304000_NS22TransformInputIteratorIbN2at6native12_GLOBAL__N_19NonZeroOpIN3c107complexIfEEEEPKSG_lEEPiiNS8_6detail34convert_binary_result_type_wrapperINS8_3SumESK_iEEEE10hipError_tPvRmT1_T2_T3_mT4_P12ihipStream_tbEUlT_E1_NS1_11comp_targetILNS1_3genE2ELNS1_11target_archE906ELNS1_3gpuE6ELNS1_3repE0EEENS1_30default_config_static_selectorELNS0_4arch9wavefront6targetE0EEEvST_.uses_flat_scratch, 0
	.set _ZN7rocprim17ROCPRIM_400000_NS6detail17trampoline_kernelINS0_14default_configENS1_22reduce_config_selectorIbEEZNS1_11reduce_implILb1ES3_N6hipcub16HIPCUB_304000_NS22TransformInputIteratorIbN2at6native12_GLOBAL__N_19NonZeroOpIN3c107complexIfEEEEPKSG_lEEPiiNS8_6detail34convert_binary_result_type_wrapperINS8_3SumESK_iEEEE10hipError_tPvRmT1_T2_T3_mT4_P12ihipStream_tbEUlT_E1_NS1_11comp_targetILNS1_3genE2ELNS1_11target_archE906ELNS1_3gpuE6ELNS1_3repE0EEENS1_30default_config_static_selectorELNS0_4arch9wavefront6targetE0EEEvST_.has_dyn_sized_stack, 0
	.set _ZN7rocprim17ROCPRIM_400000_NS6detail17trampoline_kernelINS0_14default_configENS1_22reduce_config_selectorIbEEZNS1_11reduce_implILb1ES3_N6hipcub16HIPCUB_304000_NS22TransformInputIteratorIbN2at6native12_GLOBAL__N_19NonZeroOpIN3c107complexIfEEEEPKSG_lEEPiiNS8_6detail34convert_binary_result_type_wrapperINS8_3SumESK_iEEEE10hipError_tPvRmT1_T2_T3_mT4_P12ihipStream_tbEUlT_E1_NS1_11comp_targetILNS1_3genE2ELNS1_11target_archE906ELNS1_3gpuE6ELNS1_3repE0EEENS1_30default_config_static_selectorELNS0_4arch9wavefront6targetE0EEEvST_.has_recursion, 0
	.set _ZN7rocprim17ROCPRIM_400000_NS6detail17trampoline_kernelINS0_14default_configENS1_22reduce_config_selectorIbEEZNS1_11reduce_implILb1ES3_N6hipcub16HIPCUB_304000_NS22TransformInputIteratorIbN2at6native12_GLOBAL__N_19NonZeroOpIN3c107complexIfEEEEPKSG_lEEPiiNS8_6detail34convert_binary_result_type_wrapperINS8_3SumESK_iEEEE10hipError_tPvRmT1_T2_T3_mT4_P12ihipStream_tbEUlT_E1_NS1_11comp_targetILNS1_3genE2ELNS1_11target_archE906ELNS1_3gpuE6ELNS1_3repE0EEENS1_30default_config_static_selectorELNS0_4arch9wavefront6targetE0EEEvST_.has_indirect_call, 0
	.section	.AMDGPU.csdata,"",@progbits
; Kernel info:
; codeLenInByte = 0
; TotalNumSgprs: 0
; NumVgprs: 0
; ScratchSize: 0
; MemoryBound: 0
; FloatMode: 240
; IeeeMode: 1
; LDSByteSize: 0 bytes/workgroup (compile time only)
; SGPRBlocks: 0
; VGPRBlocks: 0
; NumSGPRsForWavesPerEU: 1
; NumVGPRsForWavesPerEU: 1
; Occupancy: 16
; WaveLimiterHint : 0
; COMPUTE_PGM_RSRC2:SCRATCH_EN: 0
; COMPUTE_PGM_RSRC2:USER_SGPR: 2
; COMPUTE_PGM_RSRC2:TRAP_HANDLER: 0
; COMPUTE_PGM_RSRC2:TGID_X_EN: 1
; COMPUTE_PGM_RSRC2:TGID_Y_EN: 0
; COMPUTE_PGM_RSRC2:TGID_Z_EN: 0
; COMPUTE_PGM_RSRC2:TIDIG_COMP_CNT: 0
	.section	.text._ZN7rocprim17ROCPRIM_400000_NS6detail17trampoline_kernelINS0_14default_configENS1_22reduce_config_selectorIbEEZNS1_11reduce_implILb1ES3_N6hipcub16HIPCUB_304000_NS22TransformInputIteratorIbN2at6native12_GLOBAL__N_19NonZeroOpIN3c107complexIfEEEEPKSG_lEEPiiNS8_6detail34convert_binary_result_type_wrapperINS8_3SumESK_iEEEE10hipError_tPvRmT1_T2_T3_mT4_P12ihipStream_tbEUlT_E1_NS1_11comp_targetILNS1_3genE10ELNS1_11target_archE1201ELNS1_3gpuE5ELNS1_3repE0EEENS1_30default_config_static_selectorELNS0_4arch9wavefront6targetE0EEEvST_,"axG",@progbits,_ZN7rocprim17ROCPRIM_400000_NS6detail17trampoline_kernelINS0_14default_configENS1_22reduce_config_selectorIbEEZNS1_11reduce_implILb1ES3_N6hipcub16HIPCUB_304000_NS22TransformInputIteratorIbN2at6native12_GLOBAL__N_19NonZeroOpIN3c107complexIfEEEEPKSG_lEEPiiNS8_6detail34convert_binary_result_type_wrapperINS8_3SumESK_iEEEE10hipError_tPvRmT1_T2_T3_mT4_P12ihipStream_tbEUlT_E1_NS1_11comp_targetILNS1_3genE10ELNS1_11target_archE1201ELNS1_3gpuE5ELNS1_3repE0EEENS1_30default_config_static_selectorELNS0_4arch9wavefront6targetE0EEEvST_,comdat
	.globl	_ZN7rocprim17ROCPRIM_400000_NS6detail17trampoline_kernelINS0_14default_configENS1_22reduce_config_selectorIbEEZNS1_11reduce_implILb1ES3_N6hipcub16HIPCUB_304000_NS22TransformInputIteratorIbN2at6native12_GLOBAL__N_19NonZeroOpIN3c107complexIfEEEEPKSG_lEEPiiNS8_6detail34convert_binary_result_type_wrapperINS8_3SumESK_iEEEE10hipError_tPvRmT1_T2_T3_mT4_P12ihipStream_tbEUlT_E1_NS1_11comp_targetILNS1_3genE10ELNS1_11target_archE1201ELNS1_3gpuE5ELNS1_3repE0EEENS1_30default_config_static_selectorELNS0_4arch9wavefront6targetE0EEEvST_ ; -- Begin function _ZN7rocprim17ROCPRIM_400000_NS6detail17trampoline_kernelINS0_14default_configENS1_22reduce_config_selectorIbEEZNS1_11reduce_implILb1ES3_N6hipcub16HIPCUB_304000_NS22TransformInputIteratorIbN2at6native12_GLOBAL__N_19NonZeroOpIN3c107complexIfEEEEPKSG_lEEPiiNS8_6detail34convert_binary_result_type_wrapperINS8_3SumESK_iEEEE10hipError_tPvRmT1_T2_T3_mT4_P12ihipStream_tbEUlT_E1_NS1_11comp_targetILNS1_3genE10ELNS1_11target_archE1201ELNS1_3gpuE5ELNS1_3repE0EEENS1_30default_config_static_selectorELNS0_4arch9wavefront6targetE0EEEvST_
	.p2align	8
	.type	_ZN7rocprim17ROCPRIM_400000_NS6detail17trampoline_kernelINS0_14default_configENS1_22reduce_config_selectorIbEEZNS1_11reduce_implILb1ES3_N6hipcub16HIPCUB_304000_NS22TransformInputIteratorIbN2at6native12_GLOBAL__N_19NonZeroOpIN3c107complexIfEEEEPKSG_lEEPiiNS8_6detail34convert_binary_result_type_wrapperINS8_3SumESK_iEEEE10hipError_tPvRmT1_T2_T3_mT4_P12ihipStream_tbEUlT_E1_NS1_11comp_targetILNS1_3genE10ELNS1_11target_archE1201ELNS1_3gpuE5ELNS1_3repE0EEENS1_30default_config_static_selectorELNS0_4arch9wavefront6targetE0EEEvST_,@function
_ZN7rocprim17ROCPRIM_400000_NS6detail17trampoline_kernelINS0_14default_configENS1_22reduce_config_selectorIbEEZNS1_11reduce_implILb1ES3_N6hipcub16HIPCUB_304000_NS22TransformInputIteratorIbN2at6native12_GLOBAL__N_19NonZeroOpIN3c107complexIfEEEEPKSG_lEEPiiNS8_6detail34convert_binary_result_type_wrapperINS8_3SumESK_iEEEE10hipError_tPvRmT1_T2_T3_mT4_P12ihipStream_tbEUlT_E1_NS1_11comp_targetILNS1_3genE10ELNS1_11target_archE1201ELNS1_3gpuE5ELNS1_3repE0EEENS1_30default_config_static_selectorELNS0_4arch9wavefront6targetE0EEEvST_: ; @_ZN7rocprim17ROCPRIM_400000_NS6detail17trampoline_kernelINS0_14default_configENS1_22reduce_config_selectorIbEEZNS1_11reduce_implILb1ES3_N6hipcub16HIPCUB_304000_NS22TransformInputIteratorIbN2at6native12_GLOBAL__N_19NonZeroOpIN3c107complexIfEEEEPKSG_lEEPiiNS8_6detail34convert_binary_result_type_wrapperINS8_3SumESK_iEEEE10hipError_tPvRmT1_T2_T3_mT4_P12ihipStream_tbEUlT_E1_NS1_11comp_targetILNS1_3genE10ELNS1_11target_archE1201ELNS1_3gpuE5ELNS1_3repE0EEENS1_30default_config_static_selectorELNS0_4arch9wavefront6targetE0EEEvST_
; %bb.0:
	s_clause 0x2
	s_load_b32 s93, s[0:1], 0x4
	s_load_b64 s[76:77], s[0:1], 0x8
	s_load_b128 s[72:75], s[0:1], 0x18
	s_mov_b32 s66, ttmp9
	s_wait_kmcnt 0x0
	s_cmp_lt_i32 s93, 16
	s_cbranch_scc1 .LBB590_12
; %bb.1:
	s_cmp_gt_i32 s93, 63
	s_cbranch_scc0 .LBB590_13
; %bb.2:
	s_cmp_gt_i32 s93, 0x7f
                                        ; implicit-def: $vgpr130 : SGPR spill to VGPR lane
	s_cbranch_scc0 .LBB590_22
; %bb.3:
	s_cmp_eq_u32 s93, 0x80
	s_mov_b32 s6, 0
	s_cbranch_scc0 .LBB590_23
; %bb.4:
	s_mov_b32 s67, 0
	s_lshl_b32 s8, s66, 15
	s_mov_b32 s9, s67
	s_lshr_b64 s[2:3], s[72:73], 15
	s_lshl_b64 s[4:5], s[8:9], 3
	s_cmp_lg_u64 s[2:3], s[66:67]
	s_add_nc_u64 s[16:17], s[76:77], s[4:5]
	s_cbranch_scc0 .LBB590_34
; %bb.5:
	v_lshlrev_b32_e32 v1, 3, v0
	v_writelane_b32 v130, s8, 0
	s_clause 0x8
	global_load_b64 v[2:3], v1, s[16:17]
	global_load_b64 v[4:5], v1, s[16:17] offset:2048
	global_load_b64 v[6:7], v1, s[16:17] offset:4096
	;; [unrolled: 1-line block ×8, first 2 shown]
	v_writelane_b32 v130, s9, 1
	s_wait_loadcnt 0x8
	v_cmp_neq_f32_e64 s52, 0, v2
	v_cmp_neq_f32_e64 s53, 0, v3
	global_load_b64 v[2:3], v1, s[16:17] offset:18432
	s_wait_loadcnt 0x8
	v_cmp_neq_f32_e64 vcc_hi, 0, v4
	v_cmp_neq_f32_e64 s9, 0, v5
	global_load_b64 v[4:5], v1, s[16:17] offset:20480
	s_wait_loadcnt 0x7
	v_cmp_neq_f32_e64 s2, 0, v8
	s_wait_loadcnt 0x6
	v_cmp_neq_f32_e64 s58, 0, v10
	v_cmp_neq_f32_e64 s59, 0, v11
	global_load_b64 v[10:11], v1, s[16:17] offset:26624
	v_cmp_neq_f32_e64 s56, 0, v6
	v_writelane_b32 v130, s2, 2
	v_cmp_neq_f32_e64 s2, 0, v9
	v_cmp_neq_f32_e64 s57, 0, v7
	s_clause 0x1
	global_load_b64 v[6:7], v1, s[16:17] offset:22528
	global_load_b64 v[8:9], v1, s[16:17] offset:24576
	s_wait_loadcnt 0x7
	v_cmp_neq_f32_e64 s60, 0, v14
	s_wait_alu 0xf1ff
	v_writelane_b32 v130, s2, 4
	v_cmp_neq_f32_e64 s2, 0, v12
	v_cmp_neq_f32_e64 s61, 0, v15
	global_load_b64 v[14:15], v1, s[16:17] offset:30720
	s_wait_loadcnt 0x6
	v_cmp_neq_f32_e64 s62, 0, v18
	v_cmp_neq_f32_e64 s63, 0, v19
	s_wait_alu 0xf1ff
	v_writelane_b32 v130, s2, 3
	v_cmp_neq_f32_e64 s2, 0, v13
	s_clause 0x1
	global_load_b64 v[12:13], v1, s[16:17] offset:28672
	global_load_b64 v[18:19], v1, s[16:17] offset:34816
	s_or_b32 s6, s52, s53
	s_or_b32 s77, s58, s59
	s_wait_alu 0xf1ff
	v_writelane_b32 v130, s2, 5
	v_cmp_neq_f32_e64 s2, 0, v16
	s_or_b32 s3, s62, s63
	s_or_b32 s5, s60, s61
	;; [unrolled: 1-line block ×3, first 2 shown]
	s_or_b32 s9, vcc_hi, s9
	v_writelane_b32 v130, s2, 6
	v_cmp_neq_f32_e64 s2, 0, v17
	global_load_b64 v[16:17], v1, s[16:17] offset:32768
	s_wait_alu 0xfffe
	v_cndmask_b32_e64 v22, 0, 1, s3
	v_cndmask_b32_e64 v20, 0, 1, s77
	;; [unrolled: 1-line block ×3, first 2 shown]
	s_wait_alu 0xf1ff
	v_writelane_b32 v130, s2, 7
	s_wait_loadcnt 0x8
	v_cmp_neq_f32_e64 s2, 0, v2
	s_wait_loadcnt 0x7
	v_cmp_neq_f32_e64 s64, 0, v4
	v_cmp_neq_f32_e64 s65, 0, v5
	s_wait_alu 0xf1ff
	v_writelane_b32 v130, s2, 8
	v_cmp_neq_f32_e64 s2, 0, v3
	s_clause 0x1
	global_load_b64 v[2:3], v1, s[16:17] offset:36864
	global_load_b64 v[4:5], v1, s[16:17] offset:38912
	s_or_b32 s76, s64, s65
	s_wait_alu 0xf1ff
	v_writelane_b32 v130, s2, 9
	s_wait_loadcnt 0x8
	v_cmp_neq_f32_e64 s2, 0, v10
	s_wait_loadcnt 0x7
	v_cmp_neq_f32_e64 s12, 0, v6
	v_cmp_neq_f32_e64 s18, 0, v7
	global_load_b64 v[6:7], v1, s[16:17] offset:40960
	s_wait_loadcnt 0x7
	v_cmp_neq_f32_e64 s102, 0, v8
	v_cmp_neq_f32_e64 s103, 0, v9
	global_load_b64 v[8:9], v1, s[16:17] offset:43008
	s_wait_alu 0xf1ff
	v_writelane_b32 v130, s2, 10
	v_cmp_neq_f32_e64 s2, 0, v11
	global_load_b64 v[10:11], v1, s[16:17] offset:45056
	s_wait_loadcnt 0x8
	v_cmp_neq_f32_e64 s15, 0, v14
	s_wait_loadcnt 0x7
	v_cmp_neq_f32_e64 s68, 0, v12
	v_cmp_neq_f32_e64 s69, 0, v13
	s_wait_alu 0xf1ff
	v_writelane_b32 v130, s2, 11
	global_load_b64 v[12:13], v1, s[16:17] offset:47104
	v_cmp_neq_f32_e64 s14, 0, v15
	global_load_b64 v[14:15], v1, s[16:17] offset:49152
	s_wait_loadcnt 0x8
	v_cmp_neq_f32_e64 s2, 0, v18
	s_or_b32 s4, s68, s69
	s_wait_alu 0xfffe
	v_cndmask_b32_e64 v23, 0, 1, s76
	v_cndmask_b32_e64 v25, 0, 1, s4
	s_wait_alu 0xf1ff
	v_writelane_b32 v130, s2, 12
	s_wait_loadcnt 0x7
	v_cmp_neq_f32_e64 s70, 0, v16
	v_cmp_neq_f32_e64 s71, 0, v17
	global_load_b64 v[16:17], v1, s[16:17] offset:51200
	v_cmp_neq_f32_e64 s2, 0, v19
	global_load_b64 v[18:19], v1, s[16:17] offset:53248
	s_or_b32 s8, s70, s71
	s_wait_alu 0xf1ff
	v_writelane_b32 v130, s2, 13
	s_or_b32 s2, s102, s103
	s_wait_alu 0xfffe
	v_cndmask_b32_e64 v24, 0, 1, s2
	s_wait_loadcnt 0x8
	v_cmp_neq_f32_e64 s72, 0, v2
	v_cmp_neq_f32_e64 s73, 0, v3
	global_load_b64 v[2:3], v1, s[16:17] offset:55296
	s_wait_loadcnt 0x8
	v_cmp_neq_f32_e64 s19, 0, v4
	v_cmp_neq_f32_e64 s20, 0, v5
	global_load_b64 v[4:5], v1, s[16:17] offset:57344
	s_or_b32 s11, s72, s73
	s_wait_loadcnt 0x8
	v_cmp_neq_f32_e64 s74, 0, v6
	v_cmp_neq_f32_e32 vcc_lo, 0, v7
	global_load_b64 v[6:7], v1, s[16:17] offset:59392
	s_wait_loadcnt 0x8
	v_cmp_neq_f32_e64 s21, 0, v8
	v_cmp_neq_f32_e64 s22, 0, v9
	global_load_b64 v[8:9], v1, s[16:17] offset:61440
	s_wait_loadcnt 0x8
	v_cmp_neq_f32_e64 s7, 0, v10
	v_cmp_neq_f32_e64 s46, 0, v11
	global_load_b64 v[10:11], v1, s[16:17] offset:63488
	s_or_b32 s10, s74, vcc_lo
	s_or_b32 s22, s21, s22
	s_wait_loadcnt 0x8
	v_cmp_neq_f32_e64 s23, 0, v12
	v_cmp_neq_f32_e64 s24, 0, v13
	global_load_b64 v[12:13], v1, s[16:17] offset:65536
	s_wait_loadcnt 0x8
	v_cmp_neq_f32_e64 s78, 0, v14
	v_cmp_neq_f32_e64 s104, 0, v15
	global_load_b64 v[14:15], v1, s[16:17] offset:67584
	s_or_b32 s103, s7, s46
	s_or_b32 s23, s23, s24
	;; [unrolled: 1-line block ×3, first 2 shown]
	s_wait_loadcnt 0x8
	v_cmp_neq_f32_e64 s27, 0, v16
	v_cmp_neq_f32_e64 s28, 0, v17
	global_load_b64 v[16:17], v1, s[16:17] offset:69632
	s_wait_loadcnt 0x8
	v_cmp_neq_f32_e64 s80, 0, v18
	v_cmp_neq_f32_e64 s81, 0, v19
	global_load_b64 v[18:19], v1, s[16:17] offset:71680
	s_or_b32 s28, s27, s28
	s_or_b32 s104, s80, s81
	s_wait_loadcnt 0x8
	v_cmp_neq_f32_e64 s25, 0, v2
	v_cmp_neq_f32_e64 s26, 0, v3
	global_load_b64 v[2:3], v1, s[16:17] offset:73728
	s_wait_loadcnt 0x8
	v_cmp_neq_f32_e64 s79, 0, v4
	v_cmp_neq_f32_e64 s83, 0, v5
	global_load_b64 v[4:5], v1, s[16:17] offset:75776
	s_or_b32 s25, s25, s26
	s_wait_loadcnt 0x8
	v_cmp_neq_f32_e64 s29, 0, v6
	v_cmp_neq_f32_e64 s30, 0, v7
	global_load_b64 v[6:7], v1, s[16:17] offset:77824
	s_wait_loadcnt 0x8
	v_cmp_neq_f32_e64 s84, 0, v8
	v_cmp_neq_f32_e64 s85, 0, v9
	global_load_b64 v[8:9], v1, s[16:17] offset:79872
	;; [unrolled: 4-line block ×3, first 2 shown]
	s_or_b32 s46, s79, s83
	s_or_b32 s79, s84, s85
	s_wait_loadcnt 0x8
	v_cmp_neq_f32_e64 s86, 0, v12
	v_cmp_neq_f32_e64 s88, 0, v13
	global_load_b64 v[12:13], v1, s[16:17] offset:83968
	s_wait_loadcnt 0x8
	v_cmp_neq_f32_e64 s34, 0, v14
	v_cmp_neq_f32_e64 s35, 0, v15
	global_load_b64 v[14:15], v1, s[16:17] offset:86016
	s_or_b32 s85, s86, s88
	s_or_b32 s26, s29, s30
	;; [unrolled: 1-line block ×4, first 2 shown]
	s_wait_loadcnt 0x8
	v_cmp_neq_f32_e64 s47, 0, v16
	v_cmp_neq_f32_e64 s13, 0, v17
	global_load_b64 v[16:17], v1, s[16:17] offset:88064
	s_wait_loadcnt 0x8
	v_cmp_neq_f32_e64 s36, 0, v18
	v_cmp_neq_f32_e64 s37, 0, v19
	global_load_b64 v[18:19], v1, s[16:17] offset:90112
	;; [unrolled: 4-line block ×4, first 2 shown]
	s_or_b32 s80, s90, s91
	s_wait_loadcnt 0x8
	v_cmp_neq_f32_e64 s92, 0, v6
	v_cmp_neq_f32_e64 s89, 0, v7
	global_load_b64 v[6:7], v1, s[16:17] offset:96256
	s_wait_loadcnt 0x8
	v_cmp_neq_f32_e64 s38, 0, v8
	v_cmp_neq_f32_e64 s39, 0, v9
	global_load_b64 v[8:9], v1, s[16:17] offset:98304
	;; [unrolled: 4-line block ×3, first 2 shown]
	s_or_b32 s88, s92, s89
	s_or_b32 s39, s38, s39
	s_wait_loadcnt 0x8
	v_cmp_neq_f32_e64 s42, 0, v12
	v_cmp_neq_f32_e64 s43, 0, v13
	global_load_b64 v[12:13], v1, s[16:17] offset:102400
	s_wait_loadcnt 0x8
	v_cmp_neq_f32_e64 s82, 0, v14
	v_cmp_neq_f32_e64 s87, 0, v15
	global_load_b64 v[14:15], v1, s[16:17] offset:104448
	s_or_b32 s94, s94, s95
	s_or_b32 s87, s82, s87
	s_wait_loadcnt 0x8
	v_cmp_neq_f32_e64 s44, 0, v16
	v_cmp_neq_f32_e64 s45, 0, v17
	global_load_b64 v[16:17], v1, s[16:17] offset:106496
	s_wait_loadcnt 0x8
	v_cmp_neq_f32_e64 s54, 0, v18
	v_cmp_neq_f32_e64 s55, 0, v19
	global_load_b64 v[18:19], v1, s[16:17] offset:108544
	s_or_b32 s54, s54, s55
	s_wait_loadcnt 0x8
	v_cmp_neq_f32_e64 s48, 0, v2
	v_cmp_neq_f32_e64 s49, 0, v3
	global_load_b64 v[2:3], v1, s[16:17] offset:110592
	s_wait_loadcnt 0x8
	v_cmp_neq_f32_e64 s96, 0, v4
	v_cmp_neq_f32_e64 s97, 0, v5
	global_load_b64 v[4:5], v1, s[16:17] offset:112640
	;; [unrolled: 4-line block ×5, first 2 shown]
	s_or_b32 s95, s96, s97
	s_or_b32 s96, s98, s99
	s_wait_loadcnt 0x8
	v_cmp_neq_f32_e64 s100, 0, v12
	v_cmp_neq_f32_e64 s101, 0, v13
	global_load_b64 v[12:13], v1, s[16:17] offset:126976
	s_wait_loadcnt 0x8
	v_cmp_neq_f32_e64 s58, 0, v14
	v_cmp_neq_f32_e64 s59, 0, v15
	global_load_b64 v[14:15], v1, s[16:17] offset:131072
	s_or_b32 s97, s100, s101
	s_or_b32 s51, s50, s51
	;; [unrolled: 1-line block ×3, first 2 shown]
	s_wait_loadcnt 0x8
	v_cmp_neq_f32_e64 s102, 0, v16
	v_cmp_neq_f32_e64 s68, 0, v17
	s_wait_loadcnt 0x7
	v_cmp_neq_f32_e64 s62, 0, v18
	v_cmp_neq_f32_e64 s63, 0, v19
	s_clause 0x1
	global_load_b64 v[16:17], v1, s[16:17] offset:120832
	global_load_b64 v[18:19], v1, s[16:17] offset:116736
	s_or_b32 s99, s102, s68
	s_or_b32 s62, s62, s63
	s_wait_loadcnt 0x8
	v_cmp_neq_f32_e64 s69, 0, v2
	v_cmp_neq_f32_e64 s70, 0, v3
	s_wait_loadcnt 0x7
	v_cmp_neq_f32_e64 s60, 0, v4
	v_cmp_neq_f32_e64 s61, 0, v5
	s_clause 0x1
	global_load_b64 v[2:3], v1, s[16:17] offset:129024
	global_load_b64 v[4:5], v1, s[16:17] offset:124928
	s_or_b32 s98, s69, s70
	s_wait_loadcnt 0x8
	v_cmp_neq_f32_e64 s71, 0, v6
	v_cmp_neq_f32_e64 s72, 0, v7
	global_load_b64 v[6:7], v1, s[16:17] offset:133120
	s_wait_loadcnt 0x8
	v_cmp_neq_f32_e64 s73, 0, v8
	v_cmp_neq_f32_e64 s74, 0, v9
	global_load_b64 v[8:9], v1, s[16:17] offset:135168
	s_wait_loadcnt 0x8
	v_cmp_neq_f32_e64 s56, 0, v10
	s_or_b32 s101, s71, s72
	s_or_b32 s61, s60, s61
	;; [unrolled: 1-line block ×3, first 2 shown]
	v_writelane_b32 v130, s56, 14
	v_cmp_neq_f32_e64 s56, 0, v11
	global_load_b64 v[10:11], v1, s[16:17] offset:137216
	s_wait_loadcnt 0x7
	v_cmp_neq_f32_e64 s65, 0, v14
	v_cmp_neq_f32_e64 s64, 0, v12
	;; [unrolled: 1-line block ×3, first 2 shown]
	s_delay_alu instid0(VALU_DEP_3)
	v_writelane_b32 v130, s65, 15
	v_cmp_neq_f32_e64 s65, 0, v15
	s_wait_loadcnt 0x6
	v_cmp_neq_f32_e64 s70, 0, v16
	s_wait_loadcnt 0x5
	v_cmp_neq_f32_e64 s68, 0, v18
	v_cmp_neq_f32_e64 s69, 0, v19
	s_clause 0x2
	global_load_b64 v[12:13], v1, s[16:17] offset:139264
	global_load_b64 v[14:15], v1, s[16:17] offset:141312
	;; [unrolled: 1-line block ×3, first 2 shown]
	v_cndmask_b32_e64 v16, 0, 1, s6
	v_readlane_b32 s2, v130, 2
	v_readlane_b32 s3, v130, 4
	v_cmp_neq_f32_e64 s71, 0, v17
	v_cndmask_b32_e64 v17, 0, 1, s75
	s_or_b32 s63, s68, s69
	s_or_b32 vcc_lo, s2, s3
	v_readlane_b32 s2, v130, 3
	v_readlane_b32 s3, v130, 5
	s_or_b32 s70, s70, s71
	s_wait_loadcnt 0x7
	v_cmp_neq_f32_e64 s90, 0, v2
	s_wait_loadcnt 0x6
	v_cmp_neq_f32_e64 s91, 0, v4
	v_cmp_neq_f32_e64 s92, 0, v5
	;; [unrolled: 1-line block ×3, first 2 shown]
	s_clause 0x1
	global_load_b64 v[2:3], v1, s[16:17] offset:145408
	global_load_b64 v[4:5], v1, s[16:17] offset:147456
	s_wait_loadcnt 0x7
	v_cmp_neq_f32_e64 s81, 0, v6
	v_add_co_ci_u32_e64 v6, null, 0, v16, s9
	v_cmp_neq_f32_e64 s83, 0, v7
	s_wait_loadcnt 0x6
	v_cmp_neq_f32_e64 s84, 0, v8
	v_cmp_neq_f32_e64 s86, 0, v9
	global_load_b64 v[8:9], v1, s[16:17] offset:151552
	v_cndmask_b32_e64 v16, 0, 1, s103
	s_wait_loadcnt 0x6
	v_cmp_neq_f32_e64 s72, 0, v10
	v_add_co_ci_u32_e64 v10, null, v6, v17, vcc_lo
	s_or_b32 vcc_lo, s2, s3
	v_readlane_b32 s2, v130, 6
	v_readlane_b32 s3, v130, 7
	global_load_b64 v[6:7], v1, s[16:17] offset:149504
	v_cmp_neq_f32_e64 s74, 0, v11
	v_cndmask_b32_e64 v17, 0, 1, s7
	s_or_b32 s2, s2, s3
	s_wait_loadcnt 0x6
	v_cmp_neq_f32_e64 s75, 0, v13
	s_wait_alu 0xfffe
	v_add_co_ci_u32_e64 v13, null, v10, v20, vcc_lo
	global_load_b64 v[10:11], v1, s[16:17] offset:155648
	s_wait_loadcnt 0x6
	v_cmp_neq_f32_e64 s77, 0, v15
	v_cndmask_b32_e64 v15, 0, 1, s10
	v_add_co_ci_u32_e64 v13, null, v13, v21, s2
	s_or_b32 s10, s12, s18
	v_cmp_neq_f32_e64 s73, 0, v12
	v_cndmask_b32_e64 v12, 0, 1, s8
	v_cmp_neq_f32_e64 s76, 0, v14
	s_wait_loadcnt 0x5
	v_cmp_neq_f32_e64 s78, 0, v18
	v_cndmask_b32_e64 v14, 0, 1, s11
	v_cmp_neq_f32_e64 s4, 0, v19
	v_cndmask_b32_e64 v18, 0, 1, s79
	v_cndmask_b32_e64 v19, 0, 1, s85
	s_or_b32 s85, s15, s14
	v_cndmask_b32_e64 v21, 0, 1, s80
	s_or_b32 s72, s72, s74
	s_or_b32 s73, s73, s75
	;; [unrolled: 1-line block ×3, first 2 shown]
	s_wait_loadcnt 0x4
	v_cmp_neq_f32_e64 vcc_hi, 0, v2
	v_cmp_neq_f32_e64 s2, 0, v3
	s_wait_loadcnt 0x3
	v_cmp_neq_f32_e64 s6, 0, v4
	v_cmp_neq_f32_e32 vcc_lo, 0, v5
	s_clause 0x1
	global_load_b64 v[4:5], v1, s[16:17] offset:157696
	global_load_b64 v[2:3], v1, s[16:17] offset:153600
	s_wait_alu 0xf1ff
	v_writelane_b32 v130, s2, 2
	s_wait_loadcnt 0x4
	v_cmp_neq_f32_e64 s9, 0, v8
	s_delay_alu instid0(VALU_DEP_2)
	v_readlane_b32 s2, v130, 8
	v_readlane_b32 s3, v130, 9
	s_or_b32 s3, s2, s3
	s_wait_loadcnt 0x3
	v_cmp_neq_f32_e64 s2, 0, v6
	v_cmp_neq_f32_e64 s103, 0, v7
	s_wait_alu 0xfffe
	v_add_co_ci_u32_e64 v13, null, v13, v22, s3
	v_cndmask_b32_e64 v22, 0, 1, s94
	s_wait_alu 0xf1ff
	v_writelane_b32 v130, s2, 4
	v_cmp_neq_f32_e64 s2, 0, v9
	s_clause 0x1
	global_load_b64 v[6:7], v1, s[16:17] offset:159744
	global_load_b64 v[8:9], v1, s[16:17] offset:161792
	v_add_co_ci_u32_e64 v13, null, v13, v23, s10
	s_wait_loadcnt 0x4
	v_cmp_neq_f32_e64 s12, 0, v11
	v_cndmask_b32_e64 v11, 0, 1, s46
	v_readlane_b32 s7, v130, 10
	v_readlane_b32 s8, v130, 11
	s_or_b32 s10, s47, s13
	v_readlane_b32 s13, v130, 12
	v_readlane_b32 s14, v130, 13
	s_wait_alu 0xfffe
	v_cndmask_b32_e64 v20, 0, 1, s10
	s_or_b32 s8, s7, s8
	v_cmp_neq_f32_e64 s3, 0, v10
	s_wait_alu 0xfffe
	v_add_co_ci_u32_e64 v13, null, v13, v24, s8
	s_or_b32 s14, s13, s14
	v_cndmask_b32_e64 v10, 0, 1, s104
	v_readlane_b32 s71, v130, 14
	v_add_co_ci_u32_e64 v13, null, v13, v25, s85
	s_or_b32 s2, s9, s2
	s_or_b32 s3, s3, s12
	;; [unrolled: 1-line block ×3, first 2 shown]
	v_add_co_ci_u32_e64 v12, null, v13, v12, s14
	v_cndmask_b32_e64 v13, 0, 1, s88
	s_or_b32 s88, s19, s20
	s_wait_loadcnt 0x3
	v_cmp_neq_f32_e64 s18, 0, v4
	s_wait_loadcnt 0x2
	v_cmp_neq_f32_e64 s5, 0, v2
	v_cmp_neq_f32_e64 s46, 0, v3
	global_load_b64 v[2:3], v1, s[16:17] offset:163840
	v_cmp_neq_f32_e64 s11, 0, v5
	s_or_b32 s5, s5, s46
	s_wait_loadcnt 0x2
	v_cmp_neq_f32_e64 s8, 0, v6
	v_cmp_neq_f32_e64 s7, 0, v7
	s_clause 0x1
	global_load_b64 v[4:5], v1, s[16:17] offset:169984
	global_load_b64 v[6:7], v1, s[16:17] offset:165888
	s_wait_loadcnt 0x3
	v_cmp_neq_f32_e64 s47, 0, v8
	v_cmp_neq_f32_e64 s10, 0, v9
	s_or_b32 s7, s8, s7
	s_wait_loadcnt 0x2
	v_cmp_neq_f32_e64 s15, 0, v2
	v_cmp_neq_f32_e64 s79, 0, v3
	global_load_b64 v[2:3], v1, s[16:17] offset:167936
	s_wait_loadcnt 0x2
	v_cmp_neq_f32_e64 s21, 0, v4
	s_wait_loadcnt 0x1
	v_cmp_neq_f32_e64 s14, 0, v6
	v_cmp_neq_f32_e64 s19, 0, v7
	s_wait_loadcnt 0x0
	v_cmp_neq_f32_e64 s13, 0, v2
	v_cmp_neq_f32_e64 s85, 0, v3
	s_clause 0x2
	global_load_b64 v[2:3], v1, s[16:17] offset:172032
	global_load_b64 v[6:7], v1, s[16:17] offset:178176
	;; [unrolled: 1-line block ×3, first 2 shown]
	s_wait_loadcnt 0x2
	v_cmp_neq_f32_e64 s20, 0, v2
	s_wait_alu 0xfffe
	v_add_co_ci_u32_e64 v2, null, v12, v14, s88
	v_cmp_neq_f32_e64 s82, 0, v3
	v_cndmask_b32_e64 v14, 0, 1, s87
	s_wait_loadcnt 0x0
	v_cmp_neq_f32_e64 s24, 0, v9
	v_add_co_ci_u32_e64 v4, null, v2, v15, s22
	global_load_b64 v[2:3], v1, s[16:17] offset:176128
	v_cmp_neq_f32_e64 s22, 0, v5
	v_cndmask_b32_e64 v15, 0, 1, s54
	v_add_co_ci_u32_e64 v12, null, v4, v16, s23
	v_cmp_neq_f32_e64 s23, 0, v8
	v_cndmask_b32_e64 v16, 0, 1, s95
	v_cmp_neq_f32_e64 s54, 0, v7
	s_delay_alu instid0(VALU_DEP_4) | instskip(SKIP_2) | instid1(VALU_DEP_3)
	v_add_co_ci_u32_e64 v12, null, v12, v17, s28
	v_cmp_neq_f32_e64 s28, 0, v6
	v_cndmask_b32_e64 v17, 0, 1, s96
	v_add_co_ci_u32_e64 v6, null, v12, v10, s25
	s_delay_alu instid0(VALU_DEP_1) | instskip(NEXT) | instid1(VALU_DEP_1)
	v_add_co_ci_u32_e64 v10, null, v6, v11, s26
	v_add_co_ci_u32_e64 v10, null, v10, v18, s30
	v_cndmask_b32_e64 v18, 0, 1, s97
	s_delay_alu instid0(VALU_DEP_2)
	v_add_co_ci_u32_e64 v10, null, v10, v19, s34
	s_or_b32 s34, s36, s37
	s_or_b32 s37, s40, s41
	;; [unrolled: 1-line block ×3, first 2 shown]
	s_wait_alu 0xfffe
	v_add_co_ci_u32_e64 v12, null, v10, v20, s34
	s_or_b32 s42, s44, s45
	s_or_b32 s44, s48, s49
	v_cndmask_b32_e64 v20, 0, 1, s98
	v_add_co_ci_u32_e64 v12, null, v12, v21, s37
	s_delay_alu instid0(VALU_DEP_1) | instskip(NEXT) | instid1(VALU_DEP_1)
	v_add_co_ci_u32_e64 v12, null, v12, v13, s39
	v_add_co_ci_u32_e64 v19, null, v12, v22, s41
	s_delay_alu instid0(VALU_DEP_1) | instskip(SKIP_1) | instid1(VALU_DEP_2)
	v_add_co_ci_u32_e64 v14, null, v19, v14, s42
	v_cndmask_b32_e64 v19, 0, 1, s99
	v_add_co_ci_u32_e64 v14, null, v14, v15, s44
	s_delay_alu instid0(VALU_DEP_1) | instskip(SKIP_1) | instid1(VALU_DEP_2)
	v_add_co_ci_u32_e64 v14, null, v14, v16, s51
	v_cndmask_b32_e64 v16, 0, 1, s101
	v_add_co_ci_u32_e64 v14, null, v14, v17, s53
	s_or_b32 s53, s58, s59
	s_wait_alu 0xfffe
	v_add_co_ci_u32_e64 v17, null, v14, v18, s53
	v_cndmask_b32_e64 v18, 0, 1, s100
	s_delay_alu instid0(VALU_DEP_2)
	v_add_co_ci_u32_e64 v17, null, v17, v19, s62
	v_cndmask_b32_e64 v19, 0, 1, s56
	s_or_b32 s56, s91, s92
	s_wait_loadcnt 0x0
	v_cmp_neq_f32_e64 s88, 0, v2
	v_cmp_neq_f32_e64 s87, 0, v3
	s_clause 0x2
	global_load_b64 v[2:3], v1, s[16:17] offset:180224
	global_load_b64 v[4:5], v1, s[16:17] offset:186368
	;; [unrolled: 1-line block ×3, first 2 shown]
	s_wait_loadcnt 0x1
	v_cmp_neq_f32_e64 s30, 0, v4
	v_cmp_neq_f32_e64 s27, 0, v2
	;; [unrolled: 1-line block ×3, first 2 shown]
	global_load_b64 v[2:3], v1, s[16:17] offset:184320
	s_wait_loadcnt 0x1
	v_cmp_neq_f32_e64 s25, 0, v8
	v_cmp_neq_f32_e64 s26, 0, v9
	;; [unrolled: 1-line block ×3, first 2 shown]
	s_wait_loadcnt 0x0
	v_cmp_neq_f32_e64 s94, 0, v2
	v_cmp_neq_f32_e64 s95, 0, v3
	s_clause 0x3
	global_load_b64 v[2:3], v1, s[16:17] offset:188416
	global_load_b64 v[6:7], v1, s[16:17] offset:194560
	;; [unrolled: 1-line block ×4, first 2 shown]
	s_wait_loadcnt 0x3
	v_cmp_neq_f32_e64 s29, 0, v2
	v_cmp_neq_f32_e64 s31, 0, v3
	global_load_b64 v[2:3], v1, s[16:17] offset:192512
	s_wait_loadcnt 0x2
	v_cmp_neq_f32_e64 s34, 0, v8
	v_cmp_neq_f32_e64 s35, 0, v9
	;; [unrolled: 1-line block ×4, first 2 shown]
	s_wait_loadcnt 0x1
	v_cmp_neq_f32_e64 s37, 0, v4
	v_cmp_neq_f32_e64 s40, 0, v5
	s_wait_loadcnt 0x0
	v_cmp_neq_f32_e64 s96, 0, v2
	v_cmp_neq_f32_e64 s36, 0, v3
	s_clause 0x4
	global_load_b64 v[2:3], v1, s[16:17] offset:200704
	global_load_b64 v[8:9], v1, s[16:17] offset:202752
	;; [unrolled: 1-line block ×5, first 2 shown]
	s_wait_loadcnt 0x3
	v_cmp_neq_f32_e64 s44, 0, v8
	v_cmp_neq_f32_e64 s43, 0, v2
	;; [unrolled: 1-line block ×3, first 2 shown]
	s_clause 0x1
	global_load_b64 v[2:3], v1, s[16:17] offset:210944
	global_load_b64 v[12:13], v1, s[16:17] offset:206848
	s_wait_loadcnt 0x4
	v_cmp_neq_f32_e64 s41, 0, v10
	v_cmp_neq_f32_e64 s42, 0, v11
	global_load_b64 v[10:11], v1, s[16:17] offset:212992
	s_wait_loadcnt 0x4
	v_cmp_neq_f32_e64 s45, 0, v4
	v_cmp_neq_f32_e64 s48, 0, v5
	global_load_b64 v[4:5], v1, s[16:17] offset:217088
	v_cmp_neq_f32_e64 s49, 0, v9
	s_wait_loadcnt 0x4
	v_cmp_neq_f32_e64 s50, 0, v6
	v_cmp_neq_f32_e64 s98, 0, v7
	s_clause 0x1
	global_load_b64 v[6:7], v1, s[16:17] offset:219136
	global_load_b64 v[8:9], v1, s[16:17] offset:215040
	s_wait_loadcnt 0x5
	v_cmp_neq_f32_e64 s53, 0, v2
	s_wait_loadcnt 0x4
	v_cmp_neq_f32_e64 s51, 0, v12
	v_cmp_neq_f32_e64 s52, 0, v13
	global_load_b64 v[12:13], v1, s[16:17] offset:221184
	s_wait_loadcnt 0x4
	v_cmp_neq_f32_e64 s99, 0, v10
	v_cmp_neq_f32_e64 s59, 0, v11
	;; [unrolled: 1-line block ×3, first 2 shown]
	s_clause 0x2
	global_load_b64 v[2:3], v1, s[16:17] offset:225280
	global_load_b64 v[10:11], v1, s[16:17] offset:227328
	;; [unrolled: 1-line block ×3, first 2 shown]
	s_wait_loadcnt 0x6
	v_cmp_neq_f32_e64 s62, 0, v4
	v_cmp_neq_f32_e64 s100, 0, v5
	global_load_b64 v[4:5], v1, s[16:17] offset:229376
	s_wait_loadcnt 0x5
	v_cmp_neq_f32_e64 s60, 0, v8
	v_add_co_ci_u32_e64 v8, null, v17, v20, s61
	v_cmp_neq_f32_e64 s61, 0, v9
	s_delay_alu instid0(VALU_DEP_2) | instskip(SKIP_1) | instid1(VALU_DEP_2)
	v_add_co_ci_u32_e64 v8, null, v8, v16, s63
	v_cmp_neq_f32_e64 s63, 0, v6
	v_add_co_ci_u32_e64 v18, null, v8, v18, s70
	v_cmp_neq_f32_e64 s70, 0, v7
	s_wait_alu 0xfffe
	s_delay_alu instid0(VALU_DEP_2)
	v_add_co_ci_u32_e64 v18, null, v18, v19, s56
	s_or_b32 s56, s64, s57
	v_readlane_b32 s64, v130, 15
	s_wait_alu 0xfffe
	v_cndmask_b32_e64 v19, 0, 1, s56
	s_or_b32 s56, s90, s89
	s_or_b32 s64, s64, s65
	s_wait_alu 0xfffe
	s_delay_alu instid0(VALU_DEP_1) | instskip(SKIP_3) | instid1(VALU_DEP_1)
	v_add_co_ci_u32_e64 v18, null, v18, v19, s56
	v_cndmask_b32_e64 v19, 0, 1, s64
	s_or_b32 s64, s81, s83
	s_wait_alu 0xfffe
	v_add_co_ci_u32_e64 v18, null, v18, v19, s64
	s_or_b32 s64, s84, s86
	s_wait_alu 0xfffe
	v_cndmask_b32_e64 v19, 0, 1, s64
	s_delay_alu instid0(VALU_DEP_1) | instskip(SKIP_3) | instid1(VALU_DEP_1)
	v_add_co_ci_u32_e64 v18, null, v18, v19, s72
	v_cndmask_b32_e64 v19, 0, 1, s73
	s_or_b32 s73, s76, s77
	s_wait_alu 0xfffe
	v_add_co_ci_u32_e64 v18, null, v18, v19, s73
	v_cndmask_b32_e64 v19, 0, 1, s4
	s_or_b32 s4, s6, vcc_lo
	s_wait_loadcnt 0x4
	v_cmp_neq_f32_e64 s68, 0, v12
	v_cmp_neq_f32_e64 s69, 0, v13
	s_clause 0x3
	global_load_b64 v[8:9], v1, s[16:17] offset:233472
	global_load_b64 v[12:13], v1, s[16:17] offset:235520
	;; [unrolled: 1-line block ×4, first 2 shown]
	s_wait_loadcnt 0x7
	v_cmp_neq_f32_e64 s101, 0, v2
	v_cmp_neq_f32_e64 s102, 0, v3
	s_wait_loadcnt 0x5
	v_cmp_neq_f32_e64 s56, 0, v14
	v_cmp_neq_f32_e64 s57, 0, v15
	;; [unrolled: 3-line block ×3, first 2 shown]
	s_clause 0x2
	global_load_b64 v[2:3], v1, s[16:17] offset:241664
	global_load_b64 v[4:5], v1, s[16:17] offset:243712
	;; [unrolled: 1-line block ×3, first 2 shown]
	v_cmp_neq_f32_e64 s91, 0, v10
	v_cmp_neq_f32_e64 s92, 0, v11
	global_load_b64 v[10:11], v1, s[16:17] offset:245760
	s_wait_loadcnt 0x7
	v_cmp_neq_f32_e64 s64, 0, v8
	v_cmp_neq_f32_e64 s65, 0, v9
	global_load_b64 v[8:9], v1, s[16:17] offset:249856
	s_wait_loadcnt 0x6
	v_cmp_neq_f32_e64 s81, 0, v16
	v_cmp_neq_f32_e64 s83, 0, v17
	s_wait_loadcnt 0x5
	v_cmp_neq_f32_e64 s84, 0, v6
	v_cmp_neq_f32_e64 s86, 0, v7
	s_clause 0x1
	global_load_b64 v[6:7], v1, s[16:17] offset:251904
	global_load_b64 v[16:17], v1, s[16:17] offset:247808
	v_cmp_neq_f32_e64 s72, 0, v12
	v_cmp_neq_f32_e64 s74, 0, v13
	global_load_b64 v[12:13], v1, s[16:17] offset:253952
	s_wait_loadcnt 0x7
	v_cmp_neq_f32_e64 s73, 0, v2
	v_cmp_neq_f32_e64 s75, 0, v3
	global_load_b64 v[2:3], v1, s[16:17] offset:258048
	s_wait_loadcnt 0x6
	v_cmp_neq_f32_e64 s76, 0, v14
	v_cmp_neq_f32_e64 s77, 0, v15
	s_wait_loadcnt 0x5
	v_cmp_neq_f32_e64 s78, 0, v10
	v_cmp_neq_f32_e64 s80, 0, v11
	s_clause 0x1
	global_load_b64 v[10:11], v1, s[16:17] offset:260096
	global_load_b64 v[14:15], v1, s[16:17] offset:256000
	s_wait_alu 0xfffe
	v_cndmask_b32_e64 v1, 0, 1, s4
	v_readlane_b32 s4, v130, 2
	s_or_b32 vcc_lo, vcc_hi, s4
	s_wait_alu 0xfffe
	v_add_co_ci_u32_e64 v18, null, v18, v19, vcc_lo
	v_cndmask_b32_e64 v19, 0, 1, s2
	v_readlane_b32 s2, v130, 4
	s_or_b32 vcc_lo, s2, s103
	v_cmp_neq_f32_e64 s2, 0, v5
	s_wait_alu 0xfffe
	v_add_co_ci_u32_e64 v1, null, v18, v1, vcc_lo
	v_cmp_neq_f32_e32 vcc_lo, 0, v4
	v_cndmask_b32_e64 v4, 0, 1, s3
	v_cndmask_b32_e64 v5, 0, 1, s7
	s_delay_alu instid0(VALU_DEP_4)
	v_add_co_ci_u32_e64 v1, null, v1, v19, s5
	s_or_b32 s7, s15, s79
	s_or_b32 vcc_lo, vcc_lo, s2
	s_wait_loadcnt 0x6
	v_cmp_neq_f32_e64 s3, 0, v8
	s_wait_alu 0xfffe
	v_cndmask_b32_e64 v8, 0, 1, s7
	s_or_b32 s7, s18, s11
	v_cmp_neq_f32_e64 s4, 0, v9
	s_wait_alu 0xfffe
	v_add_co_ci_u32_e64 v1, null, v1, v4, s7
	s_or_b32 s7, s13, s85
	s_or_b32 s11, s78, s80
	s_wait_alu 0xfffe
	v_cndmask_b32_e64 v4, 0, 1, s7
	s_or_b32 s7, s47, s10
	s_or_b32 s3, s3, s4
	s_wait_alu 0xfffe
	v_add_co_ci_u32_e64 v1, null, v1, v5, s7
	s_or_b32 s7, s20, s82
	s_wait_loadcnt 0x3
	v_cmp_neq_f32_e64 s8, 0, v12
	s_wait_alu 0xfffe
	v_cndmask_b32_e64 v5, 0, 1, s7
	s_or_b32 s7, s14, s19
	v_cmp_neq_f32_e64 s9, 0, v13
	s_wait_alu 0xfffe
	v_add_co_ci_u32_e64 v1, null, v1, v8, s7
	s_or_b32 s7, s88, s87
	v_cmp_neq_f32_e64 s5, 0, v16
	s_wait_alu 0xfffe
	v_cndmask_b32_e64 v8, 0, 1, s7
	s_or_b32 s7, s21, s22
	v_cmp_neq_f32_e64 s6, 0, v17
	s_wait_alu 0xfffe
	v_add_co_ci_u32_e64 v1, null, v1, v4, s7
	s_or_b32 s7, s27, s55
	v_cmp_neq_f32_e64 s10, 0, v7
	s_wait_alu 0xfffe
	v_cndmask_b32_e64 v4, 0, 1, s7
	s_or_b32 s7, s23, s24
	s_or_b32 s4, s5, s6
	s_wait_alu 0xfffe
	v_add_co_ci_u32_e64 v1, null, v1, v5, s7
	s_or_b32 s7, s94, s95
	s_wait_loadcnt 0x0
	v_cmp_neq_f32_e64 s2, 0, v14
	s_wait_alu 0xfffe
	v_cndmask_b32_e64 v5, 0, 1, s7
	s_or_b32 s7, s28, s54
	s_wait_alu 0xfffe
	v_add_co_ci_u32_e64 v1, null, v1, v8, s7
	s_or_b32 s7, s29, s31
	s_wait_alu 0xfffe
	v_cndmask_b32_e64 v8, 0, 1, s7
	s_or_b32 s7, s25, s26
	s_wait_alu 0xfffe
	v_add_co_ci_u32_e64 v1, null, v1, v4, s7
	s_or_b32 s7, s96, s36
	s_wait_alu 0xfffe
	v_cndmask_b32_e64 v4, 0, 1, s7
	s_or_b32 s7, s30, s33
	s_wait_alu 0xfffe
	v_add_co_ci_u32_e64 v1, null, v1, v5, s7
	s_or_b32 s7, s37, s40
	s_wait_alu 0xfffe
	v_cndmask_b32_e64 v5, 0, 1, s7
	s_or_b32 s7, s34, s35
	s_wait_alu 0xfffe
	v_add_co_ci_u32_e64 v1, null, v1, v8, s7
	s_or_b32 s7, s43, s97
	s_wait_alu 0xfffe
	v_cndmask_b32_e64 v8, 0, 1, s7
	s_or_b32 s7, s38, s39
	s_wait_alu 0xfffe
	v_add_co_ci_u32_e64 v1, null, v1, v4, s7
	s_or_b32 s7, s45, s48
	s_wait_alu 0xfffe
	v_cndmask_b32_e64 v4, 0, 1, s7
	s_or_b32 s7, s41, s42
	s_wait_alu 0xfffe
	v_add_co_ci_u32_e64 v1, null, v1, v5, s7
	s_or_b32 s7, s50, s98
	s_wait_alu 0xfffe
	v_cndmask_b32_e64 v5, 0, 1, s7
	s_or_b32 s7, s44, s49
	s_wait_alu 0xfffe
	v_add_co_ci_u32_e64 v1, null, v1, v8, s7
	s_or_b32 s7, s99, s59
	s_wait_alu 0xfffe
	v_cndmask_b32_e64 v8, 0, 1, s7
	s_or_b32 s7, s51, s52
	s_wait_alu 0xfffe
	v_add_co_ci_u32_e64 v1, null, v1, v4, s7
	s_or_b32 s7, s62, s100
	s_wait_alu 0xfffe
	v_cndmask_b32_e64 v4, 0, 1, s7
	s_or_b32 s7, s53, s58
	s_wait_alu 0xfffe
	v_add_co_ci_u32_e64 v1, null, v1, v5, s7
	s_or_b32 s7, s68, s69
	s_wait_alu 0xfffe
	v_cndmask_b32_e64 v5, 0, 1, s7
	s_or_b32 s7, s60, s61
	s_wait_alu 0xfffe
	v_add_co_ci_u32_e64 v1, null, v1, v8, s7
	s_or_b32 s7, s101, s102
	s_wait_alu 0xfffe
	v_cndmask_b32_e64 v8, 0, 1, s7
	s_or_b32 s7, s63, s70
	s_wait_alu 0xfffe
	v_add_co_ci_u32_e64 v1, null, v1, v4, s7
	s_or_b32 s7, s71, s90
	s_wait_alu 0xfffe
	v_cndmask_b32_e64 v4, 0, 1, s7
	s_or_b32 s7, s56, s57
	s_wait_alu 0xfffe
	v_add_co_ci_u32_e64 v1, null, v1, v5, s7
	s_or_b32 s7, s64, s65
	s_wait_alu 0xfffe
	v_cndmask_b32_e64 v5, 0, 1, s7
	s_or_b32 s7, s91, s92
	s_wait_alu 0xfffe
	v_add_co_ci_u32_e64 v1, null, v1, v8, s7
	s_or_b32 s7, s84, s86
	s_wait_alu 0xfffe
	v_cndmask_b32_e64 v8, 0, 1, s7
	s_or_b32 s7, s81, s83
	s_wait_alu 0xfffe
	v_add_co_ci_u32_e64 v1, null, v1, v4, s7
	s_or_b32 s7, s73, s75
	s_wait_alu 0xfffe
	v_cndmask_b32_e64 v4, 0, 1, s7
	v_cmp_neq_f32_e64 s7, 0, v6
	v_cndmask_b32_e64 v6, 0, 1, s11
	s_or_b32 s11, s72, s74
	s_wait_alu 0xfffe
	v_add_co_ci_u32_e64 v1, null, v1, v5, s11
	v_cndmask_b32_e64 v5, 0, 1, s3
	s_or_b32 s3, s76, s77
	s_wait_alu 0xfffe
	s_delay_alu instid0(VALU_DEP_2)
	v_add_co_ci_u32_e64 v1, null, v1, v8, s3
	s_or_b32 s3, s8, s9
	s_wait_alu 0xfffe
	v_cndmask_b32_e64 v7, 0, 1, s3
	v_add_co_ci_u32_e64 v1, null, v1, v4, vcc_lo
	v_cmp_neq_f32_e64 s3, 0, v2
	v_cmp_neq_f32_e32 vcc_lo, 0, v3
	s_delay_alu instid0(VALU_DEP_3)
	v_add_co_ci_u32_e64 v1, null, v1, v6, s4
	v_cmp_neq_f32_e64 s4, 0, v15
	s_or_b32 s3, s3, vcc_lo
	s_or_b32 vcc_lo, s7, s10
	s_wait_alu 0xfffe
	v_cndmask_b32_e64 v2, 0, 1, s3
	v_add_co_ci_u32_e64 v1, null, v1, v5, vcc_lo
	v_cmp_neq_f32_e32 vcc_lo, 0, v10
	v_cmp_neq_f32_e64 s3, 0, v11
	s_or_b32 s2, s2, s4
	s_wait_alu 0xfffe
	v_add_co_ci_u32_e64 v1, null, v1, v7, s2
	s_or_b32 vcc_lo, vcc_lo, s3
	s_mov_b32 s2, exec_lo
	s_wait_alu 0xfffe
	v_add_co_ci_u32_e64 v1, null, v1, v2, vcc_lo
	s_delay_alu instid0(VALU_DEP_1) | instskip(NEXT) | instid1(VALU_DEP_1)
	v_mov_b32_dpp v2, v1 quad_perm:[1,0,3,2] row_mask:0xf bank_mask:0xf
	v_add_nc_u32_e32 v1, v1, v2
	s_delay_alu instid0(VALU_DEP_1) | instskip(NEXT) | instid1(VALU_DEP_1)
	v_mov_b32_dpp v2, v1 quad_perm:[2,3,0,1] row_mask:0xf bank_mask:0xf
	v_add_nc_u32_e32 v1, v1, v2
	s_delay_alu instid0(VALU_DEP_1) | instskip(NEXT) | instid1(VALU_DEP_1)
	v_mov_b32_dpp v2, v1 row_ror:4 row_mask:0xf bank_mask:0xf
	v_add_nc_u32_e32 v1, v1, v2
	s_delay_alu instid0(VALU_DEP_1) | instskip(NEXT) | instid1(VALU_DEP_1)
	v_mov_b32_dpp v2, v1 row_ror:8 row_mask:0xf bank_mask:0xf
	v_add_nc_u32_e32 v1, v1, v2
	ds_swizzle_b32 v2, v1 offset:swizzle(BROADCAST,32,15)
	s_wait_dscnt 0x0
	v_dual_mov_b32 v2, 0 :: v_dual_add_nc_u32 v1, v1, v2
	ds_bpermute_b32 v1, v2, v1 offset:124
	v_mbcnt_lo_u32_b32 v2, -1, 0
	s_delay_alu instid0(VALU_DEP_1)
	v_cmpx_eq_u32_e32 0, v2
	s_cbranch_execz .LBB590_7
; %bb.6:
	v_lshrrev_b32_e32 v3, 3, v0
	s_delay_alu instid0(VALU_DEP_1)
	v_and_b32_e32 v3, 28, v3
	s_wait_dscnt 0x0
	ds_store_b32 v3, v1
.LBB590_7:
	s_or_b32 exec_lo, exec_lo, s2
	s_delay_alu instid0(SALU_CYCLE_1)
	s_mov_b32 s2, exec_lo
	s_wait_dscnt 0x0
	s_barrier_signal -1
	s_barrier_wait -1
	global_inv scope:SCOPE_SE
	v_cmpx_gt_u32_e32 32, v0
	s_cbranch_execz .LBB590_9
; %bb.8:
	v_and_b32_e32 v1, 7, v2
	s_delay_alu instid0(VALU_DEP_1)
	v_lshlrev_b32_e32 v3, 2, v1
	v_cmp_ne_u32_e32 vcc_lo, 7, v1
	ds_load_b32 v3, v3
	s_wait_alu 0xfffd
	v_add_co_ci_u32_e64 v4, null, 0, v2, vcc_lo
	v_cmp_gt_u32_e32 vcc_lo, 6, v1
	s_delay_alu instid0(VALU_DEP_2) | instskip(SKIP_2) | instid1(VALU_DEP_1)
	v_lshlrev_b32_e32 v4, 2, v4
	s_wait_alu 0xfffd
	v_cndmask_b32_e64 v1, 0, 2, vcc_lo
	v_add_lshl_u32 v1, v1, v2, 2
	v_lshlrev_b32_e32 v2, 2, v2
	s_delay_alu instid0(VALU_DEP_1)
	v_or_b32_e32 v2, 16, v2
	s_wait_dscnt 0x0
	ds_bpermute_b32 v4, v4, v3
	s_wait_dscnt 0x0
	v_add_nc_u32_e32 v3, v4, v3
	ds_bpermute_b32 v1, v1, v3
	s_wait_dscnt 0x0
	v_add_nc_u32_e32 v1, v1, v3
	;; [unrolled: 3-line block ×3, first 2 shown]
.LBB590_9:
	s_wait_alu 0xfffe
	s_or_b32 exec_lo, exec_lo, s2
	s_clause 0x1
	s_load_b128 s[72:75], s[0:1], 0x18
	s_load_b64 s[76:77], s[0:1], 0x8
	v_readlane_b32 s8, v130, 0
	s_mov_b32 s6, 0
	v_readlane_b32 s9, v130, 1
.LBB590_10:
	v_cmp_eq_u32_e64 s2, 0, v0
	s_wait_alu 0xfffe
	s_and_b32 vcc_lo, exec_lo, s6
	s_wait_alu 0xfffe
	s_cbranch_vccnz .LBB590_24
.LBB590_11:
	s_branch .LBB590_512
.LBB590_12:
	s_mov_b32 s2, 0
                                        ; implicit-def: $vgpr1
	s_cbranch_execz .LBB590_623
	s_branch .LBB590_513
.LBB590_13:
	s_mov_b32 s2, 0
                                        ; implicit-def: $vgpr1
	s_cbranch_execz .LBB590_512
; %bb.14:
	s_cmp_gt_i32 s93, 31
	s_cbranch_scc0 .LBB590_31
; %bb.15:
	s_cmp_eq_u32 s93, 32
	s_cbranch_scc0 .LBB590_32
; %bb.16:
	s_mov_b32 s67, 0
	s_lshl_b32 s70, s66, 13
	s_mov_b32 s71, s67
	s_wait_kmcnt 0x0
	s_lshr_b64 s[2:3], s[72:73], 13
	s_lshl_b64 s[4:5], s[70:71], 3
	s_cmp_lg_u64 s[2:3], s[66:67]
	s_add_nc_u64 s[68:69], s[76:77], s[4:5]
	s_cbranch_scc0 .LBB590_296
; %bb.17:
	v_lshlrev_b32_e32 v63, 3, v0
	s_clause 0x1f
	global_load_b64 v[1:2], v63, s[68:69]
	global_load_b64 v[3:4], v63, s[68:69] offset:2048
	global_load_b64 v[5:6], v63, s[68:69] offset:4096
	global_load_b64 v[7:8], v63, s[68:69] offset:6144
	global_load_b64 v[9:10], v63, s[68:69] offset:8192
	global_load_b64 v[11:12], v63, s[68:69] offset:10240
	global_load_b64 v[13:14], v63, s[68:69] offset:12288
	global_load_b64 v[15:16], v63, s[68:69] offset:14336
	global_load_b64 v[17:18], v63, s[68:69] offset:16384
	global_load_b64 v[19:20], v63, s[68:69] offset:18432
	global_load_b64 v[21:22], v63, s[68:69] offset:20480
	global_load_b64 v[23:24], v63, s[68:69] offset:22528
	global_load_b64 v[25:26], v63, s[68:69] offset:24576
	global_load_b64 v[27:28], v63, s[68:69] offset:26624
	global_load_b64 v[29:30], v63, s[68:69] offset:28672
	global_load_b64 v[31:32], v63, s[68:69] offset:30720
	global_load_b64 v[33:34], v63, s[68:69] offset:32768
	global_load_b64 v[35:36], v63, s[68:69] offset:34816
	global_load_b64 v[37:38], v63, s[68:69] offset:36864
	global_load_b64 v[39:40], v63, s[68:69] offset:38912
	global_load_b64 v[41:42], v63, s[68:69] offset:40960
	global_load_b64 v[43:44], v63, s[68:69] offset:43008
	global_load_b64 v[45:46], v63, s[68:69] offset:45056
	global_load_b64 v[47:48], v63, s[68:69] offset:47104
	global_load_b64 v[49:50], v63, s[68:69] offset:49152
	global_load_b64 v[51:52], v63, s[68:69] offset:51200
	global_load_b64 v[53:54], v63, s[68:69] offset:53248
	global_load_b64 v[55:56], v63, s[68:69] offset:55296
	global_load_b64 v[57:58], v63, s[68:69] offset:57344
	global_load_b64 v[59:60], v63, s[68:69] offset:59392
	global_load_b64 v[61:62], v63, s[68:69] offset:61440
	global_load_b64 v[63:64], v63, s[68:69] offset:63488
	s_wait_loadcnt 0x1f
	v_cmp_neq_f32_e32 vcc_lo, 0, v1
	v_cmp_neq_f32_e64 s2, 0, v2
	s_wait_loadcnt 0x1e
	v_cmp_neq_f32_e64 s3, 0, v3
	v_cmp_neq_f32_e64 s4, 0, v4
	s_wait_loadcnt 0x1d
	v_cmp_neq_f32_e64 s5, 0, v5
	v_cmp_neq_f32_e64 s6, 0, v6
	s_or_b32 s2, vcc_lo, s2
	s_wait_loadcnt 0x1c
	v_cmp_neq_f32_e64 s7, 0, v7
	v_cndmask_b32_e64 v1, 0, 1, s2
	v_cmp_neq_f32_e64 s8, 0, v8
	s_wait_loadcnt 0x1b
	v_cmp_neq_f32_e64 s9, 0, v9
	v_cmp_neq_f32_e64 s10, 0, v10
	s_or_b32 s2, s5, s6
	s_or_b32 vcc_lo, s3, s4
	s_wait_alu 0xfffe
	v_cndmask_b32_e64 v2, 0, 1, s2
	v_add_co_ci_u32_e64 v1, null, 0, v1, vcc_lo
	s_wait_loadcnt 0x1a
	v_cmp_neq_f32_e64 s11, 0, v11
	v_cmp_neq_f32_e64 s12, 0, v12
	s_wait_loadcnt 0x19
	v_cmp_neq_f32_e64 s13, 0, v13
	v_cmp_neq_f32_e64 s14, 0, v14
	s_or_b32 s2, s9, s10
	s_or_b32 vcc_lo, s7, s8
	s_wait_alu 0xfffe
	v_cndmask_b32_e64 v3, 0, 1, s2
	v_add_co_ci_u32_e64 v1, null, v1, v2, vcc_lo
	s_wait_loadcnt 0x18
	v_cmp_neq_f32_e64 s15, 0, v15
	;; [unrolled: 11-line block ×14, first 2 shown]
	v_cmp_neq_f32_e64 s65, 0, v64
	s_or_b32 s2, s62, s63
	s_or_b32 vcc_lo, s60, s61
	s_wait_alu 0xfffe
	v_cndmask_b32_e64 v2, 0, 1, s2
	v_add_co_ci_u32_e64 v1, null, v1, v3, vcc_lo
	s_or_b32 vcc_lo, s64, s65
	s_mov_b32 s2, exec_lo
	s_wait_alu 0xfffe
	v_add_co_ci_u32_e64 v1, null, v1, v2, vcc_lo
	s_delay_alu instid0(VALU_DEP_1) | instskip(NEXT) | instid1(VALU_DEP_1)
	v_mov_b32_dpp v2, v1 quad_perm:[1,0,3,2] row_mask:0xf bank_mask:0xf
	v_add_nc_u32_e32 v1, v1, v2
	s_delay_alu instid0(VALU_DEP_1) | instskip(NEXT) | instid1(VALU_DEP_1)
	v_mov_b32_dpp v2, v1 quad_perm:[2,3,0,1] row_mask:0xf bank_mask:0xf
	v_add_nc_u32_e32 v1, v1, v2
	s_delay_alu instid0(VALU_DEP_1) | instskip(NEXT) | instid1(VALU_DEP_1)
	v_mov_b32_dpp v2, v1 row_ror:4 row_mask:0xf bank_mask:0xf
	v_add_nc_u32_e32 v1, v1, v2
	s_delay_alu instid0(VALU_DEP_1) | instskip(NEXT) | instid1(VALU_DEP_1)
	v_mov_b32_dpp v2, v1 row_ror:8 row_mask:0xf bank_mask:0xf
	v_add_nc_u32_e32 v1, v1, v2
	ds_swizzle_b32 v2, v1 offset:swizzle(BROADCAST,32,15)
	s_wait_dscnt 0x0
	v_dual_mov_b32 v2, 0 :: v_dual_add_nc_u32 v1, v1, v2
	ds_bpermute_b32 v1, v2, v1 offset:124
	v_mbcnt_lo_u32_b32 v2, -1, 0
	s_delay_alu instid0(VALU_DEP_1)
	v_cmpx_eq_u32_e32 0, v2
	s_cbranch_execz .LBB590_19
; %bb.18:
	v_lshrrev_b32_e32 v3, 3, v0
	s_delay_alu instid0(VALU_DEP_1)
	v_and_b32_e32 v3, 28, v3
	s_wait_dscnt 0x0
	ds_store_b32 v3, v1 offset:128
.LBB590_19:
	s_or_b32 exec_lo, exec_lo, s2
	s_delay_alu instid0(SALU_CYCLE_1)
	s_mov_b32 s2, exec_lo
	s_wait_dscnt 0x0
	s_barrier_signal -1
	s_barrier_wait -1
	global_inv scope:SCOPE_SE
	v_cmpx_gt_u32_e32 32, v0
	s_cbranch_execz .LBB590_21
; %bb.20:
	v_and_b32_e32 v1, 7, v2
	s_delay_alu instid0(VALU_DEP_1)
	v_lshlrev_b32_e32 v3, 2, v1
	v_cmp_ne_u32_e32 vcc_lo, 7, v1
	ds_load_b32 v3, v3 offset:128
	s_wait_alu 0xfffd
	v_add_co_ci_u32_e64 v4, null, 0, v2, vcc_lo
	v_cmp_gt_u32_e32 vcc_lo, 6, v1
	s_delay_alu instid0(VALU_DEP_2) | instskip(SKIP_2) | instid1(VALU_DEP_1)
	v_lshlrev_b32_e32 v4, 2, v4
	s_wait_alu 0xfffd
	v_cndmask_b32_e64 v1, 0, 2, vcc_lo
	v_add_lshl_u32 v1, v1, v2, 2
	v_lshlrev_b32_e32 v2, 2, v2
	s_delay_alu instid0(VALU_DEP_1)
	v_or_b32_e32 v2, 16, v2
	s_wait_dscnt 0x0
	ds_bpermute_b32 v4, v4, v3
	s_wait_dscnt 0x0
	v_add_nc_u32_e32 v3, v4, v3
	ds_bpermute_b32 v1, v1, v3
	s_wait_dscnt 0x0
	v_add_nc_u32_e32 v1, v1, v3
	ds_bpermute_b32 v2, v2, v1
	s_wait_dscnt 0x0
	v_add_nc_u32_e32 v1, v2, v1
.LBB590_21:
	s_wait_alu 0xfffe
	s_or_b32 exec_lo, exec_lo, s2
	s_mov_b32 s2, 0
	s_branch .LBB590_297
.LBB590_22:
	s_mov_b32 s6, -1
.LBB590_23:
	s_mov_b32 s2, 0
                                        ; implicit-def: $vgpr1
	s_and_b32 vcc_lo, exec_lo, s6
	s_cbranch_vccz .LBB590_11
.LBB590_24:
	s_cmp_eq_u32 s93, 64
	s_cbranch_scc0 .LBB590_33
; %bb.25:
	s_mov_b32 s67, 0
	s_lshl_b32 s26, s66, 14
	s_mov_b32 s27, s67
	s_wait_kmcnt 0x0
	s_lshr_b64 s[2:3], s[72:73], 14
	s_wait_alu 0xfffe
	s_lshl_b64 s[4:5], s[26:27], 3
	s_cmp_lg_u64 s[2:3], s[66:67]
	s_wait_alu 0xfffe
	s_add_nc_u64 s[102:103], s[76:77], s[4:5]
	s_cbranch_scc0 .LBB590_376
; %bb.26:
	v_lshlrev_b32_e32 v1, 3, v0
	s_clause 0x8
	global_load_b64 v[2:3], v1, s[102:103]
	global_load_b64 v[4:5], v1, s[102:103] offset:2048
	global_load_b64 v[6:7], v1, s[102:103] offset:4096
	;; [unrolled: 1-line block ×8, first 2 shown]
	s_wait_loadcnt 0x8
	v_cmp_neq_f32_e64 s15, 0, v2
	v_cmp_neq_f32_e64 s16, 0, v3
	global_load_b64 v[2:3], v1, s[102:103] offset:18432
	s_wait_loadcnt 0x8
	v_cmp_neq_f32_e64 s7, 0, v4
	v_cmp_neq_f32_e64 s8, 0, v5
	global_load_b64 v[4:5], v1, s[102:103] offset:20480
	;; [unrolled: 4-line block ×8, first 2 shown]
	v_cmp_neq_f32_e32 vcc_lo, 0, v8
	v_cmp_neq_f32_e64 s2, 0, v9
	global_load_b64 v[8:9], v1, s[102:103] offset:24576
	s_or_b32 s16, s15, s16
	s_or_b32 s7, s7, s8
	v_cndmask_b32_e64 v20, 0, 1, s16
	s_or_b32 vcc_hi, s11, s12
	s_or_b32 s104, s17, s18
	s_or_b32 s82, s28, s30
	s_wait_alu 0xfffe
	s_or_b32 vcc_lo, vcc_lo, s2
	v_add_co_ci_u32_e64 v20, null, 0, v20, s7
	s_or_b32 s79, s22, s24
	s_or_b32 s3, s3, s4
	;; [unrolled: 1-line block ×3, first 2 shown]
	s_wait_loadcnt 0x8
	v_cmp_neq_f32_e64 s9, 0, v2
	v_cmp_neq_f32_e64 s10, 0, v3
	global_load_b64 v[2:3], v1, s[102:103] offset:36864
	s_wait_loadcnt 0x8
	v_cmp_neq_f32_e64 s46, 0, v4
	v_cmp_neq_f32_e64 s47, 0, v5
	global_load_b64 v[4:5], v1, s[102:103] offset:38912
	;; [unrolled: 4-line block ×5, first 2 shown]
	s_wait_loadcnt 0x8
	v_cmp_neq_f32_e64 s21, 0, v14
	s_or_b32 s87, s46, s47
	s_or_b32 s9, s9, s10
	;; [unrolled: 1-line block ×3, first 2 shown]
	s_wait_alu 0xfffe
	v_cndmask_b32_e64 v21, 0, 1, s87
	v_writelane_b32 v130, s21, 0
	v_cmp_neq_f32_e64 s21, 0, v15
	s_wait_loadcnt 0x6
	v_cmp_neq_f32_e64 s23, 0, v18
	global_load_b64 v[14:15], v1, s[102:103] offset:49152
	s_wait_loadcnt 0x6
	v_cmp_neq_f32_e64 s60, 0, v8
	v_cmp_neq_f32_e64 s61, 0, v9
	s_wait_alu 0xf1ff
	v_writelane_b32 v130, s21, 2
	v_cmp_neq_f32_e64 s21, 0, v16
	global_load_b64 v[8:9], v1, s[102:103] offset:43008
	s_or_b32 s13, s13, s14
	s_or_b32 s89, s60, s61
	;; [unrolled: 1-line block ×3, first 2 shown]
	v_writelane_b32 v130, s21, 3
	v_cmp_neq_f32_e64 s21, 0, v17
	global_load_b64 v[16:17], v1, s[102:103] offset:51200
	s_wait_alu 0xfffe
	v_cndmask_b32_e64 v22, 0, 1, s89
	v_writelane_b32 v130, s23, 4
	v_cmp_neq_f32_e64 s23, 0, v19
	global_load_b64 v[18:19], v1, s[102:103] offset:53248
	s_wait_alu 0xf1ff
	v_writelane_b32 v130, s23, 5
	s_wait_loadcnt 0x8
	v_cmp_neq_f32_e64 s34, 0, v2
	v_cmp_neq_f32_e64 s35, 0, v3
	global_load_b64 v[2:3], v1, s[102:103] offset:55296
	s_wait_loadcnt 0x8
	v_cmp_neq_f32_e64 s23, 0, v4
	v_cmp_neq_f32_e64 s33, 0, v5
	global_load_b64 v[4:5], v1, s[102:103] offset:57344
	;; [unrolled: 4-line block ×5, first 2 shown]
	s_wait_alu 0xf1ff
	v_writelane_b32 v130, s23, 6
	s_wait_loadcnt 0x8
	v_cmp_neq_f32_e64 s49, 0, v14
	v_cmp_neq_f32_e64 s51, 0, v15
	global_load_b64 v[14:15], v1, s[102:103] offset:67584
	s_wait_loadcnt 0x8
	v_cmp_neq_f32_e64 s36, 0, v8
	v_cmp_neq_f32_e64 s37, 0, v9
	global_load_b64 v[8:9], v1, s[102:103] offset:61440
	;; [unrolled: 4-line block ×25, first 2 shown]
	s_wait_loadcnt 0x8
	v_cmp_neq_f32_e64 s15, 0, v10
	v_cmp_neq_f32_e64 s16, 0, v11
	s_wait_loadcnt 0x7
	v_cmp_neq_f32_e64 s8, 0, v12
	v_cmp_neq_f32_e64 s11, 0, v13
	s_or_b32 s8, s8, s11
	s_wait_loadcnt 0x6
	v_cmp_neq_f32_e64 s12, 0, v14
	v_cmp_neq_f32_e64 s17, 0, v15
	s_wait_loadcnt 0x5
	v_cmp_neq_f32_e64 s98, 0, v8
	v_cmp_neq_f32_e64 s99, 0, v9
	s_clause 0x3
	global_load_b64 v[8:9], v1, s[102:103] offset:116736
	global_load_b64 v[10:11], v1, s[102:103] offset:118784
	global_load_b64 v[12:13], v1, s[102:103] offset:120832
	global_load_b64 v[14:15], v1, s[102:103] offset:122880
	s_wait_loadcnt 0x8
	v_cmp_neq_f32_e64 s18, 0, v16
	v_cndmask_b32_e64 v16, 0, 1, vcc_hi
	v_cmp_neq_f32_e64 s22, 0, v17
	v_cndmask_b32_e64 v17, 0, 1, s104
	s_wait_loadcnt 0x7
	v_cmp_neq_f32_e64 s24, 0, v18
	v_cndmask_b32_e64 v18, 0, 1, s79
	v_cmp_neq_f32_e64 s28, 0, v19
	v_cndmask_b32_e64 v19, 0, 1, s82
	v_readlane_b32 s79, v130, 3
	s_or_b32 s21, s79, s21
	v_readlane_b32 s79, v130, 2
	s_wait_loadcnt 0x6
	v_cmp_neq_f32_e64 s30, 0, v2
	v_cmp_neq_f32_e64 s46, 0, v3
	global_load_b64 v[2:3], v1, s[102:103] offset:124928
	s_wait_loadcnt 0x6
	v_cmp_neq_f32_e64 s47, 0, v4
	v_cmp_neq_f32_e64 s60, 0, v5
	s_wait_loadcnt 0x5
	v_cmp_neq_f32_e64 s61, 0, v6
	v_cmp_neq_f32_e64 s78, 0, v7
	s_clause 0x1
	global_load_b64 v[4:5], v1, s[102:103] offset:126976
	global_load_b64 v[6:7], v1, s[102:103] offset:129024
	v_add_co_ci_u32_e64 v1, null, v20, v16, vcc_lo
	s_delay_alu instid0(VALU_DEP_1) | instskip(NEXT) | instid1(VALU_DEP_1)
	v_add_co_ci_u32_e64 v1, null, v1, v17, s3
	v_add_co_ci_u32_e64 v1, null, v1, v18, s5
	s_delay_alu instid0(VALU_DEP_1)
	v_add_co_ci_u32_e64 v1, null, v1, v19, s9
	s_wait_loadcnt 0x6
	v_cmp_neq_f32_e64 s7, 0, v8
	v_cndmask_b32_e64 v8, 0, 1, s80
	v_cmp_neq_f32_e64 s2, 0, v9
	v_add_co_ci_u32_e64 v1, null, v1, v21, s13
	s_wait_loadcnt 0x5
	v_cmp_neq_f32_e32 vcc_lo, 0, v10
	v_cmp_neq_f32_e64 s80, 0, v11
	s_wait_loadcnt 0x4
	v_cmp_neq_f32_e64 s4, 0, v12
	v_add_co_ci_u32_e64 v1, null, v1, v22, s19
	v_cmp_neq_f32_e64 s3, 0, v13
	s_wait_loadcnt 0x3
	v_cmp_neq_f32_e64 s6, 0, v14
	v_cmp_neq_f32_e64 s5, 0, v15
	s_wait_loadcnt 0x2
	v_cmp_neq_f32_e64 s10, 0, v2
	s_wait_alu 0xfffe
	v_cndmask_b32_e64 v2, 0, 1, s21
	v_readlane_b32 s21, v130, 0
	v_cmp_neq_f32_e64 s9, 0, v3
	s_wait_loadcnt 0x1
	v_cmp_neq_f32_e64 s14, 0, v4
	v_cmp_neq_f32_e64 s13, 0, v5
	s_or_b32 s21, s21, s79
	s_wait_loadcnt 0x0
	v_cmp_neq_f32_e64 s20, 0, v6
	s_wait_alu 0xfffe
	v_add_co_ci_u32_e64 v1, null, v1, v8, s21
	s_or_b32 s21, s34, s35
	v_readlane_b32 s34, v130, 5
	s_wait_alu 0xfffe
	v_cndmask_b32_e64 v3, 0, 1, s21
	v_readlane_b32 s21, v130, 4
	v_cmp_neq_f32_e64 s19, 0, v7
	s_or_b32 s21, s21, s34
	s_wait_alu 0xfffe
	v_add_co_ci_u32_e64 v1, null, v1, v2, s21
	s_or_b32 s21, s39, s41
	s_wait_alu 0xfffe
	v_cndmask_b32_e64 v2, 0, 1, s21
	v_readlane_b32 s21, v130, 6
	s_or_b32 s21, s21, s33
	s_wait_alu 0xfffe
	v_add_co_ci_u32_e64 v1, null, v1, v3, s21
	s_or_b32 s21, s43, s45
	s_wait_alu 0xfffe
	v_cndmask_b32_e64 v3, 0, 1, s21
	s_or_b32 s21, s36, s37
	s_wait_alu 0xfffe
	v_add_co_ci_u32_e64 v1, null, v1, v2, s21
	s_or_b32 s21, s49, s51
	s_wait_alu 0xfffe
	v_cndmask_b32_e64 v2, 0, 1, s21
	s_or_b32 s21, s38, s40
	s_wait_alu 0xfffe
	v_add_co_ci_u32_e64 v1, null, v1, v3, s21
	s_or_b32 s21, s53, s55
	s_wait_alu 0xfffe
	v_cndmask_b32_e64 v3, 0, 1, s21
	s_or_b32 s21, s42, s44
	s_wait_alu 0xfffe
	v_add_co_ci_u32_e64 v1, null, v1, v2, s21
	s_or_b32 s21, s57, s59
	s_wait_alu 0xfffe
	v_cndmask_b32_e64 v2, 0, 1, s21
	s_or_b32 s21, s48, s50
	s_wait_alu 0xfffe
	v_add_co_ci_u32_e64 v1, null, v1, v3, s21
	s_or_b32 s21, s63, s65
	s_wait_alu 0xfffe
	v_cndmask_b32_e64 v3, 0, 1, s21
	s_or_b32 s21, s52, s54
	s_wait_alu 0xfffe
	v_add_co_ci_u32_e64 v1, null, v1, v2, s21
	s_or_b32 s21, s101, s69
	s_wait_alu 0xfffe
	v_cndmask_b32_e64 v2, 0, 1, s21
	s_or_b32 s21, s56, s58
	s_wait_alu 0xfffe
	v_add_co_ci_u32_e64 v1, null, v1, v3, s21
	s_or_b32 s21, s71, s73
	s_wait_alu 0xfffe
	v_cndmask_b32_e64 v3, 0, 1, s21
	s_or_b32 s21, s62, s64
	s_wait_alu 0xfffe
	v_add_co_ci_u32_e64 v1, null, v1, v2, s21
	s_or_b32 s21, s75, s77
	s_wait_alu 0xfffe
	v_cndmask_b32_e64 v2, 0, 1, s21
	s_or_b32 s21, s100, s68
	s_wait_alu 0xfffe
	v_add_co_ci_u32_e64 v1, null, v1, v3, s21
	s_or_b32 s21, s81, s83
	s_wait_alu 0xfffe
	v_cndmask_b32_e64 v3, 0, 1, s21
	s_or_b32 s21, s70, s72
	s_wait_alu 0xfffe
	v_add_co_ci_u32_e64 v1, null, v1, v2, s21
	s_or_b32 s21, s84, s85
	s_wait_alu 0xfffe
	v_cndmask_b32_e64 v2, 0, 1, s21
	s_or_b32 s21, s74, s76
	s_wait_alu 0xfffe
	v_add_co_ci_u32_e64 v1, null, v1, v3, s21
	s_or_b32 s21, s86, s27
	s_wait_alu 0xfffe
	v_cndmask_b32_e64 v3, 0, 1, s21
	s_or_b32 s21, s31, s29
	s_wait_alu 0xfffe
	v_add_co_ci_u32_e64 v1, null, v1, v2, s21
	s_or_b32 s21, s90, s91
	s_wait_alu 0xfffe
	v_cndmask_b32_e64 v2, 0, 1, s21
	s_or_b32 s21, s88, s25
	s_wait_alu 0xfffe
	v_add_co_ci_u32_e64 v1, null, v1, v3, s21
	s_or_b32 s21, s94, s95
	s_wait_alu 0xfffe
	v_cndmask_b32_e64 v3, 0, 1, s21
	s_or_b32 s21, s92, s23
	s_wait_alu 0xfffe
	v_add_co_ci_u32_e64 v1, null, v1, v2, s21
	s_or_b32 s21, s98, s99
	s_wait_alu 0xfffe
	v_cndmask_b32_e64 v2, 0, 1, s21
	s_or_b32 s21, s96, s97
	s_wait_alu 0xfffe
	v_add_co_ci_u32_e64 v1, null, v1, v3, s21
	v_cndmask_b32_e64 v3, 0, 1, s8
	s_or_b32 s8, s15, s16
	s_wait_alu 0xfffe
	s_delay_alu instid0(VALU_DEP_2)
	v_add_co_ci_u32_e64 v1, null, v1, v2, s8
	s_or_b32 s8, s18, s22
	s_wait_alu 0xfffe
	v_cndmask_b32_e64 v2, 0, 1, s8
	s_or_b32 s8, s12, s17
	s_wait_alu 0xfffe
	v_add_co_ci_u32_e64 v1, null, v1, v3, s8
	s_or_b32 s8, s30, s46
	s_wait_alu 0xfffe
	v_cndmask_b32_e64 v3, 0, 1, s8
	s_or_b32 s8, s24, s28
	s_wait_alu 0xfffe
	;; [unrolled: 6-line block ×3, first 2 shown]
	v_add_co_ci_u32_e64 v1, null, v1, v3, s8
	s_or_b32 s8, vcc_lo, s80
	s_or_b32 vcc_lo, s7, s2
	s_wait_alu 0xfffe
	v_cndmask_b32_e64 v3, 0, 1, s8
	v_add_co_ci_u32_e64 v1, null, v1, v2, vcc_lo
	s_or_b32 s2, s6, s5
	s_or_b32 vcc_lo, s4, s3
	s_wait_alu 0xfffe
	v_cndmask_b32_e64 v2, 0, 1, s2
	v_add_co_ci_u32_e64 v1, null, v1, v3, vcc_lo
	s_or_b32 s2, s14, s13
	s_or_b32 vcc_lo, s10, s9
	s_wait_alu 0xfffe
	v_cndmask_b32_e64 v3, 0, 1, s2
	v_add_co_ci_u32_e64 v1, null, v1, v2, vcc_lo
	s_or_b32 vcc_lo, s20, s19
	s_mov_b32 s2, exec_lo
	s_wait_alu 0xfffe
	v_add_co_ci_u32_e64 v1, null, v1, v3, vcc_lo
	s_delay_alu instid0(VALU_DEP_1) | instskip(NEXT) | instid1(VALU_DEP_1)
	v_mov_b32_dpp v2, v1 quad_perm:[1,0,3,2] row_mask:0xf bank_mask:0xf
	v_add_nc_u32_e32 v1, v1, v2
	s_delay_alu instid0(VALU_DEP_1) | instskip(NEXT) | instid1(VALU_DEP_1)
	v_mov_b32_dpp v2, v1 quad_perm:[2,3,0,1] row_mask:0xf bank_mask:0xf
	v_add_nc_u32_e32 v1, v1, v2
	s_delay_alu instid0(VALU_DEP_1) | instskip(NEXT) | instid1(VALU_DEP_1)
	v_mov_b32_dpp v2, v1 row_ror:4 row_mask:0xf bank_mask:0xf
	v_add_nc_u32_e32 v1, v1, v2
	s_delay_alu instid0(VALU_DEP_1) | instskip(NEXT) | instid1(VALU_DEP_1)
	v_mov_b32_dpp v2, v1 row_ror:8 row_mask:0xf bank_mask:0xf
	v_add_nc_u32_e32 v1, v1, v2
	ds_swizzle_b32 v2, v1 offset:swizzle(BROADCAST,32,15)
	s_wait_dscnt 0x0
	v_dual_mov_b32 v2, 0 :: v_dual_add_nc_u32 v1, v1, v2
	ds_bpermute_b32 v1, v2, v1 offset:124
	v_mbcnt_lo_u32_b32 v2, -1, 0
	s_delay_alu instid0(VALU_DEP_1)
	v_cmpx_eq_u32_e32 0, v2
	s_cbranch_execz .LBB590_28
; %bb.27:
	v_lshrrev_b32_e32 v3, 3, v0
	s_delay_alu instid0(VALU_DEP_1)
	v_and_b32_e32 v3, 28, v3
	s_wait_dscnt 0x0
	ds_store_b32 v3, v1 offset:192
.LBB590_28:
	s_or_b32 exec_lo, exec_lo, s2
	s_delay_alu instid0(SALU_CYCLE_1)
	s_mov_b32 s2, exec_lo
	s_wait_dscnt 0x0
	s_barrier_signal -1
	s_barrier_wait -1
	global_inv scope:SCOPE_SE
	v_cmpx_gt_u32_e32 32, v0
	s_cbranch_execz .LBB590_30
; %bb.29:
	v_and_b32_e32 v1, 7, v2
	s_delay_alu instid0(VALU_DEP_1)
	v_lshlrev_b32_e32 v3, 2, v1
	v_cmp_ne_u32_e32 vcc_lo, 7, v1
	ds_load_b32 v3, v3 offset:192
	s_wait_alu 0xfffd
	v_add_co_ci_u32_e64 v4, null, 0, v2, vcc_lo
	v_cmp_gt_u32_e32 vcc_lo, 6, v1
	s_delay_alu instid0(VALU_DEP_2) | instskip(SKIP_2) | instid1(VALU_DEP_1)
	v_lshlrev_b32_e32 v4, 2, v4
	s_wait_alu 0xfffd
	v_cndmask_b32_e64 v1, 0, 2, vcc_lo
	v_add_lshl_u32 v1, v1, v2, 2
	v_lshlrev_b32_e32 v2, 2, v2
	s_delay_alu instid0(VALU_DEP_1)
	v_or_b32_e32 v2, 16, v2
	s_wait_dscnt 0x0
	ds_bpermute_b32 v4, v4, v3
	s_wait_dscnt 0x0
	v_add_nc_u32_e32 v3, v4, v3
	ds_bpermute_b32 v1, v1, v3
	s_wait_dscnt 0x0
	v_add_nc_u32_e32 v1, v1, v3
	;; [unrolled: 3-line block ×3, first 2 shown]
.LBB590_30:
	s_wait_alu 0xfffe
	s_or_b32 exec_lo, exec_lo, s2
	s_clause 0x1
	s_load_b128 s[72:75], s[0:1], 0x18
	s_load_b64 s[76:77], s[0:1], 0x8
	s_mov_b32 s2, 0
	s_branch .LBB590_377
.LBB590_31:
                                        ; implicit-def: $vgpr1
	s_cbranch_execz .LBB590_512
	s_branch .LBB590_368
.LBB590_32:
                                        ; implicit-def: $vgpr1
	s_branch .LBB590_512
.LBB590_33:
                                        ; implicit-def: $vgpr1
	s_branch .LBB590_512
.LBB590_34:
                                        ; implicit-def: $vgpr1
	s_cbranch_execz .LBB590_10
; %bb.35:
	s_wait_kmcnt 0x0
	s_sub_co_i32 s3, s72, s8
	s_mov_b32 s4, exec_lo
                                        ; implicit-def: $vgpr1
	v_cmpx_gt_u32_e64 s3, v0
	s_cbranch_execz .LBB590_37
; %bb.36:
	v_lshlrev_b32_e32 v1, 3, v0
	global_load_b64 v[1:2], v1, s[16:17]
	s_wait_loadcnt 0x0
	v_cmp_neq_f32_e32 vcc_lo, 0, v1
	v_cmp_neq_f32_e64 s2, 0, v2
	s_or_b32 s2, vcc_lo, s2
	s_wait_alu 0xfffe
	v_cndmask_b32_e64 v1, 0, 1, s2
.LBB590_37:
	s_or_b32 exec_lo, exec_lo, s4
	v_or_b32_e32 v3, 0x100, v0
	v_mov_b32_e32 v2, 0
	s_delay_alu instid0(VALU_DEP_2)
	v_cmp_gt_u32_e32 vcc_lo, s3, v3
	v_mov_b32_e32 v3, 0
	s_and_saveexec_b32 s4, vcc_lo
	s_cbranch_execz .LBB590_39
; %bb.38:
	v_lshlrev_b32_e32 v3, 3, v0
	global_load_b64 v[3:4], v3, s[16:17] offset:2048
	s_wait_loadcnt 0x0
	v_cmp_neq_f32_e32 vcc_lo, 0, v3
	v_cmp_neq_f32_e64 s2, 0, v4
	s_or_b32 s2, vcc_lo, s2
	s_wait_alu 0xfffe
	v_cndmask_b32_e64 v3, 0, 1, s2
.LBB590_39:
	s_or_b32 exec_lo, exec_lo, s4
	v_or_b32_e32 v4, 0x200, v0
	s_mov_b32 s4, exec_lo
	s_delay_alu instid0(VALU_DEP_1)
	v_cmpx_gt_u32_e64 s3, v4
	s_cbranch_execz .LBB590_41
; %bb.40:
	v_lshlrev_b32_e32 v2, 3, v0
	global_load_b64 v[4:5], v2, s[16:17] offset:4096
	s_wait_loadcnt 0x0
	v_cmp_neq_f32_e32 vcc_lo, 0, v4
	v_cmp_neq_f32_e64 s2, 0, v5
	s_or_b32 s2, vcc_lo, s2
	s_wait_alu 0xfffe
	v_cndmask_b32_e64 v2, 0, 1, s2
.LBB590_41:
	s_or_b32 exec_lo, exec_lo, s4
	v_or_b32_e32 v5, 0x300, v0
	v_mov_b32_e32 v4, 0
	s_delay_alu instid0(VALU_DEP_2)
	v_cmp_gt_u32_e32 vcc_lo, s3, v5
	v_mov_b32_e32 v5, 0
	s_and_saveexec_b32 s4, vcc_lo
	s_cbranch_execz .LBB590_43
; %bb.42:
	v_lshlrev_b32_e32 v5, 3, v0
	global_load_b64 v[5:6], v5, s[16:17] offset:6144
	s_wait_loadcnt 0x0
	v_cmp_neq_f32_e32 vcc_lo, 0, v5
	v_cmp_neq_f32_e64 s2, 0, v6
	s_or_b32 s2, vcc_lo, s2
	s_wait_alu 0xfffe
	v_cndmask_b32_e64 v5, 0, 1, s2
.LBB590_43:
	s_or_b32 exec_lo, exec_lo, s4
	v_or_b32_e32 v6, 0x400, v0
	s_mov_b32 s4, exec_lo
	s_delay_alu instid0(VALU_DEP_1)
	v_cmpx_gt_u32_e64 s3, v6
	s_cbranch_execz .LBB590_45
; %bb.44:
	v_lshlrev_b32_e32 v4, 3, v0
	global_load_b64 v[6:7], v4, s[16:17] offset:8192
	s_wait_loadcnt 0x0
	v_cmp_neq_f32_e32 vcc_lo, 0, v6
	v_cmp_neq_f32_e64 s2, 0, v7
	s_or_b32 s2, vcc_lo, s2
	s_wait_alu 0xfffe
	v_cndmask_b32_e64 v4, 0, 1, s2
.LBB590_45:
	;; [unrolled: 34-line block ×63, first 2 shown]
	s_or_b32 exec_lo, exec_lo, s4
	v_or_b32_e32 v128, 0x7f00, v0
	s_delay_alu instid0(VALU_DEP_1)
	v_cmp_gt_u32_e32 vcc_lo, s3, v128
	v_mov_b32_e32 v128, 0
	s_and_saveexec_b32 s4, vcc_lo
	s_cbranch_execz .LBB590_291
; %bb.290:
	v_lshlrev_b32_e32 v128, 3, v0
	global_load_b64 v[128:129], v128, s[16:17] offset:260096
	s_wait_loadcnt 0x0
	v_cmp_neq_f32_e32 vcc_lo, 0, v128
	v_cmp_neq_f32_e64 s2, 0, v129
	s_or_b32 s2, vcc_lo, s2
	s_wait_alu 0xfffe
	v_cndmask_b32_e64 v128, 0, 1, s2
.LBB590_291:
	s_or_b32 exec_lo, exec_lo, s4
	v_add_nc_u32_e32 v1, v3, v1
	s_min_u32 s2, s3, 0x100
	s_mov_b32 s3, exec_lo
	s_delay_alu instid0(VALU_DEP_1) | instskip(SKIP_1) | instid1(VALU_DEP_2)
	v_add3_u32 v1, v1, v2, v5
	v_mbcnt_lo_u32_b32 v2, -1, 0
	v_add3_u32 v1, v1, v4, v7
	s_delay_alu instid0(VALU_DEP_2) | instskip(SKIP_1) | instid1(VALU_DEP_3)
	v_cmp_ne_u32_e32 vcc_lo, 31, v2
	v_add_nc_u32_e32 v5, 1, v2
	v_add3_u32 v1, v1, v6, v9
	v_add_co_ci_u32_e64 v3, null, 0, v2, vcc_lo
	v_cmp_gt_u32_e32 vcc_lo, 30, v2
	s_delay_alu instid0(VALU_DEP_3) | instskip(NEXT) | instid1(VALU_DEP_3)
	v_add3_u32 v1, v1, v8, v11
	v_lshlrev_b32_e32 v3, 2, v3
	s_wait_alu 0xfffd
	v_cndmask_b32_e64 v6, 0, 2, vcc_lo
	s_delay_alu instid0(VALU_DEP_3) | instskip(NEXT) | instid1(VALU_DEP_1)
	v_add3_u32 v1, v1, v10, v13
	v_add3_u32 v1, v1, v12, v15
	s_delay_alu instid0(VALU_DEP_1) | instskip(NEXT) | instid1(VALU_DEP_1)
	v_add3_u32 v1, v1, v14, v17
	v_add3_u32 v1, v1, v16, v19
	s_delay_alu instid0(VALU_DEP_1) | instskip(NEXT) | instid1(VALU_DEP_1)
	;; [unrolled: 3-line block ×28, first 2 shown]
	v_add3_u32 v1, v1, v122, v125
	v_add3_u32 v1, v1, v124, v127
	s_delay_alu instid0(VALU_DEP_1) | instskip(SKIP_3) | instid1(VALU_DEP_1)
	v_add3_u32 v1, v1, v126, v128
	ds_bpermute_b32 v3, v3, v1
	v_and_b32_e32 v4, 0xe0, v0
	s_wait_alu 0xfffe
	v_sub_nc_u32_e64 v4, s2, v4 clamp
	s_delay_alu instid0(VALU_DEP_1)
	v_cmp_lt_u32_e32 vcc_lo, v5, v4
	v_add_lshl_u32 v5, v6, v2, 2
	s_wait_dscnt 0x0
	s_wait_alu 0xfffd
	v_cndmask_b32_e32 v3, 0, v3, vcc_lo
	v_cmp_gt_u32_e32 vcc_lo, 28, v2
	s_delay_alu instid0(VALU_DEP_2) | instskip(SKIP_4) | instid1(VALU_DEP_1)
	v_add_nc_u32_e32 v1, v3, v1
	s_wait_alu 0xfffd
	v_cndmask_b32_e64 v6, 0, 4, vcc_lo
	ds_bpermute_b32 v3, v5, v1
	v_add_nc_u32_e32 v5, 2, v2
	v_cmp_lt_u32_e32 vcc_lo, v5, v4
	v_add_lshl_u32 v5, v6, v2, 2
	s_wait_dscnt 0x0
	s_wait_alu 0xfffd
	v_cndmask_b32_e32 v3, 0, v3, vcc_lo
	v_cmp_gt_u32_e32 vcc_lo, 24, v2
	s_delay_alu instid0(VALU_DEP_2) | instskip(SKIP_4) | instid1(VALU_DEP_1)
	v_add_nc_u32_e32 v1, v1, v3
	s_wait_alu 0xfffd
	v_cndmask_b32_e64 v6, 0, 8, vcc_lo
	ds_bpermute_b32 v3, v5, v1
	v_add_nc_u32_e32 v5, 4, v2
	v_cmp_lt_u32_e32 vcc_lo, v5, v4
	v_add_lshl_u32 v5, v6, v2, 2
	s_wait_dscnt 0x0
	s_wait_alu 0xfffd
	v_dual_cndmask_b32 v3, 0, v3 :: v_dual_add_nc_u32 v6, 8, v2
	s_delay_alu instid0(VALU_DEP_1) | instskip(NEXT) | instid1(VALU_DEP_2)
	v_cmp_lt_u32_e32 vcc_lo, v6, v4
	v_add_nc_u32_e32 v1, v1, v3
	v_lshlrev_b32_e32 v3, 2, v2
	ds_bpermute_b32 v5, v5, v1
	v_or_b32_e32 v6, 64, v3
	s_wait_dscnt 0x0
	s_wait_alu 0xfffd
	v_cndmask_b32_e32 v5, 0, v5, vcc_lo
	s_delay_alu instid0(VALU_DEP_1) | instskip(SKIP_2) | instid1(VALU_DEP_1)
	v_add_nc_u32_e32 v1, v1, v5
	ds_bpermute_b32 v5, v6, v1
	v_add_nc_u32_e32 v6, 16, v2
	v_cmp_lt_u32_e32 vcc_lo, v6, v4
	s_wait_dscnt 0x0
	s_wait_alu 0xfffd
	v_cndmask_b32_e32 v4, 0, v5, vcc_lo
	s_delay_alu instid0(VALU_DEP_1)
	v_add_nc_u32_e32 v1, v1, v4
	v_cmpx_eq_u32_e32 0, v2
; %bb.292:
	v_lshrrev_b32_e32 v4, 3, v0
	s_delay_alu instid0(VALU_DEP_1)
	v_and_b32_e32 v4, 28, v4
	ds_store_b32 v4, v1 offset:256
; %bb.293:
	s_or_b32 exec_lo, exec_lo, s3
	s_delay_alu instid0(SALU_CYCLE_1)
	s_mov_b32 s3, exec_lo
	s_wait_loadcnt_dscnt 0x0
	s_barrier_signal -1
	s_barrier_wait -1
	global_inv scope:SCOPE_SE
	v_cmpx_gt_u32_e32 8, v0
	s_cbranch_execz .LBB590_295
; %bb.294:
	ds_load_b32 v1, v3 offset:256
	v_and_b32_e32 v4, 7, v2
	s_add_co_i32 s2, s2, 31
	s_wait_alu 0xfffe
	s_lshr_b32 s2, s2, 5
	s_delay_alu instid0(VALU_DEP_1) | instskip(SKIP_4) | instid1(VALU_DEP_2)
	v_cmp_ne_u32_e32 vcc_lo, 7, v4
	v_add_nc_u32_e32 v6, 1, v4
	s_wait_alu 0xfffd
	v_add_co_ci_u32_e64 v5, null, 0, v2, vcc_lo
	v_cmp_gt_u32_e32 vcc_lo, 6, v4
	v_lshlrev_b32_e32 v5, 2, v5
	s_wait_alu 0xfffd
	v_cndmask_b32_e64 v7, 0, 2, vcc_lo
	s_wait_alu 0xfffe
	v_cmp_gt_u32_e32 vcc_lo, s2, v6
	s_wait_dscnt 0x0
	ds_bpermute_b32 v5, v5, v1
	v_add_lshl_u32 v2, v7, v2, 2
	s_wait_dscnt 0x0
	s_wait_alu 0xfffd
	v_cndmask_b32_e32 v5, 0, v5, vcc_lo
	s_delay_alu instid0(VALU_DEP_1)
	v_add_nc_u32_e32 v1, v5, v1
	v_add_nc_u32_e32 v5, 2, v4
	ds_bpermute_b32 v2, v2, v1
	v_cmp_gt_u32_e32 vcc_lo, s2, v5
	s_wait_dscnt 0x0
	s_wait_alu 0xfffd
	v_cndmask_b32_e32 v2, 0, v2, vcc_lo
	s_delay_alu instid0(VALU_DEP_1)
	v_add_nc_u32_e32 v1, v1, v2
	v_or_b32_e32 v2, 16, v3
	v_add_nc_u32_e32 v3, 4, v4
	ds_bpermute_b32 v2, v2, v1
	v_cmp_gt_u32_e32 vcc_lo, s2, v3
	s_wait_dscnt 0x0
	s_wait_alu 0xfffd
	v_cndmask_b32_e32 v2, 0, v2, vcc_lo
	s_delay_alu instid0(VALU_DEP_1)
	v_add_nc_u32_e32 v1, v1, v2
.LBB590_295:
	s_wait_alu 0xfffe
	s_or_b32 exec_lo, exec_lo, s3
	v_cmp_eq_u32_e64 s2, 0, v0
	s_and_b32 vcc_lo, exec_lo, s6
	s_wait_alu 0xfffe
	s_cbranch_vccnz .LBB590_24
	s_branch .LBB590_11
.LBB590_296:
	s_mov_b32 s2, -1
                                        ; implicit-def: $vgpr1
.LBB590_297:
	s_wait_alu 0xfffe
	s_and_b32 vcc_lo, exec_lo, s2
	s_wait_alu 0xfffe
	s_cbranch_vccz .LBB590_367
; %bb.298:
	v_mov_b32_e32 v1, 0
	s_sub_co_i32 s35, s72, s70
	s_delay_alu instid0(SALU_CYCLE_1) | instskip(NEXT) | instid1(VALU_DEP_2)
	v_cmp_gt_u32_e32 vcc_lo, s35, v0
	v_dual_mov_b32 v2, v1 :: v_dual_mov_b32 v3, v1
	v_dual_mov_b32 v4, v1 :: v_dual_mov_b32 v5, v1
	;; [unrolled: 1-line block ×15, first 2 shown]
	v_mov_b32_e32 v32, v1
	s_and_saveexec_b32 s3, vcc_lo
	s_cbranch_execz .LBB590_300
; %bb.299:
	v_dual_mov_b32 v3, v1 :: v_dual_lshlrev_b32 v2, 3, v0
	v_dual_mov_b32 v32, v1 :: v_dual_mov_b32 v33, v1
	v_dual_mov_b32 v4, v1 :: v_dual_mov_b32 v5, v1
	global_load_b64 v[29:30], v2, s[68:69]
	v_dual_mov_b32 v6, v1 :: v_dual_mov_b32 v7, v1
	v_dual_mov_b32 v8, v1 :: v_dual_mov_b32 v9, v1
	;; [unrolled: 1-line block ×12, first 2 shown]
	s_wait_loadcnt 0x0
	v_cmp_neq_f32_e32 vcc_lo, 0, v29
	v_cmp_neq_f32_e64 s2, 0, v30
	v_dual_mov_b32 v29, v1 :: v_dual_mov_b32 v30, v1
	s_or_b32 s2, vcc_lo, s2
	s_wait_alu 0xfffe
	v_cndmask_b32_e64 v2, 0, 1, s2
	s_delay_alu instid0(VALU_DEP_1)
	v_mov_b32_e32 v1, v2
	v_mov_b32_e32 v2, v3
	;; [unrolled: 1-line block ×32, first 2 shown]
.LBB590_300:
	s_wait_alu 0xfffe
	s_or_b32 exec_lo, exec_lo, s3
	v_or_b32_e32 v33, 0x100, v0
	s_delay_alu instid0(VALU_DEP_1)
	v_cmp_gt_u32_e32 vcc_lo, s35, v33
	s_and_saveexec_b32 s4, vcc_lo
	s_cbranch_execz .LBB590_302
; %bb.301:
	v_lshlrev_b32_e32 v2, 3, v0
	global_load_b64 v[33:34], v2, s[68:69] offset:2048
	s_wait_loadcnt 0x0
	v_cmp_neq_f32_e64 s2, 0, v33
	v_cmp_neq_f32_e64 s3, 0, v34
	s_or_b32 s2, s2, s3
	s_wait_alu 0xfffe
	v_cndmask_b32_e64 v2, 0, 1, s2
.LBB590_302:
	s_or_b32 exec_lo, exec_lo, s4
	v_or_b32_e32 v33, 0x200, v0
	s_delay_alu instid0(VALU_DEP_1)
	v_cmp_gt_u32_e64 s2, s35, v33
	s_and_saveexec_b32 s5, s2
	s_cbranch_execz .LBB590_304
; %bb.303:
	v_lshlrev_b32_e32 v3, 3, v0
	global_load_b64 v[33:34], v3, s[68:69] offset:4096
	s_wait_loadcnt 0x0
	v_cmp_neq_f32_e64 s3, 0, v33
	v_cmp_neq_f32_e64 s4, 0, v34
	s_or_b32 s3, s3, s4
	s_wait_alu 0xfffe
	v_cndmask_b32_e64 v3, 0, 1, s3
.LBB590_304:
	s_or_b32 exec_lo, exec_lo, s5
	v_or_b32_e32 v33, 0x300, v0
	s_delay_alu instid0(VALU_DEP_1)
	v_cmp_gt_u32_e64 s3, s35, v33
	s_and_saveexec_b32 s6, s3
	s_cbranch_execz .LBB590_306
; %bb.305:
	v_lshlrev_b32_e32 v4, 3, v0
	global_load_b64 v[33:34], v4, s[68:69] offset:6144
	s_wait_loadcnt 0x0
	v_cmp_neq_f32_e64 s4, 0, v33
	v_cmp_neq_f32_e64 s5, 0, v34
	s_or_b32 s4, s4, s5
	s_delay_alu instid0(SALU_CYCLE_1)
	v_cndmask_b32_e64 v4, 0, 1, s4
.LBB590_306:
	s_or_b32 exec_lo, exec_lo, s6
	v_or_b32_e32 v33, 0x400, v0
	s_delay_alu instid0(VALU_DEP_1)
	v_cmp_gt_u32_e64 s4, s35, v33
	s_and_saveexec_b32 s7, s4
	s_cbranch_execz .LBB590_308
; %bb.307:
	v_lshlrev_b32_e32 v5, 3, v0
	global_load_b64 v[33:34], v5, s[68:69] offset:8192
	s_wait_loadcnt 0x0
	v_cmp_neq_f32_e64 s5, 0, v33
	v_cmp_neq_f32_e64 s6, 0, v34
	s_or_b32 s5, s5, s6
	s_wait_alu 0xfffe
	v_cndmask_b32_e64 v5, 0, 1, s5
.LBB590_308:
	s_or_b32 exec_lo, exec_lo, s7
	v_or_b32_e32 v33, 0x500, v0
	s_delay_alu instid0(VALU_DEP_1)
	v_cmp_gt_u32_e64 s5, s35, v33
	s_and_saveexec_b32 s8, s5
	s_cbranch_execz .LBB590_310
; %bb.309:
	v_lshlrev_b32_e32 v6, 3, v0
	global_load_b64 v[33:34], v6, s[68:69] offset:10240
	s_wait_loadcnt 0x0
	v_cmp_neq_f32_e64 s6, 0, v33
	v_cmp_neq_f32_e64 s7, 0, v34
	s_or_b32 s6, s6, s7
	s_delay_alu instid0(SALU_CYCLE_1)
	v_cndmask_b32_e64 v6, 0, 1, s6
.LBB590_310:
	;; [unrolled: 32-line block ×14, first 2 shown]
	s_or_b32 exec_lo, exec_lo, s33
	v_or_b32_e32 v33, 0x1e00, v0
	s_delay_alu instid0(VALU_DEP_1)
	v_cmp_gt_u32_e64 s30, s35, v33
	s_and_saveexec_b32 s34, s30
	s_cbranch_execz .LBB590_360
; %bb.359:
	v_lshlrev_b32_e32 v31, 3, v0
	global_load_b64 v[33:34], v31, s[68:69] offset:61440
	s_wait_loadcnt 0x0
	v_cmp_neq_f32_e64 s31, 0, v33
	v_cmp_neq_f32_e64 s33, 0, v34
	s_or_b32 s31, s31, s33
	s_wait_alu 0xfffe
	v_cndmask_b32_e64 v31, 0, 1, s31
.LBB590_360:
	s_wait_alu 0xfffe
	s_or_b32 exec_lo, exec_lo, s34
	v_or_b32_e32 v33, 0x1f00, v0
	s_delay_alu instid0(VALU_DEP_1)
	v_cmp_gt_u32_e64 s31, s35, v33
	s_and_saveexec_b32 s36, s31
	s_cbranch_execz .LBB590_362
; %bb.361:
	v_lshlrev_b32_e32 v32, 3, v0
	global_load_b64 v[32:33], v32, s[68:69] offset:63488
	s_wait_loadcnt 0x0
	v_cmp_neq_f32_e64 s33, 0, v32
	v_cmp_neq_f32_e64 s34, 0, v33
	s_or_b32 s33, s33, s34
	s_delay_alu instid0(SALU_CYCLE_1)
	v_cndmask_b32_e64 v32, 0, 1, s33
.LBB590_362:
	s_or_b32 exec_lo, exec_lo, s36
	v_cndmask_b32_e32 v2, 0, v2, vcc_lo
	v_cndmask_b32_e64 v3, 0, v3, s2
	v_cndmask_b32_e64 v4, 0, v4, s3
	s_min_u32 s2, s35, 0x100
	s_mov_b32 s3, exec_lo
	v_add_nc_u32_e32 v1, v2, v1
	v_cndmask_b32_e64 v2, 0, v5, s4
	v_cndmask_b32_e64 v5, 0, v6, s5
	v_cndmask_b32_e64 v6, 0, v30, s29
	s_delay_alu instid0(VALU_DEP_4) | instskip(SKIP_3) | instid1(VALU_DEP_4)
	v_add3_u32 v1, v1, v3, v4
	v_cndmask_b32_e64 v3, 0, v7, s6
	v_cndmask_b32_e64 v4, 0, v8, s7
	;; [unrolled: 1-line block ×3, first 2 shown]
	v_add3_u32 v1, v1, v2, v5
	v_cndmask_b32_e64 v2, 0, v9, s8
	v_cndmask_b32_e64 v5, 0, v10, s9
	s_delay_alu instid0(VALU_DEP_3) | instskip(SKIP_2) | instid1(VALU_DEP_3)
	v_add3_u32 v1, v1, v3, v4
	v_cndmask_b32_e64 v3, 0, v11, s10
	v_cndmask_b32_e64 v4, 0, v12, s11
	v_add3_u32 v1, v1, v2, v5
	v_cndmask_b32_e64 v2, 0, v13, s12
	v_cndmask_b32_e64 v5, 0, v14, s13
	s_delay_alu instid0(VALU_DEP_3) | instskip(SKIP_2) | instid1(VALU_DEP_3)
	v_add3_u32 v1, v1, v3, v4
	v_cndmask_b32_e64 v3, 0, v15, s14
	v_cndmask_b32_e64 v4, 0, v16, s15
	;; [unrolled: 7-line block ×5, first 2 shown]
	v_add3_u32 v1, v1, v2, v5
	v_mbcnt_lo_u32_b32 v2, -1, 0
	v_cndmask_b32_e64 v5, 0, v29, s28
	s_delay_alu instid0(VALU_DEP_3) | instskip(NEXT) | instid1(VALU_DEP_3)
	v_add3_u32 v1, v1, v3, v4
	v_cmp_ne_u32_e32 vcc_lo, 31, v2
	v_cndmask_b32_e64 v3, 0, v32, s31
	s_delay_alu instid0(VALU_DEP_3)
	v_add3_u32 v1, v1, v5, v6
	s_wait_alu 0xfffd
	v_add_co_ci_u32_e64 v4, null, 0, v2, vcc_lo
	v_add_nc_u32_e32 v5, 1, v2
	v_cmp_gt_u32_e32 vcc_lo, 30, v2
	v_add3_u32 v1, v1, v7, v3
	s_delay_alu instid0(VALU_DEP_4)
	v_lshlrev_b32_e32 v4, 2, v4
	s_wait_alu 0xfffd
	v_cndmask_b32_e64 v6, 0, 2, vcc_lo
	ds_bpermute_b32 v3, v4, v1
	v_and_b32_e32 v4, 0xe0, v0
	s_wait_alu 0xfffe
	s_delay_alu instid0(VALU_DEP_1) | instskip(NEXT) | instid1(VALU_DEP_1)
	v_sub_nc_u32_e64 v4, s2, v4 clamp
	v_cmp_lt_u32_e32 vcc_lo, v5, v4
	v_add_lshl_u32 v5, v6, v2, 2
	s_wait_dscnt 0x0
	s_wait_alu 0xfffd
	v_cndmask_b32_e32 v3, 0, v3, vcc_lo
	v_cmp_gt_u32_e32 vcc_lo, 28, v2
	s_delay_alu instid0(VALU_DEP_2) | instskip(SKIP_4) | instid1(VALU_DEP_1)
	v_add_nc_u32_e32 v1, v1, v3
	s_wait_alu 0xfffd
	v_cndmask_b32_e64 v6, 0, 4, vcc_lo
	ds_bpermute_b32 v3, v5, v1
	v_add_nc_u32_e32 v5, 2, v2
	v_cmp_lt_u32_e32 vcc_lo, v5, v4
	v_add_lshl_u32 v5, v6, v2, 2
	s_wait_dscnt 0x0
	s_wait_alu 0xfffd
	v_cndmask_b32_e32 v3, 0, v3, vcc_lo
	v_cmp_gt_u32_e32 vcc_lo, 24, v2
	s_delay_alu instid0(VALU_DEP_2) | instskip(SKIP_4) | instid1(VALU_DEP_1)
	v_add_nc_u32_e32 v1, v1, v3
	s_wait_alu 0xfffd
	v_cndmask_b32_e64 v6, 0, 8, vcc_lo
	ds_bpermute_b32 v3, v5, v1
	v_add_nc_u32_e32 v5, 4, v2
	v_cmp_lt_u32_e32 vcc_lo, v5, v4
	v_add_lshl_u32 v5, v6, v2, 2
	s_wait_dscnt 0x0
	s_wait_alu 0xfffd
	v_cndmask_b32_e32 v3, 0, v3, vcc_lo
	s_delay_alu instid0(VALU_DEP_1) | instskip(SKIP_3) | instid1(VALU_DEP_1)
	v_add_nc_u32_e32 v1, v1, v3
	v_lshlrev_b32_e32 v3, 2, v2
	ds_bpermute_b32 v5, v5, v1
	v_add_nc_u32_e32 v6, 8, v2
	v_cmp_lt_u32_e32 vcc_lo, v6, v4
	v_or_b32_e32 v6, 64, v3
	s_wait_dscnt 0x0
	s_wait_alu 0xfffd
	v_cndmask_b32_e32 v5, 0, v5, vcc_lo
	s_delay_alu instid0(VALU_DEP_1) | instskip(SKIP_2) | instid1(VALU_DEP_1)
	v_add_nc_u32_e32 v1, v1, v5
	ds_bpermute_b32 v5, v6, v1
	v_add_nc_u32_e32 v6, 16, v2
	v_cmp_lt_u32_e32 vcc_lo, v6, v4
	s_wait_dscnt 0x0
	s_wait_alu 0xfffd
	v_cndmask_b32_e32 v4, 0, v5, vcc_lo
	s_delay_alu instid0(VALU_DEP_1)
	v_add_nc_u32_e32 v1, v1, v4
	v_cmpx_eq_u32_e32 0, v2
; %bb.363:
	v_lshrrev_b32_e32 v4, 3, v0
	s_delay_alu instid0(VALU_DEP_1)
	v_and_b32_e32 v4, 28, v4
	ds_store_b32 v4, v1 offset:256
; %bb.364:
	s_or_b32 exec_lo, exec_lo, s3
	s_delay_alu instid0(SALU_CYCLE_1)
	s_mov_b32 s3, exec_lo
	s_wait_loadcnt_dscnt 0x0
	s_barrier_signal -1
	s_barrier_wait -1
	global_inv scope:SCOPE_SE
	v_cmpx_gt_u32_e32 8, v0
	s_cbranch_execz .LBB590_366
; %bb.365:
	ds_load_b32 v1, v3 offset:256
	v_and_b32_e32 v4, 7, v2
	s_add_co_i32 s2, s2, 31
	s_wait_alu 0xfffe
	s_lshr_b32 s2, s2, 5
	s_delay_alu instid0(VALU_DEP_1) | instskip(SKIP_4) | instid1(VALU_DEP_2)
	v_cmp_ne_u32_e32 vcc_lo, 7, v4
	v_add_nc_u32_e32 v6, 1, v4
	s_wait_alu 0xfffd
	v_add_co_ci_u32_e64 v5, null, 0, v2, vcc_lo
	v_cmp_gt_u32_e32 vcc_lo, 6, v4
	v_lshlrev_b32_e32 v5, 2, v5
	s_wait_alu 0xfffd
	v_cndmask_b32_e64 v7, 0, 2, vcc_lo
	s_wait_alu 0xfffe
	v_cmp_gt_u32_e32 vcc_lo, s2, v6
	s_wait_dscnt 0x0
	ds_bpermute_b32 v5, v5, v1
	v_add_lshl_u32 v2, v7, v2, 2
	s_wait_dscnt 0x0
	s_wait_alu 0xfffd
	v_cndmask_b32_e32 v5, 0, v5, vcc_lo
	s_delay_alu instid0(VALU_DEP_1)
	v_add_nc_u32_e32 v1, v5, v1
	v_add_nc_u32_e32 v5, 2, v4
	ds_bpermute_b32 v2, v2, v1
	v_cmp_gt_u32_e32 vcc_lo, s2, v5
	s_wait_dscnt 0x0
	s_wait_alu 0xfffd
	v_cndmask_b32_e32 v2, 0, v2, vcc_lo
	s_delay_alu instid0(VALU_DEP_1)
	v_add_nc_u32_e32 v1, v1, v2
	v_or_b32_e32 v2, 16, v3
	v_add_nc_u32_e32 v3, 4, v4
	ds_bpermute_b32 v2, v2, v1
	v_cmp_gt_u32_e32 vcc_lo, s2, v3
	s_wait_dscnt 0x0
	s_wait_alu 0xfffd
	v_cndmask_b32_e32 v2, 0, v2, vcc_lo
	s_delay_alu instid0(VALU_DEP_1)
	v_add_nc_u32_e32 v1, v1, v2
.LBB590_366:
	s_wait_alu 0xfffe
	s_or_b32 exec_lo, exec_lo, s3
.LBB590_367:
	v_cmp_eq_u32_e64 s2, 0, v0
	s_branch .LBB590_512
.LBB590_368:
	s_cmp_eq_u32 s93, 16
	s_cbranch_scc0 .LBB590_375
; %bb.369:
	s_mov_b32 s67, 0
	s_lshl_b32 s36, s66, 12
	s_mov_b32 s37, s67
	s_wait_kmcnt 0x0
	s_lshr_b64 s[2:3], s[72:73], 12
	s_lshl_b64 s[4:5], s[36:37], 3
	s_cmp_lg_u64 s[2:3], s[66:67]
	s_add_nc_u64 s[34:35], s[76:77], s[4:5]
	s_cbranch_scc0 .LBB590_533
; %bb.370:
	v_lshlrev_b32_e32 v31, 3, v0
	s_clause 0xf
	global_load_b64 v[1:2], v31, s[34:35]
	global_load_b64 v[3:4], v31, s[34:35] offset:2048
	global_load_b64 v[5:6], v31, s[34:35] offset:4096
	;; [unrolled: 1-line block ×15, first 2 shown]
	s_wait_loadcnt 0xf
	v_cmp_neq_f32_e32 vcc_lo, 0, v1
	v_cmp_neq_f32_e64 s2, 0, v2
	s_wait_loadcnt 0xe
	v_cmp_neq_f32_e64 s3, 0, v3
	v_cmp_neq_f32_e64 s4, 0, v4
	s_wait_loadcnt 0xd
	v_cmp_neq_f32_e64 s5, 0, v5
	v_cmp_neq_f32_e64 s6, 0, v6
	s_or_b32 s2, vcc_lo, s2
	s_wait_loadcnt 0xc
	v_cmp_neq_f32_e64 s7, 0, v7
	v_cndmask_b32_e64 v1, 0, 1, s2
	v_cmp_neq_f32_e64 s8, 0, v8
	s_wait_loadcnt 0xb
	v_cmp_neq_f32_e64 s9, 0, v9
	v_cmp_neq_f32_e64 s10, 0, v10
	s_or_b32 s2, s5, s6
	s_or_b32 vcc_lo, s3, s4
	s_wait_alu 0xfffe
	v_cndmask_b32_e64 v2, 0, 1, s2
	v_add_co_ci_u32_e64 v1, null, 0, v1, vcc_lo
	s_wait_loadcnt 0xa
	v_cmp_neq_f32_e64 s11, 0, v11
	v_cmp_neq_f32_e64 s12, 0, v12
	s_wait_loadcnt 0x9
	v_cmp_neq_f32_e64 s13, 0, v13
	v_cmp_neq_f32_e64 s14, 0, v14
	s_or_b32 s2, s9, s10
	s_or_b32 vcc_lo, s7, s8
	s_wait_alu 0xfffe
	v_cndmask_b32_e64 v3, 0, 1, s2
	v_add_co_ci_u32_e64 v1, null, v1, v2, vcc_lo
	s_wait_loadcnt 0x8
	v_cmp_neq_f32_e64 s15, 0, v15
	;; [unrolled: 11-line block ×6, first 2 shown]
	v_cmp_neq_f32_e64 s33, 0, v32
	s_or_b32 s2, s29, s30
	s_or_b32 vcc_lo, s27, s28
	s_wait_alu 0xfffe
	v_cndmask_b32_e64 v2, 0, 1, s2
	v_add_co_ci_u32_e64 v1, null, v1, v3, vcc_lo
	s_or_b32 vcc_lo, s31, s33
	s_mov_b32 s2, exec_lo
	s_wait_alu 0xfffe
	v_add_co_ci_u32_e64 v1, null, v1, v2, vcc_lo
	s_delay_alu instid0(VALU_DEP_1) | instskip(NEXT) | instid1(VALU_DEP_1)
	v_mov_b32_dpp v2, v1 quad_perm:[1,0,3,2] row_mask:0xf bank_mask:0xf
	v_add_nc_u32_e32 v1, v1, v2
	s_delay_alu instid0(VALU_DEP_1) | instskip(NEXT) | instid1(VALU_DEP_1)
	v_mov_b32_dpp v2, v1 quad_perm:[2,3,0,1] row_mask:0xf bank_mask:0xf
	v_add_nc_u32_e32 v1, v1, v2
	s_delay_alu instid0(VALU_DEP_1) | instskip(NEXT) | instid1(VALU_DEP_1)
	v_mov_b32_dpp v2, v1 row_ror:4 row_mask:0xf bank_mask:0xf
	v_add_nc_u32_e32 v1, v1, v2
	s_delay_alu instid0(VALU_DEP_1) | instskip(NEXT) | instid1(VALU_DEP_1)
	v_mov_b32_dpp v2, v1 row_ror:8 row_mask:0xf bank_mask:0xf
	v_add_nc_u32_e32 v1, v1, v2
	ds_swizzle_b32 v2, v1 offset:swizzle(BROADCAST,32,15)
	s_wait_dscnt 0x0
	v_dual_mov_b32 v2, 0 :: v_dual_add_nc_u32 v1, v1, v2
	ds_bpermute_b32 v1, v2, v1 offset:124
	v_mbcnt_lo_u32_b32 v2, -1, 0
	s_delay_alu instid0(VALU_DEP_1)
	v_cmpx_eq_u32_e32 0, v2
	s_cbranch_execz .LBB590_372
; %bb.371:
	v_lshrrev_b32_e32 v3, 3, v0
	s_delay_alu instid0(VALU_DEP_1)
	v_and_b32_e32 v3, 28, v3
	s_wait_dscnt 0x0
	ds_store_b32 v3, v1 offset:32
.LBB590_372:
	s_or_b32 exec_lo, exec_lo, s2
	s_delay_alu instid0(SALU_CYCLE_1)
	s_mov_b32 s2, exec_lo
	s_wait_dscnt 0x0
	s_barrier_signal -1
	s_barrier_wait -1
	global_inv scope:SCOPE_SE
	v_cmpx_gt_u32_e32 32, v0
	s_cbranch_execz .LBB590_374
; %bb.373:
	v_and_b32_e32 v1, 7, v2
	s_delay_alu instid0(VALU_DEP_1)
	v_lshlrev_b32_e32 v3, 2, v1
	v_cmp_ne_u32_e32 vcc_lo, 7, v1
	ds_load_b32 v3, v3 offset:32
	s_wait_alu 0xfffd
	v_add_co_ci_u32_e64 v4, null, 0, v2, vcc_lo
	v_cmp_gt_u32_e32 vcc_lo, 6, v1
	s_delay_alu instid0(VALU_DEP_2) | instskip(SKIP_2) | instid1(VALU_DEP_1)
	v_lshlrev_b32_e32 v4, 2, v4
	s_wait_alu 0xfffd
	v_cndmask_b32_e64 v1, 0, 2, vcc_lo
	v_add_lshl_u32 v1, v1, v2, 2
	v_lshlrev_b32_e32 v2, 2, v2
	s_delay_alu instid0(VALU_DEP_1)
	v_or_b32_e32 v2, 16, v2
	s_wait_dscnt 0x0
	ds_bpermute_b32 v4, v4, v3
	s_wait_dscnt 0x0
	v_add_nc_u32_e32 v3, v4, v3
	ds_bpermute_b32 v1, v1, v3
	s_wait_dscnt 0x0
	v_add_nc_u32_e32 v1, v1, v3
	ds_bpermute_b32 v2, v2, v1
	s_wait_dscnt 0x0
	v_add_nc_u32_e32 v1, v2, v1
.LBB590_374:
	s_wait_alu 0xfffe
	s_or_b32 exec_lo, exec_lo, s2
	s_mov_b32 s2, 0
	s_branch .LBB590_534
.LBB590_375:
                                        ; implicit-def: $vgpr1
	s_branch .LBB590_623
.LBB590_376:
	s_mov_b32 s2, -1
                                        ; implicit-def: $vgpr1
.LBB590_377:
	s_wait_alu 0xfffe
	s_and_b32 vcc_lo, exec_lo, s2
	s_wait_alu 0xfffe
	s_cbranch_vccz .LBB590_511
; %bb.378:
	s_wait_kmcnt 0x0
	s_sub_co_i32 s3, s72, s26
	s_mov_b32 s4, exec_lo
                                        ; implicit-def: $vgpr1
	s_wait_alu 0xfffe
	v_cmpx_gt_u32_e64 s3, v0
	s_cbranch_execz .LBB590_380
; %bb.379:
	v_lshlrev_b32_e32 v1, 3, v0
	global_load_b64 v[1:2], v1, s[102:103]
	s_wait_loadcnt 0x0
	v_cmp_neq_f32_e32 vcc_lo, 0, v1
	v_cmp_neq_f32_e64 s2, 0, v2
	s_or_b32 s2, vcc_lo, s2
	s_wait_alu 0xfffe
	v_cndmask_b32_e64 v1, 0, 1, s2
.LBB590_380:
	s_or_b32 exec_lo, exec_lo, s4
	v_or_b32_e32 v3, 0x100, v0
	v_mov_b32_e32 v2, 0
	s_delay_alu instid0(VALU_DEP_2)
	v_cmp_gt_u32_e32 vcc_lo, s3, v3
	v_mov_b32_e32 v3, 0
	s_and_saveexec_b32 s4, vcc_lo
	s_cbranch_execz .LBB590_382
; %bb.381:
	v_lshlrev_b32_e32 v3, 3, v0
	global_load_b64 v[3:4], v3, s[102:103] offset:2048
	s_wait_loadcnt 0x0
	v_cmp_neq_f32_e32 vcc_lo, 0, v3
	v_cmp_neq_f32_e64 s2, 0, v4
	s_or_b32 s2, vcc_lo, s2
	s_wait_alu 0xfffe
	v_cndmask_b32_e64 v3, 0, 1, s2
.LBB590_382:
	s_wait_alu 0xfffe
	s_or_b32 exec_lo, exec_lo, s4
	v_or_b32_e32 v4, 0x200, v0
	s_mov_b32 s4, exec_lo
	s_delay_alu instid0(VALU_DEP_1)
	v_cmpx_gt_u32_e64 s3, v4
	s_cbranch_execz .LBB590_384
; %bb.383:
	v_lshlrev_b32_e32 v2, 3, v0
	global_load_b64 v[4:5], v2, s[102:103] offset:4096
	s_wait_loadcnt 0x0
	v_cmp_neq_f32_e32 vcc_lo, 0, v4
	v_cmp_neq_f32_e64 s2, 0, v5
	s_or_b32 s2, vcc_lo, s2
	s_wait_alu 0xfffe
	v_cndmask_b32_e64 v2, 0, 1, s2
.LBB590_384:
	s_wait_alu 0xfffe
	s_or_b32 exec_lo, exec_lo, s4
	v_or_b32_e32 v5, 0x300, v0
	v_mov_b32_e32 v4, 0
	s_delay_alu instid0(VALU_DEP_2)
	v_cmp_gt_u32_e32 vcc_lo, s3, v5
	v_mov_b32_e32 v5, 0
	s_and_saveexec_b32 s4, vcc_lo
	s_cbranch_execz .LBB590_386
; %bb.385:
	v_lshlrev_b32_e32 v5, 3, v0
	global_load_b64 v[5:6], v5, s[102:103] offset:6144
	s_wait_loadcnt 0x0
	v_cmp_neq_f32_e32 vcc_lo, 0, v5
	v_cmp_neq_f32_e64 s2, 0, v6
	s_or_b32 s2, vcc_lo, s2
	s_wait_alu 0xfffe
	v_cndmask_b32_e64 v5, 0, 1, s2
.LBB590_386:
	s_wait_alu 0xfffe
	s_or_b32 exec_lo, exec_lo, s4
	v_or_b32_e32 v6, 0x400, v0
	s_mov_b32 s4, exec_lo
	s_delay_alu instid0(VALU_DEP_1)
	v_cmpx_gt_u32_e64 s3, v6
	s_cbranch_execz .LBB590_388
; %bb.387:
	v_lshlrev_b32_e32 v4, 3, v0
	global_load_b64 v[6:7], v4, s[102:103] offset:8192
	s_wait_loadcnt 0x0
	v_cmp_neq_f32_e32 vcc_lo, 0, v6
	v_cmp_neq_f32_e64 s2, 0, v7
	s_or_b32 s2, vcc_lo, s2
	s_wait_alu 0xfffe
	v_cndmask_b32_e64 v4, 0, 1, s2
.LBB590_388:
	s_wait_alu 0xfffe
	;; [unrolled: 36-line block ×31, first 2 shown]
	s_or_b32 exec_lo, exec_lo, s4
	v_or_b32_e32 v64, 0x3f00, v0
	s_delay_alu instid0(VALU_DEP_1)
	v_cmp_gt_u32_e32 vcc_lo, s3, v64
	v_mov_b32_e32 v64, 0
	s_and_saveexec_b32 s4, vcc_lo
	s_cbranch_execz .LBB590_506
; %bb.505:
	v_lshlrev_b32_e32 v64, 3, v0
	global_load_b64 v[64:65], v64, s[102:103] offset:129024
	s_wait_loadcnt 0x0
	v_cmp_neq_f32_e32 vcc_lo, 0, v64
	v_cmp_neq_f32_e64 s2, 0, v65
	s_or_b32 s2, vcc_lo, s2
	s_wait_alu 0xfffe
	v_cndmask_b32_e64 v64, 0, 1, s2
.LBB590_506:
	s_wait_alu 0xfffe
	s_or_b32 exec_lo, exec_lo, s4
	v_add_nc_u32_e32 v1, v3, v1
	s_min_u32 s2, s3, 0x100
	s_mov_b32 s3, exec_lo
	s_delay_alu instid0(VALU_DEP_1) | instskip(SKIP_1) | instid1(VALU_DEP_2)
	v_add3_u32 v1, v1, v2, v5
	v_mbcnt_lo_u32_b32 v2, -1, 0
	v_add3_u32 v1, v1, v4, v7
	s_delay_alu instid0(VALU_DEP_2) | instskip(SKIP_1) | instid1(VALU_DEP_3)
	v_cmp_ne_u32_e32 vcc_lo, 31, v2
	v_add_nc_u32_e32 v5, 1, v2
	v_add3_u32 v1, v1, v6, v9
	s_wait_alu 0xfffd
	v_add_co_ci_u32_e64 v3, null, 0, v2, vcc_lo
	v_cmp_gt_u32_e32 vcc_lo, 30, v2
	s_delay_alu instid0(VALU_DEP_3) | instskip(NEXT) | instid1(VALU_DEP_3)
	v_add3_u32 v1, v1, v8, v11
	v_lshlrev_b32_e32 v3, 2, v3
	s_wait_alu 0xfffd
	v_cndmask_b32_e64 v6, 0, 2, vcc_lo
	s_delay_alu instid0(VALU_DEP_3) | instskip(NEXT) | instid1(VALU_DEP_1)
	v_add3_u32 v1, v1, v10, v13
	v_add3_u32 v1, v1, v12, v15
	s_delay_alu instid0(VALU_DEP_1) | instskip(NEXT) | instid1(VALU_DEP_1)
	v_add3_u32 v1, v1, v14, v17
	v_add3_u32 v1, v1, v16, v19
	s_delay_alu instid0(VALU_DEP_1) | instskip(NEXT) | instid1(VALU_DEP_1)
	;; [unrolled: 3-line block ×12, first 2 shown]
	v_add3_u32 v1, v1, v58, v61
	v_add3_u32 v1, v1, v60, v63
	s_delay_alu instid0(VALU_DEP_1) | instskip(SKIP_3) | instid1(VALU_DEP_1)
	v_add3_u32 v1, v1, v62, v64
	ds_bpermute_b32 v3, v3, v1
	v_and_b32_e32 v4, 0xe0, v0
	s_wait_alu 0xfffe
	v_sub_nc_u32_e64 v4, s2, v4 clamp
	s_delay_alu instid0(VALU_DEP_1)
	v_cmp_lt_u32_e32 vcc_lo, v5, v4
	v_add_lshl_u32 v5, v6, v2, 2
	s_wait_dscnt 0x0
	s_wait_alu 0xfffd
	v_cndmask_b32_e32 v3, 0, v3, vcc_lo
	v_cmp_gt_u32_e32 vcc_lo, 28, v2
	s_delay_alu instid0(VALU_DEP_2) | instskip(SKIP_4) | instid1(VALU_DEP_1)
	v_add_nc_u32_e32 v1, v3, v1
	s_wait_alu 0xfffd
	v_cndmask_b32_e64 v6, 0, 4, vcc_lo
	ds_bpermute_b32 v3, v5, v1
	v_add_nc_u32_e32 v5, 2, v2
	v_cmp_lt_u32_e32 vcc_lo, v5, v4
	v_add_lshl_u32 v5, v6, v2, 2
	s_wait_dscnt 0x0
	s_wait_alu 0xfffd
	v_cndmask_b32_e32 v3, 0, v3, vcc_lo
	v_cmp_gt_u32_e32 vcc_lo, 24, v2
	s_delay_alu instid0(VALU_DEP_2) | instskip(SKIP_4) | instid1(VALU_DEP_1)
	v_add_nc_u32_e32 v1, v1, v3
	s_wait_alu 0xfffd
	v_cndmask_b32_e64 v6, 0, 8, vcc_lo
	ds_bpermute_b32 v3, v5, v1
	v_add_nc_u32_e32 v5, 4, v2
	v_cmp_lt_u32_e32 vcc_lo, v5, v4
	v_add_lshl_u32 v5, v6, v2, 2
	s_wait_dscnt 0x0
	s_wait_alu 0xfffd
	v_dual_cndmask_b32 v3, 0, v3 :: v_dual_add_nc_u32 v6, 8, v2
	s_delay_alu instid0(VALU_DEP_1) | instskip(NEXT) | instid1(VALU_DEP_2)
	v_cmp_lt_u32_e32 vcc_lo, v6, v4
	v_add_nc_u32_e32 v1, v1, v3
	v_lshlrev_b32_e32 v3, 2, v2
	ds_bpermute_b32 v5, v5, v1
	v_or_b32_e32 v6, 64, v3
	s_wait_dscnt 0x0
	s_wait_alu 0xfffd
	v_cndmask_b32_e32 v5, 0, v5, vcc_lo
	s_delay_alu instid0(VALU_DEP_1) | instskip(SKIP_2) | instid1(VALU_DEP_1)
	v_add_nc_u32_e32 v1, v1, v5
	ds_bpermute_b32 v5, v6, v1
	v_add_nc_u32_e32 v6, 16, v2
	v_cmp_lt_u32_e32 vcc_lo, v6, v4
	s_wait_dscnt 0x0
	s_wait_alu 0xfffd
	v_cndmask_b32_e32 v4, 0, v5, vcc_lo
	s_delay_alu instid0(VALU_DEP_1)
	v_add_nc_u32_e32 v1, v1, v4
	v_cmpx_eq_u32_e32 0, v2
; %bb.507:
	v_lshrrev_b32_e32 v4, 3, v0
	s_delay_alu instid0(VALU_DEP_1)
	v_and_b32_e32 v4, 28, v4
	ds_store_b32 v4, v1 offset:256
; %bb.508:
	s_or_b32 exec_lo, exec_lo, s3
	s_delay_alu instid0(SALU_CYCLE_1)
	s_mov_b32 s3, exec_lo
	s_wait_loadcnt_dscnt 0x0
	s_barrier_signal -1
	s_barrier_wait -1
	global_inv scope:SCOPE_SE
	v_cmpx_gt_u32_e32 8, v0
	s_cbranch_execz .LBB590_510
; %bb.509:
	ds_load_b32 v1, v3 offset:256
	v_and_b32_e32 v4, 7, v2
	s_add_co_i32 s2, s2, 31
	s_wait_alu 0xfffe
	s_lshr_b32 s2, s2, 5
	s_delay_alu instid0(VALU_DEP_1) | instskip(SKIP_4) | instid1(VALU_DEP_2)
	v_cmp_ne_u32_e32 vcc_lo, 7, v4
	v_add_nc_u32_e32 v6, 1, v4
	s_wait_alu 0xfffd
	v_add_co_ci_u32_e64 v5, null, 0, v2, vcc_lo
	v_cmp_gt_u32_e32 vcc_lo, 6, v4
	v_lshlrev_b32_e32 v5, 2, v5
	s_wait_alu 0xfffd
	v_cndmask_b32_e64 v7, 0, 2, vcc_lo
	s_wait_alu 0xfffe
	v_cmp_gt_u32_e32 vcc_lo, s2, v6
	s_wait_dscnt 0x0
	ds_bpermute_b32 v5, v5, v1
	v_add_lshl_u32 v2, v7, v2, 2
	s_wait_dscnt 0x0
	s_wait_alu 0xfffd
	v_cndmask_b32_e32 v5, 0, v5, vcc_lo
	s_delay_alu instid0(VALU_DEP_1)
	v_add_nc_u32_e32 v1, v5, v1
	v_add_nc_u32_e32 v5, 2, v4
	ds_bpermute_b32 v2, v2, v1
	v_cmp_gt_u32_e32 vcc_lo, s2, v5
	s_wait_dscnt 0x0
	s_wait_alu 0xfffd
	v_cndmask_b32_e32 v2, 0, v2, vcc_lo
	s_delay_alu instid0(VALU_DEP_1)
	v_add_nc_u32_e32 v1, v1, v2
	v_or_b32_e32 v2, 16, v3
	v_add_nc_u32_e32 v3, 4, v4
	ds_bpermute_b32 v2, v2, v1
	v_cmp_gt_u32_e32 vcc_lo, s2, v3
	s_wait_dscnt 0x0
	s_wait_alu 0xfffd
	v_cndmask_b32_e32 v2, 0, v2, vcc_lo
	s_delay_alu instid0(VALU_DEP_1)
	v_add_nc_u32_e32 v1, v1, v2
.LBB590_510:
	s_wait_alu 0xfffe
	s_or_b32 exec_lo, exec_lo, s3
.LBB590_511:
	v_cmp_eq_u32_e64 s2, 0, v0
.LBB590_512:
	s_branch .LBB590_623
.LBB590_513:
	s_cmp_gt_i32 s93, 3
	s_cbranch_scc0 .LBB590_522
; %bb.514:
	s_cmp_gt_i32 s93, 7
	s_cbranch_scc0 .LBB590_523
; %bb.515:
	s_cmp_eq_u32 s93, 8
	s_cbranch_scc0 .LBB590_531
; %bb.516:
	s_mov_b32 s67, 0
	s_lshl_b32 s20, s66, 11
	s_mov_b32 s21, s67
	s_wait_kmcnt 0x0
	s_lshr_b64 s[2:3], s[72:73], 11
	s_lshl_b64 s[4:5], s[20:21], 3
	s_cmp_lg_u64 s[2:3], s[66:67]
	s_add_nc_u64 s[18:19], s[76:77], s[4:5]
	s_cbranch_scc0 .LBB590_573
; %bb.517:
	v_lshlrev_b32_e32 v15, 3, v0
	s_clause 0x7
	global_load_b64 v[1:2], v15, s[18:19]
	global_load_b64 v[3:4], v15, s[18:19] offset:2048
	global_load_b64 v[5:6], v15, s[18:19] offset:4096
	;; [unrolled: 1-line block ×7, first 2 shown]
	s_wait_loadcnt 0x7
	v_cmp_neq_f32_e32 vcc_lo, 0, v1
	v_cmp_neq_f32_e64 s2, 0, v2
	s_wait_loadcnt 0x6
	v_cmp_neq_f32_e64 s3, 0, v3
	v_cmp_neq_f32_e64 s4, 0, v4
	s_wait_loadcnt 0x5
	v_cmp_neq_f32_e64 s5, 0, v5
	v_cmp_neq_f32_e64 s6, 0, v6
	s_or_b32 s2, vcc_lo, s2
	s_wait_loadcnt 0x4
	v_cmp_neq_f32_e64 s7, 0, v7
	v_cndmask_b32_e64 v1, 0, 1, s2
	v_cmp_neq_f32_e64 s8, 0, v8
	s_wait_loadcnt 0x3
	v_cmp_neq_f32_e64 s9, 0, v9
	v_cmp_neq_f32_e64 s10, 0, v10
	s_or_b32 s2, s5, s6
	s_or_b32 vcc_lo, s3, s4
	s_wait_alu 0xfffe
	v_cndmask_b32_e64 v2, 0, 1, s2
	v_add_co_ci_u32_e64 v1, null, 0, v1, vcc_lo
	s_wait_loadcnt 0x2
	v_cmp_neq_f32_e64 s11, 0, v11
	v_cmp_neq_f32_e64 s12, 0, v12
	s_wait_loadcnt 0x1
	v_cmp_neq_f32_e64 s13, 0, v13
	v_cmp_neq_f32_e64 s14, 0, v14
	s_or_b32 s2, s9, s10
	s_or_b32 vcc_lo, s7, s8
	s_wait_alu 0xfffe
	v_cndmask_b32_e64 v3, 0, 1, s2
	v_add_co_ci_u32_e64 v1, null, v1, v2, vcc_lo
	s_wait_loadcnt 0x0
	v_cmp_neq_f32_e64 s15, 0, v15
	v_cmp_neq_f32_e64 s16, 0, v16
	s_or_b32 s2, s13, s14
	s_or_b32 vcc_lo, s11, s12
	s_wait_alu 0xfffe
	v_cndmask_b32_e64 v2, 0, 1, s2
	v_add_co_ci_u32_e64 v1, null, v1, v3, vcc_lo
	s_or_b32 vcc_lo, s15, s16
	s_mov_b32 s2, exec_lo
	s_wait_alu 0xfffe
	v_add_co_ci_u32_e64 v1, null, v1, v2, vcc_lo
	s_delay_alu instid0(VALU_DEP_1) | instskip(NEXT) | instid1(VALU_DEP_1)
	v_mov_b32_dpp v2, v1 quad_perm:[1,0,3,2] row_mask:0xf bank_mask:0xf
	v_add_nc_u32_e32 v1, v1, v2
	s_delay_alu instid0(VALU_DEP_1) | instskip(NEXT) | instid1(VALU_DEP_1)
	v_mov_b32_dpp v2, v1 quad_perm:[2,3,0,1] row_mask:0xf bank_mask:0xf
	v_add_nc_u32_e32 v1, v1, v2
	s_delay_alu instid0(VALU_DEP_1) | instskip(NEXT) | instid1(VALU_DEP_1)
	v_mov_b32_dpp v2, v1 row_ror:4 row_mask:0xf bank_mask:0xf
	v_add_nc_u32_e32 v1, v1, v2
	s_delay_alu instid0(VALU_DEP_1) | instskip(NEXT) | instid1(VALU_DEP_1)
	v_mov_b32_dpp v2, v1 row_ror:8 row_mask:0xf bank_mask:0xf
	v_add_nc_u32_e32 v1, v1, v2
	ds_swizzle_b32 v2, v1 offset:swizzle(BROADCAST,32,15)
	s_wait_dscnt 0x0
	v_dual_mov_b32 v2, 0 :: v_dual_add_nc_u32 v1, v1, v2
	ds_bpermute_b32 v1, v2, v1 offset:124
	v_mbcnt_lo_u32_b32 v2, -1, 0
	s_delay_alu instid0(VALU_DEP_1)
	v_cmpx_eq_u32_e32 0, v2
	s_cbranch_execz .LBB590_519
; %bb.518:
	v_lshrrev_b32_e32 v3, 3, v0
	s_delay_alu instid0(VALU_DEP_1)
	v_and_b32_e32 v3, 28, v3
	s_wait_dscnt 0x0
	ds_store_b32 v3, v1 offset:224
.LBB590_519:
	s_or_b32 exec_lo, exec_lo, s2
	s_delay_alu instid0(SALU_CYCLE_1)
	s_mov_b32 s2, exec_lo
	s_wait_dscnt 0x0
	s_barrier_signal -1
	s_barrier_wait -1
	global_inv scope:SCOPE_SE
	v_cmpx_gt_u32_e32 32, v0
	s_cbranch_execz .LBB590_521
; %bb.520:
	v_lshl_or_b32 v1, v2, 2, 0xe0
	v_and_b32_e32 v3, 7, v2
	ds_load_b32 v1, v1
	v_cmp_ne_u32_e32 vcc_lo, 7, v3
	s_wait_alu 0xfffd
	v_add_co_ci_u32_e64 v4, null, 0, v2, vcc_lo
	v_cmp_gt_u32_e32 vcc_lo, 6, v3
	s_delay_alu instid0(VALU_DEP_2) | instskip(SKIP_2) | instid1(VALU_DEP_1)
	v_lshlrev_b32_e32 v4, 2, v4
	s_wait_alu 0xfffd
	v_cndmask_b32_e64 v3, 0, 2, vcc_lo
	v_add_lshl_u32 v3, v3, v2, 2
	v_lshlrev_b32_e32 v2, 2, v2
	s_wait_dscnt 0x0
	ds_bpermute_b32 v4, v4, v1
	v_or_b32_e32 v2, 16, v2
	s_wait_dscnt 0x0
	v_add_nc_u32_e32 v1, v4, v1
	ds_bpermute_b32 v3, v3, v1
	s_wait_dscnt 0x0
	v_add_nc_u32_e32 v1, v3, v1
	ds_bpermute_b32 v2, v2, v1
	s_wait_dscnt 0x0
	v_add_nc_u32_e32 v1, v2, v1
.LBB590_521:
	s_wait_alu 0xfffe
	s_or_b32 exec_lo, exec_lo, s2
	s_mov_b32 s2, 0
	s_branch .LBB590_574
.LBB590_522:
                                        ; implicit-def: $vgpr1
	s_cbranch_execnz .LBB590_614
	s_branch .LBB590_623
.LBB590_523:
                                        ; implicit-def: $vgpr1
	s_cbranch_execz .LBB590_597
; %bb.524:
	s_cmp_eq_u32 s93, 4
	s_cbranch_scc0 .LBB590_532
; %bb.525:
	s_mov_b32 s67, 0
	s_lshl_b32 s12, s66, 10
	s_mov_b32 s13, s67
	s_wait_kmcnt 0x0
	s_lshr_b64 s[2:3], s[72:73], 10
	s_lshl_b64 s[4:5], s[12:13], 3
	s_cmp_lg_u64 s[2:3], s[66:67]
	s_add_nc_u64 s[10:11], s[76:77], s[4:5]
	s_cbranch_scc0 .LBB590_598
; %bb.526:
	v_lshlrev_b32_e32 v7, 3, v0
	s_clause 0x3
	global_load_b64 v[1:2], v7, s[10:11]
	global_load_b64 v[3:4], v7, s[10:11] offset:2048
	global_load_b64 v[5:6], v7, s[10:11] offset:4096
	;; [unrolled: 1-line block ×3, first 2 shown]
	s_wait_loadcnt 0x3
	v_cmp_neq_f32_e32 vcc_lo, 0, v1
	v_cmp_neq_f32_e64 s2, 0, v2
	s_wait_loadcnt 0x2
	v_cmp_neq_f32_e64 s3, 0, v3
	v_cmp_neq_f32_e64 s4, 0, v4
	s_wait_loadcnt 0x1
	v_cmp_neq_f32_e64 s5, 0, v5
	v_cmp_neq_f32_e64 s6, 0, v6
	s_or_b32 s2, vcc_lo, s2
	s_wait_loadcnt 0x0
	v_cmp_neq_f32_e64 s7, 0, v7
	v_cndmask_b32_e64 v1, 0, 1, s2
	v_cmp_neq_f32_e64 s8, 0, v8
	s_or_b32 s2, s5, s6
	s_or_b32 vcc_lo, s3, s4
	s_wait_alu 0xfffe
	v_cndmask_b32_e64 v2, 0, 1, s2
	v_add_co_ci_u32_e64 v1, null, 0, v1, vcc_lo
	s_or_b32 vcc_lo, s7, s8
	s_mov_b32 s2, exec_lo
	s_wait_alu 0xfffe
	v_add_co_ci_u32_e64 v1, null, v1, v2, vcc_lo
	s_delay_alu instid0(VALU_DEP_1) | instskip(NEXT) | instid1(VALU_DEP_1)
	v_mov_b32_dpp v2, v1 quad_perm:[1,0,3,2] row_mask:0xf bank_mask:0xf
	v_add_nc_u32_e32 v1, v1, v2
	s_delay_alu instid0(VALU_DEP_1) | instskip(NEXT) | instid1(VALU_DEP_1)
	v_mov_b32_dpp v2, v1 quad_perm:[2,3,0,1] row_mask:0xf bank_mask:0xf
	v_add_nc_u32_e32 v1, v1, v2
	s_delay_alu instid0(VALU_DEP_1) | instskip(NEXT) | instid1(VALU_DEP_1)
	v_mov_b32_dpp v2, v1 row_ror:4 row_mask:0xf bank_mask:0xf
	v_add_nc_u32_e32 v1, v1, v2
	s_delay_alu instid0(VALU_DEP_1) | instskip(NEXT) | instid1(VALU_DEP_1)
	v_mov_b32_dpp v2, v1 row_ror:8 row_mask:0xf bank_mask:0xf
	v_add_nc_u32_e32 v1, v1, v2
	ds_swizzle_b32 v2, v1 offset:swizzle(BROADCAST,32,15)
	s_wait_dscnt 0x0
	v_dual_mov_b32 v2, 0 :: v_dual_add_nc_u32 v1, v1, v2
	ds_bpermute_b32 v1, v2, v1 offset:124
	v_mbcnt_lo_u32_b32 v2, -1, 0
	s_delay_alu instid0(VALU_DEP_1)
	v_cmpx_eq_u32_e32 0, v2
	s_cbranch_execz .LBB590_528
; %bb.527:
	v_lshrrev_b32_e32 v3, 3, v0
	s_delay_alu instid0(VALU_DEP_1)
	v_and_b32_e32 v3, 28, v3
	s_wait_dscnt 0x0
	ds_store_b32 v3, v1 offset:160
.LBB590_528:
	s_or_b32 exec_lo, exec_lo, s2
	s_delay_alu instid0(SALU_CYCLE_1)
	s_mov_b32 s2, exec_lo
	s_wait_dscnt 0x0
	s_barrier_signal -1
	s_barrier_wait -1
	global_inv scope:SCOPE_SE
	v_cmpx_gt_u32_e32 32, v0
	s_cbranch_execz .LBB590_530
; %bb.529:
	v_and_b32_e32 v1, 7, v2
	s_delay_alu instid0(VALU_DEP_1)
	v_lshlrev_b32_e32 v3, 2, v1
	v_cmp_ne_u32_e32 vcc_lo, 7, v1
	ds_load_b32 v3, v3 offset:160
	s_wait_alu 0xfffd
	v_add_co_ci_u32_e64 v4, null, 0, v2, vcc_lo
	v_cmp_gt_u32_e32 vcc_lo, 6, v1
	s_delay_alu instid0(VALU_DEP_2) | instskip(SKIP_2) | instid1(VALU_DEP_1)
	v_lshlrev_b32_e32 v4, 2, v4
	s_wait_alu 0xfffd
	v_cndmask_b32_e64 v1, 0, 2, vcc_lo
	v_add_lshl_u32 v1, v1, v2, 2
	v_lshlrev_b32_e32 v2, 2, v2
	s_delay_alu instid0(VALU_DEP_1)
	v_or_b32_e32 v2, 16, v2
	s_wait_dscnt 0x0
	ds_bpermute_b32 v4, v4, v3
	s_wait_dscnt 0x0
	v_add_nc_u32_e32 v3, v4, v3
	ds_bpermute_b32 v1, v1, v3
	s_wait_dscnt 0x0
	v_add_nc_u32_e32 v1, v1, v3
	;; [unrolled: 3-line block ×3, first 2 shown]
.LBB590_530:
	s_wait_alu 0xfffe
	s_or_b32 exec_lo, exec_lo, s2
	s_mov_b32 s2, 0
	s_branch .LBB590_599
.LBB590_531:
                                        ; implicit-def: $vgpr1
	s_branch .LBB590_597
.LBB590_532:
                                        ; implicit-def: $vgpr1
	s_branch .LBB590_623
.LBB590_533:
	s_mov_b32 s2, -1
                                        ; implicit-def: $vgpr1
.LBB590_534:
	s_wait_alu 0xfffe
	s_and_b32 vcc_lo, exec_lo, s2
	s_wait_alu 0xfffe
	s_cbranch_vccz .LBB590_572
; %bb.535:
	v_mov_b32_e32 v1, 0
	s_sub_co_i32 s18, s72, s36
	s_mov_b32 s3, exec_lo
	s_delay_alu instid0(VALU_DEP_1)
	v_dual_mov_b32 v2, v1 :: v_dual_mov_b32 v3, v1
	v_dual_mov_b32 v4, v1 :: v_dual_mov_b32 v5, v1
	;; [unrolled: 1-line block ×7, first 2 shown]
	v_mov_b32_e32 v16, v1
	v_cmpx_gt_u32_e64 s18, v0
	s_cbranch_execz .LBB590_537
; %bb.536:
	v_dual_mov_b32 v3, v1 :: v_dual_lshlrev_b32 v2, 3, v0
	v_dual_mov_b32 v16, v1 :: v_dual_mov_b32 v17, v1
	v_dual_mov_b32 v4, v1 :: v_dual_mov_b32 v5, v1
	global_load_b64 v[9:10], v2, s[34:35]
	v_dual_mov_b32 v6, v1 :: v_dual_mov_b32 v7, v1
	v_mov_b32_e32 v8, v1
	v_dual_mov_b32 v12, v1 :: v_dual_mov_b32 v13, v1
	v_dual_mov_b32 v14, v1 :: v_dual_mov_b32 v15, v1
	v_mov_b32_e32 v11, v1
	s_wait_loadcnt 0x0
	v_cmp_neq_f32_e32 vcc_lo, 0, v9
	v_cmp_neq_f32_e64 s2, 0, v10
	v_dual_mov_b32 v9, v1 :: v_dual_mov_b32 v10, v1
	s_or_b32 s2, vcc_lo, s2
	s_wait_alu 0xfffe
	v_cndmask_b32_e64 v2, 0, 1, s2
	s_delay_alu instid0(VALU_DEP_1) | instskip(NEXT) | instid1(VALU_DEP_1)
	v_and_b32_e32 v2, 0xffff, v2
	v_mov_b32_e32 v1, v2
	v_mov_b32_e32 v2, v3
	;; [unrolled: 1-line block ×16, first 2 shown]
.LBB590_537:
	s_wait_alu 0xfffe
	s_or_b32 exec_lo, exec_lo, s3
	v_or_b32_e32 v17, 0x100, v0
	s_delay_alu instid0(VALU_DEP_1)
	v_cmp_gt_u32_e32 vcc_lo, s18, v17
	s_and_saveexec_b32 s4, vcc_lo
	s_cbranch_execz .LBB590_539
; %bb.538:
	v_lshlrev_b32_e32 v2, 3, v0
	global_load_b64 v[17:18], v2, s[34:35] offset:2048
	s_wait_loadcnt 0x0
	v_cmp_neq_f32_e64 s2, 0, v17
	v_cmp_neq_f32_e64 s3, 0, v18
	s_or_b32 s2, s2, s3
	s_wait_alu 0xfffe
	v_cndmask_b32_e64 v2, 0, 1, s2
.LBB590_539:
	s_or_b32 exec_lo, exec_lo, s4
	v_or_b32_e32 v17, 0x200, v0
	s_delay_alu instid0(VALU_DEP_1)
	v_cmp_gt_u32_e64 s2, s18, v17
	s_and_saveexec_b32 s5, s2
	s_cbranch_execz .LBB590_541
; %bb.540:
	v_lshlrev_b32_e32 v3, 3, v0
	global_load_b64 v[17:18], v3, s[34:35] offset:4096
	s_wait_loadcnt 0x0
	v_cmp_neq_f32_e64 s3, 0, v17
	v_cmp_neq_f32_e64 s4, 0, v18
	s_or_b32 s3, s3, s4
	s_wait_alu 0xfffe
	v_cndmask_b32_e64 v3, 0, 1, s3
.LBB590_541:
	s_or_b32 exec_lo, exec_lo, s5
	v_or_b32_e32 v17, 0x300, v0
	s_delay_alu instid0(VALU_DEP_1)
	v_cmp_gt_u32_e64 s3, s18, v17
	s_and_saveexec_b32 s6, s3
	s_cbranch_execz .LBB590_543
; %bb.542:
	v_lshlrev_b32_e32 v4, 3, v0
	global_load_b64 v[17:18], v4, s[34:35] offset:6144
	s_wait_loadcnt 0x0
	v_cmp_neq_f32_e64 s4, 0, v17
	v_cmp_neq_f32_e64 s5, 0, v18
	s_or_b32 s4, s4, s5
	s_delay_alu instid0(SALU_CYCLE_1)
	v_cndmask_b32_e64 v4, 0, 1, s4
.LBB590_543:
	s_or_b32 exec_lo, exec_lo, s6
	v_or_b32_e32 v17, 0x400, v0
	s_delay_alu instid0(VALU_DEP_1)
	v_cmp_gt_u32_e64 s4, s18, v17
	s_and_saveexec_b32 s7, s4
	s_cbranch_execz .LBB590_545
; %bb.544:
	v_lshlrev_b32_e32 v5, 3, v0
	global_load_b64 v[17:18], v5, s[34:35] offset:8192
	s_wait_loadcnt 0x0
	v_cmp_neq_f32_e64 s5, 0, v17
	v_cmp_neq_f32_e64 s6, 0, v18
	s_or_b32 s5, s5, s6
	s_wait_alu 0xfffe
	v_cndmask_b32_e64 v5, 0, 1, s5
.LBB590_545:
	s_or_b32 exec_lo, exec_lo, s7
	v_or_b32_e32 v17, 0x500, v0
	s_delay_alu instid0(VALU_DEP_1)
	v_cmp_gt_u32_e64 s5, s18, v17
	s_and_saveexec_b32 s8, s5
	s_cbranch_execz .LBB590_547
; %bb.546:
	v_lshlrev_b32_e32 v6, 3, v0
	global_load_b64 v[17:18], v6, s[34:35] offset:10240
	s_wait_loadcnt 0x0
	v_cmp_neq_f32_e64 s6, 0, v17
	v_cmp_neq_f32_e64 s7, 0, v18
	s_or_b32 s6, s6, s7
	s_delay_alu instid0(SALU_CYCLE_1)
	v_cndmask_b32_e64 v6, 0, 1, s6
.LBB590_547:
	;; [unrolled: 32-line block ×7, first 2 shown]
	s_wait_alu 0xfffe
	s_or_b32 exec_lo, exec_lo, s19
	v_cndmask_b32_e32 v2, 0, v2, vcc_lo
	v_cndmask_b32_e64 v3, 0, v3, s2
	v_cndmask_b32_e64 v4, 0, v4, s3
	s_min_u32 s2, s18, 0x100
	s_mov_b32 s3, exec_lo
	v_add_nc_u32_e32 v1, v2, v1
	v_cndmask_b32_e64 v2, 0, v5, s4
	v_cndmask_b32_e64 v5, 0, v6, s5
	;; [unrolled: 1-line block ×3, first 2 shown]
	s_delay_alu instid0(VALU_DEP_4) | instskip(SKIP_3) | instid1(VALU_DEP_4)
	v_add3_u32 v1, v1, v3, v4
	v_cndmask_b32_e64 v3, 0, v7, s6
	v_cndmask_b32_e64 v4, 0, v8, s7
	;; [unrolled: 1-line block ×3, first 2 shown]
	v_add3_u32 v1, v1, v2, v5
	v_cndmask_b32_e64 v2, 0, v9, s8
	v_cndmask_b32_e64 v5, 0, v10, s9
	s_delay_alu instid0(VALU_DEP_3) | instskip(SKIP_2) | instid1(VALU_DEP_3)
	v_add3_u32 v1, v1, v3, v4
	v_cndmask_b32_e64 v3, 0, v11, s10
	v_cndmask_b32_e64 v4, 0, v12, s11
	v_add3_u32 v1, v1, v2, v5
	v_mbcnt_lo_u32_b32 v2, -1, 0
	v_cndmask_b32_e64 v5, 0, v13, s12
	s_delay_alu instid0(VALU_DEP_3) | instskip(NEXT) | instid1(VALU_DEP_3)
	v_add3_u32 v1, v1, v3, v4
	v_cmp_ne_u32_e32 vcc_lo, 31, v2
	v_cndmask_b32_e64 v3, 0, v16, s15
	s_delay_alu instid0(VALU_DEP_3)
	v_add3_u32 v1, v1, v5, v6
	s_wait_alu 0xfffd
	v_add_co_ci_u32_e64 v4, null, 0, v2, vcc_lo
	v_add_nc_u32_e32 v5, 1, v2
	v_cmp_gt_u32_e32 vcc_lo, 30, v2
	v_add3_u32 v1, v1, v7, v3
	s_delay_alu instid0(VALU_DEP_4)
	v_lshlrev_b32_e32 v4, 2, v4
	s_wait_alu 0xfffd
	v_cndmask_b32_e64 v6, 0, 2, vcc_lo
	ds_bpermute_b32 v3, v4, v1
	v_and_b32_e32 v4, 0xe0, v0
	s_wait_alu 0xfffe
	s_delay_alu instid0(VALU_DEP_1) | instskip(NEXT) | instid1(VALU_DEP_1)
	v_sub_nc_u32_e64 v4, s2, v4 clamp
	v_cmp_lt_u32_e32 vcc_lo, v5, v4
	v_add_lshl_u32 v5, v6, v2, 2
	s_wait_dscnt 0x0
	s_wait_alu 0xfffd
	v_cndmask_b32_e32 v3, 0, v3, vcc_lo
	v_cmp_gt_u32_e32 vcc_lo, 28, v2
	s_delay_alu instid0(VALU_DEP_2) | instskip(SKIP_4) | instid1(VALU_DEP_1)
	v_add_nc_u32_e32 v1, v1, v3
	s_wait_alu 0xfffd
	v_cndmask_b32_e64 v6, 0, 4, vcc_lo
	ds_bpermute_b32 v3, v5, v1
	v_add_nc_u32_e32 v5, 2, v2
	v_cmp_lt_u32_e32 vcc_lo, v5, v4
	v_add_lshl_u32 v5, v6, v2, 2
	s_wait_dscnt 0x0
	s_wait_alu 0xfffd
	v_cndmask_b32_e32 v3, 0, v3, vcc_lo
	v_cmp_gt_u32_e32 vcc_lo, 24, v2
	s_delay_alu instid0(VALU_DEP_2) | instskip(SKIP_4) | instid1(VALU_DEP_1)
	v_add_nc_u32_e32 v1, v1, v3
	s_wait_alu 0xfffd
	v_cndmask_b32_e64 v6, 0, 8, vcc_lo
	ds_bpermute_b32 v3, v5, v1
	v_add_nc_u32_e32 v5, 4, v2
	v_cmp_lt_u32_e32 vcc_lo, v5, v4
	v_add_lshl_u32 v5, v6, v2, 2
	s_wait_dscnt 0x0
	s_wait_alu 0xfffd
	v_cndmask_b32_e32 v3, 0, v3, vcc_lo
	s_delay_alu instid0(VALU_DEP_1) | instskip(SKIP_3) | instid1(VALU_DEP_1)
	v_add_nc_u32_e32 v1, v1, v3
	v_lshlrev_b32_e32 v3, 2, v2
	ds_bpermute_b32 v5, v5, v1
	v_add_nc_u32_e32 v6, 8, v2
	v_cmp_lt_u32_e32 vcc_lo, v6, v4
	v_or_b32_e32 v6, 64, v3
	s_wait_dscnt 0x0
	s_wait_alu 0xfffd
	v_cndmask_b32_e32 v5, 0, v5, vcc_lo
	s_delay_alu instid0(VALU_DEP_1) | instskip(SKIP_2) | instid1(VALU_DEP_1)
	v_add_nc_u32_e32 v1, v1, v5
	ds_bpermute_b32 v5, v6, v1
	v_add_nc_u32_e32 v6, 16, v2
	v_cmp_lt_u32_e32 vcc_lo, v6, v4
	s_wait_dscnt 0x0
	s_wait_alu 0xfffd
	v_cndmask_b32_e32 v4, 0, v5, vcc_lo
	s_delay_alu instid0(VALU_DEP_1)
	v_add_nc_u32_e32 v1, v1, v4
	v_cmpx_eq_u32_e32 0, v2
; %bb.568:
	v_lshrrev_b32_e32 v4, 3, v0
	s_delay_alu instid0(VALU_DEP_1)
	v_and_b32_e32 v4, 28, v4
	ds_store_b32 v4, v1 offset:256
; %bb.569:
	s_or_b32 exec_lo, exec_lo, s3
	s_delay_alu instid0(SALU_CYCLE_1)
	s_mov_b32 s3, exec_lo
	s_wait_loadcnt_dscnt 0x0
	s_barrier_signal -1
	s_barrier_wait -1
	global_inv scope:SCOPE_SE
	v_cmpx_gt_u32_e32 8, v0
	s_cbranch_execz .LBB590_571
; %bb.570:
	ds_load_b32 v1, v3 offset:256
	v_and_b32_e32 v4, 7, v2
	s_add_co_i32 s2, s2, 31
	s_wait_alu 0xfffe
	s_lshr_b32 s2, s2, 5
	s_delay_alu instid0(VALU_DEP_1) | instskip(SKIP_4) | instid1(VALU_DEP_2)
	v_cmp_ne_u32_e32 vcc_lo, 7, v4
	v_add_nc_u32_e32 v6, 1, v4
	s_wait_alu 0xfffd
	v_add_co_ci_u32_e64 v5, null, 0, v2, vcc_lo
	v_cmp_gt_u32_e32 vcc_lo, 6, v4
	v_lshlrev_b32_e32 v5, 2, v5
	s_wait_alu 0xfffd
	v_cndmask_b32_e64 v7, 0, 2, vcc_lo
	s_wait_alu 0xfffe
	v_cmp_gt_u32_e32 vcc_lo, s2, v6
	s_wait_dscnt 0x0
	ds_bpermute_b32 v5, v5, v1
	v_add_lshl_u32 v2, v7, v2, 2
	s_wait_dscnt 0x0
	s_wait_alu 0xfffd
	v_cndmask_b32_e32 v5, 0, v5, vcc_lo
	s_delay_alu instid0(VALU_DEP_1)
	v_add_nc_u32_e32 v1, v5, v1
	v_add_nc_u32_e32 v5, 2, v4
	ds_bpermute_b32 v2, v2, v1
	v_cmp_gt_u32_e32 vcc_lo, s2, v5
	s_wait_dscnt 0x0
	s_wait_alu 0xfffd
	v_cndmask_b32_e32 v2, 0, v2, vcc_lo
	s_delay_alu instid0(VALU_DEP_1)
	v_add_nc_u32_e32 v1, v1, v2
	v_or_b32_e32 v2, 16, v3
	v_add_nc_u32_e32 v3, 4, v4
	ds_bpermute_b32 v2, v2, v1
	v_cmp_gt_u32_e32 vcc_lo, s2, v3
	s_wait_dscnt 0x0
	s_wait_alu 0xfffd
	v_cndmask_b32_e32 v2, 0, v2, vcc_lo
	s_delay_alu instid0(VALU_DEP_1)
	v_add_nc_u32_e32 v1, v1, v2
.LBB590_571:
	s_wait_alu 0xfffe
	s_or_b32 exec_lo, exec_lo, s3
.LBB590_572:
	v_cmp_eq_u32_e64 s2, 0, v0
	s_branch .LBB590_623
.LBB590_573:
	s_mov_b32 s2, -1
                                        ; implicit-def: $vgpr1
.LBB590_574:
	s_wait_alu 0xfffe
	s_and_b32 vcc_lo, exec_lo, s2
	s_wait_alu 0xfffe
	s_cbranch_vccz .LBB590_596
; %bb.575:
	v_mov_b32_e32 v1, 0
	s_sub_co_i32 s10, s72, s20
	s_mov_b32 s3, exec_lo
	s_delay_alu instid0(VALU_DEP_1)
	v_dual_mov_b32 v2, v1 :: v_dual_mov_b32 v3, v1
	v_dual_mov_b32 v4, v1 :: v_dual_mov_b32 v5, v1
	v_dual_mov_b32 v6, v1 :: v_dual_mov_b32 v7, v1
	v_mov_b32_e32 v8, v1
	v_cmpx_gt_u32_e64 s10, v0
	s_cbranch_execz .LBB590_577
; %bb.576:
	v_lshlrev_b32_e32 v2, 3, v0
	v_dual_mov_b32 v8, v1 :: v_dual_mov_b32 v9, v1
	v_dual_mov_b32 v4, v1 :: v_dual_mov_b32 v5, v1
	global_load_b64 v[2:3], v2, s[18:19]
	v_dual_mov_b32 v6, v1 :: v_dual_mov_b32 v7, v1
	s_wait_loadcnt 0x0
	v_cmp_neq_f32_e32 vcc_lo, 0, v2
	v_cmp_neq_f32_e64 s2, 0, v3
	v_mov_b32_e32 v3, v1
	s_or_b32 s2, vcc_lo, s2
	s_wait_alu 0xfffe
	v_cndmask_b32_e64 v2, 0, 1, s2
	s_delay_alu instid0(VALU_DEP_1) | instskip(NEXT) | instid1(VALU_DEP_1)
	v_and_b32_e32 v2, 0xffff, v2
	v_mov_b32_e32 v1, v2
	v_mov_b32_e32 v2, v3
	;; [unrolled: 1-line block ×8, first 2 shown]
.LBB590_577:
	s_wait_alu 0xfffe
	s_or_b32 exec_lo, exec_lo, s3
	v_or_b32_e32 v9, 0x100, v0
	s_delay_alu instid0(VALU_DEP_1)
	v_cmp_gt_u32_e32 vcc_lo, s10, v9
	s_and_saveexec_b32 s4, vcc_lo
	s_cbranch_execz .LBB590_579
; %bb.578:
	v_lshlrev_b32_e32 v2, 3, v0
	global_load_b64 v[9:10], v2, s[18:19] offset:2048
	s_wait_loadcnt 0x0
	v_cmp_neq_f32_e64 s2, 0, v9
	v_cmp_neq_f32_e64 s3, 0, v10
	s_or_b32 s2, s2, s3
	s_wait_alu 0xfffe
	v_cndmask_b32_e64 v2, 0, 1, s2
.LBB590_579:
	s_or_b32 exec_lo, exec_lo, s4
	v_or_b32_e32 v9, 0x200, v0
	s_delay_alu instid0(VALU_DEP_1)
	v_cmp_gt_u32_e64 s2, s10, v9
	s_and_saveexec_b32 s5, s2
	s_cbranch_execz .LBB590_581
; %bb.580:
	v_lshlrev_b32_e32 v3, 3, v0
	global_load_b64 v[9:10], v3, s[18:19] offset:4096
	s_wait_loadcnt 0x0
	v_cmp_neq_f32_e64 s3, 0, v9
	v_cmp_neq_f32_e64 s4, 0, v10
	s_or_b32 s3, s3, s4
	s_wait_alu 0xfffe
	v_cndmask_b32_e64 v3, 0, 1, s3
.LBB590_581:
	s_or_b32 exec_lo, exec_lo, s5
	v_or_b32_e32 v9, 0x300, v0
	s_delay_alu instid0(VALU_DEP_1)
	v_cmp_gt_u32_e64 s3, s10, v9
	s_and_saveexec_b32 s6, s3
	s_cbranch_execz .LBB590_583
; %bb.582:
	v_lshlrev_b32_e32 v4, 3, v0
	global_load_b64 v[9:10], v4, s[18:19] offset:6144
	s_wait_loadcnt 0x0
	v_cmp_neq_f32_e64 s4, 0, v9
	v_cmp_neq_f32_e64 s5, 0, v10
	s_or_b32 s4, s4, s5
	s_delay_alu instid0(SALU_CYCLE_1)
	v_cndmask_b32_e64 v4, 0, 1, s4
.LBB590_583:
	s_or_b32 exec_lo, exec_lo, s6
	v_or_b32_e32 v9, 0x400, v0
	s_delay_alu instid0(VALU_DEP_1)
	v_cmp_gt_u32_e64 s4, s10, v9
	s_and_saveexec_b32 s7, s4
	s_cbranch_execz .LBB590_585
; %bb.584:
	v_lshlrev_b32_e32 v5, 3, v0
	global_load_b64 v[9:10], v5, s[18:19] offset:8192
	s_wait_loadcnt 0x0
	v_cmp_neq_f32_e64 s5, 0, v9
	v_cmp_neq_f32_e64 s6, 0, v10
	s_or_b32 s5, s5, s6
	s_wait_alu 0xfffe
	v_cndmask_b32_e64 v5, 0, 1, s5
.LBB590_585:
	s_or_b32 exec_lo, exec_lo, s7
	v_or_b32_e32 v9, 0x500, v0
	s_delay_alu instid0(VALU_DEP_1)
	v_cmp_gt_u32_e64 s5, s10, v9
	s_and_saveexec_b32 s8, s5
	s_cbranch_execz .LBB590_587
; %bb.586:
	v_lshlrev_b32_e32 v6, 3, v0
	global_load_b64 v[9:10], v6, s[18:19] offset:10240
	s_wait_loadcnt 0x0
	v_cmp_neq_f32_e64 s6, 0, v9
	v_cmp_neq_f32_e64 s7, 0, v10
	s_or_b32 s6, s6, s7
	s_delay_alu instid0(SALU_CYCLE_1)
	v_cndmask_b32_e64 v6, 0, 1, s6
.LBB590_587:
	;; [unrolled: 32-line block ×3, first 2 shown]
	s_wait_alu 0xfffe
	s_or_b32 exec_lo, exec_lo, s11
	v_cndmask_b32_e32 v2, 0, v2, vcc_lo
	v_cndmask_b32_e64 v3, 0, v3, s2
	v_cndmask_b32_e64 v4, 0, v4, s3
	;; [unrolled: 1-line block ×4, first 2 shown]
	v_add_nc_u32_e32 v1, v2, v1
	v_mbcnt_lo_u32_b32 v2, -1, 0
	v_cndmask_b32_e64 v7, 0, v7, s6
	s_min_u32 s2, s10, 0x100
	s_mov_b32 s3, exec_lo
	v_add3_u32 v1, v1, v3, v4
	v_cmp_ne_u32_e32 vcc_lo, 31, v2
	v_cndmask_b32_e64 v3, 0, v8, s7
	s_delay_alu instid0(VALU_DEP_3)
	v_add3_u32 v1, v1, v5, v6
	s_wait_alu 0xfffd
	v_add_co_ci_u32_e64 v4, null, 0, v2, vcc_lo
	v_add_nc_u32_e32 v5, 1, v2
	v_cmp_gt_u32_e32 vcc_lo, 30, v2
	v_add3_u32 v1, v1, v7, v3
	s_delay_alu instid0(VALU_DEP_4)
	v_lshlrev_b32_e32 v4, 2, v4
	s_wait_alu 0xfffd
	v_cndmask_b32_e64 v6, 0, 2, vcc_lo
	ds_bpermute_b32 v3, v4, v1
	v_and_b32_e32 v4, 0xe0, v0
	s_wait_alu 0xfffe
	s_delay_alu instid0(VALU_DEP_1) | instskip(NEXT) | instid1(VALU_DEP_1)
	v_sub_nc_u32_e64 v4, s2, v4 clamp
	v_cmp_lt_u32_e32 vcc_lo, v5, v4
	v_add_lshl_u32 v5, v6, v2, 2
	s_wait_dscnt 0x0
	s_wait_alu 0xfffd
	v_cndmask_b32_e32 v3, 0, v3, vcc_lo
	v_cmp_gt_u32_e32 vcc_lo, 28, v2
	s_delay_alu instid0(VALU_DEP_2) | instskip(SKIP_4) | instid1(VALU_DEP_1)
	v_add_nc_u32_e32 v1, v1, v3
	s_wait_alu 0xfffd
	v_cndmask_b32_e64 v6, 0, 4, vcc_lo
	ds_bpermute_b32 v3, v5, v1
	v_add_nc_u32_e32 v5, 2, v2
	v_cmp_lt_u32_e32 vcc_lo, v5, v4
	v_add_lshl_u32 v5, v6, v2, 2
	s_wait_dscnt 0x0
	s_wait_alu 0xfffd
	v_cndmask_b32_e32 v3, 0, v3, vcc_lo
	v_cmp_gt_u32_e32 vcc_lo, 24, v2
	s_delay_alu instid0(VALU_DEP_2) | instskip(SKIP_4) | instid1(VALU_DEP_1)
	v_add_nc_u32_e32 v1, v1, v3
	s_wait_alu 0xfffd
	v_cndmask_b32_e64 v6, 0, 8, vcc_lo
	ds_bpermute_b32 v3, v5, v1
	v_add_nc_u32_e32 v5, 4, v2
	v_cmp_lt_u32_e32 vcc_lo, v5, v4
	v_add_lshl_u32 v5, v6, v2, 2
	s_wait_dscnt 0x0
	s_wait_alu 0xfffd
	v_cndmask_b32_e32 v3, 0, v3, vcc_lo
	s_delay_alu instid0(VALU_DEP_1) | instskip(SKIP_3) | instid1(VALU_DEP_1)
	v_add_nc_u32_e32 v1, v1, v3
	v_lshlrev_b32_e32 v3, 2, v2
	ds_bpermute_b32 v5, v5, v1
	v_add_nc_u32_e32 v6, 8, v2
	v_cmp_lt_u32_e32 vcc_lo, v6, v4
	v_or_b32_e32 v6, 64, v3
	s_wait_dscnt 0x0
	s_wait_alu 0xfffd
	v_cndmask_b32_e32 v5, 0, v5, vcc_lo
	s_delay_alu instid0(VALU_DEP_1) | instskip(SKIP_2) | instid1(VALU_DEP_1)
	v_add_nc_u32_e32 v1, v1, v5
	ds_bpermute_b32 v5, v6, v1
	v_add_nc_u32_e32 v6, 16, v2
	v_cmp_lt_u32_e32 vcc_lo, v6, v4
	s_wait_dscnt 0x0
	s_wait_alu 0xfffd
	v_cndmask_b32_e32 v4, 0, v5, vcc_lo
	s_delay_alu instid0(VALU_DEP_1)
	v_add_nc_u32_e32 v1, v1, v4
	v_cmpx_eq_u32_e32 0, v2
; %bb.592:
	v_lshrrev_b32_e32 v4, 3, v0
	s_delay_alu instid0(VALU_DEP_1)
	v_and_b32_e32 v4, 28, v4
	ds_store_b32 v4, v1 offset:256
; %bb.593:
	s_or_b32 exec_lo, exec_lo, s3
	s_delay_alu instid0(SALU_CYCLE_1)
	s_mov_b32 s3, exec_lo
	s_wait_loadcnt_dscnt 0x0
	s_barrier_signal -1
	s_barrier_wait -1
	global_inv scope:SCOPE_SE
	v_cmpx_gt_u32_e32 8, v0
	s_cbranch_execz .LBB590_595
; %bb.594:
	ds_load_b32 v1, v3 offset:256
	v_and_b32_e32 v4, 7, v2
	s_add_co_i32 s2, s2, 31
	s_wait_alu 0xfffe
	s_lshr_b32 s2, s2, 5
	s_delay_alu instid0(VALU_DEP_1) | instskip(SKIP_4) | instid1(VALU_DEP_2)
	v_cmp_ne_u32_e32 vcc_lo, 7, v4
	v_add_nc_u32_e32 v6, 1, v4
	s_wait_alu 0xfffd
	v_add_co_ci_u32_e64 v5, null, 0, v2, vcc_lo
	v_cmp_gt_u32_e32 vcc_lo, 6, v4
	v_lshlrev_b32_e32 v5, 2, v5
	s_wait_alu 0xfffd
	v_cndmask_b32_e64 v7, 0, 2, vcc_lo
	s_wait_alu 0xfffe
	v_cmp_gt_u32_e32 vcc_lo, s2, v6
	s_wait_dscnt 0x0
	ds_bpermute_b32 v5, v5, v1
	v_add_lshl_u32 v2, v7, v2, 2
	s_wait_dscnt 0x0
	s_wait_alu 0xfffd
	v_cndmask_b32_e32 v5, 0, v5, vcc_lo
	s_delay_alu instid0(VALU_DEP_1)
	v_add_nc_u32_e32 v1, v5, v1
	v_add_nc_u32_e32 v5, 2, v4
	ds_bpermute_b32 v2, v2, v1
	v_cmp_gt_u32_e32 vcc_lo, s2, v5
	s_wait_dscnt 0x0
	s_wait_alu 0xfffd
	v_cndmask_b32_e32 v2, 0, v2, vcc_lo
	s_delay_alu instid0(VALU_DEP_1)
	v_add_nc_u32_e32 v1, v1, v2
	v_or_b32_e32 v2, 16, v3
	v_add_nc_u32_e32 v3, 4, v4
	ds_bpermute_b32 v2, v2, v1
	v_cmp_gt_u32_e32 vcc_lo, s2, v3
	s_wait_dscnt 0x0
	s_wait_alu 0xfffd
	v_cndmask_b32_e32 v2, 0, v2, vcc_lo
	s_delay_alu instid0(VALU_DEP_1)
	v_add_nc_u32_e32 v1, v1, v2
.LBB590_595:
	s_wait_alu 0xfffe
	s_or_b32 exec_lo, exec_lo, s3
.LBB590_596:
	v_cmp_eq_u32_e64 s2, 0, v0
.LBB590_597:
	s_branch .LBB590_623
.LBB590_598:
	s_mov_b32 s2, -1
                                        ; implicit-def: $vgpr1
.LBB590_599:
	s_wait_alu 0xfffe
	s_and_b32 vcc_lo, exec_lo, s2
	s_wait_alu 0xfffe
	s_cbranch_vccz .LBB590_613
; %bb.600:
	v_mov_b32_e32 v1, 0
	s_sub_co_i32 s6, s72, s12
	s_mov_b32 s3, exec_lo
	s_delay_alu instid0(VALU_DEP_1)
	v_dual_mov_b32 v2, v1 :: v_dual_mov_b32 v3, v1
	v_mov_b32_e32 v4, v1
	v_cmpx_gt_u32_e64 s6, v0
	s_cbranch_execz .LBB590_602
; %bb.601:
	v_lshlrev_b32_e32 v2, 3, v0
	v_dual_mov_b32 v4, v1 :: v_dual_mov_b32 v5, v1
	global_load_b64 v[2:3], v2, s[10:11]
	s_wait_loadcnt 0x0
	v_cmp_neq_f32_e32 vcc_lo, 0, v2
	v_cmp_neq_f32_e64 s2, 0, v3
	v_mov_b32_e32 v3, v1
	s_or_b32 s2, vcc_lo, s2
	s_wait_alu 0xfffe
	v_cndmask_b32_e64 v2, 0, 1, s2
	s_delay_alu instid0(VALU_DEP_1) | instskip(NEXT) | instid1(VALU_DEP_1)
	v_and_b32_e32 v2, 0xffff, v2
	v_mov_b32_e32 v1, v2
	v_mov_b32_e32 v2, v3
	;; [unrolled: 1-line block ×4, first 2 shown]
.LBB590_602:
	s_wait_alu 0xfffe
	s_or_b32 exec_lo, exec_lo, s3
	v_or_b32_e32 v5, 0x100, v0
	s_delay_alu instid0(VALU_DEP_1)
	v_cmp_gt_u32_e32 vcc_lo, s6, v5
	s_and_saveexec_b32 s4, vcc_lo
	s_cbranch_execz .LBB590_604
; %bb.603:
	v_lshlrev_b32_e32 v2, 3, v0
	global_load_b64 v[5:6], v2, s[10:11] offset:2048
	s_wait_loadcnt 0x0
	v_cmp_neq_f32_e64 s2, 0, v5
	v_cmp_neq_f32_e64 s3, 0, v6
	s_or_b32 s2, s2, s3
	s_wait_alu 0xfffe
	v_cndmask_b32_e64 v2, 0, 1, s2
.LBB590_604:
	s_or_b32 exec_lo, exec_lo, s4
	v_or_b32_e32 v5, 0x200, v0
	s_delay_alu instid0(VALU_DEP_1)
	v_cmp_gt_u32_e64 s2, s6, v5
	s_and_saveexec_b32 s5, s2
	s_cbranch_execz .LBB590_606
; %bb.605:
	v_lshlrev_b32_e32 v3, 3, v0
	global_load_b64 v[5:6], v3, s[10:11] offset:4096
	s_wait_loadcnt 0x0
	v_cmp_neq_f32_e64 s3, 0, v5
	v_cmp_neq_f32_e64 s4, 0, v6
	s_or_b32 s3, s3, s4
	s_wait_alu 0xfffe
	v_cndmask_b32_e64 v3, 0, 1, s3
.LBB590_606:
	s_or_b32 exec_lo, exec_lo, s5
	v_or_b32_e32 v5, 0x300, v0
	s_delay_alu instid0(VALU_DEP_1)
	v_cmp_gt_u32_e64 s3, s6, v5
	s_and_saveexec_b32 s7, s3
	s_cbranch_execz .LBB590_608
; %bb.607:
	v_lshlrev_b32_e32 v4, 3, v0
	global_load_b64 v[4:5], v4, s[10:11] offset:6144
	s_wait_loadcnt 0x0
	v_cmp_neq_f32_e64 s4, 0, v4
	v_cmp_neq_f32_e64 s5, 0, v5
	s_or_b32 s4, s4, s5
	s_delay_alu instid0(SALU_CYCLE_1)
	v_cndmask_b32_e64 v4, 0, 1, s4
.LBB590_608:
	s_wait_alu 0xfffe
	s_or_b32 exec_lo, exec_lo, s7
	v_cndmask_b32_e32 v5, 0, v2, vcc_lo
	v_mbcnt_lo_u32_b32 v2, -1, 0
	v_cndmask_b32_e64 v3, 0, v3, s2
	v_cndmask_b32_e64 v4, 0, v4, s3
	s_min_u32 s2, s6, 0x100
	v_add_nc_u32_e32 v1, v5, v1
	v_cmp_ne_u32_e32 vcc_lo, 31, v2
	s_mov_b32 s3, exec_lo
	s_delay_alu instid0(VALU_DEP_2) | instskip(SKIP_4) | instid1(VALU_DEP_3)
	v_add3_u32 v1, v1, v3, v4
	s_wait_alu 0xfffd
	v_add_co_ci_u32_e64 v5, null, 0, v2, vcc_lo
	v_and_b32_e32 v4, 0xe0, v0
	v_cmp_gt_u32_e32 vcc_lo, 30, v2
	v_lshlrev_b32_e32 v3, 2, v5
	v_add_nc_u32_e32 v5, 1, v2
	s_wait_alu 0xfffe
	v_sub_nc_u32_e64 v4, s2, v4 clamp
	s_wait_alu 0xfffd
	v_cndmask_b32_e64 v6, 0, 2, vcc_lo
	ds_bpermute_b32 v3, v3, v1
	v_cmp_lt_u32_e32 vcc_lo, v5, v4
	v_add_lshl_u32 v5, v6, v2, 2
	s_wait_dscnt 0x0
	s_wait_alu 0xfffd
	v_cndmask_b32_e32 v3, 0, v3, vcc_lo
	v_cmp_gt_u32_e32 vcc_lo, 28, v2
	s_delay_alu instid0(VALU_DEP_2) | instskip(SKIP_4) | instid1(VALU_DEP_1)
	v_add_nc_u32_e32 v1, v3, v1
	s_wait_alu 0xfffd
	v_cndmask_b32_e64 v6, 0, 4, vcc_lo
	ds_bpermute_b32 v3, v5, v1
	v_add_nc_u32_e32 v5, 2, v2
	v_cmp_lt_u32_e32 vcc_lo, v5, v4
	v_add_lshl_u32 v5, v6, v2, 2
	s_wait_dscnt 0x0
	s_wait_alu 0xfffd
	v_cndmask_b32_e32 v3, 0, v3, vcc_lo
	v_cmp_gt_u32_e32 vcc_lo, 24, v2
	s_delay_alu instid0(VALU_DEP_2) | instskip(SKIP_4) | instid1(VALU_DEP_1)
	v_add_nc_u32_e32 v1, v1, v3
	s_wait_alu 0xfffd
	v_cndmask_b32_e64 v6, 0, 8, vcc_lo
	ds_bpermute_b32 v3, v5, v1
	v_add_nc_u32_e32 v5, 4, v2
	v_cmp_lt_u32_e32 vcc_lo, v5, v4
	v_add_lshl_u32 v5, v6, v2, 2
	s_wait_dscnt 0x0
	s_wait_alu 0xfffd
	v_dual_cndmask_b32 v3, 0, v3 :: v_dual_add_nc_u32 v6, 8, v2
	s_delay_alu instid0(VALU_DEP_1) | instskip(NEXT) | instid1(VALU_DEP_2)
	v_cmp_lt_u32_e32 vcc_lo, v6, v4
	v_add_nc_u32_e32 v1, v1, v3
	v_lshlrev_b32_e32 v3, 2, v2
	ds_bpermute_b32 v5, v5, v1
	v_or_b32_e32 v6, 64, v3
	s_wait_dscnt 0x0
	s_wait_alu 0xfffd
	v_cndmask_b32_e32 v5, 0, v5, vcc_lo
	s_delay_alu instid0(VALU_DEP_1) | instskip(SKIP_2) | instid1(VALU_DEP_1)
	v_add_nc_u32_e32 v1, v1, v5
	ds_bpermute_b32 v5, v6, v1
	v_add_nc_u32_e32 v6, 16, v2
	v_cmp_lt_u32_e32 vcc_lo, v6, v4
	s_wait_dscnt 0x0
	s_wait_alu 0xfffd
	v_cndmask_b32_e32 v4, 0, v5, vcc_lo
	s_delay_alu instid0(VALU_DEP_1)
	v_add_nc_u32_e32 v1, v1, v4
	v_cmpx_eq_u32_e32 0, v2
; %bb.609:
	v_lshrrev_b32_e32 v4, 3, v0
	s_delay_alu instid0(VALU_DEP_1)
	v_and_b32_e32 v4, 28, v4
	ds_store_b32 v4, v1 offset:256
; %bb.610:
	s_or_b32 exec_lo, exec_lo, s3
	s_delay_alu instid0(SALU_CYCLE_1)
	s_mov_b32 s3, exec_lo
	s_wait_loadcnt_dscnt 0x0
	s_barrier_signal -1
	s_barrier_wait -1
	global_inv scope:SCOPE_SE
	v_cmpx_gt_u32_e32 8, v0
	s_cbranch_execz .LBB590_612
; %bb.611:
	ds_load_b32 v1, v3 offset:256
	v_and_b32_e32 v4, 7, v2
	s_add_co_i32 s2, s2, 31
	s_wait_alu 0xfffe
	s_lshr_b32 s2, s2, 5
	s_delay_alu instid0(VALU_DEP_1) | instskip(SKIP_4) | instid1(VALU_DEP_2)
	v_cmp_ne_u32_e32 vcc_lo, 7, v4
	v_add_nc_u32_e32 v6, 1, v4
	s_wait_alu 0xfffd
	v_add_co_ci_u32_e64 v5, null, 0, v2, vcc_lo
	v_cmp_gt_u32_e32 vcc_lo, 6, v4
	v_lshlrev_b32_e32 v5, 2, v5
	s_wait_alu 0xfffd
	v_cndmask_b32_e64 v7, 0, 2, vcc_lo
	s_wait_alu 0xfffe
	v_cmp_gt_u32_e32 vcc_lo, s2, v6
	s_wait_dscnt 0x0
	ds_bpermute_b32 v5, v5, v1
	v_add_lshl_u32 v2, v7, v2, 2
	s_wait_dscnt 0x0
	s_wait_alu 0xfffd
	v_cndmask_b32_e32 v5, 0, v5, vcc_lo
	s_delay_alu instid0(VALU_DEP_1)
	v_add_nc_u32_e32 v1, v5, v1
	v_add_nc_u32_e32 v5, 2, v4
	ds_bpermute_b32 v2, v2, v1
	v_cmp_gt_u32_e32 vcc_lo, s2, v5
	s_wait_dscnt 0x0
	s_wait_alu 0xfffd
	v_cndmask_b32_e32 v2, 0, v2, vcc_lo
	s_delay_alu instid0(VALU_DEP_1)
	v_add_nc_u32_e32 v1, v1, v2
	v_or_b32_e32 v2, 16, v3
	v_add_nc_u32_e32 v3, 4, v4
	ds_bpermute_b32 v2, v2, v1
	v_cmp_gt_u32_e32 vcc_lo, s2, v3
	s_wait_dscnt 0x0
	s_wait_alu 0xfffd
	v_cndmask_b32_e32 v2, 0, v2, vcc_lo
	s_delay_alu instid0(VALU_DEP_1)
	v_add_nc_u32_e32 v1, v1, v2
.LBB590_612:
	s_wait_alu 0xfffe
	s_or_b32 exec_lo, exec_lo, s3
.LBB590_613:
	v_cmp_eq_u32_e64 s2, 0, v0
	s_branch .LBB590_623
.LBB590_614:
	s_cmp_gt_i32 s93, 1
	s_cbranch_scc0 .LBB590_622
; %bb.615:
	s_cmp_eq_u32 s93, 2
	s_cbranch_scc0 .LBB590_626
; %bb.616:
	s_mov_b32 s67, 0
	s_lshl_b32 s8, s66, 9
	s_mov_b32 s9, s67
	s_wait_kmcnt 0x0
	s_lshr_b64 s[2:3], s[72:73], 9
	s_lshl_b64 s[4:5], s[8:9], 3
	s_cmp_lg_u64 s[2:3], s[66:67]
	s_add_nc_u64 s[6:7], s[76:77], s[4:5]
	s_cbranch_scc0 .LBB590_627
; %bb.617:
	v_lshlrev_b32_e32 v3, 3, v0
	s_clause 0x1
	global_load_b64 v[1:2], v3, s[6:7]
	global_load_b64 v[3:4], v3, s[6:7] offset:2048
	s_wait_loadcnt 0x1
	v_cmp_neq_f32_e32 vcc_lo, 0, v1
	v_cmp_neq_f32_e64 s2, 0, v2
	s_wait_loadcnt 0x0
	v_cmp_neq_f32_e64 s3, 0, v3
	v_cmp_neq_f32_e64 s4, 0, v4
	s_or_b32 s2, vcc_lo, s2
	s_delay_alu instid0(SALU_CYCLE_1) | instskip(SKIP_2) | instid1(VALU_DEP_1)
	v_cndmask_b32_e64 v1, 0, 1, s2
	s_or_b32 vcc_lo, s3, s4
	s_mov_b32 s2, exec_lo
	v_add_co_ci_u32_e64 v2, null, 0, v1, vcc_lo
	s_delay_alu instid0(VALU_DEP_1) | instskip(NEXT) | instid1(VALU_DEP_1)
	v_mov_b32_dpp v2, v2 quad_perm:[1,0,3,2] row_mask:0xf bank_mask:0xf
	v_add_co_ci_u32_e64 v1, null, v2, v1, vcc_lo
	s_delay_alu instid0(VALU_DEP_1) | instskip(NEXT) | instid1(VALU_DEP_1)
	v_mov_b32_dpp v2, v1 quad_perm:[2,3,0,1] row_mask:0xf bank_mask:0xf
	v_add_nc_u32_e32 v1, v1, v2
	s_delay_alu instid0(VALU_DEP_1) | instskip(NEXT) | instid1(VALU_DEP_1)
	v_mov_b32_dpp v2, v1 row_ror:4 row_mask:0xf bank_mask:0xf
	v_add_nc_u32_e32 v1, v1, v2
	s_delay_alu instid0(VALU_DEP_1) | instskip(NEXT) | instid1(VALU_DEP_1)
	v_mov_b32_dpp v2, v1 row_ror:8 row_mask:0xf bank_mask:0xf
	v_add_nc_u32_e32 v1, v1, v2
	ds_swizzle_b32 v2, v1 offset:swizzle(BROADCAST,32,15)
	s_wait_dscnt 0x0
	v_dual_mov_b32 v2, 0 :: v_dual_add_nc_u32 v1, v1, v2
	ds_bpermute_b32 v1, v2, v1 offset:124
	v_mbcnt_lo_u32_b32 v2, -1, 0
	s_delay_alu instid0(VALU_DEP_1)
	v_cmpx_eq_u32_e32 0, v2
	s_cbranch_execz .LBB590_619
; %bb.618:
	v_lshrrev_b32_e32 v3, 3, v0
	s_delay_alu instid0(VALU_DEP_1)
	v_and_b32_e32 v3, 28, v3
	s_wait_dscnt 0x0
	ds_store_b32 v3, v1 offset:96
.LBB590_619:
	s_wait_alu 0xfffe
	s_or_b32 exec_lo, exec_lo, s2
	s_delay_alu instid0(SALU_CYCLE_1)
	s_mov_b32 s2, exec_lo
	s_wait_dscnt 0x0
	s_barrier_signal -1
	s_barrier_wait -1
	global_inv scope:SCOPE_SE
	v_cmpx_gt_u32_e32 32, v0
	s_cbranch_execz .LBB590_621
; %bb.620:
	v_lshl_or_b32 v1, v2, 2, 0x60
	v_and_b32_e32 v3, 7, v2
	ds_load_b32 v1, v1
	v_cmp_ne_u32_e32 vcc_lo, 7, v3
	s_wait_alu 0xfffd
	v_add_co_ci_u32_e64 v4, null, 0, v2, vcc_lo
	v_cmp_gt_u32_e32 vcc_lo, 6, v3
	s_delay_alu instid0(VALU_DEP_2) | instskip(SKIP_2) | instid1(VALU_DEP_1)
	v_lshlrev_b32_e32 v4, 2, v4
	s_wait_alu 0xfffd
	v_cndmask_b32_e64 v3, 0, 2, vcc_lo
	v_add_lshl_u32 v3, v3, v2, 2
	v_lshlrev_b32_e32 v2, 2, v2
	s_wait_dscnt 0x0
	ds_bpermute_b32 v4, v4, v1
	v_or_b32_e32 v2, 16, v2
	s_wait_dscnt 0x0
	v_add_nc_u32_e32 v1, v4, v1
	ds_bpermute_b32 v3, v3, v1
	s_wait_dscnt 0x0
	v_add_nc_u32_e32 v1, v3, v1
	ds_bpermute_b32 v2, v2, v1
	s_wait_dscnt 0x0
	v_add_nc_u32_e32 v1, v2, v1
.LBB590_621:
	s_wait_alu 0xfffe
	s_or_b32 exec_lo, exec_lo, s2
	s_mov_b32 s2, 0
	s_branch .LBB590_628
.LBB590_622:
                                        ; implicit-def: $vgpr1
	s_cbranch_execnz .LBB590_639
.LBB590_623:
	s_delay_alu instid0(VALU_DEP_1)
	s_and_saveexec_b32 s3, s2
	s_cbranch_execz .LBB590_625
.LBB590_624:
	s_load_b32 s2, s[0:1], 0x28
	s_lshl_b64 s[0:1], s[66:67], 2
	s_wait_kmcnt 0x0
	s_cmp_lg_u64 s[72:73], 0
	s_add_nc_u64 s[0:1], s[74:75], s[0:1]
	s_cselect_b32 vcc_lo, -1, 0
	s_wait_alu 0xfffe
	v_dual_cndmask_b32 v0, 0, v1 :: v_dual_mov_b32 v1, 0
	s_delay_alu instid0(VALU_DEP_1)
	v_add_nc_u32_e32 v0, s2, v0
	global_store_b32 v1, v0, s[0:1]
.LBB590_625:
	s_nop 0
	s_sendmsg sendmsg(MSG_DEALLOC_VGPRS)
	s_endpgm
.LBB590_626:
                                        ; implicit-def: $vgpr1
	s_branch .LBB590_623
.LBB590_627:
	s_mov_b32 s2, -1
                                        ; implicit-def: $vgpr1
.LBB590_628:
	s_wait_alu 0xfffe
	s_and_b32 vcc_lo, exec_lo, s2
	s_wait_alu 0xfffe
	s_cbranch_vccz .LBB590_638
; %bb.629:
	v_mov_b32_e32 v1, 0
	s_sub_co_i32 s4, s72, s8
	s_mov_b32 s3, exec_lo
	s_delay_alu instid0(VALU_DEP_1)
	v_mov_b32_e32 v2, v1
	v_cmpx_gt_u32_e64 s4, v0
	s_cbranch_execz .LBB590_631
; %bb.630:
	v_lshlrev_b32_e32 v2, 3, v0
	global_load_b64 v[2:3], v2, s[6:7]
	s_wait_loadcnt 0x0
	v_cmp_neq_f32_e32 vcc_lo, 0, v2
	v_cmp_neq_f32_e64 s2, 0, v3
	v_mov_b32_e32 v3, v1
	s_or_b32 s2, vcc_lo, s2
	s_wait_alu 0xfffe
	v_cndmask_b32_e64 v2, 0, 1, s2
	s_delay_alu instid0(VALU_DEP_1) | instskip(NEXT) | instid1(VALU_DEP_1)
	v_and_b32_e32 v2, 0xffff, v2
	v_mov_b32_e32 v1, v2
	v_mov_b32_e32 v2, v3
.LBB590_631:
	s_wait_alu 0xfffe
	s_or_b32 exec_lo, exec_lo, s3
	v_or_b32_e32 v3, 0x100, v0
	s_delay_alu instid0(VALU_DEP_1)
	v_cmp_gt_u32_e32 vcc_lo, s4, v3
	s_and_saveexec_b32 s5, vcc_lo
	s_cbranch_execz .LBB590_633
; %bb.632:
	v_lshlrev_b32_e32 v2, 3, v0
	global_load_b64 v[2:3], v2, s[6:7] offset:2048
	s_wait_loadcnt 0x0
	v_cmp_neq_f32_e64 s2, 0, v2
	v_cmp_neq_f32_e64 s3, 0, v3
	s_or_b32 s2, s2, s3
	s_wait_alu 0xfffe
	v_cndmask_b32_e64 v2, 0, 1, s2
.LBB590_633:
	s_wait_alu 0xfffe
	s_or_b32 exec_lo, exec_lo, s5
	v_mbcnt_lo_u32_b32 v3, -1, 0
	s_delay_alu instid0(VALU_DEP_2) | instskip(SKIP_2) | instid1(VALU_DEP_2)
	v_cndmask_b32_e32 v2, 0, v2, vcc_lo
	s_min_u32 s2, s4, 0x100
	s_mov_b32 s3, exec_lo
	v_cmp_ne_u32_e32 vcc_lo, 31, v3
	v_add_nc_u32_e32 v5, 1, v3
	v_add_nc_u32_e32 v1, v2, v1
	s_wait_alu 0xfffd
	v_add_co_ci_u32_e64 v4, null, 0, v3, vcc_lo
	v_cmp_gt_u32_e32 vcc_lo, 30, v3
	s_delay_alu instid0(VALU_DEP_2)
	v_lshlrev_b32_e32 v2, 2, v4
	v_and_b32_e32 v4, 0xe0, v0
	s_wait_alu 0xfffd
	v_cndmask_b32_e64 v6, 0, 2, vcc_lo
	ds_bpermute_b32 v2, v2, v1
	s_wait_alu 0xfffe
	v_sub_nc_u32_e64 v4, s2, v4 clamp
	s_delay_alu instid0(VALU_DEP_1)
	v_cmp_lt_u32_e32 vcc_lo, v5, v4
	v_add_lshl_u32 v5, v6, v3, 2
	s_wait_dscnt 0x0
	s_wait_alu 0xfffd
	v_cndmask_b32_e32 v2, 0, v2, vcc_lo
	v_cmp_gt_u32_e32 vcc_lo, 28, v3
	s_delay_alu instid0(VALU_DEP_2) | instskip(SKIP_4) | instid1(VALU_DEP_1)
	v_add_nc_u32_e32 v1, v2, v1
	s_wait_alu 0xfffd
	v_cndmask_b32_e64 v6, 0, 4, vcc_lo
	ds_bpermute_b32 v2, v5, v1
	v_add_nc_u32_e32 v5, 2, v3
	v_cmp_lt_u32_e32 vcc_lo, v5, v4
	v_add_lshl_u32 v5, v6, v3, 2
	s_wait_dscnt 0x0
	s_wait_alu 0xfffd
	v_cndmask_b32_e32 v2, 0, v2, vcc_lo
	v_cmp_gt_u32_e32 vcc_lo, 24, v3
	s_delay_alu instid0(VALU_DEP_2) | instskip(SKIP_4) | instid1(VALU_DEP_1)
	v_add_nc_u32_e32 v1, v1, v2
	s_wait_alu 0xfffd
	v_cndmask_b32_e64 v6, 0, 8, vcc_lo
	ds_bpermute_b32 v2, v5, v1
	v_add_nc_u32_e32 v5, 4, v3
	v_cmp_lt_u32_e32 vcc_lo, v5, v4
	v_add_lshl_u32 v5, v6, v3, 2
	v_add_nc_u32_e32 v6, 8, v3
	s_wait_dscnt 0x0
	s_wait_alu 0xfffd
	v_cndmask_b32_e32 v2, 0, v2, vcc_lo
	s_delay_alu instid0(VALU_DEP_2) | instskip(NEXT) | instid1(VALU_DEP_2)
	v_cmp_lt_u32_e32 vcc_lo, v6, v4
	v_add_nc_u32_e32 v1, v1, v2
	v_lshlrev_b32_e32 v2, 2, v3
	ds_bpermute_b32 v5, v5, v1
	v_or_b32_e32 v6, 64, v2
	s_wait_dscnt 0x0
	s_wait_alu 0xfffd
	v_cndmask_b32_e32 v5, 0, v5, vcc_lo
	s_delay_alu instid0(VALU_DEP_1) | instskip(SKIP_2) | instid1(VALU_DEP_1)
	v_add_nc_u32_e32 v1, v1, v5
	ds_bpermute_b32 v5, v6, v1
	v_add_nc_u32_e32 v6, 16, v3
	v_cmp_lt_u32_e32 vcc_lo, v6, v4
	s_wait_dscnt 0x0
	s_wait_alu 0xfffd
	v_cndmask_b32_e32 v4, 0, v5, vcc_lo
	s_delay_alu instid0(VALU_DEP_1)
	v_add_nc_u32_e32 v1, v1, v4
	v_cmpx_eq_u32_e32 0, v3
; %bb.634:
	v_lshrrev_b32_e32 v4, 3, v0
	s_delay_alu instid0(VALU_DEP_1)
	v_and_b32_e32 v4, 28, v4
	ds_store_b32 v4, v1 offset:256
; %bb.635:
	s_or_b32 exec_lo, exec_lo, s3
	s_delay_alu instid0(SALU_CYCLE_1)
	s_mov_b32 s3, exec_lo
	s_wait_loadcnt_dscnt 0x0
	s_barrier_signal -1
	s_barrier_wait -1
	global_inv scope:SCOPE_SE
	v_cmpx_gt_u32_e32 8, v0
	s_cbranch_execz .LBB590_637
; %bb.636:
	ds_load_b32 v1, v2 offset:256
	v_and_b32_e32 v4, 7, v3
	s_add_co_i32 s2, s2, 31
	v_or_b32_e32 v2, 16, v2
	s_wait_alu 0xfffe
	s_lshr_b32 s2, s2, 5
	v_cmp_ne_u32_e32 vcc_lo, 7, v4
	v_add_nc_u32_e32 v6, 1, v4
	s_wait_alu 0xfffd
	v_add_co_ci_u32_e64 v5, null, 0, v3, vcc_lo
	v_cmp_gt_u32_e32 vcc_lo, 6, v4
	s_delay_alu instid0(VALU_DEP_2)
	v_lshlrev_b32_e32 v5, 2, v5
	s_wait_alu 0xfffd
	v_cndmask_b32_e64 v7, 0, 2, vcc_lo
	s_wait_alu 0xfffe
	v_cmp_gt_u32_e32 vcc_lo, s2, v6
	s_wait_dscnt 0x0
	ds_bpermute_b32 v5, v5, v1
	v_add_lshl_u32 v3, v7, v3, 2
	s_wait_dscnt 0x0
	s_wait_alu 0xfffd
	v_cndmask_b32_e32 v5, 0, v5, vcc_lo
	s_delay_alu instid0(VALU_DEP_1)
	v_add_nc_u32_e32 v1, v5, v1
	v_add_nc_u32_e32 v5, 2, v4
	ds_bpermute_b32 v3, v3, v1
	v_cmp_gt_u32_e32 vcc_lo, s2, v5
	s_wait_dscnt 0x0
	s_wait_alu 0xfffd
	v_cndmask_b32_e32 v3, 0, v3, vcc_lo
	s_delay_alu instid0(VALU_DEP_1)
	v_add_nc_u32_e32 v1, v1, v3
	v_add_nc_u32_e32 v3, 4, v4
	ds_bpermute_b32 v2, v2, v1
	v_cmp_gt_u32_e32 vcc_lo, s2, v3
	s_wait_dscnt 0x0
	s_wait_alu 0xfffd
	v_cndmask_b32_e32 v2, 0, v2, vcc_lo
	s_delay_alu instid0(VALU_DEP_1)
	v_add_nc_u32_e32 v1, v1, v2
.LBB590_637:
	s_wait_alu 0xfffe
	s_or_b32 exec_lo, exec_lo, s3
.LBB590_638:
	v_cmp_eq_u32_e64 s2, 0, v0
	s_branch .LBB590_623
.LBB590_639:
	s_cmp_eq_u32 s93, 1
	s_cbranch_scc0 .LBB590_647
; %bb.640:
	s_mov_b32 s5, 0
	v_mbcnt_lo_u32_b32 v2, -1, 0
	s_wait_kmcnt 0x0
	s_lshr_b64 s[2:3], s[72:73], 8
	s_mov_b32 s67, s5
	s_lshl_b32 s4, s66, 8
	s_cmp_lg_u64 s[2:3], s[66:67]
	s_cbranch_scc0 .LBB590_648
; %bb.641:
	v_lshlrev_b32_e32 v1, 3, v0
	s_lshl_b64 s[2:3], s[4:5], 3
	s_delay_alu instid0(SALU_CYCLE_1)
	s_add_nc_u64 s[2:3], s[76:77], s[2:3]
	global_load_b64 v[3:4], v1, s[2:3]
	s_wait_loadcnt 0x0
	v_cmp_neq_f32_e32 vcc_lo, 0, v3
	v_cmp_neq_f32_e64 s2, 0, v4
	s_or_b32 vcc_lo, vcc_lo, s2
	s_mov_b32 s2, exec_lo
	v_cndmask_b32_e64 v1, 0, 1, vcc_lo
	s_delay_alu instid0(VALU_DEP_1) | instskip(NEXT) | instid1(VALU_DEP_1)
	v_mov_b32_dpp v1, v1 quad_perm:[1,0,3,2] row_mask:0xf bank_mask:0xf
	v_add_co_ci_u32_e64 v3, null, 0, v1, vcc_lo
	s_delay_alu instid0(VALU_DEP_1) | instskip(NEXT) | instid1(VALU_DEP_1)
	v_mov_b32_dpp v3, v3 quad_perm:[2,3,0,1] row_mask:0xf bank_mask:0xf
	v_add_co_ci_u32_e64 v1, null, v3, v1, vcc_lo
	s_delay_alu instid0(VALU_DEP_1) | instskip(NEXT) | instid1(VALU_DEP_1)
	v_mov_b32_dpp v3, v1 row_ror:4 row_mask:0xf bank_mask:0xf
	v_add_nc_u32_e32 v1, v1, v3
	s_delay_alu instid0(VALU_DEP_1) | instskip(NEXT) | instid1(VALU_DEP_1)
	v_mov_b32_dpp v3, v1 row_ror:8 row_mask:0xf bank_mask:0xf
	v_add_nc_u32_e32 v1, v1, v3
	ds_swizzle_b32 v3, v1 offset:swizzle(BROADCAST,32,15)
	s_wait_dscnt 0x0
	v_add_nc_u32_e32 v1, v1, v3
	v_mov_b32_e32 v3, 0
	ds_bpermute_b32 v1, v3, v1 offset:124
	v_cmpx_eq_u32_e32 0, v2
	s_cbranch_execz .LBB590_643
; %bb.642:
	v_lshrrev_b32_e32 v3, 3, v0
	s_delay_alu instid0(VALU_DEP_1)
	v_and_b32_e32 v3, 28, v3
	s_wait_dscnt 0x0
	ds_store_b32 v3, v1 offset:64
.LBB590_643:
	s_or_b32 exec_lo, exec_lo, s2
	s_delay_alu instid0(SALU_CYCLE_1)
	s_mov_b32 s2, exec_lo
	s_wait_dscnt 0x0
	s_barrier_signal -1
	s_barrier_wait -1
	global_inv scope:SCOPE_SE
	v_cmpx_gt_u32_e32 32, v0
	s_cbranch_execz .LBB590_645
; %bb.644:
	v_and_b32_e32 v1, 7, v2
	s_delay_alu instid0(VALU_DEP_1)
	v_lshlrev_b32_e32 v3, 2, v1
	v_cmp_ne_u32_e32 vcc_lo, 7, v1
	ds_load_b32 v3, v3 offset:64
	s_wait_alu 0xfffd
	v_add_co_ci_u32_e64 v4, null, 0, v2, vcc_lo
	v_cmp_gt_u32_e32 vcc_lo, 6, v1
	s_delay_alu instid0(VALU_DEP_2) | instskip(SKIP_2) | instid1(VALU_DEP_1)
	v_lshlrev_b32_e32 v4, 2, v4
	s_wait_alu 0xfffd
	v_cndmask_b32_e64 v1, 0, 2, vcc_lo
	v_add_lshl_u32 v1, v1, v2, 2
	s_wait_dscnt 0x0
	ds_bpermute_b32 v4, v4, v3
	s_wait_dscnt 0x0
	v_add_nc_u32_e32 v3, v4, v3
	v_lshlrev_b32_e32 v4, 2, v2
	ds_bpermute_b32 v1, v1, v3
	s_wait_dscnt 0x0
	v_add_nc_u32_e32 v1, v1, v3
	v_or_b32_e32 v3, 16, v4
	ds_bpermute_b32 v3, v3, v1
	s_wait_dscnt 0x0
	v_add_nc_u32_e32 v1, v3, v1
.LBB590_645:
	s_or_b32 exec_lo, exec_lo, s2
.LBB590_646:
	v_cmp_eq_u32_e64 s2, 0, v0
	s_and_saveexec_b32 s3, s2
	s_cbranch_execnz .LBB590_624
	s_branch .LBB590_625
.LBB590_647:
                                        ; implicit-def: $vgpr1
                                        ; implicit-def: $sgpr66_sgpr67
	s_and_saveexec_b32 s3, s2
	s_cbranch_execz .LBB590_625
	s_branch .LBB590_624
.LBB590_648:
                                        ; implicit-def: $vgpr1
	s_cbranch_execz .LBB590_646
; %bb.649:
	s_sub_co_i32 s3, s72, s4
	s_mov_b32 s6, exec_lo
                                        ; implicit-def: $vgpr1
	v_cmpx_gt_u32_e64 s3, v0
	s_cbranch_execz .LBB590_651
; %bb.650:
	v_lshlrev_b32_e32 v1, 3, v0
	s_lshl_b64 s[4:5], s[4:5], 3
	s_delay_alu instid0(SALU_CYCLE_1)
	s_add_nc_u64 s[4:5], s[76:77], s[4:5]
	global_load_b64 v[3:4], v1, s[4:5]
	s_wait_loadcnt 0x0
	v_cmp_neq_f32_e32 vcc_lo, 0, v3
	v_cmp_neq_f32_e64 s2, 0, v4
	s_or_b32 s2, vcc_lo, s2
	s_wait_alu 0xfffe
	v_cndmask_b32_e64 v1, 0, 1, s2
.LBB590_651:
	s_or_b32 exec_lo, exec_lo, s6
	v_cmp_ne_u32_e32 vcc_lo, 31, v2
	s_min_u32 s2, s3, 0x100
	v_add_nc_u32_e32 v5, 1, v2
	s_mov_b32 s3, exec_lo
	v_add_co_ci_u32_e64 v3, null, 0, v2, vcc_lo
	v_cmp_gt_u32_e32 vcc_lo, 30, v2
	s_delay_alu instid0(VALU_DEP_2)
	v_lshlrev_b32_e32 v3, 2, v3
	s_wait_alu 0xfffd
	v_cndmask_b32_e64 v6, 0, 2, vcc_lo
	ds_bpermute_b32 v3, v3, v1
	v_and_b32_e32 v4, 0xe0, v0
	s_wait_alu 0xfffe
	s_delay_alu instid0(VALU_DEP_1) | instskip(NEXT) | instid1(VALU_DEP_1)
	v_sub_nc_u32_e64 v4, s2, v4 clamp
	v_cmp_lt_u32_e32 vcc_lo, v5, v4
	v_add_lshl_u32 v5, v6, v2, 2
	s_wait_dscnt 0x0
	s_wait_alu 0xfffd
	v_cndmask_b32_e32 v3, 0, v3, vcc_lo
	v_cmp_gt_u32_e32 vcc_lo, 28, v2
	s_delay_alu instid0(VALU_DEP_2) | instskip(SKIP_4) | instid1(VALU_DEP_1)
	v_add_nc_u32_e32 v1, v3, v1
	s_wait_alu 0xfffd
	v_cndmask_b32_e64 v6, 0, 4, vcc_lo
	ds_bpermute_b32 v3, v5, v1
	v_add_nc_u32_e32 v5, 2, v2
	v_cmp_lt_u32_e32 vcc_lo, v5, v4
	v_add_lshl_u32 v5, v6, v2, 2
	s_wait_dscnt 0x0
	s_wait_alu 0xfffd
	v_cndmask_b32_e32 v3, 0, v3, vcc_lo
	v_cmp_gt_u32_e32 vcc_lo, 24, v2
	s_delay_alu instid0(VALU_DEP_2) | instskip(SKIP_4) | instid1(VALU_DEP_1)
	v_add_nc_u32_e32 v1, v1, v3
	s_wait_alu 0xfffd
	v_cndmask_b32_e64 v6, 0, 8, vcc_lo
	ds_bpermute_b32 v3, v5, v1
	v_add_nc_u32_e32 v5, 4, v2
	v_cmp_lt_u32_e32 vcc_lo, v5, v4
	v_add_lshl_u32 v5, v6, v2, 2
	s_wait_dscnt 0x0
	s_wait_alu 0xfffd
	v_dual_cndmask_b32 v3, 0, v3 :: v_dual_add_nc_u32 v6, 8, v2
	s_delay_alu instid0(VALU_DEP_1) | instskip(NEXT) | instid1(VALU_DEP_2)
	v_cmp_lt_u32_e32 vcc_lo, v6, v4
	v_add_nc_u32_e32 v1, v1, v3
	v_lshlrev_b32_e32 v3, 2, v2
	ds_bpermute_b32 v5, v5, v1
	v_or_b32_e32 v6, 64, v3
	s_wait_dscnt 0x0
	s_wait_alu 0xfffd
	v_cndmask_b32_e32 v5, 0, v5, vcc_lo
	s_delay_alu instid0(VALU_DEP_1) | instskip(SKIP_2) | instid1(VALU_DEP_1)
	v_add_nc_u32_e32 v1, v1, v5
	ds_bpermute_b32 v5, v6, v1
	v_add_nc_u32_e32 v6, 16, v2
	v_cmp_lt_u32_e32 vcc_lo, v6, v4
	s_wait_dscnt 0x0
	s_wait_alu 0xfffd
	v_cndmask_b32_e32 v4, 0, v5, vcc_lo
	s_delay_alu instid0(VALU_DEP_1)
	v_add_nc_u32_e32 v1, v1, v4
	v_cmpx_eq_u32_e32 0, v2
; %bb.652:
	v_lshrrev_b32_e32 v4, 3, v0
	s_delay_alu instid0(VALU_DEP_1)
	v_and_b32_e32 v4, 28, v4
	ds_store_b32 v4, v1 offset:256
; %bb.653:
	s_or_b32 exec_lo, exec_lo, s3
	s_delay_alu instid0(SALU_CYCLE_1)
	s_mov_b32 s3, exec_lo
	s_wait_loadcnt_dscnt 0x0
	s_barrier_signal -1
	s_barrier_wait -1
	global_inv scope:SCOPE_SE
	v_cmpx_gt_u32_e32 8, v0
	s_cbranch_execz .LBB590_655
; %bb.654:
	ds_load_b32 v1, v3 offset:256
	v_and_b32_e32 v4, 7, v2
	s_add_co_i32 s2, s2, 31
	s_wait_alu 0xfffe
	s_lshr_b32 s2, s2, 5
	s_delay_alu instid0(VALU_DEP_1) | instskip(SKIP_4) | instid1(VALU_DEP_2)
	v_cmp_ne_u32_e32 vcc_lo, 7, v4
	v_add_nc_u32_e32 v6, 1, v4
	s_wait_alu 0xfffd
	v_add_co_ci_u32_e64 v5, null, 0, v2, vcc_lo
	v_cmp_gt_u32_e32 vcc_lo, 6, v4
	v_lshlrev_b32_e32 v5, 2, v5
	s_wait_alu 0xfffd
	v_cndmask_b32_e64 v7, 0, 2, vcc_lo
	s_wait_alu 0xfffe
	v_cmp_gt_u32_e32 vcc_lo, s2, v6
	s_wait_dscnt 0x0
	ds_bpermute_b32 v5, v5, v1
	v_add_lshl_u32 v2, v7, v2, 2
	s_wait_dscnt 0x0
	s_wait_alu 0xfffd
	v_cndmask_b32_e32 v5, 0, v5, vcc_lo
	s_delay_alu instid0(VALU_DEP_1)
	v_add_nc_u32_e32 v1, v5, v1
	v_add_nc_u32_e32 v5, 2, v4
	ds_bpermute_b32 v2, v2, v1
	v_cmp_gt_u32_e32 vcc_lo, s2, v5
	s_wait_dscnt 0x0
	s_wait_alu 0xfffd
	v_cndmask_b32_e32 v2, 0, v2, vcc_lo
	s_delay_alu instid0(VALU_DEP_1)
	v_add_nc_u32_e32 v1, v1, v2
	v_or_b32_e32 v2, 16, v3
	v_add_nc_u32_e32 v3, 4, v4
	ds_bpermute_b32 v2, v2, v1
	v_cmp_gt_u32_e32 vcc_lo, s2, v3
	s_wait_dscnt 0x0
	s_wait_alu 0xfffd
	v_cndmask_b32_e32 v2, 0, v2, vcc_lo
	s_delay_alu instid0(VALU_DEP_1)
	v_add_nc_u32_e32 v1, v1, v2
.LBB590_655:
	s_wait_alu 0xfffe
	s_or_b32 exec_lo, exec_lo, s3
	v_cmp_eq_u32_e64 s2, 0, v0
	s_and_saveexec_b32 s3, s2
	s_cbranch_execnz .LBB590_624
	s_branch .LBB590_625
	.section	.rodata,"a",@progbits
	.p2align	6, 0x0
	.amdhsa_kernel _ZN7rocprim17ROCPRIM_400000_NS6detail17trampoline_kernelINS0_14default_configENS1_22reduce_config_selectorIbEEZNS1_11reduce_implILb1ES3_N6hipcub16HIPCUB_304000_NS22TransformInputIteratorIbN2at6native12_GLOBAL__N_19NonZeroOpIN3c107complexIfEEEEPKSG_lEEPiiNS8_6detail34convert_binary_result_type_wrapperINS8_3SumESK_iEEEE10hipError_tPvRmT1_T2_T3_mT4_P12ihipStream_tbEUlT_E1_NS1_11comp_targetILNS1_3genE10ELNS1_11target_archE1201ELNS1_3gpuE5ELNS1_3repE0EEENS1_30default_config_static_selectorELNS0_4arch9wavefront6targetE0EEEvST_
		.amdhsa_group_segment_fixed_size 288
		.amdhsa_private_segment_fixed_size 0
		.amdhsa_kernarg_size 48
		.amdhsa_user_sgpr_count 2
		.amdhsa_user_sgpr_dispatch_ptr 0
		.amdhsa_user_sgpr_queue_ptr 0
		.amdhsa_user_sgpr_kernarg_segment_ptr 1
		.amdhsa_user_sgpr_dispatch_id 0
		.amdhsa_user_sgpr_private_segment_size 0
		.amdhsa_wavefront_size32 1
		.amdhsa_uses_dynamic_stack 0
		.amdhsa_enable_private_segment 0
		.amdhsa_system_sgpr_workgroup_id_x 1
		.amdhsa_system_sgpr_workgroup_id_y 0
		.amdhsa_system_sgpr_workgroup_id_z 0
		.amdhsa_system_sgpr_workgroup_info 0
		.amdhsa_system_vgpr_workitem_id 0
		.amdhsa_next_free_vgpr 131
		.amdhsa_next_free_sgpr 105
		.amdhsa_reserve_vcc 1
		.amdhsa_float_round_mode_32 0
		.amdhsa_float_round_mode_16_64 0
		.amdhsa_float_denorm_mode_32 3
		.amdhsa_float_denorm_mode_16_64 3
		.amdhsa_fp16_overflow 0
		.amdhsa_workgroup_processor_mode 1
		.amdhsa_memory_ordered 1
		.amdhsa_forward_progress 1
		.amdhsa_inst_pref_size 255
		.amdhsa_round_robin_scheduling 0
		.amdhsa_exception_fp_ieee_invalid_op 0
		.amdhsa_exception_fp_denorm_src 0
		.amdhsa_exception_fp_ieee_div_zero 0
		.amdhsa_exception_fp_ieee_overflow 0
		.amdhsa_exception_fp_ieee_underflow 0
		.amdhsa_exception_fp_ieee_inexact 0
		.amdhsa_exception_int_div_zero 0
	.end_amdhsa_kernel
	.section	.text._ZN7rocprim17ROCPRIM_400000_NS6detail17trampoline_kernelINS0_14default_configENS1_22reduce_config_selectorIbEEZNS1_11reduce_implILb1ES3_N6hipcub16HIPCUB_304000_NS22TransformInputIteratorIbN2at6native12_GLOBAL__N_19NonZeroOpIN3c107complexIfEEEEPKSG_lEEPiiNS8_6detail34convert_binary_result_type_wrapperINS8_3SumESK_iEEEE10hipError_tPvRmT1_T2_T3_mT4_P12ihipStream_tbEUlT_E1_NS1_11comp_targetILNS1_3genE10ELNS1_11target_archE1201ELNS1_3gpuE5ELNS1_3repE0EEENS1_30default_config_static_selectorELNS0_4arch9wavefront6targetE0EEEvST_,"axG",@progbits,_ZN7rocprim17ROCPRIM_400000_NS6detail17trampoline_kernelINS0_14default_configENS1_22reduce_config_selectorIbEEZNS1_11reduce_implILb1ES3_N6hipcub16HIPCUB_304000_NS22TransformInputIteratorIbN2at6native12_GLOBAL__N_19NonZeroOpIN3c107complexIfEEEEPKSG_lEEPiiNS8_6detail34convert_binary_result_type_wrapperINS8_3SumESK_iEEEE10hipError_tPvRmT1_T2_T3_mT4_P12ihipStream_tbEUlT_E1_NS1_11comp_targetILNS1_3genE10ELNS1_11target_archE1201ELNS1_3gpuE5ELNS1_3repE0EEENS1_30default_config_static_selectorELNS0_4arch9wavefront6targetE0EEEvST_,comdat
.Lfunc_end590:
	.size	_ZN7rocprim17ROCPRIM_400000_NS6detail17trampoline_kernelINS0_14default_configENS1_22reduce_config_selectorIbEEZNS1_11reduce_implILb1ES3_N6hipcub16HIPCUB_304000_NS22TransformInputIteratorIbN2at6native12_GLOBAL__N_19NonZeroOpIN3c107complexIfEEEEPKSG_lEEPiiNS8_6detail34convert_binary_result_type_wrapperINS8_3SumESK_iEEEE10hipError_tPvRmT1_T2_T3_mT4_P12ihipStream_tbEUlT_E1_NS1_11comp_targetILNS1_3genE10ELNS1_11target_archE1201ELNS1_3gpuE5ELNS1_3repE0EEENS1_30default_config_static_selectorELNS0_4arch9wavefront6targetE0EEEvST_, .Lfunc_end590-_ZN7rocprim17ROCPRIM_400000_NS6detail17trampoline_kernelINS0_14default_configENS1_22reduce_config_selectorIbEEZNS1_11reduce_implILb1ES3_N6hipcub16HIPCUB_304000_NS22TransformInputIteratorIbN2at6native12_GLOBAL__N_19NonZeroOpIN3c107complexIfEEEEPKSG_lEEPiiNS8_6detail34convert_binary_result_type_wrapperINS8_3SumESK_iEEEE10hipError_tPvRmT1_T2_T3_mT4_P12ihipStream_tbEUlT_E1_NS1_11comp_targetILNS1_3genE10ELNS1_11target_archE1201ELNS1_3gpuE5ELNS1_3repE0EEENS1_30default_config_static_selectorELNS0_4arch9wavefront6targetE0EEEvST_
                                        ; -- End function
	.set _ZN7rocprim17ROCPRIM_400000_NS6detail17trampoline_kernelINS0_14default_configENS1_22reduce_config_selectorIbEEZNS1_11reduce_implILb1ES3_N6hipcub16HIPCUB_304000_NS22TransformInputIteratorIbN2at6native12_GLOBAL__N_19NonZeroOpIN3c107complexIfEEEEPKSG_lEEPiiNS8_6detail34convert_binary_result_type_wrapperINS8_3SumESK_iEEEE10hipError_tPvRmT1_T2_T3_mT4_P12ihipStream_tbEUlT_E1_NS1_11comp_targetILNS1_3genE10ELNS1_11target_archE1201ELNS1_3gpuE5ELNS1_3repE0EEENS1_30default_config_static_selectorELNS0_4arch9wavefront6targetE0EEEvST_.num_vgpr, 131
	.set _ZN7rocprim17ROCPRIM_400000_NS6detail17trampoline_kernelINS0_14default_configENS1_22reduce_config_selectorIbEEZNS1_11reduce_implILb1ES3_N6hipcub16HIPCUB_304000_NS22TransformInputIteratorIbN2at6native12_GLOBAL__N_19NonZeroOpIN3c107complexIfEEEEPKSG_lEEPiiNS8_6detail34convert_binary_result_type_wrapperINS8_3SumESK_iEEEE10hipError_tPvRmT1_T2_T3_mT4_P12ihipStream_tbEUlT_E1_NS1_11comp_targetILNS1_3genE10ELNS1_11target_archE1201ELNS1_3gpuE5ELNS1_3repE0EEENS1_30default_config_static_selectorELNS0_4arch9wavefront6targetE0EEEvST_.num_agpr, 0
	.set _ZN7rocprim17ROCPRIM_400000_NS6detail17trampoline_kernelINS0_14default_configENS1_22reduce_config_selectorIbEEZNS1_11reduce_implILb1ES3_N6hipcub16HIPCUB_304000_NS22TransformInputIteratorIbN2at6native12_GLOBAL__N_19NonZeroOpIN3c107complexIfEEEEPKSG_lEEPiiNS8_6detail34convert_binary_result_type_wrapperINS8_3SumESK_iEEEE10hipError_tPvRmT1_T2_T3_mT4_P12ihipStream_tbEUlT_E1_NS1_11comp_targetILNS1_3genE10ELNS1_11target_archE1201ELNS1_3gpuE5ELNS1_3repE0EEENS1_30default_config_static_selectorELNS0_4arch9wavefront6targetE0EEEvST_.numbered_sgpr, 105
	.set _ZN7rocprim17ROCPRIM_400000_NS6detail17trampoline_kernelINS0_14default_configENS1_22reduce_config_selectorIbEEZNS1_11reduce_implILb1ES3_N6hipcub16HIPCUB_304000_NS22TransformInputIteratorIbN2at6native12_GLOBAL__N_19NonZeroOpIN3c107complexIfEEEEPKSG_lEEPiiNS8_6detail34convert_binary_result_type_wrapperINS8_3SumESK_iEEEE10hipError_tPvRmT1_T2_T3_mT4_P12ihipStream_tbEUlT_E1_NS1_11comp_targetILNS1_3genE10ELNS1_11target_archE1201ELNS1_3gpuE5ELNS1_3repE0EEENS1_30default_config_static_selectorELNS0_4arch9wavefront6targetE0EEEvST_.num_named_barrier, 0
	.set _ZN7rocprim17ROCPRIM_400000_NS6detail17trampoline_kernelINS0_14default_configENS1_22reduce_config_selectorIbEEZNS1_11reduce_implILb1ES3_N6hipcub16HIPCUB_304000_NS22TransformInputIteratorIbN2at6native12_GLOBAL__N_19NonZeroOpIN3c107complexIfEEEEPKSG_lEEPiiNS8_6detail34convert_binary_result_type_wrapperINS8_3SumESK_iEEEE10hipError_tPvRmT1_T2_T3_mT4_P12ihipStream_tbEUlT_E1_NS1_11comp_targetILNS1_3genE10ELNS1_11target_archE1201ELNS1_3gpuE5ELNS1_3repE0EEENS1_30default_config_static_selectorELNS0_4arch9wavefront6targetE0EEEvST_.private_seg_size, 0
	.set _ZN7rocprim17ROCPRIM_400000_NS6detail17trampoline_kernelINS0_14default_configENS1_22reduce_config_selectorIbEEZNS1_11reduce_implILb1ES3_N6hipcub16HIPCUB_304000_NS22TransformInputIteratorIbN2at6native12_GLOBAL__N_19NonZeroOpIN3c107complexIfEEEEPKSG_lEEPiiNS8_6detail34convert_binary_result_type_wrapperINS8_3SumESK_iEEEE10hipError_tPvRmT1_T2_T3_mT4_P12ihipStream_tbEUlT_E1_NS1_11comp_targetILNS1_3genE10ELNS1_11target_archE1201ELNS1_3gpuE5ELNS1_3repE0EEENS1_30default_config_static_selectorELNS0_4arch9wavefront6targetE0EEEvST_.uses_vcc, 1
	.set _ZN7rocprim17ROCPRIM_400000_NS6detail17trampoline_kernelINS0_14default_configENS1_22reduce_config_selectorIbEEZNS1_11reduce_implILb1ES3_N6hipcub16HIPCUB_304000_NS22TransformInputIteratorIbN2at6native12_GLOBAL__N_19NonZeroOpIN3c107complexIfEEEEPKSG_lEEPiiNS8_6detail34convert_binary_result_type_wrapperINS8_3SumESK_iEEEE10hipError_tPvRmT1_T2_T3_mT4_P12ihipStream_tbEUlT_E1_NS1_11comp_targetILNS1_3genE10ELNS1_11target_archE1201ELNS1_3gpuE5ELNS1_3repE0EEENS1_30default_config_static_selectorELNS0_4arch9wavefront6targetE0EEEvST_.uses_flat_scratch, 0
	.set _ZN7rocprim17ROCPRIM_400000_NS6detail17trampoline_kernelINS0_14default_configENS1_22reduce_config_selectorIbEEZNS1_11reduce_implILb1ES3_N6hipcub16HIPCUB_304000_NS22TransformInputIteratorIbN2at6native12_GLOBAL__N_19NonZeroOpIN3c107complexIfEEEEPKSG_lEEPiiNS8_6detail34convert_binary_result_type_wrapperINS8_3SumESK_iEEEE10hipError_tPvRmT1_T2_T3_mT4_P12ihipStream_tbEUlT_E1_NS1_11comp_targetILNS1_3genE10ELNS1_11target_archE1201ELNS1_3gpuE5ELNS1_3repE0EEENS1_30default_config_static_selectorELNS0_4arch9wavefront6targetE0EEEvST_.has_dyn_sized_stack, 0
	.set _ZN7rocprim17ROCPRIM_400000_NS6detail17trampoline_kernelINS0_14default_configENS1_22reduce_config_selectorIbEEZNS1_11reduce_implILb1ES3_N6hipcub16HIPCUB_304000_NS22TransformInputIteratorIbN2at6native12_GLOBAL__N_19NonZeroOpIN3c107complexIfEEEEPKSG_lEEPiiNS8_6detail34convert_binary_result_type_wrapperINS8_3SumESK_iEEEE10hipError_tPvRmT1_T2_T3_mT4_P12ihipStream_tbEUlT_E1_NS1_11comp_targetILNS1_3genE10ELNS1_11target_archE1201ELNS1_3gpuE5ELNS1_3repE0EEENS1_30default_config_static_selectorELNS0_4arch9wavefront6targetE0EEEvST_.has_recursion, 0
	.set _ZN7rocprim17ROCPRIM_400000_NS6detail17trampoline_kernelINS0_14default_configENS1_22reduce_config_selectorIbEEZNS1_11reduce_implILb1ES3_N6hipcub16HIPCUB_304000_NS22TransformInputIteratorIbN2at6native12_GLOBAL__N_19NonZeroOpIN3c107complexIfEEEEPKSG_lEEPiiNS8_6detail34convert_binary_result_type_wrapperINS8_3SumESK_iEEEE10hipError_tPvRmT1_T2_T3_mT4_P12ihipStream_tbEUlT_E1_NS1_11comp_targetILNS1_3genE10ELNS1_11target_archE1201ELNS1_3gpuE5ELNS1_3repE0EEENS1_30default_config_static_selectorELNS0_4arch9wavefront6targetE0EEEvST_.has_indirect_call, 0
	.section	.AMDGPU.csdata,"",@progbits
; Kernel info:
; codeLenInByte = 44412
; TotalNumSgprs: 107
; NumVgprs: 131
; ScratchSize: 0
; MemoryBound: 0
; FloatMode: 240
; IeeeMode: 1
; LDSByteSize: 288 bytes/workgroup (compile time only)
; SGPRBlocks: 0
; VGPRBlocks: 16
; NumSGPRsForWavesPerEU: 107
; NumVGPRsForWavesPerEU: 131
; Occupancy: 10
; WaveLimiterHint : 1
; COMPUTE_PGM_RSRC2:SCRATCH_EN: 0
; COMPUTE_PGM_RSRC2:USER_SGPR: 2
; COMPUTE_PGM_RSRC2:TRAP_HANDLER: 0
; COMPUTE_PGM_RSRC2:TGID_X_EN: 1
; COMPUTE_PGM_RSRC2:TGID_Y_EN: 0
; COMPUTE_PGM_RSRC2:TGID_Z_EN: 0
; COMPUTE_PGM_RSRC2:TIDIG_COMP_CNT: 0
	.section	.text._ZN7rocprim17ROCPRIM_400000_NS6detail17trampoline_kernelINS0_14default_configENS1_22reduce_config_selectorIbEEZNS1_11reduce_implILb1ES3_N6hipcub16HIPCUB_304000_NS22TransformInputIteratorIbN2at6native12_GLOBAL__N_19NonZeroOpIN3c107complexIfEEEEPKSG_lEEPiiNS8_6detail34convert_binary_result_type_wrapperINS8_3SumESK_iEEEE10hipError_tPvRmT1_T2_T3_mT4_P12ihipStream_tbEUlT_E1_NS1_11comp_targetILNS1_3genE10ELNS1_11target_archE1200ELNS1_3gpuE4ELNS1_3repE0EEENS1_30default_config_static_selectorELNS0_4arch9wavefront6targetE0EEEvST_,"axG",@progbits,_ZN7rocprim17ROCPRIM_400000_NS6detail17trampoline_kernelINS0_14default_configENS1_22reduce_config_selectorIbEEZNS1_11reduce_implILb1ES3_N6hipcub16HIPCUB_304000_NS22TransformInputIteratorIbN2at6native12_GLOBAL__N_19NonZeroOpIN3c107complexIfEEEEPKSG_lEEPiiNS8_6detail34convert_binary_result_type_wrapperINS8_3SumESK_iEEEE10hipError_tPvRmT1_T2_T3_mT4_P12ihipStream_tbEUlT_E1_NS1_11comp_targetILNS1_3genE10ELNS1_11target_archE1200ELNS1_3gpuE4ELNS1_3repE0EEENS1_30default_config_static_selectorELNS0_4arch9wavefront6targetE0EEEvST_,comdat
	.globl	_ZN7rocprim17ROCPRIM_400000_NS6detail17trampoline_kernelINS0_14default_configENS1_22reduce_config_selectorIbEEZNS1_11reduce_implILb1ES3_N6hipcub16HIPCUB_304000_NS22TransformInputIteratorIbN2at6native12_GLOBAL__N_19NonZeroOpIN3c107complexIfEEEEPKSG_lEEPiiNS8_6detail34convert_binary_result_type_wrapperINS8_3SumESK_iEEEE10hipError_tPvRmT1_T2_T3_mT4_P12ihipStream_tbEUlT_E1_NS1_11comp_targetILNS1_3genE10ELNS1_11target_archE1200ELNS1_3gpuE4ELNS1_3repE0EEENS1_30default_config_static_selectorELNS0_4arch9wavefront6targetE0EEEvST_ ; -- Begin function _ZN7rocprim17ROCPRIM_400000_NS6detail17trampoline_kernelINS0_14default_configENS1_22reduce_config_selectorIbEEZNS1_11reduce_implILb1ES3_N6hipcub16HIPCUB_304000_NS22TransformInputIteratorIbN2at6native12_GLOBAL__N_19NonZeroOpIN3c107complexIfEEEEPKSG_lEEPiiNS8_6detail34convert_binary_result_type_wrapperINS8_3SumESK_iEEEE10hipError_tPvRmT1_T2_T3_mT4_P12ihipStream_tbEUlT_E1_NS1_11comp_targetILNS1_3genE10ELNS1_11target_archE1200ELNS1_3gpuE4ELNS1_3repE0EEENS1_30default_config_static_selectorELNS0_4arch9wavefront6targetE0EEEvST_
	.p2align	8
	.type	_ZN7rocprim17ROCPRIM_400000_NS6detail17trampoline_kernelINS0_14default_configENS1_22reduce_config_selectorIbEEZNS1_11reduce_implILb1ES3_N6hipcub16HIPCUB_304000_NS22TransformInputIteratorIbN2at6native12_GLOBAL__N_19NonZeroOpIN3c107complexIfEEEEPKSG_lEEPiiNS8_6detail34convert_binary_result_type_wrapperINS8_3SumESK_iEEEE10hipError_tPvRmT1_T2_T3_mT4_P12ihipStream_tbEUlT_E1_NS1_11comp_targetILNS1_3genE10ELNS1_11target_archE1200ELNS1_3gpuE4ELNS1_3repE0EEENS1_30default_config_static_selectorELNS0_4arch9wavefront6targetE0EEEvST_,@function
_ZN7rocprim17ROCPRIM_400000_NS6detail17trampoline_kernelINS0_14default_configENS1_22reduce_config_selectorIbEEZNS1_11reduce_implILb1ES3_N6hipcub16HIPCUB_304000_NS22TransformInputIteratorIbN2at6native12_GLOBAL__N_19NonZeroOpIN3c107complexIfEEEEPKSG_lEEPiiNS8_6detail34convert_binary_result_type_wrapperINS8_3SumESK_iEEEE10hipError_tPvRmT1_T2_T3_mT4_P12ihipStream_tbEUlT_E1_NS1_11comp_targetILNS1_3genE10ELNS1_11target_archE1200ELNS1_3gpuE4ELNS1_3repE0EEENS1_30default_config_static_selectorELNS0_4arch9wavefront6targetE0EEEvST_: ; @_ZN7rocprim17ROCPRIM_400000_NS6detail17trampoline_kernelINS0_14default_configENS1_22reduce_config_selectorIbEEZNS1_11reduce_implILb1ES3_N6hipcub16HIPCUB_304000_NS22TransformInputIteratorIbN2at6native12_GLOBAL__N_19NonZeroOpIN3c107complexIfEEEEPKSG_lEEPiiNS8_6detail34convert_binary_result_type_wrapperINS8_3SumESK_iEEEE10hipError_tPvRmT1_T2_T3_mT4_P12ihipStream_tbEUlT_E1_NS1_11comp_targetILNS1_3genE10ELNS1_11target_archE1200ELNS1_3gpuE4ELNS1_3repE0EEENS1_30default_config_static_selectorELNS0_4arch9wavefront6targetE0EEEvST_
; %bb.0:
	.section	.rodata,"a",@progbits
	.p2align	6, 0x0
	.amdhsa_kernel _ZN7rocprim17ROCPRIM_400000_NS6detail17trampoline_kernelINS0_14default_configENS1_22reduce_config_selectorIbEEZNS1_11reduce_implILb1ES3_N6hipcub16HIPCUB_304000_NS22TransformInputIteratorIbN2at6native12_GLOBAL__N_19NonZeroOpIN3c107complexIfEEEEPKSG_lEEPiiNS8_6detail34convert_binary_result_type_wrapperINS8_3SumESK_iEEEE10hipError_tPvRmT1_T2_T3_mT4_P12ihipStream_tbEUlT_E1_NS1_11comp_targetILNS1_3genE10ELNS1_11target_archE1200ELNS1_3gpuE4ELNS1_3repE0EEENS1_30default_config_static_selectorELNS0_4arch9wavefront6targetE0EEEvST_
		.amdhsa_group_segment_fixed_size 0
		.amdhsa_private_segment_fixed_size 0
		.amdhsa_kernarg_size 48
		.amdhsa_user_sgpr_count 2
		.amdhsa_user_sgpr_dispatch_ptr 0
		.amdhsa_user_sgpr_queue_ptr 0
		.amdhsa_user_sgpr_kernarg_segment_ptr 1
		.amdhsa_user_sgpr_dispatch_id 0
		.amdhsa_user_sgpr_private_segment_size 0
		.amdhsa_wavefront_size32 1
		.amdhsa_uses_dynamic_stack 0
		.amdhsa_enable_private_segment 0
		.amdhsa_system_sgpr_workgroup_id_x 1
		.amdhsa_system_sgpr_workgroup_id_y 0
		.amdhsa_system_sgpr_workgroup_id_z 0
		.amdhsa_system_sgpr_workgroup_info 0
		.amdhsa_system_vgpr_workitem_id 0
		.amdhsa_next_free_vgpr 1
		.amdhsa_next_free_sgpr 1
		.amdhsa_reserve_vcc 0
		.amdhsa_float_round_mode_32 0
		.amdhsa_float_round_mode_16_64 0
		.amdhsa_float_denorm_mode_32 3
		.amdhsa_float_denorm_mode_16_64 3
		.amdhsa_fp16_overflow 0
		.amdhsa_workgroup_processor_mode 1
		.amdhsa_memory_ordered 1
		.amdhsa_forward_progress 1
		.amdhsa_inst_pref_size 0
		.amdhsa_round_robin_scheduling 0
		.amdhsa_exception_fp_ieee_invalid_op 0
		.amdhsa_exception_fp_denorm_src 0
		.amdhsa_exception_fp_ieee_div_zero 0
		.amdhsa_exception_fp_ieee_overflow 0
		.amdhsa_exception_fp_ieee_underflow 0
		.amdhsa_exception_fp_ieee_inexact 0
		.amdhsa_exception_int_div_zero 0
	.end_amdhsa_kernel
	.section	.text._ZN7rocprim17ROCPRIM_400000_NS6detail17trampoline_kernelINS0_14default_configENS1_22reduce_config_selectorIbEEZNS1_11reduce_implILb1ES3_N6hipcub16HIPCUB_304000_NS22TransformInputIteratorIbN2at6native12_GLOBAL__N_19NonZeroOpIN3c107complexIfEEEEPKSG_lEEPiiNS8_6detail34convert_binary_result_type_wrapperINS8_3SumESK_iEEEE10hipError_tPvRmT1_T2_T3_mT4_P12ihipStream_tbEUlT_E1_NS1_11comp_targetILNS1_3genE10ELNS1_11target_archE1200ELNS1_3gpuE4ELNS1_3repE0EEENS1_30default_config_static_selectorELNS0_4arch9wavefront6targetE0EEEvST_,"axG",@progbits,_ZN7rocprim17ROCPRIM_400000_NS6detail17trampoline_kernelINS0_14default_configENS1_22reduce_config_selectorIbEEZNS1_11reduce_implILb1ES3_N6hipcub16HIPCUB_304000_NS22TransformInputIteratorIbN2at6native12_GLOBAL__N_19NonZeroOpIN3c107complexIfEEEEPKSG_lEEPiiNS8_6detail34convert_binary_result_type_wrapperINS8_3SumESK_iEEEE10hipError_tPvRmT1_T2_T3_mT4_P12ihipStream_tbEUlT_E1_NS1_11comp_targetILNS1_3genE10ELNS1_11target_archE1200ELNS1_3gpuE4ELNS1_3repE0EEENS1_30default_config_static_selectorELNS0_4arch9wavefront6targetE0EEEvST_,comdat
.Lfunc_end591:
	.size	_ZN7rocprim17ROCPRIM_400000_NS6detail17trampoline_kernelINS0_14default_configENS1_22reduce_config_selectorIbEEZNS1_11reduce_implILb1ES3_N6hipcub16HIPCUB_304000_NS22TransformInputIteratorIbN2at6native12_GLOBAL__N_19NonZeroOpIN3c107complexIfEEEEPKSG_lEEPiiNS8_6detail34convert_binary_result_type_wrapperINS8_3SumESK_iEEEE10hipError_tPvRmT1_T2_T3_mT4_P12ihipStream_tbEUlT_E1_NS1_11comp_targetILNS1_3genE10ELNS1_11target_archE1200ELNS1_3gpuE4ELNS1_3repE0EEENS1_30default_config_static_selectorELNS0_4arch9wavefront6targetE0EEEvST_, .Lfunc_end591-_ZN7rocprim17ROCPRIM_400000_NS6detail17trampoline_kernelINS0_14default_configENS1_22reduce_config_selectorIbEEZNS1_11reduce_implILb1ES3_N6hipcub16HIPCUB_304000_NS22TransformInputIteratorIbN2at6native12_GLOBAL__N_19NonZeroOpIN3c107complexIfEEEEPKSG_lEEPiiNS8_6detail34convert_binary_result_type_wrapperINS8_3SumESK_iEEEE10hipError_tPvRmT1_T2_T3_mT4_P12ihipStream_tbEUlT_E1_NS1_11comp_targetILNS1_3genE10ELNS1_11target_archE1200ELNS1_3gpuE4ELNS1_3repE0EEENS1_30default_config_static_selectorELNS0_4arch9wavefront6targetE0EEEvST_
                                        ; -- End function
	.set _ZN7rocprim17ROCPRIM_400000_NS6detail17trampoline_kernelINS0_14default_configENS1_22reduce_config_selectorIbEEZNS1_11reduce_implILb1ES3_N6hipcub16HIPCUB_304000_NS22TransformInputIteratorIbN2at6native12_GLOBAL__N_19NonZeroOpIN3c107complexIfEEEEPKSG_lEEPiiNS8_6detail34convert_binary_result_type_wrapperINS8_3SumESK_iEEEE10hipError_tPvRmT1_T2_T3_mT4_P12ihipStream_tbEUlT_E1_NS1_11comp_targetILNS1_3genE10ELNS1_11target_archE1200ELNS1_3gpuE4ELNS1_3repE0EEENS1_30default_config_static_selectorELNS0_4arch9wavefront6targetE0EEEvST_.num_vgpr, 0
	.set _ZN7rocprim17ROCPRIM_400000_NS6detail17trampoline_kernelINS0_14default_configENS1_22reduce_config_selectorIbEEZNS1_11reduce_implILb1ES3_N6hipcub16HIPCUB_304000_NS22TransformInputIteratorIbN2at6native12_GLOBAL__N_19NonZeroOpIN3c107complexIfEEEEPKSG_lEEPiiNS8_6detail34convert_binary_result_type_wrapperINS8_3SumESK_iEEEE10hipError_tPvRmT1_T2_T3_mT4_P12ihipStream_tbEUlT_E1_NS1_11comp_targetILNS1_3genE10ELNS1_11target_archE1200ELNS1_3gpuE4ELNS1_3repE0EEENS1_30default_config_static_selectorELNS0_4arch9wavefront6targetE0EEEvST_.num_agpr, 0
	.set _ZN7rocprim17ROCPRIM_400000_NS6detail17trampoline_kernelINS0_14default_configENS1_22reduce_config_selectorIbEEZNS1_11reduce_implILb1ES3_N6hipcub16HIPCUB_304000_NS22TransformInputIteratorIbN2at6native12_GLOBAL__N_19NonZeroOpIN3c107complexIfEEEEPKSG_lEEPiiNS8_6detail34convert_binary_result_type_wrapperINS8_3SumESK_iEEEE10hipError_tPvRmT1_T2_T3_mT4_P12ihipStream_tbEUlT_E1_NS1_11comp_targetILNS1_3genE10ELNS1_11target_archE1200ELNS1_3gpuE4ELNS1_3repE0EEENS1_30default_config_static_selectorELNS0_4arch9wavefront6targetE0EEEvST_.numbered_sgpr, 0
	.set _ZN7rocprim17ROCPRIM_400000_NS6detail17trampoline_kernelINS0_14default_configENS1_22reduce_config_selectorIbEEZNS1_11reduce_implILb1ES3_N6hipcub16HIPCUB_304000_NS22TransformInputIteratorIbN2at6native12_GLOBAL__N_19NonZeroOpIN3c107complexIfEEEEPKSG_lEEPiiNS8_6detail34convert_binary_result_type_wrapperINS8_3SumESK_iEEEE10hipError_tPvRmT1_T2_T3_mT4_P12ihipStream_tbEUlT_E1_NS1_11comp_targetILNS1_3genE10ELNS1_11target_archE1200ELNS1_3gpuE4ELNS1_3repE0EEENS1_30default_config_static_selectorELNS0_4arch9wavefront6targetE0EEEvST_.num_named_barrier, 0
	.set _ZN7rocprim17ROCPRIM_400000_NS6detail17trampoline_kernelINS0_14default_configENS1_22reduce_config_selectorIbEEZNS1_11reduce_implILb1ES3_N6hipcub16HIPCUB_304000_NS22TransformInputIteratorIbN2at6native12_GLOBAL__N_19NonZeroOpIN3c107complexIfEEEEPKSG_lEEPiiNS8_6detail34convert_binary_result_type_wrapperINS8_3SumESK_iEEEE10hipError_tPvRmT1_T2_T3_mT4_P12ihipStream_tbEUlT_E1_NS1_11comp_targetILNS1_3genE10ELNS1_11target_archE1200ELNS1_3gpuE4ELNS1_3repE0EEENS1_30default_config_static_selectorELNS0_4arch9wavefront6targetE0EEEvST_.private_seg_size, 0
	.set _ZN7rocprim17ROCPRIM_400000_NS6detail17trampoline_kernelINS0_14default_configENS1_22reduce_config_selectorIbEEZNS1_11reduce_implILb1ES3_N6hipcub16HIPCUB_304000_NS22TransformInputIteratorIbN2at6native12_GLOBAL__N_19NonZeroOpIN3c107complexIfEEEEPKSG_lEEPiiNS8_6detail34convert_binary_result_type_wrapperINS8_3SumESK_iEEEE10hipError_tPvRmT1_T2_T3_mT4_P12ihipStream_tbEUlT_E1_NS1_11comp_targetILNS1_3genE10ELNS1_11target_archE1200ELNS1_3gpuE4ELNS1_3repE0EEENS1_30default_config_static_selectorELNS0_4arch9wavefront6targetE0EEEvST_.uses_vcc, 0
	.set _ZN7rocprim17ROCPRIM_400000_NS6detail17trampoline_kernelINS0_14default_configENS1_22reduce_config_selectorIbEEZNS1_11reduce_implILb1ES3_N6hipcub16HIPCUB_304000_NS22TransformInputIteratorIbN2at6native12_GLOBAL__N_19NonZeroOpIN3c107complexIfEEEEPKSG_lEEPiiNS8_6detail34convert_binary_result_type_wrapperINS8_3SumESK_iEEEE10hipError_tPvRmT1_T2_T3_mT4_P12ihipStream_tbEUlT_E1_NS1_11comp_targetILNS1_3genE10ELNS1_11target_archE1200ELNS1_3gpuE4ELNS1_3repE0EEENS1_30default_config_static_selectorELNS0_4arch9wavefront6targetE0EEEvST_.uses_flat_scratch, 0
	.set _ZN7rocprim17ROCPRIM_400000_NS6detail17trampoline_kernelINS0_14default_configENS1_22reduce_config_selectorIbEEZNS1_11reduce_implILb1ES3_N6hipcub16HIPCUB_304000_NS22TransformInputIteratorIbN2at6native12_GLOBAL__N_19NonZeroOpIN3c107complexIfEEEEPKSG_lEEPiiNS8_6detail34convert_binary_result_type_wrapperINS8_3SumESK_iEEEE10hipError_tPvRmT1_T2_T3_mT4_P12ihipStream_tbEUlT_E1_NS1_11comp_targetILNS1_3genE10ELNS1_11target_archE1200ELNS1_3gpuE4ELNS1_3repE0EEENS1_30default_config_static_selectorELNS0_4arch9wavefront6targetE0EEEvST_.has_dyn_sized_stack, 0
	.set _ZN7rocprim17ROCPRIM_400000_NS6detail17trampoline_kernelINS0_14default_configENS1_22reduce_config_selectorIbEEZNS1_11reduce_implILb1ES3_N6hipcub16HIPCUB_304000_NS22TransformInputIteratorIbN2at6native12_GLOBAL__N_19NonZeroOpIN3c107complexIfEEEEPKSG_lEEPiiNS8_6detail34convert_binary_result_type_wrapperINS8_3SumESK_iEEEE10hipError_tPvRmT1_T2_T3_mT4_P12ihipStream_tbEUlT_E1_NS1_11comp_targetILNS1_3genE10ELNS1_11target_archE1200ELNS1_3gpuE4ELNS1_3repE0EEENS1_30default_config_static_selectorELNS0_4arch9wavefront6targetE0EEEvST_.has_recursion, 0
	.set _ZN7rocprim17ROCPRIM_400000_NS6detail17trampoline_kernelINS0_14default_configENS1_22reduce_config_selectorIbEEZNS1_11reduce_implILb1ES3_N6hipcub16HIPCUB_304000_NS22TransformInputIteratorIbN2at6native12_GLOBAL__N_19NonZeroOpIN3c107complexIfEEEEPKSG_lEEPiiNS8_6detail34convert_binary_result_type_wrapperINS8_3SumESK_iEEEE10hipError_tPvRmT1_T2_T3_mT4_P12ihipStream_tbEUlT_E1_NS1_11comp_targetILNS1_3genE10ELNS1_11target_archE1200ELNS1_3gpuE4ELNS1_3repE0EEENS1_30default_config_static_selectorELNS0_4arch9wavefront6targetE0EEEvST_.has_indirect_call, 0
	.section	.AMDGPU.csdata,"",@progbits
; Kernel info:
; codeLenInByte = 0
; TotalNumSgprs: 0
; NumVgprs: 0
; ScratchSize: 0
; MemoryBound: 0
; FloatMode: 240
; IeeeMode: 1
; LDSByteSize: 0 bytes/workgroup (compile time only)
; SGPRBlocks: 0
; VGPRBlocks: 0
; NumSGPRsForWavesPerEU: 1
; NumVGPRsForWavesPerEU: 1
; Occupancy: 16
; WaveLimiterHint : 0
; COMPUTE_PGM_RSRC2:SCRATCH_EN: 0
; COMPUTE_PGM_RSRC2:USER_SGPR: 2
; COMPUTE_PGM_RSRC2:TRAP_HANDLER: 0
; COMPUTE_PGM_RSRC2:TGID_X_EN: 1
; COMPUTE_PGM_RSRC2:TGID_Y_EN: 0
; COMPUTE_PGM_RSRC2:TGID_Z_EN: 0
; COMPUTE_PGM_RSRC2:TIDIG_COMP_CNT: 0
	.section	.text._ZN7rocprim17ROCPRIM_400000_NS6detail17trampoline_kernelINS0_14default_configENS1_22reduce_config_selectorIbEEZNS1_11reduce_implILb1ES3_N6hipcub16HIPCUB_304000_NS22TransformInputIteratorIbN2at6native12_GLOBAL__N_19NonZeroOpIN3c107complexIfEEEEPKSG_lEEPiiNS8_6detail34convert_binary_result_type_wrapperINS8_3SumESK_iEEEE10hipError_tPvRmT1_T2_T3_mT4_P12ihipStream_tbEUlT_E1_NS1_11comp_targetILNS1_3genE9ELNS1_11target_archE1100ELNS1_3gpuE3ELNS1_3repE0EEENS1_30default_config_static_selectorELNS0_4arch9wavefront6targetE0EEEvST_,"axG",@progbits,_ZN7rocprim17ROCPRIM_400000_NS6detail17trampoline_kernelINS0_14default_configENS1_22reduce_config_selectorIbEEZNS1_11reduce_implILb1ES3_N6hipcub16HIPCUB_304000_NS22TransformInputIteratorIbN2at6native12_GLOBAL__N_19NonZeroOpIN3c107complexIfEEEEPKSG_lEEPiiNS8_6detail34convert_binary_result_type_wrapperINS8_3SumESK_iEEEE10hipError_tPvRmT1_T2_T3_mT4_P12ihipStream_tbEUlT_E1_NS1_11comp_targetILNS1_3genE9ELNS1_11target_archE1100ELNS1_3gpuE3ELNS1_3repE0EEENS1_30default_config_static_selectorELNS0_4arch9wavefront6targetE0EEEvST_,comdat
	.globl	_ZN7rocprim17ROCPRIM_400000_NS6detail17trampoline_kernelINS0_14default_configENS1_22reduce_config_selectorIbEEZNS1_11reduce_implILb1ES3_N6hipcub16HIPCUB_304000_NS22TransformInputIteratorIbN2at6native12_GLOBAL__N_19NonZeroOpIN3c107complexIfEEEEPKSG_lEEPiiNS8_6detail34convert_binary_result_type_wrapperINS8_3SumESK_iEEEE10hipError_tPvRmT1_T2_T3_mT4_P12ihipStream_tbEUlT_E1_NS1_11comp_targetILNS1_3genE9ELNS1_11target_archE1100ELNS1_3gpuE3ELNS1_3repE0EEENS1_30default_config_static_selectorELNS0_4arch9wavefront6targetE0EEEvST_ ; -- Begin function _ZN7rocprim17ROCPRIM_400000_NS6detail17trampoline_kernelINS0_14default_configENS1_22reduce_config_selectorIbEEZNS1_11reduce_implILb1ES3_N6hipcub16HIPCUB_304000_NS22TransformInputIteratorIbN2at6native12_GLOBAL__N_19NonZeroOpIN3c107complexIfEEEEPKSG_lEEPiiNS8_6detail34convert_binary_result_type_wrapperINS8_3SumESK_iEEEE10hipError_tPvRmT1_T2_T3_mT4_P12ihipStream_tbEUlT_E1_NS1_11comp_targetILNS1_3genE9ELNS1_11target_archE1100ELNS1_3gpuE3ELNS1_3repE0EEENS1_30default_config_static_selectorELNS0_4arch9wavefront6targetE0EEEvST_
	.p2align	8
	.type	_ZN7rocprim17ROCPRIM_400000_NS6detail17trampoline_kernelINS0_14default_configENS1_22reduce_config_selectorIbEEZNS1_11reduce_implILb1ES3_N6hipcub16HIPCUB_304000_NS22TransformInputIteratorIbN2at6native12_GLOBAL__N_19NonZeroOpIN3c107complexIfEEEEPKSG_lEEPiiNS8_6detail34convert_binary_result_type_wrapperINS8_3SumESK_iEEEE10hipError_tPvRmT1_T2_T3_mT4_P12ihipStream_tbEUlT_E1_NS1_11comp_targetILNS1_3genE9ELNS1_11target_archE1100ELNS1_3gpuE3ELNS1_3repE0EEENS1_30default_config_static_selectorELNS0_4arch9wavefront6targetE0EEEvST_,@function
_ZN7rocprim17ROCPRIM_400000_NS6detail17trampoline_kernelINS0_14default_configENS1_22reduce_config_selectorIbEEZNS1_11reduce_implILb1ES3_N6hipcub16HIPCUB_304000_NS22TransformInputIteratorIbN2at6native12_GLOBAL__N_19NonZeroOpIN3c107complexIfEEEEPKSG_lEEPiiNS8_6detail34convert_binary_result_type_wrapperINS8_3SumESK_iEEEE10hipError_tPvRmT1_T2_T3_mT4_P12ihipStream_tbEUlT_E1_NS1_11comp_targetILNS1_3genE9ELNS1_11target_archE1100ELNS1_3gpuE3ELNS1_3repE0EEENS1_30default_config_static_selectorELNS0_4arch9wavefront6targetE0EEEvST_: ; @_ZN7rocprim17ROCPRIM_400000_NS6detail17trampoline_kernelINS0_14default_configENS1_22reduce_config_selectorIbEEZNS1_11reduce_implILb1ES3_N6hipcub16HIPCUB_304000_NS22TransformInputIteratorIbN2at6native12_GLOBAL__N_19NonZeroOpIN3c107complexIfEEEEPKSG_lEEPiiNS8_6detail34convert_binary_result_type_wrapperINS8_3SumESK_iEEEE10hipError_tPvRmT1_T2_T3_mT4_P12ihipStream_tbEUlT_E1_NS1_11comp_targetILNS1_3genE9ELNS1_11target_archE1100ELNS1_3gpuE3ELNS1_3repE0EEENS1_30default_config_static_selectorELNS0_4arch9wavefront6targetE0EEEvST_
; %bb.0:
	.section	.rodata,"a",@progbits
	.p2align	6, 0x0
	.amdhsa_kernel _ZN7rocprim17ROCPRIM_400000_NS6detail17trampoline_kernelINS0_14default_configENS1_22reduce_config_selectorIbEEZNS1_11reduce_implILb1ES3_N6hipcub16HIPCUB_304000_NS22TransformInputIteratorIbN2at6native12_GLOBAL__N_19NonZeroOpIN3c107complexIfEEEEPKSG_lEEPiiNS8_6detail34convert_binary_result_type_wrapperINS8_3SumESK_iEEEE10hipError_tPvRmT1_T2_T3_mT4_P12ihipStream_tbEUlT_E1_NS1_11comp_targetILNS1_3genE9ELNS1_11target_archE1100ELNS1_3gpuE3ELNS1_3repE0EEENS1_30default_config_static_selectorELNS0_4arch9wavefront6targetE0EEEvST_
		.amdhsa_group_segment_fixed_size 0
		.amdhsa_private_segment_fixed_size 0
		.amdhsa_kernarg_size 48
		.amdhsa_user_sgpr_count 2
		.amdhsa_user_sgpr_dispatch_ptr 0
		.amdhsa_user_sgpr_queue_ptr 0
		.amdhsa_user_sgpr_kernarg_segment_ptr 1
		.amdhsa_user_sgpr_dispatch_id 0
		.amdhsa_user_sgpr_private_segment_size 0
		.amdhsa_wavefront_size32 1
		.amdhsa_uses_dynamic_stack 0
		.amdhsa_enable_private_segment 0
		.amdhsa_system_sgpr_workgroup_id_x 1
		.amdhsa_system_sgpr_workgroup_id_y 0
		.amdhsa_system_sgpr_workgroup_id_z 0
		.amdhsa_system_sgpr_workgroup_info 0
		.amdhsa_system_vgpr_workitem_id 0
		.amdhsa_next_free_vgpr 1
		.amdhsa_next_free_sgpr 1
		.amdhsa_reserve_vcc 0
		.amdhsa_float_round_mode_32 0
		.amdhsa_float_round_mode_16_64 0
		.amdhsa_float_denorm_mode_32 3
		.amdhsa_float_denorm_mode_16_64 3
		.amdhsa_fp16_overflow 0
		.amdhsa_workgroup_processor_mode 1
		.amdhsa_memory_ordered 1
		.amdhsa_forward_progress 1
		.amdhsa_inst_pref_size 0
		.amdhsa_round_robin_scheduling 0
		.amdhsa_exception_fp_ieee_invalid_op 0
		.amdhsa_exception_fp_denorm_src 0
		.amdhsa_exception_fp_ieee_div_zero 0
		.amdhsa_exception_fp_ieee_overflow 0
		.amdhsa_exception_fp_ieee_underflow 0
		.amdhsa_exception_fp_ieee_inexact 0
		.amdhsa_exception_int_div_zero 0
	.end_amdhsa_kernel
	.section	.text._ZN7rocprim17ROCPRIM_400000_NS6detail17trampoline_kernelINS0_14default_configENS1_22reduce_config_selectorIbEEZNS1_11reduce_implILb1ES3_N6hipcub16HIPCUB_304000_NS22TransformInputIteratorIbN2at6native12_GLOBAL__N_19NonZeroOpIN3c107complexIfEEEEPKSG_lEEPiiNS8_6detail34convert_binary_result_type_wrapperINS8_3SumESK_iEEEE10hipError_tPvRmT1_T2_T3_mT4_P12ihipStream_tbEUlT_E1_NS1_11comp_targetILNS1_3genE9ELNS1_11target_archE1100ELNS1_3gpuE3ELNS1_3repE0EEENS1_30default_config_static_selectorELNS0_4arch9wavefront6targetE0EEEvST_,"axG",@progbits,_ZN7rocprim17ROCPRIM_400000_NS6detail17trampoline_kernelINS0_14default_configENS1_22reduce_config_selectorIbEEZNS1_11reduce_implILb1ES3_N6hipcub16HIPCUB_304000_NS22TransformInputIteratorIbN2at6native12_GLOBAL__N_19NonZeroOpIN3c107complexIfEEEEPKSG_lEEPiiNS8_6detail34convert_binary_result_type_wrapperINS8_3SumESK_iEEEE10hipError_tPvRmT1_T2_T3_mT4_P12ihipStream_tbEUlT_E1_NS1_11comp_targetILNS1_3genE9ELNS1_11target_archE1100ELNS1_3gpuE3ELNS1_3repE0EEENS1_30default_config_static_selectorELNS0_4arch9wavefront6targetE0EEEvST_,comdat
.Lfunc_end592:
	.size	_ZN7rocprim17ROCPRIM_400000_NS6detail17trampoline_kernelINS0_14default_configENS1_22reduce_config_selectorIbEEZNS1_11reduce_implILb1ES3_N6hipcub16HIPCUB_304000_NS22TransformInputIteratorIbN2at6native12_GLOBAL__N_19NonZeroOpIN3c107complexIfEEEEPKSG_lEEPiiNS8_6detail34convert_binary_result_type_wrapperINS8_3SumESK_iEEEE10hipError_tPvRmT1_T2_T3_mT4_P12ihipStream_tbEUlT_E1_NS1_11comp_targetILNS1_3genE9ELNS1_11target_archE1100ELNS1_3gpuE3ELNS1_3repE0EEENS1_30default_config_static_selectorELNS0_4arch9wavefront6targetE0EEEvST_, .Lfunc_end592-_ZN7rocprim17ROCPRIM_400000_NS6detail17trampoline_kernelINS0_14default_configENS1_22reduce_config_selectorIbEEZNS1_11reduce_implILb1ES3_N6hipcub16HIPCUB_304000_NS22TransformInputIteratorIbN2at6native12_GLOBAL__N_19NonZeroOpIN3c107complexIfEEEEPKSG_lEEPiiNS8_6detail34convert_binary_result_type_wrapperINS8_3SumESK_iEEEE10hipError_tPvRmT1_T2_T3_mT4_P12ihipStream_tbEUlT_E1_NS1_11comp_targetILNS1_3genE9ELNS1_11target_archE1100ELNS1_3gpuE3ELNS1_3repE0EEENS1_30default_config_static_selectorELNS0_4arch9wavefront6targetE0EEEvST_
                                        ; -- End function
	.set _ZN7rocprim17ROCPRIM_400000_NS6detail17trampoline_kernelINS0_14default_configENS1_22reduce_config_selectorIbEEZNS1_11reduce_implILb1ES3_N6hipcub16HIPCUB_304000_NS22TransformInputIteratorIbN2at6native12_GLOBAL__N_19NonZeroOpIN3c107complexIfEEEEPKSG_lEEPiiNS8_6detail34convert_binary_result_type_wrapperINS8_3SumESK_iEEEE10hipError_tPvRmT1_T2_T3_mT4_P12ihipStream_tbEUlT_E1_NS1_11comp_targetILNS1_3genE9ELNS1_11target_archE1100ELNS1_3gpuE3ELNS1_3repE0EEENS1_30default_config_static_selectorELNS0_4arch9wavefront6targetE0EEEvST_.num_vgpr, 0
	.set _ZN7rocprim17ROCPRIM_400000_NS6detail17trampoline_kernelINS0_14default_configENS1_22reduce_config_selectorIbEEZNS1_11reduce_implILb1ES3_N6hipcub16HIPCUB_304000_NS22TransformInputIteratorIbN2at6native12_GLOBAL__N_19NonZeroOpIN3c107complexIfEEEEPKSG_lEEPiiNS8_6detail34convert_binary_result_type_wrapperINS8_3SumESK_iEEEE10hipError_tPvRmT1_T2_T3_mT4_P12ihipStream_tbEUlT_E1_NS1_11comp_targetILNS1_3genE9ELNS1_11target_archE1100ELNS1_3gpuE3ELNS1_3repE0EEENS1_30default_config_static_selectorELNS0_4arch9wavefront6targetE0EEEvST_.num_agpr, 0
	.set _ZN7rocprim17ROCPRIM_400000_NS6detail17trampoline_kernelINS0_14default_configENS1_22reduce_config_selectorIbEEZNS1_11reduce_implILb1ES3_N6hipcub16HIPCUB_304000_NS22TransformInputIteratorIbN2at6native12_GLOBAL__N_19NonZeroOpIN3c107complexIfEEEEPKSG_lEEPiiNS8_6detail34convert_binary_result_type_wrapperINS8_3SumESK_iEEEE10hipError_tPvRmT1_T2_T3_mT4_P12ihipStream_tbEUlT_E1_NS1_11comp_targetILNS1_3genE9ELNS1_11target_archE1100ELNS1_3gpuE3ELNS1_3repE0EEENS1_30default_config_static_selectorELNS0_4arch9wavefront6targetE0EEEvST_.numbered_sgpr, 0
	.set _ZN7rocprim17ROCPRIM_400000_NS6detail17trampoline_kernelINS0_14default_configENS1_22reduce_config_selectorIbEEZNS1_11reduce_implILb1ES3_N6hipcub16HIPCUB_304000_NS22TransformInputIteratorIbN2at6native12_GLOBAL__N_19NonZeroOpIN3c107complexIfEEEEPKSG_lEEPiiNS8_6detail34convert_binary_result_type_wrapperINS8_3SumESK_iEEEE10hipError_tPvRmT1_T2_T3_mT4_P12ihipStream_tbEUlT_E1_NS1_11comp_targetILNS1_3genE9ELNS1_11target_archE1100ELNS1_3gpuE3ELNS1_3repE0EEENS1_30default_config_static_selectorELNS0_4arch9wavefront6targetE0EEEvST_.num_named_barrier, 0
	.set _ZN7rocprim17ROCPRIM_400000_NS6detail17trampoline_kernelINS0_14default_configENS1_22reduce_config_selectorIbEEZNS1_11reduce_implILb1ES3_N6hipcub16HIPCUB_304000_NS22TransformInputIteratorIbN2at6native12_GLOBAL__N_19NonZeroOpIN3c107complexIfEEEEPKSG_lEEPiiNS8_6detail34convert_binary_result_type_wrapperINS8_3SumESK_iEEEE10hipError_tPvRmT1_T2_T3_mT4_P12ihipStream_tbEUlT_E1_NS1_11comp_targetILNS1_3genE9ELNS1_11target_archE1100ELNS1_3gpuE3ELNS1_3repE0EEENS1_30default_config_static_selectorELNS0_4arch9wavefront6targetE0EEEvST_.private_seg_size, 0
	.set _ZN7rocprim17ROCPRIM_400000_NS6detail17trampoline_kernelINS0_14default_configENS1_22reduce_config_selectorIbEEZNS1_11reduce_implILb1ES3_N6hipcub16HIPCUB_304000_NS22TransformInputIteratorIbN2at6native12_GLOBAL__N_19NonZeroOpIN3c107complexIfEEEEPKSG_lEEPiiNS8_6detail34convert_binary_result_type_wrapperINS8_3SumESK_iEEEE10hipError_tPvRmT1_T2_T3_mT4_P12ihipStream_tbEUlT_E1_NS1_11comp_targetILNS1_3genE9ELNS1_11target_archE1100ELNS1_3gpuE3ELNS1_3repE0EEENS1_30default_config_static_selectorELNS0_4arch9wavefront6targetE0EEEvST_.uses_vcc, 0
	.set _ZN7rocprim17ROCPRIM_400000_NS6detail17trampoline_kernelINS0_14default_configENS1_22reduce_config_selectorIbEEZNS1_11reduce_implILb1ES3_N6hipcub16HIPCUB_304000_NS22TransformInputIteratorIbN2at6native12_GLOBAL__N_19NonZeroOpIN3c107complexIfEEEEPKSG_lEEPiiNS8_6detail34convert_binary_result_type_wrapperINS8_3SumESK_iEEEE10hipError_tPvRmT1_T2_T3_mT4_P12ihipStream_tbEUlT_E1_NS1_11comp_targetILNS1_3genE9ELNS1_11target_archE1100ELNS1_3gpuE3ELNS1_3repE0EEENS1_30default_config_static_selectorELNS0_4arch9wavefront6targetE0EEEvST_.uses_flat_scratch, 0
	.set _ZN7rocprim17ROCPRIM_400000_NS6detail17trampoline_kernelINS0_14default_configENS1_22reduce_config_selectorIbEEZNS1_11reduce_implILb1ES3_N6hipcub16HIPCUB_304000_NS22TransformInputIteratorIbN2at6native12_GLOBAL__N_19NonZeroOpIN3c107complexIfEEEEPKSG_lEEPiiNS8_6detail34convert_binary_result_type_wrapperINS8_3SumESK_iEEEE10hipError_tPvRmT1_T2_T3_mT4_P12ihipStream_tbEUlT_E1_NS1_11comp_targetILNS1_3genE9ELNS1_11target_archE1100ELNS1_3gpuE3ELNS1_3repE0EEENS1_30default_config_static_selectorELNS0_4arch9wavefront6targetE0EEEvST_.has_dyn_sized_stack, 0
	.set _ZN7rocprim17ROCPRIM_400000_NS6detail17trampoline_kernelINS0_14default_configENS1_22reduce_config_selectorIbEEZNS1_11reduce_implILb1ES3_N6hipcub16HIPCUB_304000_NS22TransformInputIteratorIbN2at6native12_GLOBAL__N_19NonZeroOpIN3c107complexIfEEEEPKSG_lEEPiiNS8_6detail34convert_binary_result_type_wrapperINS8_3SumESK_iEEEE10hipError_tPvRmT1_T2_T3_mT4_P12ihipStream_tbEUlT_E1_NS1_11comp_targetILNS1_3genE9ELNS1_11target_archE1100ELNS1_3gpuE3ELNS1_3repE0EEENS1_30default_config_static_selectorELNS0_4arch9wavefront6targetE0EEEvST_.has_recursion, 0
	.set _ZN7rocprim17ROCPRIM_400000_NS6detail17trampoline_kernelINS0_14default_configENS1_22reduce_config_selectorIbEEZNS1_11reduce_implILb1ES3_N6hipcub16HIPCUB_304000_NS22TransformInputIteratorIbN2at6native12_GLOBAL__N_19NonZeroOpIN3c107complexIfEEEEPKSG_lEEPiiNS8_6detail34convert_binary_result_type_wrapperINS8_3SumESK_iEEEE10hipError_tPvRmT1_T2_T3_mT4_P12ihipStream_tbEUlT_E1_NS1_11comp_targetILNS1_3genE9ELNS1_11target_archE1100ELNS1_3gpuE3ELNS1_3repE0EEENS1_30default_config_static_selectorELNS0_4arch9wavefront6targetE0EEEvST_.has_indirect_call, 0
	.section	.AMDGPU.csdata,"",@progbits
; Kernel info:
; codeLenInByte = 0
; TotalNumSgprs: 0
; NumVgprs: 0
; ScratchSize: 0
; MemoryBound: 0
; FloatMode: 240
; IeeeMode: 1
; LDSByteSize: 0 bytes/workgroup (compile time only)
; SGPRBlocks: 0
; VGPRBlocks: 0
; NumSGPRsForWavesPerEU: 1
; NumVGPRsForWavesPerEU: 1
; Occupancy: 16
; WaveLimiterHint : 0
; COMPUTE_PGM_RSRC2:SCRATCH_EN: 0
; COMPUTE_PGM_RSRC2:USER_SGPR: 2
; COMPUTE_PGM_RSRC2:TRAP_HANDLER: 0
; COMPUTE_PGM_RSRC2:TGID_X_EN: 1
; COMPUTE_PGM_RSRC2:TGID_Y_EN: 0
; COMPUTE_PGM_RSRC2:TGID_Z_EN: 0
; COMPUTE_PGM_RSRC2:TIDIG_COMP_CNT: 0
	.section	.text._ZN7rocprim17ROCPRIM_400000_NS6detail17trampoline_kernelINS0_14default_configENS1_22reduce_config_selectorIbEEZNS1_11reduce_implILb1ES3_N6hipcub16HIPCUB_304000_NS22TransformInputIteratorIbN2at6native12_GLOBAL__N_19NonZeroOpIN3c107complexIfEEEEPKSG_lEEPiiNS8_6detail34convert_binary_result_type_wrapperINS8_3SumESK_iEEEE10hipError_tPvRmT1_T2_T3_mT4_P12ihipStream_tbEUlT_E1_NS1_11comp_targetILNS1_3genE8ELNS1_11target_archE1030ELNS1_3gpuE2ELNS1_3repE0EEENS1_30default_config_static_selectorELNS0_4arch9wavefront6targetE0EEEvST_,"axG",@progbits,_ZN7rocprim17ROCPRIM_400000_NS6detail17trampoline_kernelINS0_14default_configENS1_22reduce_config_selectorIbEEZNS1_11reduce_implILb1ES3_N6hipcub16HIPCUB_304000_NS22TransformInputIteratorIbN2at6native12_GLOBAL__N_19NonZeroOpIN3c107complexIfEEEEPKSG_lEEPiiNS8_6detail34convert_binary_result_type_wrapperINS8_3SumESK_iEEEE10hipError_tPvRmT1_T2_T3_mT4_P12ihipStream_tbEUlT_E1_NS1_11comp_targetILNS1_3genE8ELNS1_11target_archE1030ELNS1_3gpuE2ELNS1_3repE0EEENS1_30default_config_static_selectorELNS0_4arch9wavefront6targetE0EEEvST_,comdat
	.globl	_ZN7rocprim17ROCPRIM_400000_NS6detail17trampoline_kernelINS0_14default_configENS1_22reduce_config_selectorIbEEZNS1_11reduce_implILb1ES3_N6hipcub16HIPCUB_304000_NS22TransformInputIteratorIbN2at6native12_GLOBAL__N_19NonZeroOpIN3c107complexIfEEEEPKSG_lEEPiiNS8_6detail34convert_binary_result_type_wrapperINS8_3SumESK_iEEEE10hipError_tPvRmT1_T2_T3_mT4_P12ihipStream_tbEUlT_E1_NS1_11comp_targetILNS1_3genE8ELNS1_11target_archE1030ELNS1_3gpuE2ELNS1_3repE0EEENS1_30default_config_static_selectorELNS0_4arch9wavefront6targetE0EEEvST_ ; -- Begin function _ZN7rocprim17ROCPRIM_400000_NS6detail17trampoline_kernelINS0_14default_configENS1_22reduce_config_selectorIbEEZNS1_11reduce_implILb1ES3_N6hipcub16HIPCUB_304000_NS22TransformInputIteratorIbN2at6native12_GLOBAL__N_19NonZeroOpIN3c107complexIfEEEEPKSG_lEEPiiNS8_6detail34convert_binary_result_type_wrapperINS8_3SumESK_iEEEE10hipError_tPvRmT1_T2_T3_mT4_P12ihipStream_tbEUlT_E1_NS1_11comp_targetILNS1_3genE8ELNS1_11target_archE1030ELNS1_3gpuE2ELNS1_3repE0EEENS1_30default_config_static_selectorELNS0_4arch9wavefront6targetE0EEEvST_
	.p2align	8
	.type	_ZN7rocprim17ROCPRIM_400000_NS6detail17trampoline_kernelINS0_14default_configENS1_22reduce_config_selectorIbEEZNS1_11reduce_implILb1ES3_N6hipcub16HIPCUB_304000_NS22TransformInputIteratorIbN2at6native12_GLOBAL__N_19NonZeroOpIN3c107complexIfEEEEPKSG_lEEPiiNS8_6detail34convert_binary_result_type_wrapperINS8_3SumESK_iEEEE10hipError_tPvRmT1_T2_T3_mT4_P12ihipStream_tbEUlT_E1_NS1_11comp_targetILNS1_3genE8ELNS1_11target_archE1030ELNS1_3gpuE2ELNS1_3repE0EEENS1_30default_config_static_selectorELNS0_4arch9wavefront6targetE0EEEvST_,@function
_ZN7rocprim17ROCPRIM_400000_NS6detail17trampoline_kernelINS0_14default_configENS1_22reduce_config_selectorIbEEZNS1_11reduce_implILb1ES3_N6hipcub16HIPCUB_304000_NS22TransformInputIteratorIbN2at6native12_GLOBAL__N_19NonZeroOpIN3c107complexIfEEEEPKSG_lEEPiiNS8_6detail34convert_binary_result_type_wrapperINS8_3SumESK_iEEEE10hipError_tPvRmT1_T2_T3_mT4_P12ihipStream_tbEUlT_E1_NS1_11comp_targetILNS1_3genE8ELNS1_11target_archE1030ELNS1_3gpuE2ELNS1_3repE0EEENS1_30default_config_static_selectorELNS0_4arch9wavefront6targetE0EEEvST_: ; @_ZN7rocprim17ROCPRIM_400000_NS6detail17trampoline_kernelINS0_14default_configENS1_22reduce_config_selectorIbEEZNS1_11reduce_implILb1ES3_N6hipcub16HIPCUB_304000_NS22TransformInputIteratorIbN2at6native12_GLOBAL__N_19NonZeroOpIN3c107complexIfEEEEPKSG_lEEPiiNS8_6detail34convert_binary_result_type_wrapperINS8_3SumESK_iEEEE10hipError_tPvRmT1_T2_T3_mT4_P12ihipStream_tbEUlT_E1_NS1_11comp_targetILNS1_3genE8ELNS1_11target_archE1030ELNS1_3gpuE2ELNS1_3repE0EEENS1_30default_config_static_selectorELNS0_4arch9wavefront6targetE0EEEvST_
; %bb.0:
	.section	.rodata,"a",@progbits
	.p2align	6, 0x0
	.amdhsa_kernel _ZN7rocprim17ROCPRIM_400000_NS6detail17trampoline_kernelINS0_14default_configENS1_22reduce_config_selectorIbEEZNS1_11reduce_implILb1ES3_N6hipcub16HIPCUB_304000_NS22TransformInputIteratorIbN2at6native12_GLOBAL__N_19NonZeroOpIN3c107complexIfEEEEPKSG_lEEPiiNS8_6detail34convert_binary_result_type_wrapperINS8_3SumESK_iEEEE10hipError_tPvRmT1_T2_T3_mT4_P12ihipStream_tbEUlT_E1_NS1_11comp_targetILNS1_3genE8ELNS1_11target_archE1030ELNS1_3gpuE2ELNS1_3repE0EEENS1_30default_config_static_selectorELNS0_4arch9wavefront6targetE0EEEvST_
		.amdhsa_group_segment_fixed_size 0
		.amdhsa_private_segment_fixed_size 0
		.amdhsa_kernarg_size 48
		.amdhsa_user_sgpr_count 2
		.amdhsa_user_sgpr_dispatch_ptr 0
		.amdhsa_user_sgpr_queue_ptr 0
		.amdhsa_user_sgpr_kernarg_segment_ptr 1
		.amdhsa_user_sgpr_dispatch_id 0
		.amdhsa_user_sgpr_private_segment_size 0
		.amdhsa_wavefront_size32 1
		.amdhsa_uses_dynamic_stack 0
		.amdhsa_enable_private_segment 0
		.amdhsa_system_sgpr_workgroup_id_x 1
		.amdhsa_system_sgpr_workgroup_id_y 0
		.amdhsa_system_sgpr_workgroup_id_z 0
		.amdhsa_system_sgpr_workgroup_info 0
		.amdhsa_system_vgpr_workitem_id 0
		.amdhsa_next_free_vgpr 1
		.amdhsa_next_free_sgpr 1
		.amdhsa_reserve_vcc 0
		.amdhsa_float_round_mode_32 0
		.amdhsa_float_round_mode_16_64 0
		.amdhsa_float_denorm_mode_32 3
		.amdhsa_float_denorm_mode_16_64 3
		.amdhsa_fp16_overflow 0
		.amdhsa_workgroup_processor_mode 1
		.amdhsa_memory_ordered 1
		.amdhsa_forward_progress 1
		.amdhsa_inst_pref_size 0
		.amdhsa_round_robin_scheduling 0
		.amdhsa_exception_fp_ieee_invalid_op 0
		.amdhsa_exception_fp_denorm_src 0
		.amdhsa_exception_fp_ieee_div_zero 0
		.amdhsa_exception_fp_ieee_overflow 0
		.amdhsa_exception_fp_ieee_underflow 0
		.amdhsa_exception_fp_ieee_inexact 0
		.amdhsa_exception_int_div_zero 0
	.end_amdhsa_kernel
	.section	.text._ZN7rocprim17ROCPRIM_400000_NS6detail17trampoline_kernelINS0_14default_configENS1_22reduce_config_selectorIbEEZNS1_11reduce_implILb1ES3_N6hipcub16HIPCUB_304000_NS22TransformInputIteratorIbN2at6native12_GLOBAL__N_19NonZeroOpIN3c107complexIfEEEEPKSG_lEEPiiNS8_6detail34convert_binary_result_type_wrapperINS8_3SumESK_iEEEE10hipError_tPvRmT1_T2_T3_mT4_P12ihipStream_tbEUlT_E1_NS1_11comp_targetILNS1_3genE8ELNS1_11target_archE1030ELNS1_3gpuE2ELNS1_3repE0EEENS1_30default_config_static_selectorELNS0_4arch9wavefront6targetE0EEEvST_,"axG",@progbits,_ZN7rocprim17ROCPRIM_400000_NS6detail17trampoline_kernelINS0_14default_configENS1_22reduce_config_selectorIbEEZNS1_11reduce_implILb1ES3_N6hipcub16HIPCUB_304000_NS22TransformInputIteratorIbN2at6native12_GLOBAL__N_19NonZeroOpIN3c107complexIfEEEEPKSG_lEEPiiNS8_6detail34convert_binary_result_type_wrapperINS8_3SumESK_iEEEE10hipError_tPvRmT1_T2_T3_mT4_P12ihipStream_tbEUlT_E1_NS1_11comp_targetILNS1_3genE8ELNS1_11target_archE1030ELNS1_3gpuE2ELNS1_3repE0EEENS1_30default_config_static_selectorELNS0_4arch9wavefront6targetE0EEEvST_,comdat
.Lfunc_end593:
	.size	_ZN7rocprim17ROCPRIM_400000_NS6detail17trampoline_kernelINS0_14default_configENS1_22reduce_config_selectorIbEEZNS1_11reduce_implILb1ES3_N6hipcub16HIPCUB_304000_NS22TransformInputIteratorIbN2at6native12_GLOBAL__N_19NonZeroOpIN3c107complexIfEEEEPKSG_lEEPiiNS8_6detail34convert_binary_result_type_wrapperINS8_3SumESK_iEEEE10hipError_tPvRmT1_T2_T3_mT4_P12ihipStream_tbEUlT_E1_NS1_11comp_targetILNS1_3genE8ELNS1_11target_archE1030ELNS1_3gpuE2ELNS1_3repE0EEENS1_30default_config_static_selectorELNS0_4arch9wavefront6targetE0EEEvST_, .Lfunc_end593-_ZN7rocprim17ROCPRIM_400000_NS6detail17trampoline_kernelINS0_14default_configENS1_22reduce_config_selectorIbEEZNS1_11reduce_implILb1ES3_N6hipcub16HIPCUB_304000_NS22TransformInputIteratorIbN2at6native12_GLOBAL__N_19NonZeroOpIN3c107complexIfEEEEPKSG_lEEPiiNS8_6detail34convert_binary_result_type_wrapperINS8_3SumESK_iEEEE10hipError_tPvRmT1_T2_T3_mT4_P12ihipStream_tbEUlT_E1_NS1_11comp_targetILNS1_3genE8ELNS1_11target_archE1030ELNS1_3gpuE2ELNS1_3repE0EEENS1_30default_config_static_selectorELNS0_4arch9wavefront6targetE0EEEvST_
                                        ; -- End function
	.set _ZN7rocprim17ROCPRIM_400000_NS6detail17trampoline_kernelINS0_14default_configENS1_22reduce_config_selectorIbEEZNS1_11reduce_implILb1ES3_N6hipcub16HIPCUB_304000_NS22TransformInputIteratorIbN2at6native12_GLOBAL__N_19NonZeroOpIN3c107complexIfEEEEPKSG_lEEPiiNS8_6detail34convert_binary_result_type_wrapperINS8_3SumESK_iEEEE10hipError_tPvRmT1_T2_T3_mT4_P12ihipStream_tbEUlT_E1_NS1_11comp_targetILNS1_3genE8ELNS1_11target_archE1030ELNS1_3gpuE2ELNS1_3repE0EEENS1_30default_config_static_selectorELNS0_4arch9wavefront6targetE0EEEvST_.num_vgpr, 0
	.set _ZN7rocprim17ROCPRIM_400000_NS6detail17trampoline_kernelINS0_14default_configENS1_22reduce_config_selectorIbEEZNS1_11reduce_implILb1ES3_N6hipcub16HIPCUB_304000_NS22TransformInputIteratorIbN2at6native12_GLOBAL__N_19NonZeroOpIN3c107complexIfEEEEPKSG_lEEPiiNS8_6detail34convert_binary_result_type_wrapperINS8_3SumESK_iEEEE10hipError_tPvRmT1_T2_T3_mT4_P12ihipStream_tbEUlT_E1_NS1_11comp_targetILNS1_3genE8ELNS1_11target_archE1030ELNS1_3gpuE2ELNS1_3repE0EEENS1_30default_config_static_selectorELNS0_4arch9wavefront6targetE0EEEvST_.num_agpr, 0
	.set _ZN7rocprim17ROCPRIM_400000_NS6detail17trampoline_kernelINS0_14default_configENS1_22reduce_config_selectorIbEEZNS1_11reduce_implILb1ES3_N6hipcub16HIPCUB_304000_NS22TransformInputIteratorIbN2at6native12_GLOBAL__N_19NonZeroOpIN3c107complexIfEEEEPKSG_lEEPiiNS8_6detail34convert_binary_result_type_wrapperINS8_3SumESK_iEEEE10hipError_tPvRmT1_T2_T3_mT4_P12ihipStream_tbEUlT_E1_NS1_11comp_targetILNS1_3genE8ELNS1_11target_archE1030ELNS1_3gpuE2ELNS1_3repE0EEENS1_30default_config_static_selectorELNS0_4arch9wavefront6targetE0EEEvST_.numbered_sgpr, 0
	.set _ZN7rocprim17ROCPRIM_400000_NS6detail17trampoline_kernelINS0_14default_configENS1_22reduce_config_selectorIbEEZNS1_11reduce_implILb1ES3_N6hipcub16HIPCUB_304000_NS22TransformInputIteratorIbN2at6native12_GLOBAL__N_19NonZeroOpIN3c107complexIfEEEEPKSG_lEEPiiNS8_6detail34convert_binary_result_type_wrapperINS8_3SumESK_iEEEE10hipError_tPvRmT1_T2_T3_mT4_P12ihipStream_tbEUlT_E1_NS1_11comp_targetILNS1_3genE8ELNS1_11target_archE1030ELNS1_3gpuE2ELNS1_3repE0EEENS1_30default_config_static_selectorELNS0_4arch9wavefront6targetE0EEEvST_.num_named_barrier, 0
	.set _ZN7rocprim17ROCPRIM_400000_NS6detail17trampoline_kernelINS0_14default_configENS1_22reduce_config_selectorIbEEZNS1_11reduce_implILb1ES3_N6hipcub16HIPCUB_304000_NS22TransformInputIteratorIbN2at6native12_GLOBAL__N_19NonZeroOpIN3c107complexIfEEEEPKSG_lEEPiiNS8_6detail34convert_binary_result_type_wrapperINS8_3SumESK_iEEEE10hipError_tPvRmT1_T2_T3_mT4_P12ihipStream_tbEUlT_E1_NS1_11comp_targetILNS1_3genE8ELNS1_11target_archE1030ELNS1_3gpuE2ELNS1_3repE0EEENS1_30default_config_static_selectorELNS0_4arch9wavefront6targetE0EEEvST_.private_seg_size, 0
	.set _ZN7rocprim17ROCPRIM_400000_NS6detail17trampoline_kernelINS0_14default_configENS1_22reduce_config_selectorIbEEZNS1_11reduce_implILb1ES3_N6hipcub16HIPCUB_304000_NS22TransformInputIteratorIbN2at6native12_GLOBAL__N_19NonZeroOpIN3c107complexIfEEEEPKSG_lEEPiiNS8_6detail34convert_binary_result_type_wrapperINS8_3SumESK_iEEEE10hipError_tPvRmT1_T2_T3_mT4_P12ihipStream_tbEUlT_E1_NS1_11comp_targetILNS1_3genE8ELNS1_11target_archE1030ELNS1_3gpuE2ELNS1_3repE0EEENS1_30default_config_static_selectorELNS0_4arch9wavefront6targetE0EEEvST_.uses_vcc, 0
	.set _ZN7rocprim17ROCPRIM_400000_NS6detail17trampoline_kernelINS0_14default_configENS1_22reduce_config_selectorIbEEZNS1_11reduce_implILb1ES3_N6hipcub16HIPCUB_304000_NS22TransformInputIteratorIbN2at6native12_GLOBAL__N_19NonZeroOpIN3c107complexIfEEEEPKSG_lEEPiiNS8_6detail34convert_binary_result_type_wrapperINS8_3SumESK_iEEEE10hipError_tPvRmT1_T2_T3_mT4_P12ihipStream_tbEUlT_E1_NS1_11comp_targetILNS1_3genE8ELNS1_11target_archE1030ELNS1_3gpuE2ELNS1_3repE0EEENS1_30default_config_static_selectorELNS0_4arch9wavefront6targetE0EEEvST_.uses_flat_scratch, 0
	.set _ZN7rocprim17ROCPRIM_400000_NS6detail17trampoline_kernelINS0_14default_configENS1_22reduce_config_selectorIbEEZNS1_11reduce_implILb1ES3_N6hipcub16HIPCUB_304000_NS22TransformInputIteratorIbN2at6native12_GLOBAL__N_19NonZeroOpIN3c107complexIfEEEEPKSG_lEEPiiNS8_6detail34convert_binary_result_type_wrapperINS8_3SumESK_iEEEE10hipError_tPvRmT1_T2_T3_mT4_P12ihipStream_tbEUlT_E1_NS1_11comp_targetILNS1_3genE8ELNS1_11target_archE1030ELNS1_3gpuE2ELNS1_3repE0EEENS1_30default_config_static_selectorELNS0_4arch9wavefront6targetE0EEEvST_.has_dyn_sized_stack, 0
	.set _ZN7rocprim17ROCPRIM_400000_NS6detail17trampoline_kernelINS0_14default_configENS1_22reduce_config_selectorIbEEZNS1_11reduce_implILb1ES3_N6hipcub16HIPCUB_304000_NS22TransformInputIteratorIbN2at6native12_GLOBAL__N_19NonZeroOpIN3c107complexIfEEEEPKSG_lEEPiiNS8_6detail34convert_binary_result_type_wrapperINS8_3SumESK_iEEEE10hipError_tPvRmT1_T2_T3_mT4_P12ihipStream_tbEUlT_E1_NS1_11comp_targetILNS1_3genE8ELNS1_11target_archE1030ELNS1_3gpuE2ELNS1_3repE0EEENS1_30default_config_static_selectorELNS0_4arch9wavefront6targetE0EEEvST_.has_recursion, 0
	.set _ZN7rocprim17ROCPRIM_400000_NS6detail17trampoline_kernelINS0_14default_configENS1_22reduce_config_selectorIbEEZNS1_11reduce_implILb1ES3_N6hipcub16HIPCUB_304000_NS22TransformInputIteratorIbN2at6native12_GLOBAL__N_19NonZeroOpIN3c107complexIfEEEEPKSG_lEEPiiNS8_6detail34convert_binary_result_type_wrapperINS8_3SumESK_iEEEE10hipError_tPvRmT1_T2_T3_mT4_P12ihipStream_tbEUlT_E1_NS1_11comp_targetILNS1_3genE8ELNS1_11target_archE1030ELNS1_3gpuE2ELNS1_3repE0EEENS1_30default_config_static_selectorELNS0_4arch9wavefront6targetE0EEEvST_.has_indirect_call, 0
	.section	.AMDGPU.csdata,"",@progbits
; Kernel info:
; codeLenInByte = 0
; TotalNumSgprs: 0
; NumVgprs: 0
; ScratchSize: 0
; MemoryBound: 0
; FloatMode: 240
; IeeeMode: 1
; LDSByteSize: 0 bytes/workgroup (compile time only)
; SGPRBlocks: 0
; VGPRBlocks: 0
; NumSGPRsForWavesPerEU: 1
; NumVGPRsForWavesPerEU: 1
; Occupancy: 16
; WaveLimiterHint : 0
; COMPUTE_PGM_RSRC2:SCRATCH_EN: 0
; COMPUTE_PGM_RSRC2:USER_SGPR: 2
; COMPUTE_PGM_RSRC2:TRAP_HANDLER: 0
; COMPUTE_PGM_RSRC2:TGID_X_EN: 1
; COMPUTE_PGM_RSRC2:TGID_Y_EN: 0
; COMPUTE_PGM_RSRC2:TGID_Z_EN: 0
; COMPUTE_PGM_RSRC2:TIDIG_COMP_CNT: 0
	.section	.text._ZN7rocprim17ROCPRIM_400000_NS6detail17trampoline_kernelINS0_14default_configENS1_25partition_config_selectorILNS1_17partition_subalgoE5ElNS0_10empty_typeEbEEZZNS1_14partition_implILS5_5ELb0ES3_mN6hipcub16HIPCUB_304000_NS21CountingInputIteratorIllEEPS6_NSA_22TransformInputIteratorIbN2at6native12_GLOBAL__N_19NonZeroOpIN3c107complexIfEEEEPKSL_lEENS0_5tupleIJPlS6_EEENSQ_IJSD_SD_EEES6_PiJS6_EEE10hipError_tPvRmT3_T4_T5_T6_T7_T9_mT8_P12ihipStream_tbDpT10_ENKUlT_T0_E_clISt17integral_constantIbLb0EES1E_EEDaS19_S1A_EUlS19_E_NS1_11comp_targetILNS1_3genE0ELNS1_11target_archE4294967295ELNS1_3gpuE0ELNS1_3repE0EEENS1_30default_config_static_selectorELNS0_4arch9wavefront6targetE0EEEvT1_,"axG",@progbits,_ZN7rocprim17ROCPRIM_400000_NS6detail17trampoline_kernelINS0_14default_configENS1_25partition_config_selectorILNS1_17partition_subalgoE5ElNS0_10empty_typeEbEEZZNS1_14partition_implILS5_5ELb0ES3_mN6hipcub16HIPCUB_304000_NS21CountingInputIteratorIllEEPS6_NSA_22TransformInputIteratorIbN2at6native12_GLOBAL__N_19NonZeroOpIN3c107complexIfEEEEPKSL_lEENS0_5tupleIJPlS6_EEENSQ_IJSD_SD_EEES6_PiJS6_EEE10hipError_tPvRmT3_T4_T5_T6_T7_T9_mT8_P12ihipStream_tbDpT10_ENKUlT_T0_E_clISt17integral_constantIbLb0EES1E_EEDaS19_S1A_EUlS19_E_NS1_11comp_targetILNS1_3genE0ELNS1_11target_archE4294967295ELNS1_3gpuE0ELNS1_3repE0EEENS1_30default_config_static_selectorELNS0_4arch9wavefront6targetE0EEEvT1_,comdat
	.globl	_ZN7rocprim17ROCPRIM_400000_NS6detail17trampoline_kernelINS0_14default_configENS1_25partition_config_selectorILNS1_17partition_subalgoE5ElNS0_10empty_typeEbEEZZNS1_14partition_implILS5_5ELb0ES3_mN6hipcub16HIPCUB_304000_NS21CountingInputIteratorIllEEPS6_NSA_22TransformInputIteratorIbN2at6native12_GLOBAL__N_19NonZeroOpIN3c107complexIfEEEEPKSL_lEENS0_5tupleIJPlS6_EEENSQ_IJSD_SD_EEES6_PiJS6_EEE10hipError_tPvRmT3_T4_T5_T6_T7_T9_mT8_P12ihipStream_tbDpT10_ENKUlT_T0_E_clISt17integral_constantIbLb0EES1E_EEDaS19_S1A_EUlS19_E_NS1_11comp_targetILNS1_3genE0ELNS1_11target_archE4294967295ELNS1_3gpuE0ELNS1_3repE0EEENS1_30default_config_static_selectorELNS0_4arch9wavefront6targetE0EEEvT1_ ; -- Begin function _ZN7rocprim17ROCPRIM_400000_NS6detail17trampoline_kernelINS0_14default_configENS1_25partition_config_selectorILNS1_17partition_subalgoE5ElNS0_10empty_typeEbEEZZNS1_14partition_implILS5_5ELb0ES3_mN6hipcub16HIPCUB_304000_NS21CountingInputIteratorIllEEPS6_NSA_22TransformInputIteratorIbN2at6native12_GLOBAL__N_19NonZeroOpIN3c107complexIfEEEEPKSL_lEENS0_5tupleIJPlS6_EEENSQ_IJSD_SD_EEES6_PiJS6_EEE10hipError_tPvRmT3_T4_T5_T6_T7_T9_mT8_P12ihipStream_tbDpT10_ENKUlT_T0_E_clISt17integral_constantIbLb0EES1E_EEDaS19_S1A_EUlS19_E_NS1_11comp_targetILNS1_3genE0ELNS1_11target_archE4294967295ELNS1_3gpuE0ELNS1_3repE0EEENS1_30default_config_static_selectorELNS0_4arch9wavefront6targetE0EEEvT1_
	.p2align	8
	.type	_ZN7rocprim17ROCPRIM_400000_NS6detail17trampoline_kernelINS0_14default_configENS1_25partition_config_selectorILNS1_17partition_subalgoE5ElNS0_10empty_typeEbEEZZNS1_14partition_implILS5_5ELb0ES3_mN6hipcub16HIPCUB_304000_NS21CountingInputIteratorIllEEPS6_NSA_22TransformInputIteratorIbN2at6native12_GLOBAL__N_19NonZeroOpIN3c107complexIfEEEEPKSL_lEENS0_5tupleIJPlS6_EEENSQ_IJSD_SD_EEES6_PiJS6_EEE10hipError_tPvRmT3_T4_T5_T6_T7_T9_mT8_P12ihipStream_tbDpT10_ENKUlT_T0_E_clISt17integral_constantIbLb0EES1E_EEDaS19_S1A_EUlS19_E_NS1_11comp_targetILNS1_3genE0ELNS1_11target_archE4294967295ELNS1_3gpuE0ELNS1_3repE0EEENS1_30default_config_static_selectorELNS0_4arch9wavefront6targetE0EEEvT1_,@function
_ZN7rocprim17ROCPRIM_400000_NS6detail17trampoline_kernelINS0_14default_configENS1_25partition_config_selectorILNS1_17partition_subalgoE5ElNS0_10empty_typeEbEEZZNS1_14partition_implILS5_5ELb0ES3_mN6hipcub16HIPCUB_304000_NS21CountingInputIteratorIllEEPS6_NSA_22TransformInputIteratorIbN2at6native12_GLOBAL__N_19NonZeroOpIN3c107complexIfEEEEPKSL_lEENS0_5tupleIJPlS6_EEENSQ_IJSD_SD_EEES6_PiJS6_EEE10hipError_tPvRmT3_T4_T5_T6_T7_T9_mT8_P12ihipStream_tbDpT10_ENKUlT_T0_E_clISt17integral_constantIbLb0EES1E_EEDaS19_S1A_EUlS19_E_NS1_11comp_targetILNS1_3genE0ELNS1_11target_archE4294967295ELNS1_3gpuE0ELNS1_3repE0EEENS1_30default_config_static_selectorELNS0_4arch9wavefront6targetE0EEEvT1_: ; @_ZN7rocprim17ROCPRIM_400000_NS6detail17trampoline_kernelINS0_14default_configENS1_25partition_config_selectorILNS1_17partition_subalgoE5ElNS0_10empty_typeEbEEZZNS1_14partition_implILS5_5ELb0ES3_mN6hipcub16HIPCUB_304000_NS21CountingInputIteratorIllEEPS6_NSA_22TransformInputIteratorIbN2at6native12_GLOBAL__N_19NonZeroOpIN3c107complexIfEEEEPKSL_lEENS0_5tupleIJPlS6_EEENSQ_IJSD_SD_EEES6_PiJS6_EEE10hipError_tPvRmT3_T4_T5_T6_T7_T9_mT8_P12ihipStream_tbDpT10_ENKUlT_T0_E_clISt17integral_constantIbLb0EES1E_EEDaS19_S1A_EUlS19_E_NS1_11comp_targetILNS1_3genE0ELNS1_11target_archE4294967295ELNS1_3gpuE0ELNS1_3repE0EEENS1_30default_config_static_selectorELNS0_4arch9wavefront6targetE0EEEvT1_
; %bb.0:
	.section	.rodata,"a",@progbits
	.p2align	6, 0x0
	.amdhsa_kernel _ZN7rocprim17ROCPRIM_400000_NS6detail17trampoline_kernelINS0_14default_configENS1_25partition_config_selectorILNS1_17partition_subalgoE5ElNS0_10empty_typeEbEEZZNS1_14partition_implILS5_5ELb0ES3_mN6hipcub16HIPCUB_304000_NS21CountingInputIteratorIllEEPS6_NSA_22TransformInputIteratorIbN2at6native12_GLOBAL__N_19NonZeroOpIN3c107complexIfEEEEPKSL_lEENS0_5tupleIJPlS6_EEENSQ_IJSD_SD_EEES6_PiJS6_EEE10hipError_tPvRmT3_T4_T5_T6_T7_T9_mT8_P12ihipStream_tbDpT10_ENKUlT_T0_E_clISt17integral_constantIbLb0EES1E_EEDaS19_S1A_EUlS19_E_NS1_11comp_targetILNS1_3genE0ELNS1_11target_archE4294967295ELNS1_3gpuE0ELNS1_3repE0EEENS1_30default_config_static_selectorELNS0_4arch9wavefront6targetE0EEEvT1_
		.amdhsa_group_segment_fixed_size 0
		.amdhsa_private_segment_fixed_size 0
		.amdhsa_kernarg_size 120
		.amdhsa_user_sgpr_count 2
		.amdhsa_user_sgpr_dispatch_ptr 0
		.amdhsa_user_sgpr_queue_ptr 0
		.amdhsa_user_sgpr_kernarg_segment_ptr 1
		.amdhsa_user_sgpr_dispatch_id 0
		.amdhsa_user_sgpr_private_segment_size 0
		.amdhsa_wavefront_size32 1
		.amdhsa_uses_dynamic_stack 0
		.amdhsa_enable_private_segment 0
		.amdhsa_system_sgpr_workgroup_id_x 1
		.amdhsa_system_sgpr_workgroup_id_y 0
		.amdhsa_system_sgpr_workgroup_id_z 0
		.amdhsa_system_sgpr_workgroup_info 0
		.amdhsa_system_vgpr_workitem_id 0
		.amdhsa_next_free_vgpr 1
		.amdhsa_next_free_sgpr 1
		.amdhsa_reserve_vcc 0
		.amdhsa_float_round_mode_32 0
		.amdhsa_float_round_mode_16_64 0
		.amdhsa_float_denorm_mode_32 3
		.amdhsa_float_denorm_mode_16_64 3
		.amdhsa_fp16_overflow 0
		.amdhsa_workgroup_processor_mode 1
		.amdhsa_memory_ordered 1
		.amdhsa_forward_progress 1
		.amdhsa_inst_pref_size 0
		.amdhsa_round_robin_scheduling 0
		.amdhsa_exception_fp_ieee_invalid_op 0
		.amdhsa_exception_fp_denorm_src 0
		.amdhsa_exception_fp_ieee_div_zero 0
		.amdhsa_exception_fp_ieee_overflow 0
		.amdhsa_exception_fp_ieee_underflow 0
		.amdhsa_exception_fp_ieee_inexact 0
		.amdhsa_exception_int_div_zero 0
	.end_amdhsa_kernel
	.section	.text._ZN7rocprim17ROCPRIM_400000_NS6detail17trampoline_kernelINS0_14default_configENS1_25partition_config_selectorILNS1_17partition_subalgoE5ElNS0_10empty_typeEbEEZZNS1_14partition_implILS5_5ELb0ES3_mN6hipcub16HIPCUB_304000_NS21CountingInputIteratorIllEEPS6_NSA_22TransformInputIteratorIbN2at6native12_GLOBAL__N_19NonZeroOpIN3c107complexIfEEEEPKSL_lEENS0_5tupleIJPlS6_EEENSQ_IJSD_SD_EEES6_PiJS6_EEE10hipError_tPvRmT3_T4_T5_T6_T7_T9_mT8_P12ihipStream_tbDpT10_ENKUlT_T0_E_clISt17integral_constantIbLb0EES1E_EEDaS19_S1A_EUlS19_E_NS1_11comp_targetILNS1_3genE0ELNS1_11target_archE4294967295ELNS1_3gpuE0ELNS1_3repE0EEENS1_30default_config_static_selectorELNS0_4arch9wavefront6targetE0EEEvT1_,"axG",@progbits,_ZN7rocprim17ROCPRIM_400000_NS6detail17trampoline_kernelINS0_14default_configENS1_25partition_config_selectorILNS1_17partition_subalgoE5ElNS0_10empty_typeEbEEZZNS1_14partition_implILS5_5ELb0ES3_mN6hipcub16HIPCUB_304000_NS21CountingInputIteratorIllEEPS6_NSA_22TransformInputIteratorIbN2at6native12_GLOBAL__N_19NonZeroOpIN3c107complexIfEEEEPKSL_lEENS0_5tupleIJPlS6_EEENSQ_IJSD_SD_EEES6_PiJS6_EEE10hipError_tPvRmT3_T4_T5_T6_T7_T9_mT8_P12ihipStream_tbDpT10_ENKUlT_T0_E_clISt17integral_constantIbLb0EES1E_EEDaS19_S1A_EUlS19_E_NS1_11comp_targetILNS1_3genE0ELNS1_11target_archE4294967295ELNS1_3gpuE0ELNS1_3repE0EEENS1_30default_config_static_selectorELNS0_4arch9wavefront6targetE0EEEvT1_,comdat
.Lfunc_end594:
	.size	_ZN7rocprim17ROCPRIM_400000_NS6detail17trampoline_kernelINS0_14default_configENS1_25partition_config_selectorILNS1_17partition_subalgoE5ElNS0_10empty_typeEbEEZZNS1_14partition_implILS5_5ELb0ES3_mN6hipcub16HIPCUB_304000_NS21CountingInputIteratorIllEEPS6_NSA_22TransformInputIteratorIbN2at6native12_GLOBAL__N_19NonZeroOpIN3c107complexIfEEEEPKSL_lEENS0_5tupleIJPlS6_EEENSQ_IJSD_SD_EEES6_PiJS6_EEE10hipError_tPvRmT3_T4_T5_T6_T7_T9_mT8_P12ihipStream_tbDpT10_ENKUlT_T0_E_clISt17integral_constantIbLb0EES1E_EEDaS19_S1A_EUlS19_E_NS1_11comp_targetILNS1_3genE0ELNS1_11target_archE4294967295ELNS1_3gpuE0ELNS1_3repE0EEENS1_30default_config_static_selectorELNS0_4arch9wavefront6targetE0EEEvT1_, .Lfunc_end594-_ZN7rocprim17ROCPRIM_400000_NS6detail17trampoline_kernelINS0_14default_configENS1_25partition_config_selectorILNS1_17partition_subalgoE5ElNS0_10empty_typeEbEEZZNS1_14partition_implILS5_5ELb0ES3_mN6hipcub16HIPCUB_304000_NS21CountingInputIteratorIllEEPS6_NSA_22TransformInputIteratorIbN2at6native12_GLOBAL__N_19NonZeroOpIN3c107complexIfEEEEPKSL_lEENS0_5tupleIJPlS6_EEENSQ_IJSD_SD_EEES6_PiJS6_EEE10hipError_tPvRmT3_T4_T5_T6_T7_T9_mT8_P12ihipStream_tbDpT10_ENKUlT_T0_E_clISt17integral_constantIbLb0EES1E_EEDaS19_S1A_EUlS19_E_NS1_11comp_targetILNS1_3genE0ELNS1_11target_archE4294967295ELNS1_3gpuE0ELNS1_3repE0EEENS1_30default_config_static_selectorELNS0_4arch9wavefront6targetE0EEEvT1_
                                        ; -- End function
	.set _ZN7rocprim17ROCPRIM_400000_NS6detail17trampoline_kernelINS0_14default_configENS1_25partition_config_selectorILNS1_17partition_subalgoE5ElNS0_10empty_typeEbEEZZNS1_14partition_implILS5_5ELb0ES3_mN6hipcub16HIPCUB_304000_NS21CountingInputIteratorIllEEPS6_NSA_22TransformInputIteratorIbN2at6native12_GLOBAL__N_19NonZeroOpIN3c107complexIfEEEEPKSL_lEENS0_5tupleIJPlS6_EEENSQ_IJSD_SD_EEES6_PiJS6_EEE10hipError_tPvRmT3_T4_T5_T6_T7_T9_mT8_P12ihipStream_tbDpT10_ENKUlT_T0_E_clISt17integral_constantIbLb0EES1E_EEDaS19_S1A_EUlS19_E_NS1_11comp_targetILNS1_3genE0ELNS1_11target_archE4294967295ELNS1_3gpuE0ELNS1_3repE0EEENS1_30default_config_static_selectorELNS0_4arch9wavefront6targetE0EEEvT1_.num_vgpr, 0
	.set _ZN7rocprim17ROCPRIM_400000_NS6detail17trampoline_kernelINS0_14default_configENS1_25partition_config_selectorILNS1_17partition_subalgoE5ElNS0_10empty_typeEbEEZZNS1_14partition_implILS5_5ELb0ES3_mN6hipcub16HIPCUB_304000_NS21CountingInputIteratorIllEEPS6_NSA_22TransformInputIteratorIbN2at6native12_GLOBAL__N_19NonZeroOpIN3c107complexIfEEEEPKSL_lEENS0_5tupleIJPlS6_EEENSQ_IJSD_SD_EEES6_PiJS6_EEE10hipError_tPvRmT3_T4_T5_T6_T7_T9_mT8_P12ihipStream_tbDpT10_ENKUlT_T0_E_clISt17integral_constantIbLb0EES1E_EEDaS19_S1A_EUlS19_E_NS1_11comp_targetILNS1_3genE0ELNS1_11target_archE4294967295ELNS1_3gpuE0ELNS1_3repE0EEENS1_30default_config_static_selectorELNS0_4arch9wavefront6targetE0EEEvT1_.num_agpr, 0
	.set _ZN7rocprim17ROCPRIM_400000_NS6detail17trampoline_kernelINS0_14default_configENS1_25partition_config_selectorILNS1_17partition_subalgoE5ElNS0_10empty_typeEbEEZZNS1_14partition_implILS5_5ELb0ES3_mN6hipcub16HIPCUB_304000_NS21CountingInputIteratorIllEEPS6_NSA_22TransformInputIteratorIbN2at6native12_GLOBAL__N_19NonZeroOpIN3c107complexIfEEEEPKSL_lEENS0_5tupleIJPlS6_EEENSQ_IJSD_SD_EEES6_PiJS6_EEE10hipError_tPvRmT3_T4_T5_T6_T7_T9_mT8_P12ihipStream_tbDpT10_ENKUlT_T0_E_clISt17integral_constantIbLb0EES1E_EEDaS19_S1A_EUlS19_E_NS1_11comp_targetILNS1_3genE0ELNS1_11target_archE4294967295ELNS1_3gpuE0ELNS1_3repE0EEENS1_30default_config_static_selectorELNS0_4arch9wavefront6targetE0EEEvT1_.numbered_sgpr, 0
	.set _ZN7rocprim17ROCPRIM_400000_NS6detail17trampoline_kernelINS0_14default_configENS1_25partition_config_selectorILNS1_17partition_subalgoE5ElNS0_10empty_typeEbEEZZNS1_14partition_implILS5_5ELb0ES3_mN6hipcub16HIPCUB_304000_NS21CountingInputIteratorIllEEPS6_NSA_22TransformInputIteratorIbN2at6native12_GLOBAL__N_19NonZeroOpIN3c107complexIfEEEEPKSL_lEENS0_5tupleIJPlS6_EEENSQ_IJSD_SD_EEES6_PiJS6_EEE10hipError_tPvRmT3_T4_T5_T6_T7_T9_mT8_P12ihipStream_tbDpT10_ENKUlT_T0_E_clISt17integral_constantIbLb0EES1E_EEDaS19_S1A_EUlS19_E_NS1_11comp_targetILNS1_3genE0ELNS1_11target_archE4294967295ELNS1_3gpuE0ELNS1_3repE0EEENS1_30default_config_static_selectorELNS0_4arch9wavefront6targetE0EEEvT1_.num_named_barrier, 0
	.set _ZN7rocprim17ROCPRIM_400000_NS6detail17trampoline_kernelINS0_14default_configENS1_25partition_config_selectorILNS1_17partition_subalgoE5ElNS0_10empty_typeEbEEZZNS1_14partition_implILS5_5ELb0ES3_mN6hipcub16HIPCUB_304000_NS21CountingInputIteratorIllEEPS6_NSA_22TransformInputIteratorIbN2at6native12_GLOBAL__N_19NonZeroOpIN3c107complexIfEEEEPKSL_lEENS0_5tupleIJPlS6_EEENSQ_IJSD_SD_EEES6_PiJS6_EEE10hipError_tPvRmT3_T4_T5_T6_T7_T9_mT8_P12ihipStream_tbDpT10_ENKUlT_T0_E_clISt17integral_constantIbLb0EES1E_EEDaS19_S1A_EUlS19_E_NS1_11comp_targetILNS1_3genE0ELNS1_11target_archE4294967295ELNS1_3gpuE0ELNS1_3repE0EEENS1_30default_config_static_selectorELNS0_4arch9wavefront6targetE0EEEvT1_.private_seg_size, 0
	.set _ZN7rocprim17ROCPRIM_400000_NS6detail17trampoline_kernelINS0_14default_configENS1_25partition_config_selectorILNS1_17partition_subalgoE5ElNS0_10empty_typeEbEEZZNS1_14partition_implILS5_5ELb0ES3_mN6hipcub16HIPCUB_304000_NS21CountingInputIteratorIllEEPS6_NSA_22TransformInputIteratorIbN2at6native12_GLOBAL__N_19NonZeroOpIN3c107complexIfEEEEPKSL_lEENS0_5tupleIJPlS6_EEENSQ_IJSD_SD_EEES6_PiJS6_EEE10hipError_tPvRmT3_T4_T5_T6_T7_T9_mT8_P12ihipStream_tbDpT10_ENKUlT_T0_E_clISt17integral_constantIbLb0EES1E_EEDaS19_S1A_EUlS19_E_NS1_11comp_targetILNS1_3genE0ELNS1_11target_archE4294967295ELNS1_3gpuE0ELNS1_3repE0EEENS1_30default_config_static_selectorELNS0_4arch9wavefront6targetE0EEEvT1_.uses_vcc, 0
	.set _ZN7rocprim17ROCPRIM_400000_NS6detail17trampoline_kernelINS0_14default_configENS1_25partition_config_selectorILNS1_17partition_subalgoE5ElNS0_10empty_typeEbEEZZNS1_14partition_implILS5_5ELb0ES3_mN6hipcub16HIPCUB_304000_NS21CountingInputIteratorIllEEPS6_NSA_22TransformInputIteratorIbN2at6native12_GLOBAL__N_19NonZeroOpIN3c107complexIfEEEEPKSL_lEENS0_5tupleIJPlS6_EEENSQ_IJSD_SD_EEES6_PiJS6_EEE10hipError_tPvRmT3_T4_T5_T6_T7_T9_mT8_P12ihipStream_tbDpT10_ENKUlT_T0_E_clISt17integral_constantIbLb0EES1E_EEDaS19_S1A_EUlS19_E_NS1_11comp_targetILNS1_3genE0ELNS1_11target_archE4294967295ELNS1_3gpuE0ELNS1_3repE0EEENS1_30default_config_static_selectorELNS0_4arch9wavefront6targetE0EEEvT1_.uses_flat_scratch, 0
	.set _ZN7rocprim17ROCPRIM_400000_NS6detail17trampoline_kernelINS0_14default_configENS1_25partition_config_selectorILNS1_17partition_subalgoE5ElNS0_10empty_typeEbEEZZNS1_14partition_implILS5_5ELb0ES3_mN6hipcub16HIPCUB_304000_NS21CountingInputIteratorIllEEPS6_NSA_22TransformInputIteratorIbN2at6native12_GLOBAL__N_19NonZeroOpIN3c107complexIfEEEEPKSL_lEENS0_5tupleIJPlS6_EEENSQ_IJSD_SD_EEES6_PiJS6_EEE10hipError_tPvRmT3_T4_T5_T6_T7_T9_mT8_P12ihipStream_tbDpT10_ENKUlT_T0_E_clISt17integral_constantIbLb0EES1E_EEDaS19_S1A_EUlS19_E_NS1_11comp_targetILNS1_3genE0ELNS1_11target_archE4294967295ELNS1_3gpuE0ELNS1_3repE0EEENS1_30default_config_static_selectorELNS0_4arch9wavefront6targetE0EEEvT1_.has_dyn_sized_stack, 0
	.set _ZN7rocprim17ROCPRIM_400000_NS6detail17trampoline_kernelINS0_14default_configENS1_25partition_config_selectorILNS1_17partition_subalgoE5ElNS0_10empty_typeEbEEZZNS1_14partition_implILS5_5ELb0ES3_mN6hipcub16HIPCUB_304000_NS21CountingInputIteratorIllEEPS6_NSA_22TransformInputIteratorIbN2at6native12_GLOBAL__N_19NonZeroOpIN3c107complexIfEEEEPKSL_lEENS0_5tupleIJPlS6_EEENSQ_IJSD_SD_EEES6_PiJS6_EEE10hipError_tPvRmT3_T4_T5_T6_T7_T9_mT8_P12ihipStream_tbDpT10_ENKUlT_T0_E_clISt17integral_constantIbLb0EES1E_EEDaS19_S1A_EUlS19_E_NS1_11comp_targetILNS1_3genE0ELNS1_11target_archE4294967295ELNS1_3gpuE0ELNS1_3repE0EEENS1_30default_config_static_selectorELNS0_4arch9wavefront6targetE0EEEvT1_.has_recursion, 0
	.set _ZN7rocprim17ROCPRIM_400000_NS6detail17trampoline_kernelINS0_14default_configENS1_25partition_config_selectorILNS1_17partition_subalgoE5ElNS0_10empty_typeEbEEZZNS1_14partition_implILS5_5ELb0ES3_mN6hipcub16HIPCUB_304000_NS21CountingInputIteratorIllEEPS6_NSA_22TransformInputIteratorIbN2at6native12_GLOBAL__N_19NonZeroOpIN3c107complexIfEEEEPKSL_lEENS0_5tupleIJPlS6_EEENSQ_IJSD_SD_EEES6_PiJS6_EEE10hipError_tPvRmT3_T4_T5_T6_T7_T9_mT8_P12ihipStream_tbDpT10_ENKUlT_T0_E_clISt17integral_constantIbLb0EES1E_EEDaS19_S1A_EUlS19_E_NS1_11comp_targetILNS1_3genE0ELNS1_11target_archE4294967295ELNS1_3gpuE0ELNS1_3repE0EEENS1_30default_config_static_selectorELNS0_4arch9wavefront6targetE0EEEvT1_.has_indirect_call, 0
	.section	.AMDGPU.csdata,"",@progbits
; Kernel info:
; codeLenInByte = 0
; TotalNumSgprs: 0
; NumVgprs: 0
; ScratchSize: 0
; MemoryBound: 0
; FloatMode: 240
; IeeeMode: 1
; LDSByteSize: 0 bytes/workgroup (compile time only)
; SGPRBlocks: 0
; VGPRBlocks: 0
; NumSGPRsForWavesPerEU: 1
; NumVGPRsForWavesPerEU: 1
; Occupancy: 16
; WaveLimiterHint : 0
; COMPUTE_PGM_RSRC2:SCRATCH_EN: 0
; COMPUTE_PGM_RSRC2:USER_SGPR: 2
; COMPUTE_PGM_RSRC2:TRAP_HANDLER: 0
; COMPUTE_PGM_RSRC2:TGID_X_EN: 1
; COMPUTE_PGM_RSRC2:TGID_Y_EN: 0
; COMPUTE_PGM_RSRC2:TGID_Z_EN: 0
; COMPUTE_PGM_RSRC2:TIDIG_COMP_CNT: 0
	.section	.text._ZN7rocprim17ROCPRIM_400000_NS6detail17trampoline_kernelINS0_14default_configENS1_25partition_config_selectorILNS1_17partition_subalgoE5ElNS0_10empty_typeEbEEZZNS1_14partition_implILS5_5ELb0ES3_mN6hipcub16HIPCUB_304000_NS21CountingInputIteratorIllEEPS6_NSA_22TransformInputIteratorIbN2at6native12_GLOBAL__N_19NonZeroOpIN3c107complexIfEEEEPKSL_lEENS0_5tupleIJPlS6_EEENSQ_IJSD_SD_EEES6_PiJS6_EEE10hipError_tPvRmT3_T4_T5_T6_T7_T9_mT8_P12ihipStream_tbDpT10_ENKUlT_T0_E_clISt17integral_constantIbLb0EES1E_EEDaS19_S1A_EUlS19_E_NS1_11comp_targetILNS1_3genE5ELNS1_11target_archE942ELNS1_3gpuE9ELNS1_3repE0EEENS1_30default_config_static_selectorELNS0_4arch9wavefront6targetE0EEEvT1_,"axG",@progbits,_ZN7rocprim17ROCPRIM_400000_NS6detail17trampoline_kernelINS0_14default_configENS1_25partition_config_selectorILNS1_17partition_subalgoE5ElNS0_10empty_typeEbEEZZNS1_14partition_implILS5_5ELb0ES3_mN6hipcub16HIPCUB_304000_NS21CountingInputIteratorIllEEPS6_NSA_22TransformInputIteratorIbN2at6native12_GLOBAL__N_19NonZeroOpIN3c107complexIfEEEEPKSL_lEENS0_5tupleIJPlS6_EEENSQ_IJSD_SD_EEES6_PiJS6_EEE10hipError_tPvRmT3_T4_T5_T6_T7_T9_mT8_P12ihipStream_tbDpT10_ENKUlT_T0_E_clISt17integral_constantIbLb0EES1E_EEDaS19_S1A_EUlS19_E_NS1_11comp_targetILNS1_3genE5ELNS1_11target_archE942ELNS1_3gpuE9ELNS1_3repE0EEENS1_30default_config_static_selectorELNS0_4arch9wavefront6targetE0EEEvT1_,comdat
	.globl	_ZN7rocprim17ROCPRIM_400000_NS6detail17trampoline_kernelINS0_14default_configENS1_25partition_config_selectorILNS1_17partition_subalgoE5ElNS0_10empty_typeEbEEZZNS1_14partition_implILS5_5ELb0ES3_mN6hipcub16HIPCUB_304000_NS21CountingInputIteratorIllEEPS6_NSA_22TransformInputIteratorIbN2at6native12_GLOBAL__N_19NonZeroOpIN3c107complexIfEEEEPKSL_lEENS0_5tupleIJPlS6_EEENSQ_IJSD_SD_EEES6_PiJS6_EEE10hipError_tPvRmT3_T4_T5_T6_T7_T9_mT8_P12ihipStream_tbDpT10_ENKUlT_T0_E_clISt17integral_constantIbLb0EES1E_EEDaS19_S1A_EUlS19_E_NS1_11comp_targetILNS1_3genE5ELNS1_11target_archE942ELNS1_3gpuE9ELNS1_3repE0EEENS1_30default_config_static_selectorELNS0_4arch9wavefront6targetE0EEEvT1_ ; -- Begin function _ZN7rocprim17ROCPRIM_400000_NS6detail17trampoline_kernelINS0_14default_configENS1_25partition_config_selectorILNS1_17partition_subalgoE5ElNS0_10empty_typeEbEEZZNS1_14partition_implILS5_5ELb0ES3_mN6hipcub16HIPCUB_304000_NS21CountingInputIteratorIllEEPS6_NSA_22TransformInputIteratorIbN2at6native12_GLOBAL__N_19NonZeroOpIN3c107complexIfEEEEPKSL_lEENS0_5tupleIJPlS6_EEENSQ_IJSD_SD_EEES6_PiJS6_EEE10hipError_tPvRmT3_T4_T5_T6_T7_T9_mT8_P12ihipStream_tbDpT10_ENKUlT_T0_E_clISt17integral_constantIbLb0EES1E_EEDaS19_S1A_EUlS19_E_NS1_11comp_targetILNS1_3genE5ELNS1_11target_archE942ELNS1_3gpuE9ELNS1_3repE0EEENS1_30default_config_static_selectorELNS0_4arch9wavefront6targetE0EEEvT1_
	.p2align	8
	.type	_ZN7rocprim17ROCPRIM_400000_NS6detail17trampoline_kernelINS0_14default_configENS1_25partition_config_selectorILNS1_17partition_subalgoE5ElNS0_10empty_typeEbEEZZNS1_14partition_implILS5_5ELb0ES3_mN6hipcub16HIPCUB_304000_NS21CountingInputIteratorIllEEPS6_NSA_22TransformInputIteratorIbN2at6native12_GLOBAL__N_19NonZeroOpIN3c107complexIfEEEEPKSL_lEENS0_5tupleIJPlS6_EEENSQ_IJSD_SD_EEES6_PiJS6_EEE10hipError_tPvRmT3_T4_T5_T6_T7_T9_mT8_P12ihipStream_tbDpT10_ENKUlT_T0_E_clISt17integral_constantIbLb0EES1E_EEDaS19_S1A_EUlS19_E_NS1_11comp_targetILNS1_3genE5ELNS1_11target_archE942ELNS1_3gpuE9ELNS1_3repE0EEENS1_30default_config_static_selectorELNS0_4arch9wavefront6targetE0EEEvT1_,@function
_ZN7rocprim17ROCPRIM_400000_NS6detail17trampoline_kernelINS0_14default_configENS1_25partition_config_selectorILNS1_17partition_subalgoE5ElNS0_10empty_typeEbEEZZNS1_14partition_implILS5_5ELb0ES3_mN6hipcub16HIPCUB_304000_NS21CountingInputIteratorIllEEPS6_NSA_22TransformInputIteratorIbN2at6native12_GLOBAL__N_19NonZeroOpIN3c107complexIfEEEEPKSL_lEENS0_5tupleIJPlS6_EEENSQ_IJSD_SD_EEES6_PiJS6_EEE10hipError_tPvRmT3_T4_T5_T6_T7_T9_mT8_P12ihipStream_tbDpT10_ENKUlT_T0_E_clISt17integral_constantIbLb0EES1E_EEDaS19_S1A_EUlS19_E_NS1_11comp_targetILNS1_3genE5ELNS1_11target_archE942ELNS1_3gpuE9ELNS1_3repE0EEENS1_30default_config_static_selectorELNS0_4arch9wavefront6targetE0EEEvT1_: ; @_ZN7rocprim17ROCPRIM_400000_NS6detail17trampoline_kernelINS0_14default_configENS1_25partition_config_selectorILNS1_17partition_subalgoE5ElNS0_10empty_typeEbEEZZNS1_14partition_implILS5_5ELb0ES3_mN6hipcub16HIPCUB_304000_NS21CountingInputIteratorIllEEPS6_NSA_22TransformInputIteratorIbN2at6native12_GLOBAL__N_19NonZeroOpIN3c107complexIfEEEEPKSL_lEENS0_5tupleIJPlS6_EEENSQ_IJSD_SD_EEES6_PiJS6_EEE10hipError_tPvRmT3_T4_T5_T6_T7_T9_mT8_P12ihipStream_tbDpT10_ENKUlT_T0_E_clISt17integral_constantIbLb0EES1E_EEDaS19_S1A_EUlS19_E_NS1_11comp_targetILNS1_3genE5ELNS1_11target_archE942ELNS1_3gpuE9ELNS1_3repE0EEENS1_30default_config_static_selectorELNS0_4arch9wavefront6targetE0EEEvT1_
; %bb.0:
	.section	.rodata,"a",@progbits
	.p2align	6, 0x0
	.amdhsa_kernel _ZN7rocprim17ROCPRIM_400000_NS6detail17trampoline_kernelINS0_14default_configENS1_25partition_config_selectorILNS1_17partition_subalgoE5ElNS0_10empty_typeEbEEZZNS1_14partition_implILS5_5ELb0ES3_mN6hipcub16HIPCUB_304000_NS21CountingInputIteratorIllEEPS6_NSA_22TransformInputIteratorIbN2at6native12_GLOBAL__N_19NonZeroOpIN3c107complexIfEEEEPKSL_lEENS0_5tupleIJPlS6_EEENSQ_IJSD_SD_EEES6_PiJS6_EEE10hipError_tPvRmT3_T4_T5_T6_T7_T9_mT8_P12ihipStream_tbDpT10_ENKUlT_T0_E_clISt17integral_constantIbLb0EES1E_EEDaS19_S1A_EUlS19_E_NS1_11comp_targetILNS1_3genE5ELNS1_11target_archE942ELNS1_3gpuE9ELNS1_3repE0EEENS1_30default_config_static_selectorELNS0_4arch9wavefront6targetE0EEEvT1_
		.amdhsa_group_segment_fixed_size 0
		.amdhsa_private_segment_fixed_size 0
		.amdhsa_kernarg_size 120
		.amdhsa_user_sgpr_count 2
		.amdhsa_user_sgpr_dispatch_ptr 0
		.amdhsa_user_sgpr_queue_ptr 0
		.amdhsa_user_sgpr_kernarg_segment_ptr 1
		.amdhsa_user_sgpr_dispatch_id 0
		.amdhsa_user_sgpr_private_segment_size 0
		.amdhsa_wavefront_size32 1
		.amdhsa_uses_dynamic_stack 0
		.amdhsa_enable_private_segment 0
		.amdhsa_system_sgpr_workgroup_id_x 1
		.amdhsa_system_sgpr_workgroup_id_y 0
		.amdhsa_system_sgpr_workgroup_id_z 0
		.amdhsa_system_sgpr_workgroup_info 0
		.amdhsa_system_vgpr_workitem_id 0
		.amdhsa_next_free_vgpr 1
		.amdhsa_next_free_sgpr 1
		.amdhsa_reserve_vcc 0
		.amdhsa_float_round_mode_32 0
		.amdhsa_float_round_mode_16_64 0
		.amdhsa_float_denorm_mode_32 3
		.amdhsa_float_denorm_mode_16_64 3
		.amdhsa_fp16_overflow 0
		.amdhsa_workgroup_processor_mode 1
		.amdhsa_memory_ordered 1
		.amdhsa_forward_progress 1
		.amdhsa_inst_pref_size 0
		.amdhsa_round_robin_scheduling 0
		.amdhsa_exception_fp_ieee_invalid_op 0
		.amdhsa_exception_fp_denorm_src 0
		.amdhsa_exception_fp_ieee_div_zero 0
		.amdhsa_exception_fp_ieee_overflow 0
		.amdhsa_exception_fp_ieee_underflow 0
		.amdhsa_exception_fp_ieee_inexact 0
		.amdhsa_exception_int_div_zero 0
	.end_amdhsa_kernel
	.section	.text._ZN7rocprim17ROCPRIM_400000_NS6detail17trampoline_kernelINS0_14default_configENS1_25partition_config_selectorILNS1_17partition_subalgoE5ElNS0_10empty_typeEbEEZZNS1_14partition_implILS5_5ELb0ES3_mN6hipcub16HIPCUB_304000_NS21CountingInputIteratorIllEEPS6_NSA_22TransformInputIteratorIbN2at6native12_GLOBAL__N_19NonZeroOpIN3c107complexIfEEEEPKSL_lEENS0_5tupleIJPlS6_EEENSQ_IJSD_SD_EEES6_PiJS6_EEE10hipError_tPvRmT3_T4_T5_T6_T7_T9_mT8_P12ihipStream_tbDpT10_ENKUlT_T0_E_clISt17integral_constantIbLb0EES1E_EEDaS19_S1A_EUlS19_E_NS1_11comp_targetILNS1_3genE5ELNS1_11target_archE942ELNS1_3gpuE9ELNS1_3repE0EEENS1_30default_config_static_selectorELNS0_4arch9wavefront6targetE0EEEvT1_,"axG",@progbits,_ZN7rocprim17ROCPRIM_400000_NS6detail17trampoline_kernelINS0_14default_configENS1_25partition_config_selectorILNS1_17partition_subalgoE5ElNS0_10empty_typeEbEEZZNS1_14partition_implILS5_5ELb0ES3_mN6hipcub16HIPCUB_304000_NS21CountingInputIteratorIllEEPS6_NSA_22TransformInputIteratorIbN2at6native12_GLOBAL__N_19NonZeroOpIN3c107complexIfEEEEPKSL_lEENS0_5tupleIJPlS6_EEENSQ_IJSD_SD_EEES6_PiJS6_EEE10hipError_tPvRmT3_T4_T5_T6_T7_T9_mT8_P12ihipStream_tbDpT10_ENKUlT_T0_E_clISt17integral_constantIbLb0EES1E_EEDaS19_S1A_EUlS19_E_NS1_11comp_targetILNS1_3genE5ELNS1_11target_archE942ELNS1_3gpuE9ELNS1_3repE0EEENS1_30default_config_static_selectorELNS0_4arch9wavefront6targetE0EEEvT1_,comdat
.Lfunc_end595:
	.size	_ZN7rocprim17ROCPRIM_400000_NS6detail17trampoline_kernelINS0_14default_configENS1_25partition_config_selectorILNS1_17partition_subalgoE5ElNS0_10empty_typeEbEEZZNS1_14partition_implILS5_5ELb0ES3_mN6hipcub16HIPCUB_304000_NS21CountingInputIteratorIllEEPS6_NSA_22TransformInputIteratorIbN2at6native12_GLOBAL__N_19NonZeroOpIN3c107complexIfEEEEPKSL_lEENS0_5tupleIJPlS6_EEENSQ_IJSD_SD_EEES6_PiJS6_EEE10hipError_tPvRmT3_T4_T5_T6_T7_T9_mT8_P12ihipStream_tbDpT10_ENKUlT_T0_E_clISt17integral_constantIbLb0EES1E_EEDaS19_S1A_EUlS19_E_NS1_11comp_targetILNS1_3genE5ELNS1_11target_archE942ELNS1_3gpuE9ELNS1_3repE0EEENS1_30default_config_static_selectorELNS0_4arch9wavefront6targetE0EEEvT1_, .Lfunc_end595-_ZN7rocprim17ROCPRIM_400000_NS6detail17trampoline_kernelINS0_14default_configENS1_25partition_config_selectorILNS1_17partition_subalgoE5ElNS0_10empty_typeEbEEZZNS1_14partition_implILS5_5ELb0ES3_mN6hipcub16HIPCUB_304000_NS21CountingInputIteratorIllEEPS6_NSA_22TransformInputIteratorIbN2at6native12_GLOBAL__N_19NonZeroOpIN3c107complexIfEEEEPKSL_lEENS0_5tupleIJPlS6_EEENSQ_IJSD_SD_EEES6_PiJS6_EEE10hipError_tPvRmT3_T4_T5_T6_T7_T9_mT8_P12ihipStream_tbDpT10_ENKUlT_T0_E_clISt17integral_constantIbLb0EES1E_EEDaS19_S1A_EUlS19_E_NS1_11comp_targetILNS1_3genE5ELNS1_11target_archE942ELNS1_3gpuE9ELNS1_3repE0EEENS1_30default_config_static_selectorELNS0_4arch9wavefront6targetE0EEEvT1_
                                        ; -- End function
	.set _ZN7rocprim17ROCPRIM_400000_NS6detail17trampoline_kernelINS0_14default_configENS1_25partition_config_selectorILNS1_17partition_subalgoE5ElNS0_10empty_typeEbEEZZNS1_14partition_implILS5_5ELb0ES3_mN6hipcub16HIPCUB_304000_NS21CountingInputIteratorIllEEPS6_NSA_22TransformInputIteratorIbN2at6native12_GLOBAL__N_19NonZeroOpIN3c107complexIfEEEEPKSL_lEENS0_5tupleIJPlS6_EEENSQ_IJSD_SD_EEES6_PiJS6_EEE10hipError_tPvRmT3_T4_T5_T6_T7_T9_mT8_P12ihipStream_tbDpT10_ENKUlT_T0_E_clISt17integral_constantIbLb0EES1E_EEDaS19_S1A_EUlS19_E_NS1_11comp_targetILNS1_3genE5ELNS1_11target_archE942ELNS1_3gpuE9ELNS1_3repE0EEENS1_30default_config_static_selectorELNS0_4arch9wavefront6targetE0EEEvT1_.num_vgpr, 0
	.set _ZN7rocprim17ROCPRIM_400000_NS6detail17trampoline_kernelINS0_14default_configENS1_25partition_config_selectorILNS1_17partition_subalgoE5ElNS0_10empty_typeEbEEZZNS1_14partition_implILS5_5ELb0ES3_mN6hipcub16HIPCUB_304000_NS21CountingInputIteratorIllEEPS6_NSA_22TransformInputIteratorIbN2at6native12_GLOBAL__N_19NonZeroOpIN3c107complexIfEEEEPKSL_lEENS0_5tupleIJPlS6_EEENSQ_IJSD_SD_EEES6_PiJS6_EEE10hipError_tPvRmT3_T4_T5_T6_T7_T9_mT8_P12ihipStream_tbDpT10_ENKUlT_T0_E_clISt17integral_constantIbLb0EES1E_EEDaS19_S1A_EUlS19_E_NS1_11comp_targetILNS1_3genE5ELNS1_11target_archE942ELNS1_3gpuE9ELNS1_3repE0EEENS1_30default_config_static_selectorELNS0_4arch9wavefront6targetE0EEEvT1_.num_agpr, 0
	.set _ZN7rocprim17ROCPRIM_400000_NS6detail17trampoline_kernelINS0_14default_configENS1_25partition_config_selectorILNS1_17partition_subalgoE5ElNS0_10empty_typeEbEEZZNS1_14partition_implILS5_5ELb0ES3_mN6hipcub16HIPCUB_304000_NS21CountingInputIteratorIllEEPS6_NSA_22TransformInputIteratorIbN2at6native12_GLOBAL__N_19NonZeroOpIN3c107complexIfEEEEPKSL_lEENS0_5tupleIJPlS6_EEENSQ_IJSD_SD_EEES6_PiJS6_EEE10hipError_tPvRmT3_T4_T5_T6_T7_T9_mT8_P12ihipStream_tbDpT10_ENKUlT_T0_E_clISt17integral_constantIbLb0EES1E_EEDaS19_S1A_EUlS19_E_NS1_11comp_targetILNS1_3genE5ELNS1_11target_archE942ELNS1_3gpuE9ELNS1_3repE0EEENS1_30default_config_static_selectorELNS0_4arch9wavefront6targetE0EEEvT1_.numbered_sgpr, 0
	.set _ZN7rocprim17ROCPRIM_400000_NS6detail17trampoline_kernelINS0_14default_configENS1_25partition_config_selectorILNS1_17partition_subalgoE5ElNS0_10empty_typeEbEEZZNS1_14partition_implILS5_5ELb0ES3_mN6hipcub16HIPCUB_304000_NS21CountingInputIteratorIllEEPS6_NSA_22TransformInputIteratorIbN2at6native12_GLOBAL__N_19NonZeroOpIN3c107complexIfEEEEPKSL_lEENS0_5tupleIJPlS6_EEENSQ_IJSD_SD_EEES6_PiJS6_EEE10hipError_tPvRmT3_T4_T5_T6_T7_T9_mT8_P12ihipStream_tbDpT10_ENKUlT_T0_E_clISt17integral_constantIbLb0EES1E_EEDaS19_S1A_EUlS19_E_NS1_11comp_targetILNS1_3genE5ELNS1_11target_archE942ELNS1_3gpuE9ELNS1_3repE0EEENS1_30default_config_static_selectorELNS0_4arch9wavefront6targetE0EEEvT1_.num_named_barrier, 0
	.set _ZN7rocprim17ROCPRIM_400000_NS6detail17trampoline_kernelINS0_14default_configENS1_25partition_config_selectorILNS1_17partition_subalgoE5ElNS0_10empty_typeEbEEZZNS1_14partition_implILS5_5ELb0ES3_mN6hipcub16HIPCUB_304000_NS21CountingInputIteratorIllEEPS6_NSA_22TransformInputIteratorIbN2at6native12_GLOBAL__N_19NonZeroOpIN3c107complexIfEEEEPKSL_lEENS0_5tupleIJPlS6_EEENSQ_IJSD_SD_EEES6_PiJS6_EEE10hipError_tPvRmT3_T4_T5_T6_T7_T9_mT8_P12ihipStream_tbDpT10_ENKUlT_T0_E_clISt17integral_constantIbLb0EES1E_EEDaS19_S1A_EUlS19_E_NS1_11comp_targetILNS1_3genE5ELNS1_11target_archE942ELNS1_3gpuE9ELNS1_3repE0EEENS1_30default_config_static_selectorELNS0_4arch9wavefront6targetE0EEEvT1_.private_seg_size, 0
	.set _ZN7rocprim17ROCPRIM_400000_NS6detail17trampoline_kernelINS0_14default_configENS1_25partition_config_selectorILNS1_17partition_subalgoE5ElNS0_10empty_typeEbEEZZNS1_14partition_implILS5_5ELb0ES3_mN6hipcub16HIPCUB_304000_NS21CountingInputIteratorIllEEPS6_NSA_22TransformInputIteratorIbN2at6native12_GLOBAL__N_19NonZeroOpIN3c107complexIfEEEEPKSL_lEENS0_5tupleIJPlS6_EEENSQ_IJSD_SD_EEES6_PiJS6_EEE10hipError_tPvRmT3_T4_T5_T6_T7_T9_mT8_P12ihipStream_tbDpT10_ENKUlT_T0_E_clISt17integral_constantIbLb0EES1E_EEDaS19_S1A_EUlS19_E_NS1_11comp_targetILNS1_3genE5ELNS1_11target_archE942ELNS1_3gpuE9ELNS1_3repE0EEENS1_30default_config_static_selectorELNS0_4arch9wavefront6targetE0EEEvT1_.uses_vcc, 0
	.set _ZN7rocprim17ROCPRIM_400000_NS6detail17trampoline_kernelINS0_14default_configENS1_25partition_config_selectorILNS1_17partition_subalgoE5ElNS0_10empty_typeEbEEZZNS1_14partition_implILS5_5ELb0ES3_mN6hipcub16HIPCUB_304000_NS21CountingInputIteratorIllEEPS6_NSA_22TransformInputIteratorIbN2at6native12_GLOBAL__N_19NonZeroOpIN3c107complexIfEEEEPKSL_lEENS0_5tupleIJPlS6_EEENSQ_IJSD_SD_EEES6_PiJS6_EEE10hipError_tPvRmT3_T4_T5_T6_T7_T9_mT8_P12ihipStream_tbDpT10_ENKUlT_T0_E_clISt17integral_constantIbLb0EES1E_EEDaS19_S1A_EUlS19_E_NS1_11comp_targetILNS1_3genE5ELNS1_11target_archE942ELNS1_3gpuE9ELNS1_3repE0EEENS1_30default_config_static_selectorELNS0_4arch9wavefront6targetE0EEEvT1_.uses_flat_scratch, 0
	.set _ZN7rocprim17ROCPRIM_400000_NS6detail17trampoline_kernelINS0_14default_configENS1_25partition_config_selectorILNS1_17partition_subalgoE5ElNS0_10empty_typeEbEEZZNS1_14partition_implILS5_5ELb0ES3_mN6hipcub16HIPCUB_304000_NS21CountingInputIteratorIllEEPS6_NSA_22TransformInputIteratorIbN2at6native12_GLOBAL__N_19NonZeroOpIN3c107complexIfEEEEPKSL_lEENS0_5tupleIJPlS6_EEENSQ_IJSD_SD_EEES6_PiJS6_EEE10hipError_tPvRmT3_T4_T5_T6_T7_T9_mT8_P12ihipStream_tbDpT10_ENKUlT_T0_E_clISt17integral_constantIbLb0EES1E_EEDaS19_S1A_EUlS19_E_NS1_11comp_targetILNS1_3genE5ELNS1_11target_archE942ELNS1_3gpuE9ELNS1_3repE0EEENS1_30default_config_static_selectorELNS0_4arch9wavefront6targetE0EEEvT1_.has_dyn_sized_stack, 0
	.set _ZN7rocprim17ROCPRIM_400000_NS6detail17trampoline_kernelINS0_14default_configENS1_25partition_config_selectorILNS1_17partition_subalgoE5ElNS0_10empty_typeEbEEZZNS1_14partition_implILS5_5ELb0ES3_mN6hipcub16HIPCUB_304000_NS21CountingInputIteratorIllEEPS6_NSA_22TransformInputIteratorIbN2at6native12_GLOBAL__N_19NonZeroOpIN3c107complexIfEEEEPKSL_lEENS0_5tupleIJPlS6_EEENSQ_IJSD_SD_EEES6_PiJS6_EEE10hipError_tPvRmT3_T4_T5_T6_T7_T9_mT8_P12ihipStream_tbDpT10_ENKUlT_T0_E_clISt17integral_constantIbLb0EES1E_EEDaS19_S1A_EUlS19_E_NS1_11comp_targetILNS1_3genE5ELNS1_11target_archE942ELNS1_3gpuE9ELNS1_3repE0EEENS1_30default_config_static_selectorELNS0_4arch9wavefront6targetE0EEEvT1_.has_recursion, 0
	.set _ZN7rocprim17ROCPRIM_400000_NS6detail17trampoline_kernelINS0_14default_configENS1_25partition_config_selectorILNS1_17partition_subalgoE5ElNS0_10empty_typeEbEEZZNS1_14partition_implILS5_5ELb0ES3_mN6hipcub16HIPCUB_304000_NS21CountingInputIteratorIllEEPS6_NSA_22TransformInputIteratorIbN2at6native12_GLOBAL__N_19NonZeroOpIN3c107complexIfEEEEPKSL_lEENS0_5tupleIJPlS6_EEENSQ_IJSD_SD_EEES6_PiJS6_EEE10hipError_tPvRmT3_T4_T5_T6_T7_T9_mT8_P12ihipStream_tbDpT10_ENKUlT_T0_E_clISt17integral_constantIbLb0EES1E_EEDaS19_S1A_EUlS19_E_NS1_11comp_targetILNS1_3genE5ELNS1_11target_archE942ELNS1_3gpuE9ELNS1_3repE0EEENS1_30default_config_static_selectorELNS0_4arch9wavefront6targetE0EEEvT1_.has_indirect_call, 0
	.section	.AMDGPU.csdata,"",@progbits
; Kernel info:
; codeLenInByte = 0
; TotalNumSgprs: 0
; NumVgprs: 0
; ScratchSize: 0
; MemoryBound: 0
; FloatMode: 240
; IeeeMode: 1
; LDSByteSize: 0 bytes/workgroup (compile time only)
; SGPRBlocks: 0
; VGPRBlocks: 0
; NumSGPRsForWavesPerEU: 1
; NumVGPRsForWavesPerEU: 1
; Occupancy: 16
; WaveLimiterHint : 0
; COMPUTE_PGM_RSRC2:SCRATCH_EN: 0
; COMPUTE_PGM_RSRC2:USER_SGPR: 2
; COMPUTE_PGM_RSRC2:TRAP_HANDLER: 0
; COMPUTE_PGM_RSRC2:TGID_X_EN: 1
; COMPUTE_PGM_RSRC2:TGID_Y_EN: 0
; COMPUTE_PGM_RSRC2:TGID_Z_EN: 0
; COMPUTE_PGM_RSRC2:TIDIG_COMP_CNT: 0
	.section	.text._ZN7rocprim17ROCPRIM_400000_NS6detail17trampoline_kernelINS0_14default_configENS1_25partition_config_selectorILNS1_17partition_subalgoE5ElNS0_10empty_typeEbEEZZNS1_14partition_implILS5_5ELb0ES3_mN6hipcub16HIPCUB_304000_NS21CountingInputIteratorIllEEPS6_NSA_22TransformInputIteratorIbN2at6native12_GLOBAL__N_19NonZeroOpIN3c107complexIfEEEEPKSL_lEENS0_5tupleIJPlS6_EEENSQ_IJSD_SD_EEES6_PiJS6_EEE10hipError_tPvRmT3_T4_T5_T6_T7_T9_mT8_P12ihipStream_tbDpT10_ENKUlT_T0_E_clISt17integral_constantIbLb0EES1E_EEDaS19_S1A_EUlS19_E_NS1_11comp_targetILNS1_3genE4ELNS1_11target_archE910ELNS1_3gpuE8ELNS1_3repE0EEENS1_30default_config_static_selectorELNS0_4arch9wavefront6targetE0EEEvT1_,"axG",@progbits,_ZN7rocprim17ROCPRIM_400000_NS6detail17trampoline_kernelINS0_14default_configENS1_25partition_config_selectorILNS1_17partition_subalgoE5ElNS0_10empty_typeEbEEZZNS1_14partition_implILS5_5ELb0ES3_mN6hipcub16HIPCUB_304000_NS21CountingInputIteratorIllEEPS6_NSA_22TransformInputIteratorIbN2at6native12_GLOBAL__N_19NonZeroOpIN3c107complexIfEEEEPKSL_lEENS0_5tupleIJPlS6_EEENSQ_IJSD_SD_EEES6_PiJS6_EEE10hipError_tPvRmT3_T4_T5_T6_T7_T9_mT8_P12ihipStream_tbDpT10_ENKUlT_T0_E_clISt17integral_constantIbLb0EES1E_EEDaS19_S1A_EUlS19_E_NS1_11comp_targetILNS1_3genE4ELNS1_11target_archE910ELNS1_3gpuE8ELNS1_3repE0EEENS1_30default_config_static_selectorELNS0_4arch9wavefront6targetE0EEEvT1_,comdat
	.globl	_ZN7rocprim17ROCPRIM_400000_NS6detail17trampoline_kernelINS0_14default_configENS1_25partition_config_selectorILNS1_17partition_subalgoE5ElNS0_10empty_typeEbEEZZNS1_14partition_implILS5_5ELb0ES3_mN6hipcub16HIPCUB_304000_NS21CountingInputIteratorIllEEPS6_NSA_22TransformInputIteratorIbN2at6native12_GLOBAL__N_19NonZeroOpIN3c107complexIfEEEEPKSL_lEENS0_5tupleIJPlS6_EEENSQ_IJSD_SD_EEES6_PiJS6_EEE10hipError_tPvRmT3_T4_T5_T6_T7_T9_mT8_P12ihipStream_tbDpT10_ENKUlT_T0_E_clISt17integral_constantIbLb0EES1E_EEDaS19_S1A_EUlS19_E_NS1_11comp_targetILNS1_3genE4ELNS1_11target_archE910ELNS1_3gpuE8ELNS1_3repE0EEENS1_30default_config_static_selectorELNS0_4arch9wavefront6targetE0EEEvT1_ ; -- Begin function _ZN7rocprim17ROCPRIM_400000_NS6detail17trampoline_kernelINS0_14default_configENS1_25partition_config_selectorILNS1_17partition_subalgoE5ElNS0_10empty_typeEbEEZZNS1_14partition_implILS5_5ELb0ES3_mN6hipcub16HIPCUB_304000_NS21CountingInputIteratorIllEEPS6_NSA_22TransformInputIteratorIbN2at6native12_GLOBAL__N_19NonZeroOpIN3c107complexIfEEEEPKSL_lEENS0_5tupleIJPlS6_EEENSQ_IJSD_SD_EEES6_PiJS6_EEE10hipError_tPvRmT3_T4_T5_T6_T7_T9_mT8_P12ihipStream_tbDpT10_ENKUlT_T0_E_clISt17integral_constantIbLb0EES1E_EEDaS19_S1A_EUlS19_E_NS1_11comp_targetILNS1_3genE4ELNS1_11target_archE910ELNS1_3gpuE8ELNS1_3repE0EEENS1_30default_config_static_selectorELNS0_4arch9wavefront6targetE0EEEvT1_
	.p2align	8
	.type	_ZN7rocprim17ROCPRIM_400000_NS6detail17trampoline_kernelINS0_14default_configENS1_25partition_config_selectorILNS1_17partition_subalgoE5ElNS0_10empty_typeEbEEZZNS1_14partition_implILS5_5ELb0ES3_mN6hipcub16HIPCUB_304000_NS21CountingInputIteratorIllEEPS6_NSA_22TransformInputIteratorIbN2at6native12_GLOBAL__N_19NonZeroOpIN3c107complexIfEEEEPKSL_lEENS0_5tupleIJPlS6_EEENSQ_IJSD_SD_EEES6_PiJS6_EEE10hipError_tPvRmT3_T4_T5_T6_T7_T9_mT8_P12ihipStream_tbDpT10_ENKUlT_T0_E_clISt17integral_constantIbLb0EES1E_EEDaS19_S1A_EUlS19_E_NS1_11comp_targetILNS1_3genE4ELNS1_11target_archE910ELNS1_3gpuE8ELNS1_3repE0EEENS1_30default_config_static_selectorELNS0_4arch9wavefront6targetE0EEEvT1_,@function
_ZN7rocprim17ROCPRIM_400000_NS6detail17trampoline_kernelINS0_14default_configENS1_25partition_config_selectorILNS1_17partition_subalgoE5ElNS0_10empty_typeEbEEZZNS1_14partition_implILS5_5ELb0ES3_mN6hipcub16HIPCUB_304000_NS21CountingInputIteratorIllEEPS6_NSA_22TransformInputIteratorIbN2at6native12_GLOBAL__N_19NonZeroOpIN3c107complexIfEEEEPKSL_lEENS0_5tupleIJPlS6_EEENSQ_IJSD_SD_EEES6_PiJS6_EEE10hipError_tPvRmT3_T4_T5_T6_T7_T9_mT8_P12ihipStream_tbDpT10_ENKUlT_T0_E_clISt17integral_constantIbLb0EES1E_EEDaS19_S1A_EUlS19_E_NS1_11comp_targetILNS1_3genE4ELNS1_11target_archE910ELNS1_3gpuE8ELNS1_3repE0EEENS1_30default_config_static_selectorELNS0_4arch9wavefront6targetE0EEEvT1_: ; @_ZN7rocprim17ROCPRIM_400000_NS6detail17trampoline_kernelINS0_14default_configENS1_25partition_config_selectorILNS1_17partition_subalgoE5ElNS0_10empty_typeEbEEZZNS1_14partition_implILS5_5ELb0ES3_mN6hipcub16HIPCUB_304000_NS21CountingInputIteratorIllEEPS6_NSA_22TransformInputIteratorIbN2at6native12_GLOBAL__N_19NonZeroOpIN3c107complexIfEEEEPKSL_lEENS0_5tupleIJPlS6_EEENSQ_IJSD_SD_EEES6_PiJS6_EEE10hipError_tPvRmT3_T4_T5_T6_T7_T9_mT8_P12ihipStream_tbDpT10_ENKUlT_T0_E_clISt17integral_constantIbLb0EES1E_EEDaS19_S1A_EUlS19_E_NS1_11comp_targetILNS1_3genE4ELNS1_11target_archE910ELNS1_3gpuE8ELNS1_3repE0EEENS1_30default_config_static_selectorELNS0_4arch9wavefront6targetE0EEEvT1_
; %bb.0:
	.section	.rodata,"a",@progbits
	.p2align	6, 0x0
	.amdhsa_kernel _ZN7rocprim17ROCPRIM_400000_NS6detail17trampoline_kernelINS0_14default_configENS1_25partition_config_selectorILNS1_17partition_subalgoE5ElNS0_10empty_typeEbEEZZNS1_14partition_implILS5_5ELb0ES3_mN6hipcub16HIPCUB_304000_NS21CountingInputIteratorIllEEPS6_NSA_22TransformInputIteratorIbN2at6native12_GLOBAL__N_19NonZeroOpIN3c107complexIfEEEEPKSL_lEENS0_5tupleIJPlS6_EEENSQ_IJSD_SD_EEES6_PiJS6_EEE10hipError_tPvRmT3_T4_T5_T6_T7_T9_mT8_P12ihipStream_tbDpT10_ENKUlT_T0_E_clISt17integral_constantIbLb0EES1E_EEDaS19_S1A_EUlS19_E_NS1_11comp_targetILNS1_3genE4ELNS1_11target_archE910ELNS1_3gpuE8ELNS1_3repE0EEENS1_30default_config_static_selectorELNS0_4arch9wavefront6targetE0EEEvT1_
		.amdhsa_group_segment_fixed_size 0
		.amdhsa_private_segment_fixed_size 0
		.amdhsa_kernarg_size 120
		.amdhsa_user_sgpr_count 2
		.amdhsa_user_sgpr_dispatch_ptr 0
		.amdhsa_user_sgpr_queue_ptr 0
		.amdhsa_user_sgpr_kernarg_segment_ptr 1
		.amdhsa_user_sgpr_dispatch_id 0
		.amdhsa_user_sgpr_private_segment_size 0
		.amdhsa_wavefront_size32 1
		.amdhsa_uses_dynamic_stack 0
		.amdhsa_enable_private_segment 0
		.amdhsa_system_sgpr_workgroup_id_x 1
		.amdhsa_system_sgpr_workgroup_id_y 0
		.amdhsa_system_sgpr_workgroup_id_z 0
		.amdhsa_system_sgpr_workgroup_info 0
		.amdhsa_system_vgpr_workitem_id 0
		.amdhsa_next_free_vgpr 1
		.amdhsa_next_free_sgpr 1
		.amdhsa_reserve_vcc 0
		.amdhsa_float_round_mode_32 0
		.amdhsa_float_round_mode_16_64 0
		.amdhsa_float_denorm_mode_32 3
		.amdhsa_float_denorm_mode_16_64 3
		.amdhsa_fp16_overflow 0
		.amdhsa_workgroup_processor_mode 1
		.amdhsa_memory_ordered 1
		.amdhsa_forward_progress 1
		.amdhsa_inst_pref_size 0
		.amdhsa_round_robin_scheduling 0
		.amdhsa_exception_fp_ieee_invalid_op 0
		.amdhsa_exception_fp_denorm_src 0
		.amdhsa_exception_fp_ieee_div_zero 0
		.amdhsa_exception_fp_ieee_overflow 0
		.amdhsa_exception_fp_ieee_underflow 0
		.amdhsa_exception_fp_ieee_inexact 0
		.amdhsa_exception_int_div_zero 0
	.end_amdhsa_kernel
	.section	.text._ZN7rocprim17ROCPRIM_400000_NS6detail17trampoline_kernelINS0_14default_configENS1_25partition_config_selectorILNS1_17partition_subalgoE5ElNS0_10empty_typeEbEEZZNS1_14partition_implILS5_5ELb0ES3_mN6hipcub16HIPCUB_304000_NS21CountingInputIteratorIllEEPS6_NSA_22TransformInputIteratorIbN2at6native12_GLOBAL__N_19NonZeroOpIN3c107complexIfEEEEPKSL_lEENS0_5tupleIJPlS6_EEENSQ_IJSD_SD_EEES6_PiJS6_EEE10hipError_tPvRmT3_T4_T5_T6_T7_T9_mT8_P12ihipStream_tbDpT10_ENKUlT_T0_E_clISt17integral_constantIbLb0EES1E_EEDaS19_S1A_EUlS19_E_NS1_11comp_targetILNS1_3genE4ELNS1_11target_archE910ELNS1_3gpuE8ELNS1_3repE0EEENS1_30default_config_static_selectorELNS0_4arch9wavefront6targetE0EEEvT1_,"axG",@progbits,_ZN7rocprim17ROCPRIM_400000_NS6detail17trampoline_kernelINS0_14default_configENS1_25partition_config_selectorILNS1_17partition_subalgoE5ElNS0_10empty_typeEbEEZZNS1_14partition_implILS5_5ELb0ES3_mN6hipcub16HIPCUB_304000_NS21CountingInputIteratorIllEEPS6_NSA_22TransformInputIteratorIbN2at6native12_GLOBAL__N_19NonZeroOpIN3c107complexIfEEEEPKSL_lEENS0_5tupleIJPlS6_EEENSQ_IJSD_SD_EEES6_PiJS6_EEE10hipError_tPvRmT3_T4_T5_T6_T7_T9_mT8_P12ihipStream_tbDpT10_ENKUlT_T0_E_clISt17integral_constantIbLb0EES1E_EEDaS19_S1A_EUlS19_E_NS1_11comp_targetILNS1_3genE4ELNS1_11target_archE910ELNS1_3gpuE8ELNS1_3repE0EEENS1_30default_config_static_selectorELNS0_4arch9wavefront6targetE0EEEvT1_,comdat
.Lfunc_end596:
	.size	_ZN7rocprim17ROCPRIM_400000_NS6detail17trampoline_kernelINS0_14default_configENS1_25partition_config_selectorILNS1_17partition_subalgoE5ElNS0_10empty_typeEbEEZZNS1_14partition_implILS5_5ELb0ES3_mN6hipcub16HIPCUB_304000_NS21CountingInputIteratorIllEEPS6_NSA_22TransformInputIteratorIbN2at6native12_GLOBAL__N_19NonZeroOpIN3c107complexIfEEEEPKSL_lEENS0_5tupleIJPlS6_EEENSQ_IJSD_SD_EEES6_PiJS6_EEE10hipError_tPvRmT3_T4_T5_T6_T7_T9_mT8_P12ihipStream_tbDpT10_ENKUlT_T0_E_clISt17integral_constantIbLb0EES1E_EEDaS19_S1A_EUlS19_E_NS1_11comp_targetILNS1_3genE4ELNS1_11target_archE910ELNS1_3gpuE8ELNS1_3repE0EEENS1_30default_config_static_selectorELNS0_4arch9wavefront6targetE0EEEvT1_, .Lfunc_end596-_ZN7rocprim17ROCPRIM_400000_NS6detail17trampoline_kernelINS0_14default_configENS1_25partition_config_selectorILNS1_17partition_subalgoE5ElNS0_10empty_typeEbEEZZNS1_14partition_implILS5_5ELb0ES3_mN6hipcub16HIPCUB_304000_NS21CountingInputIteratorIllEEPS6_NSA_22TransformInputIteratorIbN2at6native12_GLOBAL__N_19NonZeroOpIN3c107complexIfEEEEPKSL_lEENS0_5tupleIJPlS6_EEENSQ_IJSD_SD_EEES6_PiJS6_EEE10hipError_tPvRmT3_T4_T5_T6_T7_T9_mT8_P12ihipStream_tbDpT10_ENKUlT_T0_E_clISt17integral_constantIbLb0EES1E_EEDaS19_S1A_EUlS19_E_NS1_11comp_targetILNS1_3genE4ELNS1_11target_archE910ELNS1_3gpuE8ELNS1_3repE0EEENS1_30default_config_static_selectorELNS0_4arch9wavefront6targetE0EEEvT1_
                                        ; -- End function
	.set _ZN7rocprim17ROCPRIM_400000_NS6detail17trampoline_kernelINS0_14default_configENS1_25partition_config_selectorILNS1_17partition_subalgoE5ElNS0_10empty_typeEbEEZZNS1_14partition_implILS5_5ELb0ES3_mN6hipcub16HIPCUB_304000_NS21CountingInputIteratorIllEEPS6_NSA_22TransformInputIteratorIbN2at6native12_GLOBAL__N_19NonZeroOpIN3c107complexIfEEEEPKSL_lEENS0_5tupleIJPlS6_EEENSQ_IJSD_SD_EEES6_PiJS6_EEE10hipError_tPvRmT3_T4_T5_T6_T7_T9_mT8_P12ihipStream_tbDpT10_ENKUlT_T0_E_clISt17integral_constantIbLb0EES1E_EEDaS19_S1A_EUlS19_E_NS1_11comp_targetILNS1_3genE4ELNS1_11target_archE910ELNS1_3gpuE8ELNS1_3repE0EEENS1_30default_config_static_selectorELNS0_4arch9wavefront6targetE0EEEvT1_.num_vgpr, 0
	.set _ZN7rocprim17ROCPRIM_400000_NS6detail17trampoline_kernelINS0_14default_configENS1_25partition_config_selectorILNS1_17partition_subalgoE5ElNS0_10empty_typeEbEEZZNS1_14partition_implILS5_5ELb0ES3_mN6hipcub16HIPCUB_304000_NS21CountingInputIteratorIllEEPS6_NSA_22TransformInputIteratorIbN2at6native12_GLOBAL__N_19NonZeroOpIN3c107complexIfEEEEPKSL_lEENS0_5tupleIJPlS6_EEENSQ_IJSD_SD_EEES6_PiJS6_EEE10hipError_tPvRmT3_T4_T5_T6_T7_T9_mT8_P12ihipStream_tbDpT10_ENKUlT_T0_E_clISt17integral_constantIbLb0EES1E_EEDaS19_S1A_EUlS19_E_NS1_11comp_targetILNS1_3genE4ELNS1_11target_archE910ELNS1_3gpuE8ELNS1_3repE0EEENS1_30default_config_static_selectorELNS0_4arch9wavefront6targetE0EEEvT1_.num_agpr, 0
	.set _ZN7rocprim17ROCPRIM_400000_NS6detail17trampoline_kernelINS0_14default_configENS1_25partition_config_selectorILNS1_17partition_subalgoE5ElNS0_10empty_typeEbEEZZNS1_14partition_implILS5_5ELb0ES3_mN6hipcub16HIPCUB_304000_NS21CountingInputIteratorIllEEPS6_NSA_22TransformInputIteratorIbN2at6native12_GLOBAL__N_19NonZeroOpIN3c107complexIfEEEEPKSL_lEENS0_5tupleIJPlS6_EEENSQ_IJSD_SD_EEES6_PiJS6_EEE10hipError_tPvRmT3_T4_T5_T6_T7_T9_mT8_P12ihipStream_tbDpT10_ENKUlT_T0_E_clISt17integral_constantIbLb0EES1E_EEDaS19_S1A_EUlS19_E_NS1_11comp_targetILNS1_3genE4ELNS1_11target_archE910ELNS1_3gpuE8ELNS1_3repE0EEENS1_30default_config_static_selectorELNS0_4arch9wavefront6targetE0EEEvT1_.numbered_sgpr, 0
	.set _ZN7rocprim17ROCPRIM_400000_NS6detail17trampoline_kernelINS0_14default_configENS1_25partition_config_selectorILNS1_17partition_subalgoE5ElNS0_10empty_typeEbEEZZNS1_14partition_implILS5_5ELb0ES3_mN6hipcub16HIPCUB_304000_NS21CountingInputIteratorIllEEPS6_NSA_22TransformInputIteratorIbN2at6native12_GLOBAL__N_19NonZeroOpIN3c107complexIfEEEEPKSL_lEENS0_5tupleIJPlS6_EEENSQ_IJSD_SD_EEES6_PiJS6_EEE10hipError_tPvRmT3_T4_T5_T6_T7_T9_mT8_P12ihipStream_tbDpT10_ENKUlT_T0_E_clISt17integral_constantIbLb0EES1E_EEDaS19_S1A_EUlS19_E_NS1_11comp_targetILNS1_3genE4ELNS1_11target_archE910ELNS1_3gpuE8ELNS1_3repE0EEENS1_30default_config_static_selectorELNS0_4arch9wavefront6targetE0EEEvT1_.num_named_barrier, 0
	.set _ZN7rocprim17ROCPRIM_400000_NS6detail17trampoline_kernelINS0_14default_configENS1_25partition_config_selectorILNS1_17partition_subalgoE5ElNS0_10empty_typeEbEEZZNS1_14partition_implILS5_5ELb0ES3_mN6hipcub16HIPCUB_304000_NS21CountingInputIteratorIllEEPS6_NSA_22TransformInputIteratorIbN2at6native12_GLOBAL__N_19NonZeroOpIN3c107complexIfEEEEPKSL_lEENS0_5tupleIJPlS6_EEENSQ_IJSD_SD_EEES6_PiJS6_EEE10hipError_tPvRmT3_T4_T5_T6_T7_T9_mT8_P12ihipStream_tbDpT10_ENKUlT_T0_E_clISt17integral_constantIbLb0EES1E_EEDaS19_S1A_EUlS19_E_NS1_11comp_targetILNS1_3genE4ELNS1_11target_archE910ELNS1_3gpuE8ELNS1_3repE0EEENS1_30default_config_static_selectorELNS0_4arch9wavefront6targetE0EEEvT1_.private_seg_size, 0
	.set _ZN7rocprim17ROCPRIM_400000_NS6detail17trampoline_kernelINS0_14default_configENS1_25partition_config_selectorILNS1_17partition_subalgoE5ElNS0_10empty_typeEbEEZZNS1_14partition_implILS5_5ELb0ES3_mN6hipcub16HIPCUB_304000_NS21CountingInputIteratorIllEEPS6_NSA_22TransformInputIteratorIbN2at6native12_GLOBAL__N_19NonZeroOpIN3c107complexIfEEEEPKSL_lEENS0_5tupleIJPlS6_EEENSQ_IJSD_SD_EEES6_PiJS6_EEE10hipError_tPvRmT3_T4_T5_T6_T7_T9_mT8_P12ihipStream_tbDpT10_ENKUlT_T0_E_clISt17integral_constantIbLb0EES1E_EEDaS19_S1A_EUlS19_E_NS1_11comp_targetILNS1_3genE4ELNS1_11target_archE910ELNS1_3gpuE8ELNS1_3repE0EEENS1_30default_config_static_selectorELNS0_4arch9wavefront6targetE0EEEvT1_.uses_vcc, 0
	.set _ZN7rocprim17ROCPRIM_400000_NS6detail17trampoline_kernelINS0_14default_configENS1_25partition_config_selectorILNS1_17partition_subalgoE5ElNS0_10empty_typeEbEEZZNS1_14partition_implILS5_5ELb0ES3_mN6hipcub16HIPCUB_304000_NS21CountingInputIteratorIllEEPS6_NSA_22TransformInputIteratorIbN2at6native12_GLOBAL__N_19NonZeroOpIN3c107complexIfEEEEPKSL_lEENS0_5tupleIJPlS6_EEENSQ_IJSD_SD_EEES6_PiJS6_EEE10hipError_tPvRmT3_T4_T5_T6_T7_T9_mT8_P12ihipStream_tbDpT10_ENKUlT_T0_E_clISt17integral_constantIbLb0EES1E_EEDaS19_S1A_EUlS19_E_NS1_11comp_targetILNS1_3genE4ELNS1_11target_archE910ELNS1_3gpuE8ELNS1_3repE0EEENS1_30default_config_static_selectorELNS0_4arch9wavefront6targetE0EEEvT1_.uses_flat_scratch, 0
	.set _ZN7rocprim17ROCPRIM_400000_NS6detail17trampoline_kernelINS0_14default_configENS1_25partition_config_selectorILNS1_17partition_subalgoE5ElNS0_10empty_typeEbEEZZNS1_14partition_implILS5_5ELb0ES3_mN6hipcub16HIPCUB_304000_NS21CountingInputIteratorIllEEPS6_NSA_22TransformInputIteratorIbN2at6native12_GLOBAL__N_19NonZeroOpIN3c107complexIfEEEEPKSL_lEENS0_5tupleIJPlS6_EEENSQ_IJSD_SD_EEES6_PiJS6_EEE10hipError_tPvRmT3_T4_T5_T6_T7_T9_mT8_P12ihipStream_tbDpT10_ENKUlT_T0_E_clISt17integral_constantIbLb0EES1E_EEDaS19_S1A_EUlS19_E_NS1_11comp_targetILNS1_3genE4ELNS1_11target_archE910ELNS1_3gpuE8ELNS1_3repE0EEENS1_30default_config_static_selectorELNS0_4arch9wavefront6targetE0EEEvT1_.has_dyn_sized_stack, 0
	.set _ZN7rocprim17ROCPRIM_400000_NS6detail17trampoline_kernelINS0_14default_configENS1_25partition_config_selectorILNS1_17partition_subalgoE5ElNS0_10empty_typeEbEEZZNS1_14partition_implILS5_5ELb0ES3_mN6hipcub16HIPCUB_304000_NS21CountingInputIteratorIllEEPS6_NSA_22TransformInputIteratorIbN2at6native12_GLOBAL__N_19NonZeroOpIN3c107complexIfEEEEPKSL_lEENS0_5tupleIJPlS6_EEENSQ_IJSD_SD_EEES6_PiJS6_EEE10hipError_tPvRmT3_T4_T5_T6_T7_T9_mT8_P12ihipStream_tbDpT10_ENKUlT_T0_E_clISt17integral_constantIbLb0EES1E_EEDaS19_S1A_EUlS19_E_NS1_11comp_targetILNS1_3genE4ELNS1_11target_archE910ELNS1_3gpuE8ELNS1_3repE0EEENS1_30default_config_static_selectorELNS0_4arch9wavefront6targetE0EEEvT1_.has_recursion, 0
	.set _ZN7rocprim17ROCPRIM_400000_NS6detail17trampoline_kernelINS0_14default_configENS1_25partition_config_selectorILNS1_17partition_subalgoE5ElNS0_10empty_typeEbEEZZNS1_14partition_implILS5_5ELb0ES3_mN6hipcub16HIPCUB_304000_NS21CountingInputIteratorIllEEPS6_NSA_22TransformInputIteratorIbN2at6native12_GLOBAL__N_19NonZeroOpIN3c107complexIfEEEEPKSL_lEENS0_5tupleIJPlS6_EEENSQ_IJSD_SD_EEES6_PiJS6_EEE10hipError_tPvRmT3_T4_T5_T6_T7_T9_mT8_P12ihipStream_tbDpT10_ENKUlT_T0_E_clISt17integral_constantIbLb0EES1E_EEDaS19_S1A_EUlS19_E_NS1_11comp_targetILNS1_3genE4ELNS1_11target_archE910ELNS1_3gpuE8ELNS1_3repE0EEENS1_30default_config_static_selectorELNS0_4arch9wavefront6targetE0EEEvT1_.has_indirect_call, 0
	.section	.AMDGPU.csdata,"",@progbits
; Kernel info:
; codeLenInByte = 0
; TotalNumSgprs: 0
; NumVgprs: 0
; ScratchSize: 0
; MemoryBound: 0
; FloatMode: 240
; IeeeMode: 1
; LDSByteSize: 0 bytes/workgroup (compile time only)
; SGPRBlocks: 0
; VGPRBlocks: 0
; NumSGPRsForWavesPerEU: 1
; NumVGPRsForWavesPerEU: 1
; Occupancy: 16
; WaveLimiterHint : 0
; COMPUTE_PGM_RSRC2:SCRATCH_EN: 0
; COMPUTE_PGM_RSRC2:USER_SGPR: 2
; COMPUTE_PGM_RSRC2:TRAP_HANDLER: 0
; COMPUTE_PGM_RSRC2:TGID_X_EN: 1
; COMPUTE_PGM_RSRC2:TGID_Y_EN: 0
; COMPUTE_PGM_RSRC2:TGID_Z_EN: 0
; COMPUTE_PGM_RSRC2:TIDIG_COMP_CNT: 0
	.section	.text._ZN7rocprim17ROCPRIM_400000_NS6detail17trampoline_kernelINS0_14default_configENS1_25partition_config_selectorILNS1_17partition_subalgoE5ElNS0_10empty_typeEbEEZZNS1_14partition_implILS5_5ELb0ES3_mN6hipcub16HIPCUB_304000_NS21CountingInputIteratorIllEEPS6_NSA_22TransformInputIteratorIbN2at6native12_GLOBAL__N_19NonZeroOpIN3c107complexIfEEEEPKSL_lEENS0_5tupleIJPlS6_EEENSQ_IJSD_SD_EEES6_PiJS6_EEE10hipError_tPvRmT3_T4_T5_T6_T7_T9_mT8_P12ihipStream_tbDpT10_ENKUlT_T0_E_clISt17integral_constantIbLb0EES1E_EEDaS19_S1A_EUlS19_E_NS1_11comp_targetILNS1_3genE3ELNS1_11target_archE908ELNS1_3gpuE7ELNS1_3repE0EEENS1_30default_config_static_selectorELNS0_4arch9wavefront6targetE0EEEvT1_,"axG",@progbits,_ZN7rocprim17ROCPRIM_400000_NS6detail17trampoline_kernelINS0_14default_configENS1_25partition_config_selectorILNS1_17partition_subalgoE5ElNS0_10empty_typeEbEEZZNS1_14partition_implILS5_5ELb0ES3_mN6hipcub16HIPCUB_304000_NS21CountingInputIteratorIllEEPS6_NSA_22TransformInputIteratorIbN2at6native12_GLOBAL__N_19NonZeroOpIN3c107complexIfEEEEPKSL_lEENS0_5tupleIJPlS6_EEENSQ_IJSD_SD_EEES6_PiJS6_EEE10hipError_tPvRmT3_T4_T5_T6_T7_T9_mT8_P12ihipStream_tbDpT10_ENKUlT_T0_E_clISt17integral_constantIbLb0EES1E_EEDaS19_S1A_EUlS19_E_NS1_11comp_targetILNS1_3genE3ELNS1_11target_archE908ELNS1_3gpuE7ELNS1_3repE0EEENS1_30default_config_static_selectorELNS0_4arch9wavefront6targetE0EEEvT1_,comdat
	.globl	_ZN7rocprim17ROCPRIM_400000_NS6detail17trampoline_kernelINS0_14default_configENS1_25partition_config_selectorILNS1_17partition_subalgoE5ElNS0_10empty_typeEbEEZZNS1_14partition_implILS5_5ELb0ES3_mN6hipcub16HIPCUB_304000_NS21CountingInputIteratorIllEEPS6_NSA_22TransformInputIteratorIbN2at6native12_GLOBAL__N_19NonZeroOpIN3c107complexIfEEEEPKSL_lEENS0_5tupleIJPlS6_EEENSQ_IJSD_SD_EEES6_PiJS6_EEE10hipError_tPvRmT3_T4_T5_T6_T7_T9_mT8_P12ihipStream_tbDpT10_ENKUlT_T0_E_clISt17integral_constantIbLb0EES1E_EEDaS19_S1A_EUlS19_E_NS1_11comp_targetILNS1_3genE3ELNS1_11target_archE908ELNS1_3gpuE7ELNS1_3repE0EEENS1_30default_config_static_selectorELNS0_4arch9wavefront6targetE0EEEvT1_ ; -- Begin function _ZN7rocprim17ROCPRIM_400000_NS6detail17trampoline_kernelINS0_14default_configENS1_25partition_config_selectorILNS1_17partition_subalgoE5ElNS0_10empty_typeEbEEZZNS1_14partition_implILS5_5ELb0ES3_mN6hipcub16HIPCUB_304000_NS21CountingInputIteratorIllEEPS6_NSA_22TransformInputIteratorIbN2at6native12_GLOBAL__N_19NonZeroOpIN3c107complexIfEEEEPKSL_lEENS0_5tupleIJPlS6_EEENSQ_IJSD_SD_EEES6_PiJS6_EEE10hipError_tPvRmT3_T4_T5_T6_T7_T9_mT8_P12ihipStream_tbDpT10_ENKUlT_T0_E_clISt17integral_constantIbLb0EES1E_EEDaS19_S1A_EUlS19_E_NS1_11comp_targetILNS1_3genE3ELNS1_11target_archE908ELNS1_3gpuE7ELNS1_3repE0EEENS1_30default_config_static_selectorELNS0_4arch9wavefront6targetE0EEEvT1_
	.p2align	8
	.type	_ZN7rocprim17ROCPRIM_400000_NS6detail17trampoline_kernelINS0_14default_configENS1_25partition_config_selectorILNS1_17partition_subalgoE5ElNS0_10empty_typeEbEEZZNS1_14partition_implILS5_5ELb0ES3_mN6hipcub16HIPCUB_304000_NS21CountingInputIteratorIllEEPS6_NSA_22TransformInputIteratorIbN2at6native12_GLOBAL__N_19NonZeroOpIN3c107complexIfEEEEPKSL_lEENS0_5tupleIJPlS6_EEENSQ_IJSD_SD_EEES6_PiJS6_EEE10hipError_tPvRmT3_T4_T5_T6_T7_T9_mT8_P12ihipStream_tbDpT10_ENKUlT_T0_E_clISt17integral_constantIbLb0EES1E_EEDaS19_S1A_EUlS19_E_NS1_11comp_targetILNS1_3genE3ELNS1_11target_archE908ELNS1_3gpuE7ELNS1_3repE0EEENS1_30default_config_static_selectorELNS0_4arch9wavefront6targetE0EEEvT1_,@function
_ZN7rocprim17ROCPRIM_400000_NS6detail17trampoline_kernelINS0_14default_configENS1_25partition_config_selectorILNS1_17partition_subalgoE5ElNS0_10empty_typeEbEEZZNS1_14partition_implILS5_5ELb0ES3_mN6hipcub16HIPCUB_304000_NS21CountingInputIteratorIllEEPS6_NSA_22TransformInputIteratorIbN2at6native12_GLOBAL__N_19NonZeroOpIN3c107complexIfEEEEPKSL_lEENS0_5tupleIJPlS6_EEENSQ_IJSD_SD_EEES6_PiJS6_EEE10hipError_tPvRmT3_T4_T5_T6_T7_T9_mT8_P12ihipStream_tbDpT10_ENKUlT_T0_E_clISt17integral_constantIbLb0EES1E_EEDaS19_S1A_EUlS19_E_NS1_11comp_targetILNS1_3genE3ELNS1_11target_archE908ELNS1_3gpuE7ELNS1_3repE0EEENS1_30default_config_static_selectorELNS0_4arch9wavefront6targetE0EEEvT1_: ; @_ZN7rocprim17ROCPRIM_400000_NS6detail17trampoline_kernelINS0_14default_configENS1_25partition_config_selectorILNS1_17partition_subalgoE5ElNS0_10empty_typeEbEEZZNS1_14partition_implILS5_5ELb0ES3_mN6hipcub16HIPCUB_304000_NS21CountingInputIteratorIllEEPS6_NSA_22TransformInputIteratorIbN2at6native12_GLOBAL__N_19NonZeroOpIN3c107complexIfEEEEPKSL_lEENS0_5tupleIJPlS6_EEENSQ_IJSD_SD_EEES6_PiJS6_EEE10hipError_tPvRmT3_T4_T5_T6_T7_T9_mT8_P12ihipStream_tbDpT10_ENKUlT_T0_E_clISt17integral_constantIbLb0EES1E_EEDaS19_S1A_EUlS19_E_NS1_11comp_targetILNS1_3genE3ELNS1_11target_archE908ELNS1_3gpuE7ELNS1_3repE0EEENS1_30default_config_static_selectorELNS0_4arch9wavefront6targetE0EEEvT1_
; %bb.0:
	.section	.rodata,"a",@progbits
	.p2align	6, 0x0
	.amdhsa_kernel _ZN7rocprim17ROCPRIM_400000_NS6detail17trampoline_kernelINS0_14default_configENS1_25partition_config_selectorILNS1_17partition_subalgoE5ElNS0_10empty_typeEbEEZZNS1_14partition_implILS5_5ELb0ES3_mN6hipcub16HIPCUB_304000_NS21CountingInputIteratorIllEEPS6_NSA_22TransformInputIteratorIbN2at6native12_GLOBAL__N_19NonZeroOpIN3c107complexIfEEEEPKSL_lEENS0_5tupleIJPlS6_EEENSQ_IJSD_SD_EEES6_PiJS6_EEE10hipError_tPvRmT3_T4_T5_T6_T7_T9_mT8_P12ihipStream_tbDpT10_ENKUlT_T0_E_clISt17integral_constantIbLb0EES1E_EEDaS19_S1A_EUlS19_E_NS1_11comp_targetILNS1_3genE3ELNS1_11target_archE908ELNS1_3gpuE7ELNS1_3repE0EEENS1_30default_config_static_selectorELNS0_4arch9wavefront6targetE0EEEvT1_
		.amdhsa_group_segment_fixed_size 0
		.amdhsa_private_segment_fixed_size 0
		.amdhsa_kernarg_size 120
		.amdhsa_user_sgpr_count 2
		.amdhsa_user_sgpr_dispatch_ptr 0
		.amdhsa_user_sgpr_queue_ptr 0
		.amdhsa_user_sgpr_kernarg_segment_ptr 1
		.amdhsa_user_sgpr_dispatch_id 0
		.amdhsa_user_sgpr_private_segment_size 0
		.amdhsa_wavefront_size32 1
		.amdhsa_uses_dynamic_stack 0
		.amdhsa_enable_private_segment 0
		.amdhsa_system_sgpr_workgroup_id_x 1
		.amdhsa_system_sgpr_workgroup_id_y 0
		.amdhsa_system_sgpr_workgroup_id_z 0
		.amdhsa_system_sgpr_workgroup_info 0
		.amdhsa_system_vgpr_workitem_id 0
		.amdhsa_next_free_vgpr 1
		.amdhsa_next_free_sgpr 1
		.amdhsa_reserve_vcc 0
		.amdhsa_float_round_mode_32 0
		.amdhsa_float_round_mode_16_64 0
		.amdhsa_float_denorm_mode_32 3
		.amdhsa_float_denorm_mode_16_64 3
		.amdhsa_fp16_overflow 0
		.amdhsa_workgroup_processor_mode 1
		.amdhsa_memory_ordered 1
		.amdhsa_forward_progress 1
		.amdhsa_inst_pref_size 0
		.amdhsa_round_robin_scheduling 0
		.amdhsa_exception_fp_ieee_invalid_op 0
		.amdhsa_exception_fp_denorm_src 0
		.amdhsa_exception_fp_ieee_div_zero 0
		.amdhsa_exception_fp_ieee_overflow 0
		.amdhsa_exception_fp_ieee_underflow 0
		.amdhsa_exception_fp_ieee_inexact 0
		.amdhsa_exception_int_div_zero 0
	.end_amdhsa_kernel
	.section	.text._ZN7rocprim17ROCPRIM_400000_NS6detail17trampoline_kernelINS0_14default_configENS1_25partition_config_selectorILNS1_17partition_subalgoE5ElNS0_10empty_typeEbEEZZNS1_14partition_implILS5_5ELb0ES3_mN6hipcub16HIPCUB_304000_NS21CountingInputIteratorIllEEPS6_NSA_22TransformInputIteratorIbN2at6native12_GLOBAL__N_19NonZeroOpIN3c107complexIfEEEEPKSL_lEENS0_5tupleIJPlS6_EEENSQ_IJSD_SD_EEES6_PiJS6_EEE10hipError_tPvRmT3_T4_T5_T6_T7_T9_mT8_P12ihipStream_tbDpT10_ENKUlT_T0_E_clISt17integral_constantIbLb0EES1E_EEDaS19_S1A_EUlS19_E_NS1_11comp_targetILNS1_3genE3ELNS1_11target_archE908ELNS1_3gpuE7ELNS1_3repE0EEENS1_30default_config_static_selectorELNS0_4arch9wavefront6targetE0EEEvT1_,"axG",@progbits,_ZN7rocprim17ROCPRIM_400000_NS6detail17trampoline_kernelINS0_14default_configENS1_25partition_config_selectorILNS1_17partition_subalgoE5ElNS0_10empty_typeEbEEZZNS1_14partition_implILS5_5ELb0ES3_mN6hipcub16HIPCUB_304000_NS21CountingInputIteratorIllEEPS6_NSA_22TransformInputIteratorIbN2at6native12_GLOBAL__N_19NonZeroOpIN3c107complexIfEEEEPKSL_lEENS0_5tupleIJPlS6_EEENSQ_IJSD_SD_EEES6_PiJS6_EEE10hipError_tPvRmT3_T4_T5_T6_T7_T9_mT8_P12ihipStream_tbDpT10_ENKUlT_T0_E_clISt17integral_constantIbLb0EES1E_EEDaS19_S1A_EUlS19_E_NS1_11comp_targetILNS1_3genE3ELNS1_11target_archE908ELNS1_3gpuE7ELNS1_3repE0EEENS1_30default_config_static_selectorELNS0_4arch9wavefront6targetE0EEEvT1_,comdat
.Lfunc_end597:
	.size	_ZN7rocprim17ROCPRIM_400000_NS6detail17trampoline_kernelINS0_14default_configENS1_25partition_config_selectorILNS1_17partition_subalgoE5ElNS0_10empty_typeEbEEZZNS1_14partition_implILS5_5ELb0ES3_mN6hipcub16HIPCUB_304000_NS21CountingInputIteratorIllEEPS6_NSA_22TransformInputIteratorIbN2at6native12_GLOBAL__N_19NonZeroOpIN3c107complexIfEEEEPKSL_lEENS0_5tupleIJPlS6_EEENSQ_IJSD_SD_EEES6_PiJS6_EEE10hipError_tPvRmT3_T4_T5_T6_T7_T9_mT8_P12ihipStream_tbDpT10_ENKUlT_T0_E_clISt17integral_constantIbLb0EES1E_EEDaS19_S1A_EUlS19_E_NS1_11comp_targetILNS1_3genE3ELNS1_11target_archE908ELNS1_3gpuE7ELNS1_3repE0EEENS1_30default_config_static_selectorELNS0_4arch9wavefront6targetE0EEEvT1_, .Lfunc_end597-_ZN7rocprim17ROCPRIM_400000_NS6detail17trampoline_kernelINS0_14default_configENS1_25partition_config_selectorILNS1_17partition_subalgoE5ElNS0_10empty_typeEbEEZZNS1_14partition_implILS5_5ELb0ES3_mN6hipcub16HIPCUB_304000_NS21CountingInputIteratorIllEEPS6_NSA_22TransformInputIteratorIbN2at6native12_GLOBAL__N_19NonZeroOpIN3c107complexIfEEEEPKSL_lEENS0_5tupleIJPlS6_EEENSQ_IJSD_SD_EEES6_PiJS6_EEE10hipError_tPvRmT3_T4_T5_T6_T7_T9_mT8_P12ihipStream_tbDpT10_ENKUlT_T0_E_clISt17integral_constantIbLb0EES1E_EEDaS19_S1A_EUlS19_E_NS1_11comp_targetILNS1_3genE3ELNS1_11target_archE908ELNS1_3gpuE7ELNS1_3repE0EEENS1_30default_config_static_selectorELNS0_4arch9wavefront6targetE0EEEvT1_
                                        ; -- End function
	.set _ZN7rocprim17ROCPRIM_400000_NS6detail17trampoline_kernelINS0_14default_configENS1_25partition_config_selectorILNS1_17partition_subalgoE5ElNS0_10empty_typeEbEEZZNS1_14partition_implILS5_5ELb0ES3_mN6hipcub16HIPCUB_304000_NS21CountingInputIteratorIllEEPS6_NSA_22TransformInputIteratorIbN2at6native12_GLOBAL__N_19NonZeroOpIN3c107complexIfEEEEPKSL_lEENS0_5tupleIJPlS6_EEENSQ_IJSD_SD_EEES6_PiJS6_EEE10hipError_tPvRmT3_T4_T5_T6_T7_T9_mT8_P12ihipStream_tbDpT10_ENKUlT_T0_E_clISt17integral_constantIbLb0EES1E_EEDaS19_S1A_EUlS19_E_NS1_11comp_targetILNS1_3genE3ELNS1_11target_archE908ELNS1_3gpuE7ELNS1_3repE0EEENS1_30default_config_static_selectorELNS0_4arch9wavefront6targetE0EEEvT1_.num_vgpr, 0
	.set _ZN7rocprim17ROCPRIM_400000_NS6detail17trampoline_kernelINS0_14default_configENS1_25partition_config_selectorILNS1_17partition_subalgoE5ElNS0_10empty_typeEbEEZZNS1_14partition_implILS5_5ELb0ES3_mN6hipcub16HIPCUB_304000_NS21CountingInputIteratorIllEEPS6_NSA_22TransformInputIteratorIbN2at6native12_GLOBAL__N_19NonZeroOpIN3c107complexIfEEEEPKSL_lEENS0_5tupleIJPlS6_EEENSQ_IJSD_SD_EEES6_PiJS6_EEE10hipError_tPvRmT3_T4_T5_T6_T7_T9_mT8_P12ihipStream_tbDpT10_ENKUlT_T0_E_clISt17integral_constantIbLb0EES1E_EEDaS19_S1A_EUlS19_E_NS1_11comp_targetILNS1_3genE3ELNS1_11target_archE908ELNS1_3gpuE7ELNS1_3repE0EEENS1_30default_config_static_selectorELNS0_4arch9wavefront6targetE0EEEvT1_.num_agpr, 0
	.set _ZN7rocprim17ROCPRIM_400000_NS6detail17trampoline_kernelINS0_14default_configENS1_25partition_config_selectorILNS1_17partition_subalgoE5ElNS0_10empty_typeEbEEZZNS1_14partition_implILS5_5ELb0ES3_mN6hipcub16HIPCUB_304000_NS21CountingInputIteratorIllEEPS6_NSA_22TransformInputIteratorIbN2at6native12_GLOBAL__N_19NonZeroOpIN3c107complexIfEEEEPKSL_lEENS0_5tupleIJPlS6_EEENSQ_IJSD_SD_EEES6_PiJS6_EEE10hipError_tPvRmT3_T4_T5_T6_T7_T9_mT8_P12ihipStream_tbDpT10_ENKUlT_T0_E_clISt17integral_constantIbLb0EES1E_EEDaS19_S1A_EUlS19_E_NS1_11comp_targetILNS1_3genE3ELNS1_11target_archE908ELNS1_3gpuE7ELNS1_3repE0EEENS1_30default_config_static_selectorELNS0_4arch9wavefront6targetE0EEEvT1_.numbered_sgpr, 0
	.set _ZN7rocprim17ROCPRIM_400000_NS6detail17trampoline_kernelINS0_14default_configENS1_25partition_config_selectorILNS1_17partition_subalgoE5ElNS0_10empty_typeEbEEZZNS1_14partition_implILS5_5ELb0ES3_mN6hipcub16HIPCUB_304000_NS21CountingInputIteratorIllEEPS6_NSA_22TransformInputIteratorIbN2at6native12_GLOBAL__N_19NonZeroOpIN3c107complexIfEEEEPKSL_lEENS0_5tupleIJPlS6_EEENSQ_IJSD_SD_EEES6_PiJS6_EEE10hipError_tPvRmT3_T4_T5_T6_T7_T9_mT8_P12ihipStream_tbDpT10_ENKUlT_T0_E_clISt17integral_constantIbLb0EES1E_EEDaS19_S1A_EUlS19_E_NS1_11comp_targetILNS1_3genE3ELNS1_11target_archE908ELNS1_3gpuE7ELNS1_3repE0EEENS1_30default_config_static_selectorELNS0_4arch9wavefront6targetE0EEEvT1_.num_named_barrier, 0
	.set _ZN7rocprim17ROCPRIM_400000_NS6detail17trampoline_kernelINS0_14default_configENS1_25partition_config_selectorILNS1_17partition_subalgoE5ElNS0_10empty_typeEbEEZZNS1_14partition_implILS5_5ELb0ES3_mN6hipcub16HIPCUB_304000_NS21CountingInputIteratorIllEEPS6_NSA_22TransformInputIteratorIbN2at6native12_GLOBAL__N_19NonZeroOpIN3c107complexIfEEEEPKSL_lEENS0_5tupleIJPlS6_EEENSQ_IJSD_SD_EEES6_PiJS6_EEE10hipError_tPvRmT3_T4_T5_T6_T7_T9_mT8_P12ihipStream_tbDpT10_ENKUlT_T0_E_clISt17integral_constantIbLb0EES1E_EEDaS19_S1A_EUlS19_E_NS1_11comp_targetILNS1_3genE3ELNS1_11target_archE908ELNS1_3gpuE7ELNS1_3repE0EEENS1_30default_config_static_selectorELNS0_4arch9wavefront6targetE0EEEvT1_.private_seg_size, 0
	.set _ZN7rocprim17ROCPRIM_400000_NS6detail17trampoline_kernelINS0_14default_configENS1_25partition_config_selectorILNS1_17partition_subalgoE5ElNS0_10empty_typeEbEEZZNS1_14partition_implILS5_5ELb0ES3_mN6hipcub16HIPCUB_304000_NS21CountingInputIteratorIllEEPS6_NSA_22TransformInputIteratorIbN2at6native12_GLOBAL__N_19NonZeroOpIN3c107complexIfEEEEPKSL_lEENS0_5tupleIJPlS6_EEENSQ_IJSD_SD_EEES6_PiJS6_EEE10hipError_tPvRmT3_T4_T5_T6_T7_T9_mT8_P12ihipStream_tbDpT10_ENKUlT_T0_E_clISt17integral_constantIbLb0EES1E_EEDaS19_S1A_EUlS19_E_NS1_11comp_targetILNS1_3genE3ELNS1_11target_archE908ELNS1_3gpuE7ELNS1_3repE0EEENS1_30default_config_static_selectorELNS0_4arch9wavefront6targetE0EEEvT1_.uses_vcc, 0
	.set _ZN7rocprim17ROCPRIM_400000_NS6detail17trampoline_kernelINS0_14default_configENS1_25partition_config_selectorILNS1_17partition_subalgoE5ElNS0_10empty_typeEbEEZZNS1_14partition_implILS5_5ELb0ES3_mN6hipcub16HIPCUB_304000_NS21CountingInputIteratorIllEEPS6_NSA_22TransformInputIteratorIbN2at6native12_GLOBAL__N_19NonZeroOpIN3c107complexIfEEEEPKSL_lEENS0_5tupleIJPlS6_EEENSQ_IJSD_SD_EEES6_PiJS6_EEE10hipError_tPvRmT3_T4_T5_T6_T7_T9_mT8_P12ihipStream_tbDpT10_ENKUlT_T0_E_clISt17integral_constantIbLb0EES1E_EEDaS19_S1A_EUlS19_E_NS1_11comp_targetILNS1_3genE3ELNS1_11target_archE908ELNS1_3gpuE7ELNS1_3repE0EEENS1_30default_config_static_selectorELNS0_4arch9wavefront6targetE0EEEvT1_.uses_flat_scratch, 0
	.set _ZN7rocprim17ROCPRIM_400000_NS6detail17trampoline_kernelINS0_14default_configENS1_25partition_config_selectorILNS1_17partition_subalgoE5ElNS0_10empty_typeEbEEZZNS1_14partition_implILS5_5ELb0ES3_mN6hipcub16HIPCUB_304000_NS21CountingInputIteratorIllEEPS6_NSA_22TransformInputIteratorIbN2at6native12_GLOBAL__N_19NonZeroOpIN3c107complexIfEEEEPKSL_lEENS0_5tupleIJPlS6_EEENSQ_IJSD_SD_EEES6_PiJS6_EEE10hipError_tPvRmT3_T4_T5_T6_T7_T9_mT8_P12ihipStream_tbDpT10_ENKUlT_T0_E_clISt17integral_constantIbLb0EES1E_EEDaS19_S1A_EUlS19_E_NS1_11comp_targetILNS1_3genE3ELNS1_11target_archE908ELNS1_3gpuE7ELNS1_3repE0EEENS1_30default_config_static_selectorELNS0_4arch9wavefront6targetE0EEEvT1_.has_dyn_sized_stack, 0
	.set _ZN7rocprim17ROCPRIM_400000_NS6detail17trampoline_kernelINS0_14default_configENS1_25partition_config_selectorILNS1_17partition_subalgoE5ElNS0_10empty_typeEbEEZZNS1_14partition_implILS5_5ELb0ES3_mN6hipcub16HIPCUB_304000_NS21CountingInputIteratorIllEEPS6_NSA_22TransformInputIteratorIbN2at6native12_GLOBAL__N_19NonZeroOpIN3c107complexIfEEEEPKSL_lEENS0_5tupleIJPlS6_EEENSQ_IJSD_SD_EEES6_PiJS6_EEE10hipError_tPvRmT3_T4_T5_T6_T7_T9_mT8_P12ihipStream_tbDpT10_ENKUlT_T0_E_clISt17integral_constantIbLb0EES1E_EEDaS19_S1A_EUlS19_E_NS1_11comp_targetILNS1_3genE3ELNS1_11target_archE908ELNS1_3gpuE7ELNS1_3repE0EEENS1_30default_config_static_selectorELNS0_4arch9wavefront6targetE0EEEvT1_.has_recursion, 0
	.set _ZN7rocprim17ROCPRIM_400000_NS6detail17trampoline_kernelINS0_14default_configENS1_25partition_config_selectorILNS1_17partition_subalgoE5ElNS0_10empty_typeEbEEZZNS1_14partition_implILS5_5ELb0ES3_mN6hipcub16HIPCUB_304000_NS21CountingInputIteratorIllEEPS6_NSA_22TransformInputIteratorIbN2at6native12_GLOBAL__N_19NonZeroOpIN3c107complexIfEEEEPKSL_lEENS0_5tupleIJPlS6_EEENSQ_IJSD_SD_EEES6_PiJS6_EEE10hipError_tPvRmT3_T4_T5_T6_T7_T9_mT8_P12ihipStream_tbDpT10_ENKUlT_T0_E_clISt17integral_constantIbLb0EES1E_EEDaS19_S1A_EUlS19_E_NS1_11comp_targetILNS1_3genE3ELNS1_11target_archE908ELNS1_3gpuE7ELNS1_3repE0EEENS1_30default_config_static_selectorELNS0_4arch9wavefront6targetE0EEEvT1_.has_indirect_call, 0
	.section	.AMDGPU.csdata,"",@progbits
; Kernel info:
; codeLenInByte = 0
; TotalNumSgprs: 0
; NumVgprs: 0
; ScratchSize: 0
; MemoryBound: 0
; FloatMode: 240
; IeeeMode: 1
; LDSByteSize: 0 bytes/workgroup (compile time only)
; SGPRBlocks: 0
; VGPRBlocks: 0
; NumSGPRsForWavesPerEU: 1
; NumVGPRsForWavesPerEU: 1
; Occupancy: 16
; WaveLimiterHint : 0
; COMPUTE_PGM_RSRC2:SCRATCH_EN: 0
; COMPUTE_PGM_RSRC2:USER_SGPR: 2
; COMPUTE_PGM_RSRC2:TRAP_HANDLER: 0
; COMPUTE_PGM_RSRC2:TGID_X_EN: 1
; COMPUTE_PGM_RSRC2:TGID_Y_EN: 0
; COMPUTE_PGM_RSRC2:TGID_Z_EN: 0
; COMPUTE_PGM_RSRC2:TIDIG_COMP_CNT: 0
	.section	.text._ZN7rocprim17ROCPRIM_400000_NS6detail17trampoline_kernelINS0_14default_configENS1_25partition_config_selectorILNS1_17partition_subalgoE5ElNS0_10empty_typeEbEEZZNS1_14partition_implILS5_5ELb0ES3_mN6hipcub16HIPCUB_304000_NS21CountingInputIteratorIllEEPS6_NSA_22TransformInputIteratorIbN2at6native12_GLOBAL__N_19NonZeroOpIN3c107complexIfEEEEPKSL_lEENS0_5tupleIJPlS6_EEENSQ_IJSD_SD_EEES6_PiJS6_EEE10hipError_tPvRmT3_T4_T5_T6_T7_T9_mT8_P12ihipStream_tbDpT10_ENKUlT_T0_E_clISt17integral_constantIbLb0EES1E_EEDaS19_S1A_EUlS19_E_NS1_11comp_targetILNS1_3genE2ELNS1_11target_archE906ELNS1_3gpuE6ELNS1_3repE0EEENS1_30default_config_static_selectorELNS0_4arch9wavefront6targetE0EEEvT1_,"axG",@progbits,_ZN7rocprim17ROCPRIM_400000_NS6detail17trampoline_kernelINS0_14default_configENS1_25partition_config_selectorILNS1_17partition_subalgoE5ElNS0_10empty_typeEbEEZZNS1_14partition_implILS5_5ELb0ES3_mN6hipcub16HIPCUB_304000_NS21CountingInputIteratorIllEEPS6_NSA_22TransformInputIteratorIbN2at6native12_GLOBAL__N_19NonZeroOpIN3c107complexIfEEEEPKSL_lEENS0_5tupleIJPlS6_EEENSQ_IJSD_SD_EEES6_PiJS6_EEE10hipError_tPvRmT3_T4_T5_T6_T7_T9_mT8_P12ihipStream_tbDpT10_ENKUlT_T0_E_clISt17integral_constantIbLb0EES1E_EEDaS19_S1A_EUlS19_E_NS1_11comp_targetILNS1_3genE2ELNS1_11target_archE906ELNS1_3gpuE6ELNS1_3repE0EEENS1_30default_config_static_selectorELNS0_4arch9wavefront6targetE0EEEvT1_,comdat
	.globl	_ZN7rocprim17ROCPRIM_400000_NS6detail17trampoline_kernelINS0_14default_configENS1_25partition_config_selectorILNS1_17partition_subalgoE5ElNS0_10empty_typeEbEEZZNS1_14partition_implILS5_5ELb0ES3_mN6hipcub16HIPCUB_304000_NS21CountingInputIteratorIllEEPS6_NSA_22TransformInputIteratorIbN2at6native12_GLOBAL__N_19NonZeroOpIN3c107complexIfEEEEPKSL_lEENS0_5tupleIJPlS6_EEENSQ_IJSD_SD_EEES6_PiJS6_EEE10hipError_tPvRmT3_T4_T5_T6_T7_T9_mT8_P12ihipStream_tbDpT10_ENKUlT_T0_E_clISt17integral_constantIbLb0EES1E_EEDaS19_S1A_EUlS19_E_NS1_11comp_targetILNS1_3genE2ELNS1_11target_archE906ELNS1_3gpuE6ELNS1_3repE0EEENS1_30default_config_static_selectorELNS0_4arch9wavefront6targetE0EEEvT1_ ; -- Begin function _ZN7rocprim17ROCPRIM_400000_NS6detail17trampoline_kernelINS0_14default_configENS1_25partition_config_selectorILNS1_17partition_subalgoE5ElNS0_10empty_typeEbEEZZNS1_14partition_implILS5_5ELb0ES3_mN6hipcub16HIPCUB_304000_NS21CountingInputIteratorIllEEPS6_NSA_22TransformInputIteratorIbN2at6native12_GLOBAL__N_19NonZeroOpIN3c107complexIfEEEEPKSL_lEENS0_5tupleIJPlS6_EEENSQ_IJSD_SD_EEES6_PiJS6_EEE10hipError_tPvRmT3_T4_T5_T6_T7_T9_mT8_P12ihipStream_tbDpT10_ENKUlT_T0_E_clISt17integral_constantIbLb0EES1E_EEDaS19_S1A_EUlS19_E_NS1_11comp_targetILNS1_3genE2ELNS1_11target_archE906ELNS1_3gpuE6ELNS1_3repE0EEENS1_30default_config_static_selectorELNS0_4arch9wavefront6targetE0EEEvT1_
	.p2align	8
	.type	_ZN7rocprim17ROCPRIM_400000_NS6detail17trampoline_kernelINS0_14default_configENS1_25partition_config_selectorILNS1_17partition_subalgoE5ElNS0_10empty_typeEbEEZZNS1_14partition_implILS5_5ELb0ES3_mN6hipcub16HIPCUB_304000_NS21CountingInputIteratorIllEEPS6_NSA_22TransformInputIteratorIbN2at6native12_GLOBAL__N_19NonZeroOpIN3c107complexIfEEEEPKSL_lEENS0_5tupleIJPlS6_EEENSQ_IJSD_SD_EEES6_PiJS6_EEE10hipError_tPvRmT3_T4_T5_T6_T7_T9_mT8_P12ihipStream_tbDpT10_ENKUlT_T0_E_clISt17integral_constantIbLb0EES1E_EEDaS19_S1A_EUlS19_E_NS1_11comp_targetILNS1_3genE2ELNS1_11target_archE906ELNS1_3gpuE6ELNS1_3repE0EEENS1_30default_config_static_selectorELNS0_4arch9wavefront6targetE0EEEvT1_,@function
_ZN7rocprim17ROCPRIM_400000_NS6detail17trampoline_kernelINS0_14default_configENS1_25partition_config_selectorILNS1_17partition_subalgoE5ElNS0_10empty_typeEbEEZZNS1_14partition_implILS5_5ELb0ES3_mN6hipcub16HIPCUB_304000_NS21CountingInputIteratorIllEEPS6_NSA_22TransformInputIteratorIbN2at6native12_GLOBAL__N_19NonZeroOpIN3c107complexIfEEEEPKSL_lEENS0_5tupleIJPlS6_EEENSQ_IJSD_SD_EEES6_PiJS6_EEE10hipError_tPvRmT3_T4_T5_T6_T7_T9_mT8_P12ihipStream_tbDpT10_ENKUlT_T0_E_clISt17integral_constantIbLb0EES1E_EEDaS19_S1A_EUlS19_E_NS1_11comp_targetILNS1_3genE2ELNS1_11target_archE906ELNS1_3gpuE6ELNS1_3repE0EEENS1_30default_config_static_selectorELNS0_4arch9wavefront6targetE0EEEvT1_: ; @_ZN7rocprim17ROCPRIM_400000_NS6detail17trampoline_kernelINS0_14default_configENS1_25partition_config_selectorILNS1_17partition_subalgoE5ElNS0_10empty_typeEbEEZZNS1_14partition_implILS5_5ELb0ES3_mN6hipcub16HIPCUB_304000_NS21CountingInputIteratorIllEEPS6_NSA_22TransformInputIteratorIbN2at6native12_GLOBAL__N_19NonZeroOpIN3c107complexIfEEEEPKSL_lEENS0_5tupleIJPlS6_EEENSQ_IJSD_SD_EEES6_PiJS6_EEE10hipError_tPvRmT3_T4_T5_T6_T7_T9_mT8_P12ihipStream_tbDpT10_ENKUlT_T0_E_clISt17integral_constantIbLb0EES1E_EEDaS19_S1A_EUlS19_E_NS1_11comp_targetILNS1_3genE2ELNS1_11target_archE906ELNS1_3gpuE6ELNS1_3repE0EEENS1_30default_config_static_selectorELNS0_4arch9wavefront6targetE0EEEvT1_
; %bb.0:
	.section	.rodata,"a",@progbits
	.p2align	6, 0x0
	.amdhsa_kernel _ZN7rocprim17ROCPRIM_400000_NS6detail17trampoline_kernelINS0_14default_configENS1_25partition_config_selectorILNS1_17partition_subalgoE5ElNS0_10empty_typeEbEEZZNS1_14partition_implILS5_5ELb0ES3_mN6hipcub16HIPCUB_304000_NS21CountingInputIteratorIllEEPS6_NSA_22TransformInputIteratorIbN2at6native12_GLOBAL__N_19NonZeroOpIN3c107complexIfEEEEPKSL_lEENS0_5tupleIJPlS6_EEENSQ_IJSD_SD_EEES6_PiJS6_EEE10hipError_tPvRmT3_T4_T5_T6_T7_T9_mT8_P12ihipStream_tbDpT10_ENKUlT_T0_E_clISt17integral_constantIbLb0EES1E_EEDaS19_S1A_EUlS19_E_NS1_11comp_targetILNS1_3genE2ELNS1_11target_archE906ELNS1_3gpuE6ELNS1_3repE0EEENS1_30default_config_static_selectorELNS0_4arch9wavefront6targetE0EEEvT1_
		.amdhsa_group_segment_fixed_size 0
		.amdhsa_private_segment_fixed_size 0
		.amdhsa_kernarg_size 120
		.amdhsa_user_sgpr_count 2
		.amdhsa_user_sgpr_dispatch_ptr 0
		.amdhsa_user_sgpr_queue_ptr 0
		.amdhsa_user_sgpr_kernarg_segment_ptr 1
		.amdhsa_user_sgpr_dispatch_id 0
		.amdhsa_user_sgpr_private_segment_size 0
		.amdhsa_wavefront_size32 1
		.amdhsa_uses_dynamic_stack 0
		.amdhsa_enable_private_segment 0
		.amdhsa_system_sgpr_workgroup_id_x 1
		.amdhsa_system_sgpr_workgroup_id_y 0
		.amdhsa_system_sgpr_workgroup_id_z 0
		.amdhsa_system_sgpr_workgroup_info 0
		.amdhsa_system_vgpr_workitem_id 0
		.amdhsa_next_free_vgpr 1
		.amdhsa_next_free_sgpr 1
		.amdhsa_reserve_vcc 0
		.amdhsa_float_round_mode_32 0
		.amdhsa_float_round_mode_16_64 0
		.amdhsa_float_denorm_mode_32 3
		.amdhsa_float_denorm_mode_16_64 3
		.amdhsa_fp16_overflow 0
		.amdhsa_workgroup_processor_mode 1
		.amdhsa_memory_ordered 1
		.amdhsa_forward_progress 1
		.amdhsa_inst_pref_size 0
		.amdhsa_round_robin_scheduling 0
		.amdhsa_exception_fp_ieee_invalid_op 0
		.amdhsa_exception_fp_denorm_src 0
		.amdhsa_exception_fp_ieee_div_zero 0
		.amdhsa_exception_fp_ieee_overflow 0
		.amdhsa_exception_fp_ieee_underflow 0
		.amdhsa_exception_fp_ieee_inexact 0
		.amdhsa_exception_int_div_zero 0
	.end_amdhsa_kernel
	.section	.text._ZN7rocprim17ROCPRIM_400000_NS6detail17trampoline_kernelINS0_14default_configENS1_25partition_config_selectorILNS1_17partition_subalgoE5ElNS0_10empty_typeEbEEZZNS1_14partition_implILS5_5ELb0ES3_mN6hipcub16HIPCUB_304000_NS21CountingInputIteratorIllEEPS6_NSA_22TransformInputIteratorIbN2at6native12_GLOBAL__N_19NonZeroOpIN3c107complexIfEEEEPKSL_lEENS0_5tupleIJPlS6_EEENSQ_IJSD_SD_EEES6_PiJS6_EEE10hipError_tPvRmT3_T4_T5_T6_T7_T9_mT8_P12ihipStream_tbDpT10_ENKUlT_T0_E_clISt17integral_constantIbLb0EES1E_EEDaS19_S1A_EUlS19_E_NS1_11comp_targetILNS1_3genE2ELNS1_11target_archE906ELNS1_3gpuE6ELNS1_3repE0EEENS1_30default_config_static_selectorELNS0_4arch9wavefront6targetE0EEEvT1_,"axG",@progbits,_ZN7rocprim17ROCPRIM_400000_NS6detail17trampoline_kernelINS0_14default_configENS1_25partition_config_selectorILNS1_17partition_subalgoE5ElNS0_10empty_typeEbEEZZNS1_14partition_implILS5_5ELb0ES3_mN6hipcub16HIPCUB_304000_NS21CountingInputIteratorIllEEPS6_NSA_22TransformInputIteratorIbN2at6native12_GLOBAL__N_19NonZeroOpIN3c107complexIfEEEEPKSL_lEENS0_5tupleIJPlS6_EEENSQ_IJSD_SD_EEES6_PiJS6_EEE10hipError_tPvRmT3_T4_T5_T6_T7_T9_mT8_P12ihipStream_tbDpT10_ENKUlT_T0_E_clISt17integral_constantIbLb0EES1E_EEDaS19_S1A_EUlS19_E_NS1_11comp_targetILNS1_3genE2ELNS1_11target_archE906ELNS1_3gpuE6ELNS1_3repE0EEENS1_30default_config_static_selectorELNS0_4arch9wavefront6targetE0EEEvT1_,comdat
.Lfunc_end598:
	.size	_ZN7rocprim17ROCPRIM_400000_NS6detail17trampoline_kernelINS0_14default_configENS1_25partition_config_selectorILNS1_17partition_subalgoE5ElNS0_10empty_typeEbEEZZNS1_14partition_implILS5_5ELb0ES3_mN6hipcub16HIPCUB_304000_NS21CountingInputIteratorIllEEPS6_NSA_22TransformInputIteratorIbN2at6native12_GLOBAL__N_19NonZeroOpIN3c107complexIfEEEEPKSL_lEENS0_5tupleIJPlS6_EEENSQ_IJSD_SD_EEES6_PiJS6_EEE10hipError_tPvRmT3_T4_T5_T6_T7_T9_mT8_P12ihipStream_tbDpT10_ENKUlT_T0_E_clISt17integral_constantIbLb0EES1E_EEDaS19_S1A_EUlS19_E_NS1_11comp_targetILNS1_3genE2ELNS1_11target_archE906ELNS1_3gpuE6ELNS1_3repE0EEENS1_30default_config_static_selectorELNS0_4arch9wavefront6targetE0EEEvT1_, .Lfunc_end598-_ZN7rocprim17ROCPRIM_400000_NS6detail17trampoline_kernelINS0_14default_configENS1_25partition_config_selectorILNS1_17partition_subalgoE5ElNS0_10empty_typeEbEEZZNS1_14partition_implILS5_5ELb0ES3_mN6hipcub16HIPCUB_304000_NS21CountingInputIteratorIllEEPS6_NSA_22TransformInputIteratorIbN2at6native12_GLOBAL__N_19NonZeroOpIN3c107complexIfEEEEPKSL_lEENS0_5tupleIJPlS6_EEENSQ_IJSD_SD_EEES6_PiJS6_EEE10hipError_tPvRmT3_T4_T5_T6_T7_T9_mT8_P12ihipStream_tbDpT10_ENKUlT_T0_E_clISt17integral_constantIbLb0EES1E_EEDaS19_S1A_EUlS19_E_NS1_11comp_targetILNS1_3genE2ELNS1_11target_archE906ELNS1_3gpuE6ELNS1_3repE0EEENS1_30default_config_static_selectorELNS0_4arch9wavefront6targetE0EEEvT1_
                                        ; -- End function
	.set _ZN7rocprim17ROCPRIM_400000_NS6detail17trampoline_kernelINS0_14default_configENS1_25partition_config_selectorILNS1_17partition_subalgoE5ElNS0_10empty_typeEbEEZZNS1_14partition_implILS5_5ELb0ES3_mN6hipcub16HIPCUB_304000_NS21CountingInputIteratorIllEEPS6_NSA_22TransformInputIteratorIbN2at6native12_GLOBAL__N_19NonZeroOpIN3c107complexIfEEEEPKSL_lEENS0_5tupleIJPlS6_EEENSQ_IJSD_SD_EEES6_PiJS6_EEE10hipError_tPvRmT3_T4_T5_T6_T7_T9_mT8_P12ihipStream_tbDpT10_ENKUlT_T0_E_clISt17integral_constantIbLb0EES1E_EEDaS19_S1A_EUlS19_E_NS1_11comp_targetILNS1_3genE2ELNS1_11target_archE906ELNS1_3gpuE6ELNS1_3repE0EEENS1_30default_config_static_selectorELNS0_4arch9wavefront6targetE0EEEvT1_.num_vgpr, 0
	.set _ZN7rocprim17ROCPRIM_400000_NS6detail17trampoline_kernelINS0_14default_configENS1_25partition_config_selectorILNS1_17partition_subalgoE5ElNS0_10empty_typeEbEEZZNS1_14partition_implILS5_5ELb0ES3_mN6hipcub16HIPCUB_304000_NS21CountingInputIteratorIllEEPS6_NSA_22TransformInputIteratorIbN2at6native12_GLOBAL__N_19NonZeroOpIN3c107complexIfEEEEPKSL_lEENS0_5tupleIJPlS6_EEENSQ_IJSD_SD_EEES6_PiJS6_EEE10hipError_tPvRmT3_T4_T5_T6_T7_T9_mT8_P12ihipStream_tbDpT10_ENKUlT_T0_E_clISt17integral_constantIbLb0EES1E_EEDaS19_S1A_EUlS19_E_NS1_11comp_targetILNS1_3genE2ELNS1_11target_archE906ELNS1_3gpuE6ELNS1_3repE0EEENS1_30default_config_static_selectorELNS0_4arch9wavefront6targetE0EEEvT1_.num_agpr, 0
	.set _ZN7rocprim17ROCPRIM_400000_NS6detail17trampoline_kernelINS0_14default_configENS1_25partition_config_selectorILNS1_17partition_subalgoE5ElNS0_10empty_typeEbEEZZNS1_14partition_implILS5_5ELb0ES3_mN6hipcub16HIPCUB_304000_NS21CountingInputIteratorIllEEPS6_NSA_22TransformInputIteratorIbN2at6native12_GLOBAL__N_19NonZeroOpIN3c107complexIfEEEEPKSL_lEENS0_5tupleIJPlS6_EEENSQ_IJSD_SD_EEES6_PiJS6_EEE10hipError_tPvRmT3_T4_T5_T6_T7_T9_mT8_P12ihipStream_tbDpT10_ENKUlT_T0_E_clISt17integral_constantIbLb0EES1E_EEDaS19_S1A_EUlS19_E_NS1_11comp_targetILNS1_3genE2ELNS1_11target_archE906ELNS1_3gpuE6ELNS1_3repE0EEENS1_30default_config_static_selectorELNS0_4arch9wavefront6targetE0EEEvT1_.numbered_sgpr, 0
	.set _ZN7rocprim17ROCPRIM_400000_NS6detail17trampoline_kernelINS0_14default_configENS1_25partition_config_selectorILNS1_17partition_subalgoE5ElNS0_10empty_typeEbEEZZNS1_14partition_implILS5_5ELb0ES3_mN6hipcub16HIPCUB_304000_NS21CountingInputIteratorIllEEPS6_NSA_22TransformInputIteratorIbN2at6native12_GLOBAL__N_19NonZeroOpIN3c107complexIfEEEEPKSL_lEENS0_5tupleIJPlS6_EEENSQ_IJSD_SD_EEES6_PiJS6_EEE10hipError_tPvRmT3_T4_T5_T6_T7_T9_mT8_P12ihipStream_tbDpT10_ENKUlT_T0_E_clISt17integral_constantIbLb0EES1E_EEDaS19_S1A_EUlS19_E_NS1_11comp_targetILNS1_3genE2ELNS1_11target_archE906ELNS1_3gpuE6ELNS1_3repE0EEENS1_30default_config_static_selectorELNS0_4arch9wavefront6targetE0EEEvT1_.num_named_barrier, 0
	.set _ZN7rocprim17ROCPRIM_400000_NS6detail17trampoline_kernelINS0_14default_configENS1_25partition_config_selectorILNS1_17partition_subalgoE5ElNS0_10empty_typeEbEEZZNS1_14partition_implILS5_5ELb0ES3_mN6hipcub16HIPCUB_304000_NS21CountingInputIteratorIllEEPS6_NSA_22TransformInputIteratorIbN2at6native12_GLOBAL__N_19NonZeroOpIN3c107complexIfEEEEPKSL_lEENS0_5tupleIJPlS6_EEENSQ_IJSD_SD_EEES6_PiJS6_EEE10hipError_tPvRmT3_T4_T5_T6_T7_T9_mT8_P12ihipStream_tbDpT10_ENKUlT_T0_E_clISt17integral_constantIbLb0EES1E_EEDaS19_S1A_EUlS19_E_NS1_11comp_targetILNS1_3genE2ELNS1_11target_archE906ELNS1_3gpuE6ELNS1_3repE0EEENS1_30default_config_static_selectorELNS0_4arch9wavefront6targetE0EEEvT1_.private_seg_size, 0
	.set _ZN7rocprim17ROCPRIM_400000_NS6detail17trampoline_kernelINS0_14default_configENS1_25partition_config_selectorILNS1_17partition_subalgoE5ElNS0_10empty_typeEbEEZZNS1_14partition_implILS5_5ELb0ES3_mN6hipcub16HIPCUB_304000_NS21CountingInputIteratorIllEEPS6_NSA_22TransformInputIteratorIbN2at6native12_GLOBAL__N_19NonZeroOpIN3c107complexIfEEEEPKSL_lEENS0_5tupleIJPlS6_EEENSQ_IJSD_SD_EEES6_PiJS6_EEE10hipError_tPvRmT3_T4_T5_T6_T7_T9_mT8_P12ihipStream_tbDpT10_ENKUlT_T0_E_clISt17integral_constantIbLb0EES1E_EEDaS19_S1A_EUlS19_E_NS1_11comp_targetILNS1_3genE2ELNS1_11target_archE906ELNS1_3gpuE6ELNS1_3repE0EEENS1_30default_config_static_selectorELNS0_4arch9wavefront6targetE0EEEvT1_.uses_vcc, 0
	.set _ZN7rocprim17ROCPRIM_400000_NS6detail17trampoline_kernelINS0_14default_configENS1_25partition_config_selectorILNS1_17partition_subalgoE5ElNS0_10empty_typeEbEEZZNS1_14partition_implILS5_5ELb0ES3_mN6hipcub16HIPCUB_304000_NS21CountingInputIteratorIllEEPS6_NSA_22TransformInputIteratorIbN2at6native12_GLOBAL__N_19NonZeroOpIN3c107complexIfEEEEPKSL_lEENS0_5tupleIJPlS6_EEENSQ_IJSD_SD_EEES6_PiJS6_EEE10hipError_tPvRmT3_T4_T5_T6_T7_T9_mT8_P12ihipStream_tbDpT10_ENKUlT_T0_E_clISt17integral_constantIbLb0EES1E_EEDaS19_S1A_EUlS19_E_NS1_11comp_targetILNS1_3genE2ELNS1_11target_archE906ELNS1_3gpuE6ELNS1_3repE0EEENS1_30default_config_static_selectorELNS0_4arch9wavefront6targetE0EEEvT1_.uses_flat_scratch, 0
	.set _ZN7rocprim17ROCPRIM_400000_NS6detail17trampoline_kernelINS0_14default_configENS1_25partition_config_selectorILNS1_17partition_subalgoE5ElNS0_10empty_typeEbEEZZNS1_14partition_implILS5_5ELb0ES3_mN6hipcub16HIPCUB_304000_NS21CountingInputIteratorIllEEPS6_NSA_22TransformInputIteratorIbN2at6native12_GLOBAL__N_19NonZeroOpIN3c107complexIfEEEEPKSL_lEENS0_5tupleIJPlS6_EEENSQ_IJSD_SD_EEES6_PiJS6_EEE10hipError_tPvRmT3_T4_T5_T6_T7_T9_mT8_P12ihipStream_tbDpT10_ENKUlT_T0_E_clISt17integral_constantIbLb0EES1E_EEDaS19_S1A_EUlS19_E_NS1_11comp_targetILNS1_3genE2ELNS1_11target_archE906ELNS1_3gpuE6ELNS1_3repE0EEENS1_30default_config_static_selectorELNS0_4arch9wavefront6targetE0EEEvT1_.has_dyn_sized_stack, 0
	.set _ZN7rocprim17ROCPRIM_400000_NS6detail17trampoline_kernelINS0_14default_configENS1_25partition_config_selectorILNS1_17partition_subalgoE5ElNS0_10empty_typeEbEEZZNS1_14partition_implILS5_5ELb0ES3_mN6hipcub16HIPCUB_304000_NS21CountingInputIteratorIllEEPS6_NSA_22TransformInputIteratorIbN2at6native12_GLOBAL__N_19NonZeroOpIN3c107complexIfEEEEPKSL_lEENS0_5tupleIJPlS6_EEENSQ_IJSD_SD_EEES6_PiJS6_EEE10hipError_tPvRmT3_T4_T5_T6_T7_T9_mT8_P12ihipStream_tbDpT10_ENKUlT_T0_E_clISt17integral_constantIbLb0EES1E_EEDaS19_S1A_EUlS19_E_NS1_11comp_targetILNS1_3genE2ELNS1_11target_archE906ELNS1_3gpuE6ELNS1_3repE0EEENS1_30default_config_static_selectorELNS0_4arch9wavefront6targetE0EEEvT1_.has_recursion, 0
	.set _ZN7rocprim17ROCPRIM_400000_NS6detail17trampoline_kernelINS0_14default_configENS1_25partition_config_selectorILNS1_17partition_subalgoE5ElNS0_10empty_typeEbEEZZNS1_14partition_implILS5_5ELb0ES3_mN6hipcub16HIPCUB_304000_NS21CountingInputIteratorIllEEPS6_NSA_22TransformInputIteratorIbN2at6native12_GLOBAL__N_19NonZeroOpIN3c107complexIfEEEEPKSL_lEENS0_5tupleIJPlS6_EEENSQ_IJSD_SD_EEES6_PiJS6_EEE10hipError_tPvRmT3_T4_T5_T6_T7_T9_mT8_P12ihipStream_tbDpT10_ENKUlT_T0_E_clISt17integral_constantIbLb0EES1E_EEDaS19_S1A_EUlS19_E_NS1_11comp_targetILNS1_3genE2ELNS1_11target_archE906ELNS1_3gpuE6ELNS1_3repE0EEENS1_30default_config_static_selectorELNS0_4arch9wavefront6targetE0EEEvT1_.has_indirect_call, 0
	.section	.AMDGPU.csdata,"",@progbits
; Kernel info:
; codeLenInByte = 0
; TotalNumSgprs: 0
; NumVgprs: 0
; ScratchSize: 0
; MemoryBound: 0
; FloatMode: 240
; IeeeMode: 1
; LDSByteSize: 0 bytes/workgroup (compile time only)
; SGPRBlocks: 0
; VGPRBlocks: 0
; NumSGPRsForWavesPerEU: 1
; NumVGPRsForWavesPerEU: 1
; Occupancy: 16
; WaveLimiterHint : 0
; COMPUTE_PGM_RSRC2:SCRATCH_EN: 0
; COMPUTE_PGM_RSRC2:USER_SGPR: 2
; COMPUTE_PGM_RSRC2:TRAP_HANDLER: 0
; COMPUTE_PGM_RSRC2:TGID_X_EN: 1
; COMPUTE_PGM_RSRC2:TGID_Y_EN: 0
; COMPUTE_PGM_RSRC2:TGID_Z_EN: 0
; COMPUTE_PGM_RSRC2:TIDIG_COMP_CNT: 0
	.section	.text._ZN7rocprim17ROCPRIM_400000_NS6detail17trampoline_kernelINS0_14default_configENS1_25partition_config_selectorILNS1_17partition_subalgoE5ElNS0_10empty_typeEbEEZZNS1_14partition_implILS5_5ELb0ES3_mN6hipcub16HIPCUB_304000_NS21CountingInputIteratorIllEEPS6_NSA_22TransformInputIteratorIbN2at6native12_GLOBAL__N_19NonZeroOpIN3c107complexIfEEEEPKSL_lEENS0_5tupleIJPlS6_EEENSQ_IJSD_SD_EEES6_PiJS6_EEE10hipError_tPvRmT3_T4_T5_T6_T7_T9_mT8_P12ihipStream_tbDpT10_ENKUlT_T0_E_clISt17integral_constantIbLb0EES1E_EEDaS19_S1A_EUlS19_E_NS1_11comp_targetILNS1_3genE10ELNS1_11target_archE1200ELNS1_3gpuE4ELNS1_3repE0EEENS1_30default_config_static_selectorELNS0_4arch9wavefront6targetE0EEEvT1_,"axG",@progbits,_ZN7rocprim17ROCPRIM_400000_NS6detail17trampoline_kernelINS0_14default_configENS1_25partition_config_selectorILNS1_17partition_subalgoE5ElNS0_10empty_typeEbEEZZNS1_14partition_implILS5_5ELb0ES3_mN6hipcub16HIPCUB_304000_NS21CountingInputIteratorIllEEPS6_NSA_22TransformInputIteratorIbN2at6native12_GLOBAL__N_19NonZeroOpIN3c107complexIfEEEEPKSL_lEENS0_5tupleIJPlS6_EEENSQ_IJSD_SD_EEES6_PiJS6_EEE10hipError_tPvRmT3_T4_T5_T6_T7_T9_mT8_P12ihipStream_tbDpT10_ENKUlT_T0_E_clISt17integral_constantIbLb0EES1E_EEDaS19_S1A_EUlS19_E_NS1_11comp_targetILNS1_3genE10ELNS1_11target_archE1200ELNS1_3gpuE4ELNS1_3repE0EEENS1_30default_config_static_selectorELNS0_4arch9wavefront6targetE0EEEvT1_,comdat
	.globl	_ZN7rocprim17ROCPRIM_400000_NS6detail17trampoline_kernelINS0_14default_configENS1_25partition_config_selectorILNS1_17partition_subalgoE5ElNS0_10empty_typeEbEEZZNS1_14partition_implILS5_5ELb0ES3_mN6hipcub16HIPCUB_304000_NS21CountingInputIteratorIllEEPS6_NSA_22TransformInputIteratorIbN2at6native12_GLOBAL__N_19NonZeroOpIN3c107complexIfEEEEPKSL_lEENS0_5tupleIJPlS6_EEENSQ_IJSD_SD_EEES6_PiJS6_EEE10hipError_tPvRmT3_T4_T5_T6_T7_T9_mT8_P12ihipStream_tbDpT10_ENKUlT_T0_E_clISt17integral_constantIbLb0EES1E_EEDaS19_S1A_EUlS19_E_NS1_11comp_targetILNS1_3genE10ELNS1_11target_archE1200ELNS1_3gpuE4ELNS1_3repE0EEENS1_30default_config_static_selectorELNS0_4arch9wavefront6targetE0EEEvT1_ ; -- Begin function _ZN7rocprim17ROCPRIM_400000_NS6detail17trampoline_kernelINS0_14default_configENS1_25partition_config_selectorILNS1_17partition_subalgoE5ElNS0_10empty_typeEbEEZZNS1_14partition_implILS5_5ELb0ES3_mN6hipcub16HIPCUB_304000_NS21CountingInputIteratorIllEEPS6_NSA_22TransformInputIteratorIbN2at6native12_GLOBAL__N_19NonZeroOpIN3c107complexIfEEEEPKSL_lEENS0_5tupleIJPlS6_EEENSQ_IJSD_SD_EEES6_PiJS6_EEE10hipError_tPvRmT3_T4_T5_T6_T7_T9_mT8_P12ihipStream_tbDpT10_ENKUlT_T0_E_clISt17integral_constantIbLb0EES1E_EEDaS19_S1A_EUlS19_E_NS1_11comp_targetILNS1_3genE10ELNS1_11target_archE1200ELNS1_3gpuE4ELNS1_3repE0EEENS1_30default_config_static_selectorELNS0_4arch9wavefront6targetE0EEEvT1_
	.p2align	8
	.type	_ZN7rocprim17ROCPRIM_400000_NS6detail17trampoline_kernelINS0_14default_configENS1_25partition_config_selectorILNS1_17partition_subalgoE5ElNS0_10empty_typeEbEEZZNS1_14partition_implILS5_5ELb0ES3_mN6hipcub16HIPCUB_304000_NS21CountingInputIteratorIllEEPS6_NSA_22TransformInputIteratorIbN2at6native12_GLOBAL__N_19NonZeroOpIN3c107complexIfEEEEPKSL_lEENS0_5tupleIJPlS6_EEENSQ_IJSD_SD_EEES6_PiJS6_EEE10hipError_tPvRmT3_T4_T5_T6_T7_T9_mT8_P12ihipStream_tbDpT10_ENKUlT_T0_E_clISt17integral_constantIbLb0EES1E_EEDaS19_S1A_EUlS19_E_NS1_11comp_targetILNS1_3genE10ELNS1_11target_archE1200ELNS1_3gpuE4ELNS1_3repE0EEENS1_30default_config_static_selectorELNS0_4arch9wavefront6targetE0EEEvT1_,@function
_ZN7rocprim17ROCPRIM_400000_NS6detail17trampoline_kernelINS0_14default_configENS1_25partition_config_selectorILNS1_17partition_subalgoE5ElNS0_10empty_typeEbEEZZNS1_14partition_implILS5_5ELb0ES3_mN6hipcub16HIPCUB_304000_NS21CountingInputIteratorIllEEPS6_NSA_22TransformInputIteratorIbN2at6native12_GLOBAL__N_19NonZeroOpIN3c107complexIfEEEEPKSL_lEENS0_5tupleIJPlS6_EEENSQ_IJSD_SD_EEES6_PiJS6_EEE10hipError_tPvRmT3_T4_T5_T6_T7_T9_mT8_P12ihipStream_tbDpT10_ENKUlT_T0_E_clISt17integral_constantIbLb0EES1E_EEDaS19_S1A_EUlS19_E_NS1_11comp_targetILNS1_3genE10ELNS1_11target_archE1200ELNS1_3gpuE4ELNS1_3repE0EEENS1_30default_config_static_selectorELNS0_4arch9wavefront6targetE0EEEvT1_: ; @_ZN7rocprim17ROCPRIM_400000_NS6detail17trampoline_kernelINS0_14default_configENS1_25partition_config_selectorILNS1_17partition_subalgoE5ElNS0_10empty_typeEbEEZZNS1_14partition_implILS5_5ELb0ES3_mN6hipcub16HIPCUB_304000_NS21CountingInputIteratorIllEEPS6_NSA_22TransformInputIteratorIbN2at6native12_GLOBAL__N_19NonZeroOpIN3c107complexIfEEEEPKSL_lEENS0_5tupleIJPlS6_EEENSQ_IJSD_SD_EEES6_PiJS6_EEE10hipError_tPvRmT3_T4_T5_T6_T7_T9_mT8_P12ihipStream_tbDpT10_ENKUlT_T0_E_clISt17integral_constantIbLb0EES1E_EEDaS19_S1A_EUlS19_E_NS1_11comp_targetILNS1_3genE10ELNS1_11target_archE1200ELNS1_3gpuE4ELNS1_3repE0EEENS1_30default_config_static_selectorELNS0_4arch9wavefront6targetE0EEEvT1_
; %bb.0:
	s_clause 0x3
	s_load_b128 s[12:15], s[0:1], 0x48
	s_load_b32 s18, s[0:1], 0x70
	s_load_b128 s[4:7], s[0:1], 0x8
	s_load_b64 s[2:3], s[0:1], 0x58
	s_mov_b32 s9, 0
	s_lshl_b32 s8, ttmp9, 10
	s_mov_b32 s17, s9
	v_lshrrev_b32_e32 v12, 2, v0
	v_or_b32_e32 v9, 0x200, v0
	v_or_b32_e32 v10, 0x300, v0
	v_and_b32_e32 v11, 0xf8, v0
	s_mov_b32 s19, -1
	s_wait_kmcnt 0x0
	s_load_b64 s[10:11], s[14:15], 0x0
	s_lshl_b32 s16, s18, 10
	s_add_co_i32 s18, s18, -1
	s_add_nc_u64 s[14:15], s[6:7], s[16:17]
	s_lshl_b32 s16, s18, 10
	v_cmp_le_u64_e64 s14, s[2:3], s[14:15]
	s_add_co_i32 s3, s6, s16
	s_cmp_eq_u32 ttmp9, s18
	s_add_nc_u64 s[4:5], s[6:7], s[4:5]
	s_cselect_b32 s16, -1, 0
	s_delay_alu instid0(SALU_CYCLE_1) | instskip(SKIP_2) | instid1(SALU_CYCLE_1)
	s_and_b32 s14, s16, s14
	s_wait_alu 0xfffe
	s_xor_b32 s17, s14, -1
	s_and_b32 vcc_lo, exec_lo, s17
	s_cbranch_vccz .LBB599_2
; %bb.1:
	v_or_b32_e32 v7, 0x100, v0
	v_or_b32_e32 v1, s8, v0
	v_lshrrev_b32_e32 v8, 2, v9
	v_lshrrev_b32_e32 v13, 2, v10
	v_and_b32_e32 v14, 56, v12
	v_lshrrev_b32_e32 v7, 2, v7
	v_add_co_u32 v1, s14, s4, v1
	s_wait_alu 0xf1ff
	v_add_co_ci_u32_e64 v2, null, s5, 0, s14
	v_lshlrev_b32_e32 v15, 3, v0
	v_and_b32_e32 v16, 0x78, v7
	v_add_co_u32 v3, vcc_lo, 0x100, v1
	v_and_b32_e32 v17, 0xb8, v8
	v_and_b32_e32 v13, 0xf8, v13
	v_add_co_ci_u32_e64 v4, null, 0, v2, vcc_lo
	v_add_co_u32 v5, vcc_lo, 0x200, v1
	v_add_nc_u32_e32 v14, v14, v15
	s_wait_alu 0xfffd
	v_add_co_ci_u32_e64 v6, null, 0, v2, vcc_lo
	v_add_co_u32 v7, vcc_lo, 0x300, v1
	v_add_nc_u32_e32 v16, v16, v15
	v_add_nc_u32_e32 v17, v17, v15
	s_wait_alu 0xfffd
	v_add_co_ci_u32_e64 v8, null, 0, v2, vcc_lo
	v_add_nc_u32_e32 v13, v13, v15
	ds_store_b64 v14, v[1:2]
	ds_store_b64 v16, v[3:4] offset:2048
	ds_store_b64 v17, v[5:6] offset:4096
	;; [unrolled: 1-line block ×3, first 2 shown]
	v_lshl_add_u32 v1, v0, 5, v11
	s_wait_dscnt 0x0
	s_barrier_signal -1
	s_barrier_wait -1
	global_inv scope:SCOPE_SE
	ds_load_2addr_b64 v[5:8], v1 offset1:1
	ds_load_2addr_b64 v[1:4], v1 offset0:2 offset1:3
	s_mov_b32 s19, s9
	s_branch .LBB599_3
.LBB599_2:
                                        ; implicit-def: $vgpr3_vgpr4
                                        ; implicit-def: $vgpr7_vgpr8
.LBB599_3:
	s_load_b64 s[14:15], s[0:1], 0x20
	s_sub_co_i32 s18, s2, s3
	s_and_not1_b32 vcc_lo, exec_lo, s19
	v_cmp_gt_u32_e64 s2, s18, v0
	s_wait_alu 0xfffe
	s_cbranch_vccnz .LBB599_5
; %bb.4:
	s_wait_dscnt 0x1
	v_or_b32_e32 v7, 0x100, v0
	s_add_nc_u64 s[4:5], s[4:5], s[8:9]
	v_lshrrev_b32_e32 v14, 2, v9
	s_wait_dscnt 0x0
	s_wait_alu 0xfffe
	v_add_co_u32 v1, s3, s4, v0
	s_wait_alu 0xf1ff
	v_add_co_ci_u32_e64 v2, null, s5, 0, s3
	v_add_co_u32 v3, s3, s4, v7
	s_wait_alu 0xf1ff
	v_add_co_ci_u32_e64 v4, null, s5, 0, s3
	v_cmp_gt_u32_e32 vcc_lo, s18, v7
	v_add_co_u32 v13, s3, s4, v10
	s_wait_alu 0xf1ff
	v_add_co_ci_u32_e64 v8, null, s5, 0, s3
	s_wait_alu 0xfffd
	v_dual_cndmask_b32 v4, 0, v4 :: v_dual_cndmask_b32 v3, 0, v3
	v_cmp_gt_u32_e32 vcc_lo, s18, v10
	v_lshrrev_b32_e32 v7, 2, v7
	v_lshrrev_b32_e32 v15, 2, v10
	v_cndmask_b32_e64 v2, 0, v2, s2
	v_cndmask_b32_e64 v1, 0, v1, s2
	v_add_co_u32 v5, s2, s4, v9
	v_and_b32_e32 v12, 56, v12
	v_lshlrev_b32_e32 v16, 3, v0
	s_wait_alu 0xfffd
	v_dual_cndmask_b32 v8, 0, v8 :: v_dual_and_b32 v17, 0x78, v7
	s_wait_alu 0xf1ff
	v_add_co_ci_u32_e64 v6, null, s5, 0, s2
	v_cmp_gt_u32_e64 s2, s18, v9
	v_and_b32_e32 v14, 0xb8, v14
	v_and_b32_e32 v15, 0xf8, v15
	v_dual_cndmask_b32 v7, 0, v13 :: v_dual_add_nc_u32 v12, v12, v16
	v_add_nc_u32_e32 v13, v17, v16
	s_wait_alu 0xf1ff
	v_cndmask_b32_e64 v6, 0, v6, s2
	v_cndmask_b32_e64 v5, 0, v5, s2
	v_add_nc_u32_e32 v14, v14, v16
	v_add_nc_u32_e32 v15, v15, v16
	ds_store_b64 v12, v[1:2]
	ds_store_b64 v13, v[3:4] offset:2048
	ds_store_b64 v14, v[5:6] offset:4096
	;; [unrolled: 1-line block ×3, first 2 shown]
	v_lshl_add_u32 v1, v0, 5, v11
	s_wait_loadcnt_dscnt 0x0
	s_barrier_signal -1
	s_barrier_wait -1
	global_inv scope:SCOPE_SE
	ds_load_2addr_b64 v[5:8], v1 offset1:1
	ds_load_2addr_b64 v[1:4], v1 offset0:2 offset1:3
.LBB599_5:
	s_lshl_b64 s[2:3], s[6:7], 3
	v_lshrrev_b32_e32 v26, 5, v0
	s_wait_kmcnt 0x0
	s_wait_alu 0xfffe
	s_add_nc_u64 s[2:3], s[14:15], s[2:3]
	s_lshl_b64 s[4:5], s[8:9], 3
	s_and_b32 vcc_lo, exec_lo, s17
	s_wait_alu 0xfffe
	s_add_nc_u64 s[14:15], s[2:3], s[4:5]
	s_mov_b32 s2, -1
	s_wait_loadcnt_dscnt 0x0
	s_barrier_signal -1
	s_barrier_wait -1
	global_inv scope:SCOPE_SE
	s_cbranch_vccz .LBB599_7
; %bb.6:
	v_lshlrev_b32_e32 v17, 3, v0
	v_or_b32_e32 v19, 0x100, v0
	v_lshrrev_b32_e32 v20, 5, v9
	v_lshrrev_b32_e32 v21, 5, v10
	v_and_b32_e32 v22, 4, v26
	s_clause 0x3
	global_load_b64 v[11:12], v17, s[14:15]
	global_load_b64 v[13:14], v17, s[14:15] offset:2048
	global_load_b64 v[15:16], v17, s[14:15] offset:4096
	;; [unrolled: 1-line block ×3, first 2 shown]
	v_lshrrev_b32_e32 v19, 5, v19
	v_and_b32_e32 v20, 20, v20
	v_and_b32_e32 v21, 28, v21
	v_add_nc_u32_e32 v22, v22, v0
	s_delay_alu instid0(VALU_DEP_4) | instskip(NEXT) | instid1(VALU_DEP_4)
	v_and_b32_e32 v19, 12, v19
	v_add_nc_u32_e32 v20, v20, v0
	s_delay_alu instid0(VALU_DEP_4) | instskip(NEXT) | instid1(VALU_DEP_3)
	v_add_nc_u32_e32 v21, v21, v0
	v_add_nc_u32_e32 v19, v19, v0
	s_wait_loadcnt 0x3
	v_cmp_neq_f32_e32 vcc_lo, 0, v11
	v_cmp_neq_f32_e64 s2, 0, v12
	s_wait_loadcnt 0x2
	v_cmp_neq_f32_e64 s3, 0, v13
	v_cmp_neq_f32_e64 s4, 0, v14
	s_wait_loadcnt 0x1
	v_cmp_neq_f32_e64 s5, 0, v15
	v_cmp_neq_f32_e64 s6, 0, v16
	s_wait_alu 0xfffe
	s_or_b32 s2, vcc_lo, s2
	s_wait_loadcnt 0x0
	v_cmp_neq_f32_e64 s7, 0, v17
	v_cmp_neq_f32_e64 s8, 0, v18
	s_wait_alu 0xfffe
	v_cndmask_b32_e64 v11, 0, 1, s2
	s_or_b32 s2, s3, s4
	s_wait_alu 0xfffe
	v_cndmask_b32_e64 v12, 0, 1, s2
	s_or_b32 s2, s5, s6
	;; [unrolled: 3-line block ×3, first 2 shown]
	s_wait_alu 0xfffe
	v_cndmask_b32_e64 v14, 0, 1, s2
	s_mov_b32 s2, 0
	ds_store_b8 v22, v11
	ds_store_b8 v19, v12 offset:256
	ds_store_b8 v20, v13 offset:512
	;; [unrolled: 1-line block ×3, first 2 shown]
	s_wait_dscnt 0x0
	s_barrier_signal -1
	s_barrier_wait -1
.LBB599_7:
	s_wait_alu 0xfffe
	s_and_not1_b32 vcc_lo, exec_lo, s2
	s_wait_alu 0xfffe
	s_cbranch_vccnz .LBB599_15
; %bb.8:
	v_dual_mov_b32 v11, 0 :: v_dual_mov_b32 v12, 0
	s_mov_b32 s3, exec_lo
	v_cmpx_gt_u32_e64 s18, v0
	s_cbranch_execz .LBB599_10
; %bb.9:
	v_lshlrev_b32_e32 v11, 3, v0
	global_load_b64 v[11:12], v11, s[14:15]
	s_wait_loadcnt 0x0
	v_cmp_neq_f32_e32 vcc_lo, 0, v11
	v_cmp_neq_f32_e64 s2, 0, v12
	s_or_b32 s2, vcc_lo, s2
	s_wait_alu 0xfffe
	v_cndmask_b32_e64 v11, 0, 1, s2
	v_cndmask_b32_e64 v12, 0, 1, s2
.LBB599_10:
	s_wait_alu 0xfffe
	s_or_b32 exec_lo, exec_lo, s3
	v_or_b32_e32 v13, 0x100, v0
	s_mov_b32 s3, exec_lo
	s_delay_alu instid0(VALU_DEP_1)
	v_cmpx_gt_u32_e64 s18, v13
	s_cbranch_execnz .LBB599_129
; %bb.11:
	s_wait_alu 0xfffe
	s_or_b32 exec_lo, exec_lo, s3
	s_delay_alu instid0(SALU_CYCLE_1)
	s_mov_b32 s3, exec_lo
	v_cmpx_gt_u32_e64 s18, v9
	s_cbranch_execnz .LBB599_130
.LBB599_12:
	s_wait_alu 0xfffe
	s_or_b32 exec_lo, exec_lo, s3
	s_delay_alu instid0(SALU_CYCLE_1)
	s_mov_b32 s3, exec_lo
	v_cmpx_gt_u32_e64 s18, v10
	s_cbranch_execz .LBB599_14
.LBB599_13:
	v_lshlrev_b32_e32 v14, 3, v0
	global_load_b64 v[14:15], v14, s[14:15] offset:6144
	s_wait_loadcnt 0x0
	v_cmp_neq_f32_e32 vcc_lo, 0, v14
	v_cmp_neq_f32_e64 s2, 0, v15
	v_lshrrev_b32_e32 v15, 16, v12
	s_or_b32 s2, vcc_lo, s2
	s_wait_alu 0xfffe
	v_cndmask_b32_e64 v14, 0, 1, s2
	s_delay_alu instid0(VALU_DEP_1) | instskip(NEXT) | instid1(VALU_DEP_1)
	v_lshlrev_b16 v14, 8, v14
	v_or_b32_e32 v14, v15, v14
	s_delay_alu instid0(VALU_DEP_1) | instskip(NEXT) | instid1(VALU_DEP_1)
	v_lshlrev_b32_e32 v14, 16, v14
	v_and_or_b32 v12, 0xffff, v12, v14
.LBB599_14:
	s_wait_alu 0xfffe
	s_or_b32 exec_lo, exec_lo, s3
	v_lshrrev_b32_e32 v13, 5, v13
	v_lshrrev_b32_e32 v9, 5, v9
	v_lshrrev_b32_e32 v10, 5, v10
	v_and_b32_e32 v14, 4, v26
	v_lshrrev_b32_e32 v15, 8, v12
	v_and_b32_e32 v13, 12, v13
	v_and_b32_e32 v9, 28, v9
	;; [unrolled: 1-line block ×3, first 2 shown]
	v_add_nc_u32_e32 v14, v14, v0
	v_lshrrev_b32_e32 v16, 24, v12
	v_add_nc_u32_e32 v13, v13, v0
	v_add_nc_u32_e32 v9, v9, v0
	;; [unrolled: 1-line block ×3, first 2 shown]
	ds_store_b8 v14, v11
	ds_store_b8 v13, v15 offset:256
	ds_store_b8_d16_hi v9, v12 offset:512
	ds_store_b8 v10, v16 offset:768
	s_wait_loadcnt_dscnt 0x0
	s_barrier_signal -1
	s_barrier_wait -1
.LBB599_15:
	v_lshrrev_b32_e32 v9, 3, v0
	s_wait_loadcnt 0x0
	global_inv scope:SCOPE_SE
	s_load_b64 s[6:7], s[0:1], 0x68
	v_mbcnt_lo_u32_b32 v31, -1, 0
	s_cmp_lg_u32 ttmp9, 0
	v_dual_mov_b32 v10, 0 :: v_dual_and_b32 v9, 28, v9
	s_mov_b32 s3, -1
	s_delay_alu instid0(VALU_DEP_2) | instskip(NEXT) | instid1(VALU_DEP_2)
	v_and_b32_e32 v32, 15, v31
	v_lshl_add_u32 v9, v0, 2, v9
	ds_load_b32 v27, v9
	s_wait_loadcnt_dscnt 0x0
	s_barrier_signal -1
	s_barrier_wait -1
	global_inv scope:SCOPE_SE
	v_and_b32_e32 v30, 0xff, v27
	v_bfe_u32 v29, v27, 8, 8
	v_bfe_u32 v28, v27, 16, 8
	v_lshrrev_b32_e32 v25, 24, v27
	s_delay_alu instid0(VALU_DEP_2) | instskip(NEXT) | instid1(VALU_DEP_1)
	v_add3_u32 v9, v29, v30, v28
	v_add_co_u32 v17, s2, v9, v25
	s_wait_alu 0xf1ff
	v_add_co_ci_u32_e64 v18, null, 0, 0, s2
	v_cmp_ne_u32_e64 s2, 0, v32
	s_cbranch_scc0 .LBB599_72
; %bb.16:
	v_mov_b32_e32 v11, v17
	v_mov_b32_dpp v9, v17 row_shr:1 row_mask:0xf bank_mask:0xf
	v_mov_b32_dpp v14, v10 row_shr:1 row_mask:0xf bank_mask:0xf
	v_dual_mov_b32 v13, v17 :: v_dual_mov_b32 v12, v18
	s_and_saveexec_b32 s3, s2
; %bb.17:
	s_delay_alu instid0(VALU_DEP_3) | instskip(SKIP_2) | instid1(VALU_DEP_2)
	v_add_co_u32 v13, vcc_lo, v17, v9
	s_wait_alu 0xfffd
	v_add_co_ci_u32_e64 v10, null, 0, v18, vcc_lo
	v_add_co_u32 v9, vcc_lo, 0, v13
	s_wait_alu 0xfffd
	s_delay_alu instid0(VALU_DEP_2) | instskip(NEXT) | instid1(VALU_DEP_1)
	v_add_co_ci_u32_e64 v10, null, v14, v10, vcc_lo
	v_dual_mov_b32 v12, v10 :: v_dual_mov_b32 v11, v9
; %bb.18:
	s_wait_alu 0xfffe
	s_or_b32 exec_lo, exec_lo, s3
	v_mov_b32_dpp v9, v13 row_shr:2 row_mask:0xf bank_mask:0xf
	v_mov_b32_dpp v14, v10 row_shr:2 row_mask:0xf bank_mask:0xf
	s_mov_b32 s3, exec_lo
	v_cmpx_lt_u32_e32 1, v32
; %bb.19:
	s_delay_alu instid0(VALU_DEP_3) | instskip(SKIP_2) | instid1(VALU_DEP_2)
	v_add_co_u32 v13, vcc_lo, v11, v9
	s_wait_alu 0xfffd
	v_add_co_ci_u32_e64 v10, null, 0, v12, vcc_lo
	v_add_co_u32 v9, vcc_lo, 0, v13
	s_wait_alu 0xfffd
	s_delay_alu instid0(VALU_DEP_2) | instskip(NEXT) | instid1(VALU_DEP_1)
	v_add_co_ci_u32_e64 v10, null, v14, v10, vcc_lo
	v_dual_mov_b32 v12, v10 :: v_dual_mov_b32 v11, v9
; %bb.20:
	s_wait_alu 0xfffe
	s_or_b32 exec_lo, exec_lo, s3
	v_mov_b32_dpp v9, v13 row_shr:4 row_mask:0xf bank_mask:0xf
	v_mov_b32_dpp v14, v10 row_shr:4 row_mask:0xf bank_mask:0xf
	s_mov_b32 s3, exec_lo
	v_cmpx_lt_u32_e32 3, v32
	;; [unrolled: 17-line block ×3, first 2 shown]
; %bb.23:
	s_delay_alu instid0(VALU_DEP_3) | instskip(SKIP_2) | instid1(VALU_DEP_2)
	v_add_co_u32 v13, vcc_lo, v11, v14
	s_wait_alu 0xfffd
	v_add_co_ci_u32_e64 v10, null, 0, v12, vcc_lo
	v_add_co_u32 v11, vcc_lo, 0, v13
	s_wait_alu 0xfffd
	s_delay_alu instid0(VALU_DEP_2) | instskip(NEXT) | instid1(VALU_DEP_1)
	v_add_co_ci_u32_e64 v12, null, v9, v10, vcc_lo
	v_mov_b32_e32 v10, v12
; %bb.24:
	s_wait_alu 0xfffe
	s_or_b32 exec_lo, exec_lo, s3
	ds_swizzle_b32 v9, v13 offset:swizzle(BROADCAST,32,15)
	ds_swizzle_b32 v14, v10 offset:swizzle(BROADCAST,32,15)
	v_and_b32_e32 v15, 16, v31
	s_mov_b32 s3, exec_lo
	s_delay_alu instid0(VALU_DEP_1)
	v_cmpx_ne_u32_e32 0, v15
	s_cbranch_execz .LBB599_26
; %bb.25:
	s_wait_dscnt 0x1
	v_add_co_u32 v13, vcc_lo, v11, v9
	s_wait_alu 0xfffd
	v_add_co_ci_u32_e64 v10, null, 0, v12, vcc_lo
	s_delay_alu instid0(VALU_DEP_2) | instskip(SKIP_2) | instid1(VALU_DEP_2)
	v_add_co_u32 v9, vcc_lo, 0, v13
	s_wait_dscnt 0x0
	s_wait_alu 0xfffd
	v_add_co_ci_u32_e64 v10, null, v14, v10, vcc_lo
	s_delay_alu instid0(VALU_DEP_1)
	v_dual_mov_b32 v12, v10 :: v_dual_mov_b32 v11, v9
.LBB599_26:
	s_wait_alu 0xfffe
	s_or_b32 exec_lo, exec_lo, s3
	s_wait_dscnt 0x1
	v_or_b32_e32 v9, 31, v0
	s_mov_b32 s3, exec_lo
	s_delay_alu instid0(VALU_DEP_1)
	v_cmpx_eq_u32_e64 v0, v9
; %bb.27:
	v_lshlrev_b32_e32 v9, 3, v26
	ds_store_b64 v9, v[11:12]
; %bb.28:
	s_wait_alu 0xfffe
	s_or_b32 exec_lo, exec_lo, s3
	s_delay_alu instid0(SALU_CYCLE_1)
	s_mov_b32 s3, exec_lo
	s_wait_loadcnt_dscnt 0x0
	s_barrier_signal -1
	s_barrier_wait -1
	global_inv scope:SCOPE_SE
	v_cmpx_gt_u32_e32 8, v0
	s_cbranch_execz .LBB599_36
; %bb.29:
	v_lshlrev_b32_e32 v9, 3, v0
	s_mov_b32 s4, exec_lo
	ds_load_b64 v[11:12], v9
	s_wait_dscnt 0x0
	v_dual_mov_b32 v15, v11 :: v_dual_and_b32 v14, 7, v31
	v_mov_b32_dpp v19, v11 row_shr:1 row_mask:0xf bank_mask:0xf
	v_mov_b32_dpp v16, v12 row_shr:1 row_mask:0xf bank_mask:0xf
	s_delay_alu instid0(VALU_DEP_3)
	v_cmpx_ne_u32_e32 0, v14
; %bb.30:
	s_delay_alu instid0(VALU_DEP_3) | instskip(SKIP_2) | instid1(VALU_DEP_2)
	v_add_co_u32 v15, vcc_lo, v11, v19
	s_wait_alu 0xfffd
	v_add_co_ci_u32_e64 v12, null, 0, v12, vcc_lo
	v_add_co_u32 v11, vcc_lo, 0, v15
	s_wait_alu 0xfffd
	s_delay_alu instid0(VALU_DEP_2)
	v_add_co_ci_u32_e64 v12, null, v16, v12, vcc_lo
; %bb.31:
	s_wait_alu 0xfffe
	s_or_b32 exec_lo, exec_lo, s4
	v_mov_b32_dpp v19, v15 row_shr:2 row_mask:0xf bank_mask:0xf
	s_delay_alu instid0(VALU_DEP_2)
	v_mov_b32_dpp v16, v12 row_shr:2 row_mask:0xf bank_mask:0xf
	s_mov_b32 s4, exec_lo
	v_cmpx_lt_u32_e32 1, v14
; %bb.32:
	s_delay_alu instid0(VALU_DEP_3) | instskip(SKIP_2) | instid1(VALU_DEP_2)
	v_add_co_u32 v15, vcc_lo, v11, v19
	s_wait_alu 0xfffd
	v_add_co_ci_u32_e64 v12, null, 0, v12, vcc_lo
	v_add_co_u32 v11, vcc_lo, 0, v15
	s_wait_alu 0xfffd
	s_delay_alu instid0(VALU_DEP_2)
	v_add_co_ci_u32_e64 v12, null, v16, v12, vcc_lo
; %bb.33:
	s_wait_alu 0xfffe
	s_or_b32 exec_lo, exec_lo, s4
	v_mov_b32_dpp v16, v15 row_shr:4 row_mask:0xf bank_mask:0xf
	s_delay_alu instid0(VALU_DEP_2)
	v_mov_b32_dpp v15, v12 row_shr:4 row_mask:0xf bank_mask:0xf
	s_mov_b32 s4, exec_lo
	v_cmpx_lt_u32_e32 3, v14
; %bb.34:
	s_delay_alu instid0(VALU_DEP_3) | instskip(SKIP_2) | instid1(VALU_DEP_2)
	v_add_co_u32 v11, vcc_lo, v11, v16
	s_wait_alu 0xfffd
	v_add_co_ci_u32_e64 v12, null, 0, v12, vcc_lo
	v_add_co_u32 v11, vcc_lo, v11, 0
	s_wait_alu 0xfffd
	s_delay_alu instid0(VALU_DEP_2)
	v_add_co_ci_u32_e64 v12, null, v12, v15, vcc_lo
; %bb.35:
	s_wait_alu 0xfffe
	s_or_b32 exec_lo, exec_lo, s4
	ds_store_b64 v9, v[11:12]
.LBB599_36:
	s_wait_alu 0xfffe
	s_or_b32 exec_lo, exec_lo, s3
	s_delay_alu instid0(SALU_CYCLE_1)
	s_mov_b32 s4, exec_lo
	v_cmp_gt_u32_e32 vcc_lo, 32, v0
	s_wait_loadcnt_dscnt 0x0
	s_barrier_signal -1
	s_barrier_wait -1
	global_inv scope:SCOPE_SE
                                        ; implicit-def: $vgpr19_vgpr20
	v_cmpx_lt_u32_e32 31, v0
	s_cbranch_execz .LBB599_38
; %bb.37:
	v_lshl_add_u32 v9, v26, 3, -8
	ds_load_b64 v[19:20], v9
	s_wait_dscnt 0x0
	v_add_co_u32 v13, s3, v13, v19
	s_wait_alu 0xf1ff
	v_add_co_ci_u32_e64 v10, null, v10, v20, s3
.LBB599_38:
	s_wait_alu 0xfffe
	s_or_b32 exec_lo, exec_lo, s4
	v_sub_co_u32 v9, s3, v31, 1
	s_delay_alu instid0(VALU_DEP_1) | instskip(SKIP_1) | instid1(VALU_DEP_1)
	v_cmp_gt_i32_e64 s4, 0, v9
	s_wait_alu 0xf1ff
	v_cndmask_b32_e64 v9, v9, v31, s4
	s_delay_alu instid0(VALU_DEP_1)
	v_lshlrev_b32_e32 v9, 2, v9
	ds_bpermute_b32 v33, v9, v13
	ds_bpermute_b32 v34, v9, v10
	s_and_saveexec_b32 s4, vcc_lo
	s_cbranch_execz .LBB599_77
; %bb.39:
	v_mov_b32_e32 v12, 0
	ds_load_b64 v[9:10], v12 offset:56
	s_and_saveexec_b32 s5, s3
	s_cbranch_execz .LBB599_41
; %bb.40:
	s_add_co_i32 s8, ttmp9, 32
	s_wait_alu 0xfffe
	s_lshl_b64 s[8:9], s[8:9], 4
	s_wait_kmcnt 0x0
	s_wait_alu 0xfffe
	s_add_nc_u64 s[8:9], s[6:7], s[8:9]
	s_wait_alu 0xfffe
	v_dual_mov_b32 v11, 1 :: v_dual_mov_b32 v14, s9
	v_mov_b32_e32 v13, s8
	s_wait_dscnt 0x0
	;;#ASMSTART
	global_store_b128 v[13:14], v[9:12] off scope:SCOPE_DEV	
s_wait_storecnt 0x0
	;;#ASMEND
.LBB599_41:
	s_wait_alu 0xfffe
	s_or_b32 exec_lo, exec_lo, s5
	v_xad_u32 v21, v31, -1, ttmp9
	s_mov_b32 s8, 0
	s_mov_b32 s5, exec_lo
	s_delay_alu instid0(VALU_DEP_1) | instskip(NEXT) | instid1(VALU_DEP_1)
	v_add_nc_u32_e32 v11, 32, v21
	v_lshlrev_b64_e32 v[11:12], 4, v[11:12]
	s_wait_kmcnt 0x0
	s_delay_alu instid0(VALU_DEP_1) | instskip(SKIP_1) | instid1(VALU_DEP_2)
	v_add_co_u32 v11, vcc_lo, s6, v11
	s_wait_alu 0xfffd
	v_add_co_ci_u32_e64 v12, null, s7, v12, vcc_lo
	;;#ASMSTART
	global_load_b128 v[13:16], v[11:12] off scope:SCOPE_DEV	
s_wait_loadcnt 0x0
	;;#ASMEND
	v_and_b32_e32 v16, 0xff, v15
	s_delay_alu instid0(VALU_DEP_1)
	v_cmpx_eq_u16_e32 0, v16
	s_cbranch_execz .LBB599_44
.LBB599_42:                             ; =>This Inner Loop Header: Depth=1
	;;#ASMSTART
	global_load_b128 v[13:16], v[11:12] off scope:SCOPE_DEV	
s_wait_loadcnt 0x0
	;;#ASMEND
	v_and_b32_e32 v16, 0xff, v15
	s_delay_alu instid0(VALU_DEP_1)
	v_cmp_ne_u16_e32 vcc_lo, 0, v16
	s_wait_alu 0xfffe
	s_or_b32 s8, vcc_lo, s8
	s_wait_alu 0xfffe
	s_and_not1_b32 exec_lo, exec_lo, s8
	s_cbranch_execnz .LBB599_42
; %bb.43:
	s_or_b32 exec_lo, exec_lo, s8
.LBB599_44:
	s_wait_alu 0xfffe
	s_or_b32 exec_lo, exec_lo, s5
	v_cmp_ne_u32_e32 vcc_lo, 31, v31
	v_and_b32_e32 v12, 0xff, v15
	v_lshlrev_b32_e64 v36, v31, -1
	s_mov_b32 s5, exec_lo
	s_wait_alu 0xfffd
	v_add_co_ci_u32_e64 v11, null, 0, v31, vcc_lo
	v_cmp_eq_u16_e32 vcc_lo, 2, v12
	s_delay_alu instid0(VALU_DEP_2)
	v_dual_mov_b32 v12, v13 :: v_dual_lshlrev_b32 v35, 2, v11
	s_wait_alu 0xfffd
	v_and_or_b32 v11, vcc_lo, v36, 0x80000000
	ds_bpermute_b32 v22, v35, v13
	ds_bpermute_b32 v16, v35, v14
	v_ctz_i32_b32_e32 v11, v11
	s_delay_alu instid0(VALU_DEP_1)
	v_cmpx_lt_u32_e64 v31, v11
	s_cbranch_execz .LBB599_46
; %bb.45:
	s_wait_dscnt 0x1
	v_add_co_u32 v12, vcc_lo, v13, v22
	s_wait_alu 0xfffd
	v_add_co_ci_u32_e64 v14, null, 0, v14, vcc_lo
	s_delay_alu instid0(VALU_DEP_2) | instskip(SKIP_2) | instid1(VALU_DEP_2)
	v_add_co_u32 v13, vcc_lo, 0, v12
	s_wait_dscnt 0x0
	s_wait_alu 0xfffd
	v_add_co_ci_u32_e64 v14, null, v16, v14, vcc_lo
.LBB599_46:
	s_wait_alu 0xfffe
	s_or_b32 exec_lo, exec_lo, s5
	v_cmp_gt_u32_e32 vcc_lo, 30, v31
	v_add_nc_u32_e32 v38, 2, v31
	s_mov_b32 s5, exec_lo
	s_wait_dscnt 0x0
	s_wait_alu 0xfffd
	v_cndmask_b32_e64 v16, 0, 2, vcc_lo
	s_delay_alu instid0(VALU_DEP_1)
	v_add_lshl_u32 v37, v16, v31, 2
	ds_bpermute_b32 v22, v37, v12
	ds_bpermute_b32 v16, v37, v14
	v_cmpx_le_u32_e64 v38, v11
	s_cbranch_execz .LBB599_48
; %bb.47:
	s_wait_dscnt 0x1
	v_add_co_u32 v12, vcc_lo, v13, v22
	s_wait_alu 0xfffd
	v_add_co_ci_u32_e64 v14, null, 0, v14, vcc_lo
	s_delay_alu instid0(VALU_DEP_2) | instskip(SKIP_2) | instid1(VALU_DEP_2)
	v_add_co_u32 v13, vcc_lo, 0, v12
	s_wait_dscnt 0x0
	s_wait_alu 0xfffd
	v_add_co_ci_u32_e64 v14, null, v16, v14, vcc_lo
.LBB599_48:
	s_wait_alu 0xfffe
	s_or_b32 exec_lo, exec_lo, s5
	v_cmp_gt_u32_e32 vcc_lo, 28, v31
	v_add_nc_u32_e32 v40, 4, v31
	s_mov_b32 s5, exec_lo
	s_wait_dscnt 0x0
	s_wait_alu 0xfffd
	v_cndmask_b32_e64 v16, 0, 4, vcc_lo
	s_delay_alu instid0(VALU_DEP_1)
	v_add_lshl_u32 v39, v16, v31, 2
	ds_bpermute_b32 v22, v39, v12
	ds_bpermute_b32 v16, v39, v14
	v_cmpx_le_u32_e64 v40, v11
	;; [unrolled: 25-line block ×3, first 2 shown]
	s_cbranch_execz .LBB599_52
; %bb.51:
	s_wait_dscnt 0x1
	v_add_co_u32 v12, vcc_lo, v13, v22
	s_wait_alu 0xfffd
	v_add_co_ci_u32_e64 v14, null, 0, v14, vcc_lo
	s_delay_alu instid0(VALU_DEP_2) | instskip(SKIP_2) | instid1(VALU_DEP_2)
	v_add_co_u32 v13, vcc_lo, 0, v12
	s_wait_dscnt 0x0
	s_wait_alu 0xfffd
	v_add_co_ci_u32_e64 v14, null, v16, v14, vcc_lo
.LBB599_52:
	s_wait_alu 0xfffe
	s_or_b32 exec_lo, exec_lo, s5
	v_lshl_or_b32 v43, v31, 2, 64
	v_add_nc_u32_e32 v44, 16, v31
	s_mov_b32 s5, exec_lo
	s_wait_dscnt 0x0
	ds_bpermute_b32 v16, v43, v12
	ds_bpermute_b32 v12, v43, v14
	v_cmpx_le_u32_e64 v44, v11
	s_cbranch_execz .LBB599_54
; %bb.53:
	s_wait_dscnt 0x1
	v_add_co_u32 v11, vcc_lo, v13, v16
	s_wait_alu 0xfffd
	v_add_co_ci_u32_e64 v14, null, 0, v14, vcc_lo
	s_delay_alu instid0(VALU_DEP_2) | instskip(SKIP_2) | instid1(VALU_DEP_2)
	v_add_co_u32 v13, vcc_lo, v11, 0
	s_wait_dscnt 0x0
	s_wait_alu 0xfffd
	v_add_co_ci_u32_e64 v14, null, v14, v12, vcc_lo
.LBB599_54:
	s_wait_alu 0xfffe
	s_or_b32 exec_lo, exec_lo, s5
	v_mov_b32_e32 v22, 0
	s_branch .LBB599_57
.LBB599_55:                             ;   in Loop: Header=BB599_57 Depth=1
	s_wait_alu 0xfffe
	s_or_b32 exec_lo, exec_lo, s5
	v_add_co_u32 v13, vcc_lo, v13, v11
	v_subrev_nc_u32_e32 v21, 32, v21
	s_wait_alu 0xfffd
	v_add_co_ci_u32_e64 v14, null, v14, v12, vcc_lo
	s_mov_b32 s5, 0
.LBB599_56:                             ;   in Loop: Header=BB599_57 Depth=1
	s_wait_alu 0xfffe
	s_and_b32 vcc_lo, exec_lo, s5
	s_wait_alu 0xfffe
	s_cbranch_vccnz .LBB599_73
.LBB599_57:                             ; =>This Loop Header: Depth=1
                                        ;     Child Loop BB599_60 Depth 2
	v_and_b32_e32 v11, 0xff, v15
	s_mov_b32 s5, -1
	s_delay_alu instid0(VALU_DEP_1)
	v_cmp_ne_u16_e32 vcc_lo, 2, v11
	s_wait_dscnt 0x0
	v_dual_mov_b32 v11, v13 :: v_dual_mov_b32 v12, v14
                                        ; implicit-def: $vgpr13_vgpr14
	s_cmp_lg_u32 vcc_lo, exec_lo
	s_cbranch_scc1 .LBB599_56
; %bb.58:                               ;   in Loop: Header=BB599_57 Depth=1
	v_lshlrev_b64_e32 v[13:14], 4, v[21:22]
	s_mov_b32 s5, exec_lo
	s_delay_alu instid0(VALU_DEP_1) | instskip(SKIP_1) | instid1(VALU_DEP_2)
	v_add_co_u32 v23, vcc_lo, s6, v13
	s_wait_alu 0xfffd
	v_add_co_ci_u32_e64 v24, null, s7, v14, vcc_lo
	;;#ASMSTART
	global_load_b128 v[13:16], v[23:24] off scope:SCOPE_DEV	
s_wait_loadcnt 0x0
	;;#ASMEND
	v_and_b32_e32 v16, 0xff, v15
	s_delay_alu instid0(VALU_DEP_1)
	v_cmpx_eq_u16_e32 0, v16
	s_cbranch_execz .LBB599_62
; %bb.59:                               ;   in Loop: Header=BB599_57 Depth=1
	s_mov_b32 s8, 0
.LBB599_60:                             ;   Parent Loop BB599_57 Depth=1
                                        ; =>  This Inner Loop Header: Depth=2
	;;#ASMSTART
	global_load_b128 v[13:16], v[23:24] off scope:SCOPE_DEV	
s_wait_loadcnt 0x0
	;;#ASMEND
	v_and_b32_e32 v16, 0xff, v15
	s_delay_alu instid0(VALU_DEP_1)
	v_cmp_ne_u16_e32 vcc_lo, 0, v16
	s_wait_alu 0xfffe
	s_or_b32 s8, vcc_lo, s8
	s_wait_alu 0xfffe
	s_and_not1_b32 exec_lo, exec_lo, s8
	s_cbranch_execnz .LBB599_60
; %bb.61:                               ;   in Loop: Header=BB599_57 Depth=1
	s_or_b32 exec_lo, exec_lo, s8
.LBB599_62:                             ;   in Loop: Header=BB599_57 Depth=1
	s_wait_alu 0xfffe
	s_or_b32 exec_lo, exec_lo, s5
	v_dual_mov_b32 v23, v13 :: v_dual_and_b32 v16, 0xff, v15
	ds_bpermute_b32 v45, v35, v13
	ds_bpermute_b32 v24, v35, v14
	s_mov_b32 s5, exec_lo
	v_cmp_eq_u16_e32 vcc_lo, 2, v16
	s_wait_alu 0xfffd
	v_and_or_b32 v16, vcc_lo, v36, 0x80000000
	s_delay_alu instid0(VALU_DEP_1) | instskip(NEXT) | instid1(VALU_DEP_1)
	v_ctz_i32_b32_e32 v16, v16
	v_cmpx_lt_u32_e64 v31, v16
	s_cbranch_execz .LBB599_64
; %bb.63:                               ;   in Loop: Header=BB599_57 Depth=1
	s_wait_dscnt 0x1
	v_add_co_u32 v23, vcc_lo, v13, v45
	s_wait_alu 0xfffd
	v_add_co_ci_u32_e64 v14, null, 0, v14, vcc_lo
	s_delay_alu instid0(VALU_DEP_2) | instskip(SKIP_2) | instid1(VALU_DEP_2)
	v_add_co_u32 v13, vcc_lo, 0, v23
	s_wait_dscnt 0x0
	s_wait_alu 0xfffd
	v_add_co_ci_u32_e64 v14, null, v24, v14, vcc_lo
.LBB599_64:                             ;   in Loop: Header=BB599_57 Depth=1
	s_wait_alu 0xfffe
	s_or_b32 exec_lo, exec_lo, s5
	s_wait_dscnt 0x1
	ds_bpermute_b32 v45, v37, v23
	s_wait_dscnt 0x1
	ds_bpermute_b32 v24, v37, v14
	s_mov_b32 s5, exec_lo
	v_cmpx_le_u32_e64 v38, v16
	s_cbranch_execz .LBB599_66
; %bb.65:                               ;   in Loop: Header=BB599_57 Depth=1
	s_wait_dscnt 0x1
	v_add_co_u32 v23, vcc_lo, v13, v45
	s_wait_alu 0xfffd
	v_add_co_ci_u32_e64 v14, null, 0, v14, vcc_lo
	s_delay_alu instid0(VALU_DEP_2) | instskip(SKIP_2) | instid1(VALU_DEP_2)
	v_add_co_u32 v13, vcc_lo, 0, v23
	s_wait_dscnt 0x0
	s_wait_alu 0xfffd
	v_add_co_ci_u32_e64 v14, null, v24, v14, vcc_lo
.LBB599_66:                             ;   in Loop: Header=BB599_57 Depth=1
	s_wait_alu 0xfffe
	s_or_b32 exec_lo, exec_lo, s5
	s_wait_dscnt 0x1
	ds_bpermute_b32 v45, v39, v23
	s_wait_dscnt 0x1
	ds_bpermute_b32 v24, v39, v14
	s_mov_b32 s5, exec_lo
	v_cmpx_le_u32_e64 v40, v16
	;; [unrolled: 20-line block ×3, first 2 shown]
	s_cbranch_execz .LBB599_70
; %bb.69:                               ;   in Loop: Header=BB599_57 Depth=1
	s_wait_dscnt 0x1
	v_add_co_u32 v23, vcc_lo, v13, v45
	s_wait_alu 0xfffd
	v_add_co_ci_u32_e64 v14, null, 0, v14, vcc_lo
	s_delay_alu instid0(VALU_DEP_2) | instskip(SKIP_2) | instid1(VALU_DEP_2)
	v_add_co_u32 v13, vcc_lo, 0, v23
	s_wait_dscnt 0x0
	s_wait_alu 0xfffd
	v_add_co_ci_u32_e64 v14, null, v24, v14, vcc_lo
.LBB599_70:                             ;   in Loop: Header=BB599_57 Depth=1
	s_wait_alu 0xfffe
	s_or_b32 exec_lo, exec_lo, s5
	s_wait_dscnt 0x0
	ds_bpermute_b32 v24, v43, v23
	ds_bpermute_b32 v23, v43, v14
	s_mov_b32 s5, exec_lo
	v_cmpx_le_u32_e64 v44, v16
	s_cbranch_execz .LBB599_55
; %bb.71:                               ;   in Loop: Header=BB599_57 Depth=1
	s_wait_dscnt 0x1
	v_add_co_u32 v13, vcc_lo, v13, v24
	s_wait_alu 0xfffd
	v_add_co_ci_u32_e64 v14, null, 0, v14, vcc_lo
	s_delay_alu instid0(VALU_DEP_2) | instskip(SKIP_2) | instid1(VALU_DEP_2)
	v_add_co_u32 v13, vcc_lo, v13, 0
	s_wait_dscnt 0x0
	s_wait_alu 0xfffd
	v_add_co_ci_u32_e64 v14, null, v14, v23, vcc_lo
	s_branch .LBB599_55
.LBB599_72:
                                        ; implicit-def: $vgpr15_vgpr16
                                        ; implicit-def: $vgpr13_vgpr14
                                        ; implicit-def: $vgpr19_vgpr20
                                        ; implicit-def: $vgpr21_vgpr22
                                        ; implicit-def: $vgpr11_vgpr12
	s_load_b64 s[4:5], s[0:1], 0x30
	s_and_b32 vcc_lo, exec_lo, s3
	s_wait_alu 0xfffe
	s_cbranch_vccnz .LBB599_78
	s_branch .LBB599_103
.LBB599_73:
	s_and_saveexec_b32 s5, s3
	s_cbranch_execz .LBB599_75
; %bb.74:
	s_add_co_i32 s8, ttmp9, 32
	s_mov_b32 s9, 0
	v_add_co_u32 v13, vcc_lo, v11, v9
	s_wait_alu 0xfffe
	s_lshl_b64 s[8:9], s[8:9], 4
	v_dual_mov_b32 v15, 2 :: v_dual_mov_b32 v16, 0
	s_wait_alu 0xfffe
	s_add_nc_u64 s[8:9], s[6:7], s[8:9]
	s_wait_alu 0xfffd
	v_add_co_ci_u32_e64 v14, null, v12, v10, vcc_lo
	s_wait_alu 0xfffe
	v_dual_mov_b32 v22, s9 :: v_dual_mov_b32 v21, s8
	;;#ASMSTART
	global_store_b128 v[21:22], v[13:16] off scope:SCOPE_DEV	
s_wait_storecnt 0x0
	;;#ASMEND
	ds_store_b128 v16, v[9:12] offset:8448
.LBB599_75:
	s_wait_alu 0xfffe
	s_or_b32 exec_lo, exec_lo, s5
	v_cmp_eq_u32_e32 vcc_lo, 0, v0
	s_and_b32 exec_lo, exec_lo, vcc_lo
; %bb.76:
	v_mov_b32_e32 v9, 0
	ds_store_b64 v9, v[11:12] offset:56
.LBB599_77:
	s_wait_alu 0xfffe
	s_or_b32 exec_lo, exec_lo, s4
	s_wait_dscnt 0x1
	v_cndmask_b32_e64 v10, v33, v19, s3
	v_cmp_ne_u32_e32 vcc_lo, 0, v0
	v_mov_b32_e32 v9, 0
	s_wait_loadcnt_dscnt 0x0
	s_barrier_signal -1
	s_barrier_wait -1
	global_inv scope:SCOPE_SE
	s_wait_alu 0xfffd
	v_cndmask_b32_e32 v16, 0, v10, vcc_lo
	ds_load_b64 v[13:14], v9 offset:56
	v_cndmask_b32_e64 v11, v34, v20, s3
	s_wait_loadcnt_dscnt 0x0
	s_barrier_signal -1
	s_barrier_wait -1
	global_inv scope:SCOPE_SE
	v_cndmask_b32_e32 v15, 0, v11, vcc_lo
	ds_load_b128 v[9:12], v9 offset:8448
	v_add_co_u32 v21, vcc_lo, v13, v16
	s_wait_alu 0xfffd
	v_add_co_ci_u32_e64 v22, null, v14, v15, vcc_lo
	s_delay_alu instid0(VALU_DEP_2) | instskip(SKIP_1) | instid1(VALU_DEP_2)
	v_add_co_u32 v19, vcc_lo, v21, v30
	s_wait_alu 0xfffd
	v_add_co_ci_u32_e64 v20, null, 0, v22, vcc_lo
	s_delay_alu instid0(VALU_DEP_2) | instskip(SKIP_1) | instid1(VALU_DEP_2)
	;; [unrolled: 4-line block ×3, first 2 shown]
	v_add_co_u32 v15, vcc_lo, v13, v28
	s_wait_alu 0xfffd
	v_add_co_ci_u32_e64 v16, null, 0, v14, vcc_lo
	s_load_b64 s[4:5], s[0:1], 0x30
	s_branch .LBB599_103
.LBB599_78:
	s_wait_dscnt 0x0
	v_dual_mov_b32 v10, 0 :: v_dual_mov_b32 v11, v17
	v_mov_b32_dpp v12, v17 row_shr:1 row_mask:0xf bank_mask:0xf
	s_delay_alu instid0(VALU_DEP_2)
	v_mov_b32_dpp v9, v10 row_shr:1 row_mask:0xf bank_mask:0xf
	s_and_saveexec_b32 s0, s2
; %bb.79:
	s_delay_alu instid0(VALU_DEP_2) | instskip(SKIP_2) | instid1(VALU_DEP_2)
	v_add_co_u32 v11, vcc_lo, v17, v12
	s_wait_alu 0xfffd
	v_add_co_ci_u32_e64 v10, null, 0, v18, vcc_lo
	v_add_co_u32 v17, vcc_lo, 0, v11
	s_wait_alu 0xfffd
	s_delay_alu instid0(VALU_DEP_2) | instskip(NEXT) | instid1(VALU_DEP_1)
	v_add_co_ci_u32_e64 v18, null, v9, v10, vcc_lo
	v_mov_b32_e32 v10, v18
; %bb.80:
	s_or_b32 exec_lo, exec_lo, s0
	v_mov_b32_dpp v9, v11 row_shr:2 row_mask:0xf bank_mask:0xf
	s_delay_alu instid0(VALU_DEP_2)
	v_mov_b32_dpp v12, v10 row_shr:2 row_mask:0xf bank_mask:0xf
	s_mov_b32 s0, exec_lo
	v_cmpx_lt_u32_e32 1, v32
; %bb.81:
	s_delay_alu instid0(VALU_DEP_3) | instskip(SKIP_2) | instid1(VALU_DEP_2)
	v_add_co_u32 v11, vcc_lo, v17, v9
	s_wait_alu 0xfffd
	v_add_co_ci_u32_e64 v10, null, 0, v18, vcc_lo
	v_add_co_u32 v9, vcc_lo, 0, v11
	s_wait_alu 0xfffd
	s_delay_alu instid0(VALU_DEP_2) | instskip(NEXT) | instid1(VALU_DEP_1)
	v_add_co_ci_u32_e64 v10, null, v12, v10, vcc_lo
	v_dual_mov_b32 v18, v10 :: v_dual_mov_b32 v17, v9
; %bb.82:
	s_or_b32 exec_lo, exec_lo, s0
	v_mov_b32_dpp v9, v11 row_shr:4 row_mask:0xf bank_mask:0xf
	v_mov_b32_dpp v12, v10 row_shr:4 row_mask:0xf bank_mask:0xf
	s_mov_b32 s0, exec_lo
	v_cmpx_lt_u32_e32 3, v32
; %bb.83:
	s_delay_alu instid0(VALU_DEP_3) | instskip(SKIP_2) | instid1(VALU_DEP_2)
	v_add_co_u32 v11, vcc_lo, v17, v9
	s_wait_alu 0xfffd
	v_add_co_ci_u32_e64 v10, null, 0, v18, vcc_lo
	v_add_co_u32 v9, vcc_lo, 0, v11
	s_wait_alu 0xfffd
	s_delay_alu instid0(VALU_DEP_2) | instskip(NEXT) | instid1(VALU_DEP_1)
	v_add_co_ci_u32_e64 v10, null, v12, v10, vcc_lo
	v_dual_mov_b32 v18, v10 :: v_dual_mov_b32 v17, v9
; %bb.84:
	s_or_b32 exec_lo, exec_lo, s0
	v_mov_b32_dpp v12, v11 row_shr:8 row_mask:0xf bank_mask:0xf
	v_mov_b32_dpp v9, v10 row_shr:8 row_mask:0xf bank_mask:0xf
	s_mov_b32 s0, exec_lo
	v_cmpx_lt_u32_e32 7, v32
; %bb.85:
	s_delay_alu instid0(VALU_DEP_3) | instskip(SKIP_2) | instid1(VALU_DEP_2)
	v_add_co_u32 v11, vcc_lo, v17, v12
	s_wait_alu 0xfffd
	v_add_co_ci_u32_e64 v10, null, 0, v18, vcc_lo
	v_add_co_u32 v17, vcc_lo, 0, v11
	s_wait_alu 0xfffd
	s_delay_alu instid0(VALU_DEP_2) | instskip(NEXT) | instid1(VALU_DEP_1)
	v_add_co_ci_u32_e64 v18, null, v9, v10, vcc_lo
	v_mov_b32_e32 v10, v18
; %bb.86:
	s_or_b32 exec_lo, exec_lo, s0
	ds_swizzle_b32 v11, v11 offset:swizzle(BROADCAST,32,15)
	ds_swizzle_b32 v9, v10 offset:swizzle(BROADCAST,32,15)
	v_and_b32_e32 v10, 16, v31
	s_mov_b32 s0, exec_lo
	s_delay_alu instid0(VALU_DEP_1)
	v_cmpx_ne_u32_e32 0, v10
	s_cbranch_execz .LBB599_88
; %bb.87:
	s_wait_dscnt 0x1
	v_add_co_u32 v10, vcc_lo, v17, v11
	s_wait_alu 0xfffd
	v_add_co_ci_u32_e64 v11, null, 0, v18, vcc_lo
	s_delay_alu instid0(VALU_DEP_2) | instskip(SKIP_2) | instid1(VALU_DEP_2)
	v_add_co_u32 v17, vcc_lo, v10, 0
	s_wait_dscnt 0x0
	s_wait_alu 0xfffd
	v_add_co_ci_u32_e64 v18, null, v11, v9, vcc_lo
.LBB599_88:
	s_or_b32 exec_lo, exec_lo, s0
	s_wait_dscnt 0x0
	v_or_b32_e32 v9, 31, v0
	s_mov_b32 s0, exec_lo
	s_delay_alu instid0(VALU_DEP_1)
	v_cmpx_eq_u32_e64 v0, v9
; %bb.89:
	v_lshlrev_b32_e32 v9, 3, v26
	ds_store_b64 v9, v[17:18]
; %bb.90:
	s_or_b32 exec_lo, exec_lo, s0
	s_delay_alu instid0(SALU_CYCLE_1)
	s_mov_b32 s0, exec_lo
	s_wait_loadcnt_dscnt 0x0
	s_barrier_signal -1
	s_barrier_wait -1
	global_inv scope:SCOPE_SE
	v_cmpx_gt_u32_e32 8, v0
	s_cbranch_execz .LBB599_98
; %bb.91:
	v_lshlrev_b32_e32 v11, 3, v0
	s_mov_b32 s1, exec_lo
	ds_load_b64 v[9:10], v11
	s_wait_dscnt 0x0
	v_dual_mov_b32 v13, v9 :: v_dual_and_b32 v12, 7, v31
	v_mov_b32_dpp v15, v9 row_shr:1 row_mask:0xf bank_mask:0xf
	v_mov_b32_dpp v14, v10 row_shr:1 row_mask:0xf bank_mask:0xf
	s_delay_alu instid0(VALU_DEP_3)
	v_cmpx_ne_u32_e32 0, v12
; %bb.92:
	s_delay_alu instid0(VALU_DEP_3) | instskip(SKIP_2) | instid1(VALU_DEP_2)
	v_add_co_u32 v13, vcc_lo, v9, v15
	s_wait_alu 0xfffd
	v_add_co_ci_u32_e64 v10, null, 0, v10, vcc_lo
	v_add_co_u32 v9, vcc_lo, 0, v13
	s_wait_alu 0xfffd
	s_delay_alu instid0(VALU_DEP_2)
	v_add_co_ci_u32_e64 v10, null, v14, v10, vcc_lo
; %bb.93:
	s_or_b32 exec_lo, exec_lo, s1
	v_mov_b32_dpp v15, v13 row_shr:2 row_mask:0xf bank_mask:0xf
	s_delay_alu instid0(VALU_DEP_2)
	v_mov_b32_dpp v14, v10 row_shr:2 row_mask:0xf bank_mask:0xf
	s_mov_b32 s1, exec_lo
	v_cmpx_lt_u32_e32 1, v12
; %bb.94:
	s_delay_alu instid0(VALU_DEP_3) | instskip(SKIP_2) | instid1(VALU_DEP_2)
	v_add_co_u32 v13, vcc_lo, v9, v15
	s_wait_alu 0xfffd
	v_add_co_ci_u32_e64 v10, null, 0, v10, vcc_lo
	v_add_co_u32 v9, vcc_lo, 0, v13
	s_wait_alu 0xfffd
	s_delay_alu instid0(VALU_DEP_2)
	v_add_co_ci_u32_e64 v10, null, v14, v10, vcc_lo
; %bb.95:
	s_or_b32 exec_lo, exec_lo, s1
	v_mov_b32_dpp v14, v13 row_shr:4 row_mask:0xf bank_mask:0xf
	s_delay_alu instid0(VALU_DEP_2)
	v_mov_b32_dpp v13, v10 row_shr:4 row_mask:0xf bank_mask:0xf
	s_mov_b32 s1, exec_lo
	v_cmpx_lt_u32_e32 3, v12
; %bb.96:
	s_delay_alu instid0(VALU_DEP_3) | instskip(SKIP_2) | instid1(VALU_DEP_2)
	v_add_co_u32 v9, vcc_lo, v9, v14
	s_wait_alu 0xfffd
	v_add_co_ci_u32_e64 v10, null, 0, v10, vcc_lo
	v_add_co_u32 v9, vcc_lo, v9, 0
	s_wait_alu 0xfffd
	s_delay_alu instid0(VALU_DEP_2)
	v_add_co_ci_u32_e64 v10, null, v10, v13, vcc_lo
; %bb.97:
	s_or_b32 exec_lo, exec_lo, s1
	ds_store_b64 v11, v[9:10]
.LBB599_98:
	s_or_b32 exec_lo, exec_lo, s0
	v_mov_b32_e32 v13, 0
	v_mov_b32_e32 v14, 0
	s_mov_b32 s0, exec_lo
	s_wait_loadcnt_dscnt 0x0
	s_barrier_signal -1
	s_barrier_wait -1
	global_inv scope:SCOPE_SE
	v_cmpx_lt_u32_e32 31, v0
; %bb.99:
	v_lshl_add_u32 v9, v26, 3, -8
	ds_load_b64 v[13:14], v9
; %bb.100:
	s_or_b32 exec_lo, exec_lo, s0
	v_sub_co_u32 v9, vcc_lo, v31, 1
	v_mov_b32_e32 v12, 0
	s_delay_alu instid0(VALU_DEP_2) | instskip(NEXT) | instid1(VALU_DEP_1)
	v_cmp_gt_i32_e64 s0, 0, v9
	v_cndmask_b32_e64 v9, v9, v31, s0
	s_wait_dscnt 0x0
	v_add_co_u32 v10, s0, v13, v17
	s_wait_alu 0xf1ff
	v_add_co_ci_u32_e64 v11, null, v14, v18, s0
	v_lshlrev_b32_e32 v9, 2, v9
	v_cmp_eq_u32_e64 s0, 0, v0
	ds_bpermute_b32 v15, v9, v10
	ds_bpermute_b32 v16, v9, v11
	ds_load_b64 v[9:10], v12 offset:56
	s_and_saveexec_b32 s1, s0
	s_cbranch_execz .LBB599_102
; %bb.101:
	s_wait_kmcnt 0x0
	s_add_nc_u64 s[2:3], s[6:7], 0x200
	s_wait_alu 0xfffe
	v_dual_mov_b32 v11, 2 :: v_dual_mov_b32 v18, s3
	v_mov_b32_e32 v17, s2
	s_wait_dscnt 0x0
	;;#ASMSTART
	global_store_b128 v[17:18], v[9:12] off scope:SCOPE_DEV	
s_wait_storecnt 0x0
	;;#ASMEND
.LBB599_102:
	s_wait_alu 0xfffe
	s_or_b32 exec_lo, exec_lo, s1
	s_wait_dscnt 0x1
	s_wait_alu 0xfffd
	v_dual_cndmask_b32 v11, v15, v13 :: v_dual_cndmask_b32 v12, v16, v14
	s_wait_loadcnt_dscnt 0x0
	s_barrier_signal -1
	s_barrier_wait -1
	s_delay_alu instid0(VALU_DEP_1)
	v_cndmask_b32_e64 v21, v11, 0, s0
	v_cndmask_b32_e64 v22, v12, 0, s0
	v_mov_b32_e32 v11, 0
	v_mov_b32_e32 v12, 0
	global_inv scope:SCOPE_SE
	v_add_co_u32 v19, vcc_lo, v21, v30
	s_wait_alu 0xfffd
	v_add_co_ci_u32_e64 v20, null, 0, v22, vcc_lo
	s_delay_alu instid0(VALU_DEP_2) | instskip(SKIP_1) | instid1(VALU_DEP_2)
	v_add_co_u32 v13, vcc_lo, v19, v29
	s_wait_alu 0xfffd
	v_add_co_ci_u32_e64 v14, null, 0, v20, vcc_lo
	s_delay_alu instid0(VALU_DEP_2) | instskip(SKIP_1) | instid1(VALU_DEP_2)
	v_add_co_u32 v15, vcc_lo, v13, v28
	s_wait_alu 0xfffd
	v_add_co_ci_u32_e64 v16, null, 0, v14, vcc_lo
.LBB599_103:
	v_and_b32_e32 v26, 1, v27
	s_wait_dscnt 0x0
	v_cmp_gt_u64_e32 vcc_lo, 0x101, v[9:10]
	v_lshrrev_b32_e32 v23, 16, v27
	v_lshrrev_b32_e32 v24, 8, v27
	s_mov_b32 s1, -1
	v_cmp_eq_u32_e64 s0, 1, v26
	s_cbranch_vccnz .LBB599_107
; %bb.104:
	s_wait_alu 0xfffe
	s_and_b32 vcc_lo, exec_lo, s1
	s_wait_alu 0xfffe
	s_cbranch_vccnz .LBB599_116
.LBB599_105:
	v_cmp_eq_u32_e32 vcc_lo, 0, v0
	s_and_b32 s0, vcc_lo, s16
	s_wait_alu 0xfffe
	s_and_saveexec_b32 s1, s0
	s_cbranch_execnz .LBB599_128
.LBB599_106:
	s_endpgm
.LBB599_107:
	v_add_co_u32 v17, vcc_lo, v11, v9
	s_wait_alu 0xfffd
	v_add_co_ci_u32_e64 v18, null, v12, v10, vcc_lo
	s_delay_alu instid0(VALU_DEP_1)
	v_cmp_lt_u64_e32 vcc_lo, v[21:22], v[17:18]
	s_or_b32 s1, s17, vcc_lo
	s_wait_alu 0xfffe
	s_and_b32 s1, s1, s0
	s_wait_alu 0xfffe
	s_and_saveexec_b32 s0, s1
	s_cbranch_execz .LBB599_109
; %bb.108:
	v_lshlrev_b64_e32 v[27:28], 3, v[21:22]
	s_lshl_b64 s[2:3], s[10:11], 3
	s_wait_kmcnt 0x0
	s_wait_alu 0xfffe
	s_add_nc_u64 s[2:3], s[4:5], s[2:3]
	s_wait_alu 0xfffe
	v_add_co_u32 v27, vcc_lo, s2, v27
	s_wait_alu 0xfffd
	v_add_co_ci_u32_e64 v28, null, s3, v28, vcc_lo
	global_store_b64 v[27:28], v[5:6], off
.LBB599_109:
	s_wait_alu 0xfffe
	s_or_b32 exec_lo, exec_lo, s0
	v_and_b32_e32 v22, 1, v24
	v_cmp_lt_u64_e32 vcc_lo, v[19:20], v[17:18]
	s_delay_alu instid0(VALU_DEP_2)
	v_cmp_eq_u32_e64 s0, 1, v22
	s_or_b32 s1, s17, vcc_lo
	s_wait_alu 0xfffe
	s_and_b32 s1, s1, s0
	s_wait_alu 0xfffe
	s_and_saveexec_b32 s0, s1
	s_cbranch_execz .LBB599_111
; %bb.110:
	v_lshlrev_b64_e32 v[27:28], 3, v[19:20]
	s_lshl_b64 s[2:3], s[10:11], 3
	s_wait_kmcnt 0x0
	s_wait_alu 0xfffe
	s_add_nc_u64 s[2:3], s[4:5], s[2:3]
	s_wait_alu 0xfffe
	v_add_co_u32 v27, vcc_lo, s2, v27
	s_wait_alu 0xfffd
	v_add_co_ci_u32_e64 v28, null, s3, v28, vcc_lo
	global_store_b64 v[27:28], v[7:8], off
.LBB599_111:
	s_wait_alu 0xfffe
	s_or_b32 exec_lo, exec_lo, s0
	v_and_b32_e32 v20, 1, v23
	v_cmp_lt_u64_e32 vcc_lo, v[13:14], v[17:18]
	s_delay_alu instid0(VALU_DEP_2)
	v_cmp_eq_u32_e64 s0, 1, v20
	;; [unrolled: 24-line block ×3, first 2 shown]
	s_or_b32 s1, s17, vcc_lo
	s_wait_alu 0xfffe
	s_and_b32 s1, s1, s0
	s_wait_alu 0xfffe
	s_and_saveexec_b32 s0, s1
	s_cbranch_execz .LBB599_115
; %bb.114:
	v_lshlrev_b64_e32 v[16:17], 3, v[15:16]
	s_lshl_b64 s[2:3], s[10:11], 3
	s_wait_kmcnt 0x0
	s_wait_alu 0xfffe
	s_add_nc_u64 s[2:3], s[4:5], s[2:3]
	s_wait_alu 0xfffe
	v_add_co_u32 v16, vcc_lo, s2, v16
	s_wait_alu 0xfffd
	v_add_co_ci_u32_e64 v17, null, s3, v17, vcc_lo
	global_store_b64 v[16:17], v[3:4], off
.LBB599_115:
	s_wait_alu 0xfffe
	s_or_b32 exec_lo, exec_lo, s0
	s_branch .LBB599_105
.LBB599_116:
	s_mov_b32 s0, exec_lo
	v_cmpx_eq_u32_e32 1, v26
; %bb.117:
	v_sub_nc_u32_e32 v14, v21, v11
	s_delay_alu instid0(VALU_DEP_1)
	v_lshlrev_b32_e32 v14, 3, v14
	ds_store_b64 v14, v[5:6]
; %bb.118:
	s_wait_alu 0xfffe
	s_or_b32 exec_lo, exec_lo, s0
	v_and_b32_e32 v5, 1, v24
	s_mov_b32 s0, exec_lo
	s_delay_alu instid0(VALU_DEP_1)
	v_cmpx_eq_u32_e32 1, v5
; %bb.119:
	v_sub_nc_u32_e32 v5, v19, v11
	s_delay_alu instid0(VALU_DEP_1)
	v_lshlrev_b32_e32 v5, 3, v5
	ds_store_b64 v5, v[7:8]
; %bb.120:
	s_wait_alu 0xfffe
	s_or_b32 exec_lo, exec_lo, s0
	v_and_b32_e32 v5, 1, v23
	s_mov_b32 s0, exec_lo
	s_delay_alu instid0(VALU_DEP_1)
	;; [unrolled: 12-line block ×3, first 2 shown]
	v_cmpx_eq_u32_e32 1, v1
; %bb.123:
	v_sub_nc_u32_e32 v1, v15, v11
	s_delay_alu instid0(VALU_DEP_1)
	v_lshlrev_b32_e32 v1, 3, v1
	ds_store_b64 v1, v[3:4]
; %bb.124:
	s_wait_alu 0xfffe
	s_or_b32 exec_lo, exec_lo, s0
	v_mov_b32_e32 v3, 0
	s_mov_b32 s1, exec_lo
	s_wait_storecnt 0x0
	s_wait_loadcnt_dscnt 0x0
	s_barrier_signal -1
	s_barrier_wait -1
	v_mov_b32_e32 v1, v3
	global_inv scope:SCOPE_SE
	v_cmpx_gt_u64_e64 v[9:10], v[0:1]
	s_cbranch_execz .LBB599_127
; %bb.125:
	v_lshlrev_b64_e32 v[4:5], 3, v[11:12]
	s_lshl_b64 s[2:3], s[10:11], 3
	v_or_b32_e32 v2, 0x100, v0
	s_wait_kmcnt 0x0
	s_delay_alu instid0(VALU_DEP_2) | instskip(SKIP_3) | instid1(VALU_DEP_2)
	v_add_co_u32 v4, vcc_lo, s4, v4
	s_wait_alu 0xfffd
	v_add_co_ci_u32_e64 v5, null, s5, v5, vcc_lo
	s_wait_alu 0xfffe
	v_add_co_u32 v6, vcc_lo, v4, s2
	s_wait_alu 0xfffd
	s_delay_alu instid0(VALU_DEP_2)
	v_add_co_ci_u32_e64 v7, null, s3, v5, vcc_lo
	v_dual_mov_b32 v5, v1 :: v_dual_mov_b32 v4, v0
	s_mov_b32 s2, 0
.LBB599_126:                            ; =>This Inner Loop Header: Depth=1
	s_delay_alu instid0(VALU_DEP_1) | instskip(NEXT) | instid1(VALU_DEP_2)
	v_lshlrev_b32_e32 v1, 3, v4
	v_lshlrev_b64_e32 v[15:16], 3, v[4:5]
	v_dual_mov_b32 v5, v3 :: v_dual_mov_b32 v4, v2
	v_cmp_le_u64_e32 vcc_lo, v[9:10], v[2:3]
	ds_load_b64 v[13:14], v1
	v_add_nc_u32_e32 v2, 0x100, v2
	v_add_co_u32 v15, s0, v6, v15
	s_wait_alu 0xf1ff
	v_add_co_ci_u32_e64 v16, null, v7, v16, s0
	s_wait_alu 0xfffe
	s_or_b32 s2, vcc_lo, s2
	s_wait_dscnt 0x0
	global_store_b64 v[15:16], v[13:14], off
	s_wait_alu 0xfffe
	s_and_not1_b32 exec_lo, exec_lo, s2
	s_cbranch_execnz .LBB599_126
.LBB599_127:
	s_wait_alu 0xfffe
	s_or_b32 exec_lo, exec_lo, s1
	v_cmp_eq_u32_e32 vcc_lo, 0, v0
	s_and_b32 s0, vcc_lo, s16
	s_wait_alu 0xfffe
	s_and_saveexec_b32 s1, s0
	s_cbranch_execz .LBB599_106
.LBB599_128:
	v_add_co_u32 v0, vcc_lo, v11, v9
	s_wait_alu 0xfffd
	v_add_co_ci_u32_e64 v1, null, v12, v10, vcc_lo
	v_mov_b32_e32 v2, 0
	s_delay_alu instid0(VALU_DEP_3) | instskip(SKIP_1) | instid1(VALU_DEP_3)
	v_add_co_u32 v0, vcc_lo, v0, s10
	s_wait_alu 0xfffd
	v_add_co_ci_u32_e64 v1, null, s11, v1, vcc_lo
	global_store_b64 v2, v[0:1], s[12:13]
	s_endpgm
.LBB599_129:
	v_lshlrev_b32_e32 v14, 3, v0
	global_load_b64 v[14:15], v14, s[14:15] offset:2048
	s_wait_loadcnt 0x0
	v_cmp_neq_f32_e32 vcc_lo, 0, v14
	v_cmp_neq_f32_e64 s2, 0, v15
	s_or_b32 s2, vcc_lo, s2
	s_wait_alu 0xfffe
	v_cndmask_b32_e64 v14, 0, 1, s2
	s_delay_alu instid0(VALU_DEP_1) | instskip(NEXT) | instid1(VALU_DEP_1)
	v_lshlrev_b16 v14, 8, v14
	v_or_b32_e32 v12, v12, v14
	s_delay_alu instid0(VALU_DEP_1) | instskip(SKIP_1) | instid1(SALU_CYCLE_1)
	v_and_b32_e32 v12, 0xffff, v12
	s_or_b32 exec_lo, exec_lo, s3
	s_mov_b32 s3, exec_lo
	v_cmpx_gt_u32_e64 s18, v9
	s_cbranch_execz .LBB599_12
.LBB599_130:
	v_lshlrev_b32_e32 v14, 3, v0
	global_load_b64 v[14:15], v14, s[14:15] offset:4096
	s_wait_loadcnt 0x0
	v_cmp_neq_f32_e32 vcc_lo, 0, v14
	v_cmp_neq_f32_e64 s2, 0, v15
	s_or_b32 s2, vcc_lo, s2
	s_wait_alu 0xfffe
	v_cndmask_b32_e64 v14, 0, 1, s2
	s_delay_alu instid0(VALU_DEP_1) | instskip(SKIP_1) | instid1(SALU_CYCLE_1)
	v_lshl_or_b32 v12, v14, 16, v12
	s_or_b32 exec_lo, exec_lo, s3
	s_mov_b32 s3, exec_lo
	v_cmpx_gt_u32_e64 s18, v10
	s_cbranch_execnz .LBB599_13
	s_branch .LBB599_14
	.section	.rodata,"a",@progbits
	.p2align	6, 0x0
	.amdhsa_kernel _ZN7rocprim17ROCPRIM_400000_NS6detail17trampoline_kernelINS0_14default_configENS1_25partition_config_selectorILNS1_17partition_subalgoE5ElNS0_10empty_typeEbEEZZNS1_14partition_implILS5_5ELb0ES3_mN6hipcub16HIPCUB_304000_NS21CountingInputIteratorIllEEPS6_NSA_22TransformInputIteratorIbN2at6native12_GLOBAL__N_19NonZeroOpIN3c107complexIfEEEEPKSL_lEENS0_5tupleIJPlS6_EEENSQ_IJSD_SD_EEES6_PiJS6_EEE10hipError_tPvRmT3_T4_T5_T6_T7_T9_mT8_P12ihipStream_tbDpT10_ENKUlT_T0_E_clISt17integral_constantIbLb0EES1E_EEDaS19_S1A_EUlS19_E_NS1_11comp_targetILNS1_3genE10ELNS1_11target_archE1200ELNS1_3gpuE4ELNS1_3repE0EEENS1_30default_config_static_selectorELNS0_4arch9wavefront6targetE0EEEvT1_
		.amdhsa_group_segment_fixed_size 8464
		.amdhsa_private_segment_fixed_size 0
		.amdhsa_kernarg_size 120
		.amdhsa_user_sgpr_count 2
		.amdhsa_user_sgpr_dispatch_ptr 0
		.amdhsa_user_sgpr_queue_ptr 0
		.amdhsa_user_sgpr_kernarg_segment_ptr 1
		.amdhsa_user_sgpr_dispatch_id 0
		.amdhsa_user_sgpr_private_segment_size 0
		.amdhsa_wavefront_size32 1
		.amdhsa_uses_dynamic_stack 0
		.amdhsa_enable_private_segment 0
		.amdhsa_system_sgpr_workgroup_id_x 1
		.amdhsa_system_sgpr_workgroup_id_y 0
		.amdhsa_system_sgpr_workgroup_id_z 0
		.amdhsa_system_sgpr_workgroup_info 0
		.amdhsa_system_vgpr_workitem_id 0
		.amdhsa_next_free_vgpr 46
		.amdhsa_next_free_sgpr 20
		.amdhsa_reserve_vcc 1
		.amdhsa_float_round_mode_32 0
		.amdhsa_float_round_mode_16_64 0
		.amdhsa_float_denorm_mode_32 3
		.amdhsa_float_denorm_mode_16_64 3
		.amdhsa_fp16_overflow 0
		.amdhsa_workgroup_processor_mode 1
		.amdhsa_memory_ordered 1
		.amdhsa_forward_progress 1
		.amdhsa_inst_pref_size 55
		.amdhsa_round_robin_scheduling 0
		.amdhsa_exception_fp_ieee_invalid_op 0
		.amdhsa_exception_fp_denorm_src 0
		.amdhsa_exception_fp_ieee_div_zero 0
		.amdhsa_exception_fp_ieee_overflow 0
		.amdhsa_exception_fp_ieee_underflow 0
		.amdhsa_exception_fp_ieee_inexact 0
		.amdhsa_exception_int_div_zero 0
	.end_amdhsa_kernel
	.section	.text._ZN7rocprim17ROCPRIM_400000_NS6detail17trampoline_kernelINS0_14default_configENS1_25partition_config_selectorILNS1_17partition_subalgoE5ElNS0_10empty_typeEbEEZZNS1_14partition_implILS5_5ELb0ES3_mN6hipcub16HIPCUB_304000_NS21CountingInputIteratorIllEEPS6_NSA_22TransformInputIteratorIbN2at6native12_GLOBAL__N_19NonZeroOpIN3c107complexIfEEEEPKSL_lEENS0_5tupleIJPlS6_EEENSQ_IJSD_SD_EEES6_PiJS6_EEE10hipError_tPvRmT3_T4_T5_T6_T7_T9_mT8_P12ihipStream_tbDpT10_ENKUlT_T0_E_clISt17integral_constantIbLb0EES1E_EEDaS19_S1A_EUlS19_E_NS1_11comp_targetILNS1_3genE10ELNS1_11target_archE1200ELNS1_3gpuE4ELNS1_3repE0EEENS1_30default_config_static_selectorELNS0_4arch9wavefront6targetE0EEEvT1_,"axG",@progbits,_ZN7rocprim17ROCPRIM_400000_NS6detail17trampoline_kernelINS0_14default_configENS1_25partition_config_selectorILNS1_17partition_subalgoE5ElNS0_10empty_typeEbEEZZNS1_14partition_implILS5_5ELb0ES3_mN6hipcub16HIPCUB_304000_NS21CountingInputIteratorIllEEPS6_NSA_22TransformInputIteratorIbN2at6native12_GLOBAL__N_19NonZeroOpIN3c107complexIfEEEEPKSL_lEENS0_5tupleIJPlS6_EEENSQ_IJSD_SD_EEES6_PiJS6_EEE10hipError_tPvRmT3_T4_T5_T6_T7_T9_mT8_P12ihipStream_tbDpT10_ENKUlT_T0_E_clISt17integral_constantIbLb0EES1E_EEDaS19_S1A_EUlS19_E_NS1_11comp_targetILNS1_3genE10ELNS1_11target_archE1200ELNS1_3gpuE4ELNS1_3repE0EEENS1_30default_config_static_selectorELNS0_4arch9wavefront6targetE0EEEvT1_,comdat
.Lfunc_end599:
	.size	_ZN7rocprim17ROCPRIM_400000_NS6detail17trampoline_kernelINS0_14default_configENS1_25partition_config_selectorILNS1_17partition_subalgoE5ElNS0_10empty_typeEbEEZZNS1_14partition_implILS5_5ELb0ES3_mN6hipcub16HIPCUB_304000_NS21CountingInputIteratorIllEEPS6_NSA_22TransformInputIteratorIbN2at6native12_GLOBAL__N_19NonZeroOpIN3c107complexIfEEEEPKSL_lEENS0_5tupleIJPlS6_EEENSQ_IJSD_SD_EEES6_PiJS6_EEE10hipError_tPvRmT3_T4_T5_T6_T7_T9_mT8_P12ihipStream_tbDpT10_ENKUlT_T0_E_clISt17integral_constantIbLb0EES1E_EEDaS19_S1A_EUlS19_E_NS1_11comp_targetILNS1_3genE10ELNS1_11target_archE1200ELNS1_3gpuE4ELNS1_3repE0EEENS1_30default_config_static_selectorELNS0_4arch9wavefront6targetE0EEEvT1_, .Lfunc_end599-_ZN7rocprim17ROCPRIM_400000_NS6detail17trampoline_kernelINS0_14default_configENS1_25partition_config_selectorILNS1_17partition_subalgoE5ElNS0_10empty_typeEbEEZZNS1_14partition_implILS5_5ELb0ES3_mN6hipcub16HIPCUB_304000_NS21CountingInputIteratorIllEEPS6_NSA_22TransformInputIteratorIbN2at6native12_GLOBAL__N_19NonZeroOpIN3c107complexIfEEEEPKSL_lEENS0_5tupleIJPlS6_EEENSQ_IJSD_SD_EEES6_PiJS6_EEE10hipError_tPvRmT3_T4_T5_T6_T7_T9_mT8_P12ihipStream_tbDpT10_ENKUlT_T0_E_clISt17integral_constantIbLb0EES1E_EEDaS19_S1A_EUlS19_E_NS1_11comp_targetILNS1_3genE10ELNS1_11target_archE1200ELNS1_3gpuE4ELNS1_3repE0EEENS1_30default_config_static_selectorELNS0_4arch9wavefront6targetE0EEEvT1_
                                        ; -- End function
	.set _ZN7rocprim17ROCPRIM_400000_NS6detail17trampoline_kernelINS0_14default_configENS1_25partition_config_selectorILNS1_17partition_subalgoE5ElNS0_10empty_typeEbEEZZNS1_14partition_implILS5_5ELb0ES3_mN6hipcub16HIPCUB_304000_NS21CountingInputIteratorIllEEPS6_NSA_22TransformInputIteratorIbN2at6native12_GLOBAL__N_19NonZeroOpIN3c107complexIfEEEEPKSL_lEENS0_5tupleIJPlS6_EEENSQ_IJSD_SD_EEES6_PiJS6_EEE10hipError_tPvRmT3_T4_T5_T6_T7_T9_mT8_P12ihipStream_tbDpT10_ENKUlT_T0_E_clISt17integral_constantIbLb0EES1E_EEDaS19_S1A_EUlS19_E_NS1_11comp_targetILNS1_3genE10ELNS1_11target_archE1200ELNS1_3gpuE4ELNS1_3repE0EEENS1_30default_config_static_selectorELNS0_4arch9wavefront6targetE0EEEvT1_.num_vgpr, 46
	.set _ZN7rocprim17ROCPRIM_400000_NS6detail17trampoline_kernelINS0_14default_configENS1_25partition_config_selectorILNS1_17partition_subalgoE5ElNS0_10empty_typeEbEEZZNS1_14partition_implILS5_5ELb0ES3_mN6hipcub16HIPCUB_304000_NS21CountingInputIteratorIllEEPS6_NSA_22TransformInputIteratorIbN2at6native12_GLOBAL__N_19NonZeroOpIN3c107complexIfEEEEPKSL_lEENS0_5tupleIJPlS6_EEENSQ_IJSD_SD_EEES6_PiJS6_EEE10hipError_tPvRmT3_T4_T5_T6_T7_T9_mT8_P12ihipStream_tbDpT10_ENKUlT_T0_E_clISt17integral_constantIbLb0EES1E_EEDaS19_S1A_EUlS19_E_NS1_11comp_targetILNS1_3genE10ELNS1_11target_archE1200ELNS1_3gpuE4ELNS1_3repE0EEENS1_30default_config_static_selectorELNS0_4arch9wavefront6targetE0EEEvT1_.num_agpr, 0
	.set _ZN7rocprim17ROCPRIM_400000_NS6detail17trampoline_kernelINS0_14default_configENS1_25partition_config_selectorILNS1_17partition_subalgoE5ElNS0_10empty_typeEbEEZZNS1_14partition_implILS5_5ELb0ES3_mN6hipcub16HIPCUB_304000_NS21CountingInputIteratorIllEEPS6_NSA_22TransformInputIteratorIbN2at6native12_GLOBAL__N_19NonZeroOpIN3c107complexIfEEEEPKSL_lEENS0_5tupleIJPlS6_EEENSQ_IJSD_SD_EEES6_PiJS6_EEE10hipError_tPvRmT3_T4_T5_T6_T7_T9_mT8_P12ihipStream_tbDpT10_ENKUlT_T0_E_clISt17integral_constantIbLb0EES1E_EEDaS19_S1A_EUlS19_E_NS1_11comp_targetILNS1_3genE10ELNS1_11target_archE1200ELNS1_3gpuE4ELNS1_3repE0EEENS1_30default_config_static_selectorELNS0_4arch9wavefront6targetE0EEEvT1_.numbered_sgpr, 20
	.set _ZN7rocprim17ROCPRIM_400000_NS6detail17trampoline_kernelINS0_14default_configENS1_25partition_config_selectorILNS1_17partition_subalgoE5ElNS0_10empty_typeEbEEZZNS1_14partition_implILS5_5ELb0ES3_mN6hipcub16HIPCUB_304000_NS21CountingInputIteratorIllEEPS6_NSA_22TransformInputIteratorIbN2at6native12_GLOBAL__N_19NonZeroOpIN3c107complexIfEEEEPKSL_lEENS0_5tupleIJPlS6_EEENSQ_IJSD_SD_EEES6_PiJS6_EEE10hipError_tPvRmT3_T4_T5_T6_T7_T9_mT8_P12ihipStream_tbDpT10_ENKUlT_T0_E_clISt17integral_constantIbLb0EES1E_EEDaS19_S1A_EUlS19_E_NS1_11comp_targetILNS1_3genE10ELNS1_11target_archE1200ELNS1_3gpuE4ELNS1_3repE0EEENS1_30default_config_static_selectorELNS0_4arch9wavefront6targetE0EEEvT1_.num_named_barrier, 0
	.set _ZN7rocprim17ROCPRIM_400000_NS6detail17trampoline_kernelINS0_14default_configENS1_25partition_config_selectorILNS1_17partition_subalgoE5ElNS0_10empty_typeEbEEZZNS1_14partition_implILS5_5ELb0ES3_mN6hipcub16HIPCUB_304000_NS21CountingInputIteratorIllEEPS6_NSA_22TransformInputIteratorIbN2at6native12_GLOBAL__N_19NonZeroOpIN3c107complexIfEEEEPKSL_lEENS0_5tupleIJPlS6_EEENSQ_IJSD_SD_EEES6_PiJS6_EEE10hipError_tPvRmT3_T4_T5_T6_T7_T9_mT8_P12ihipStream_tbDpT10_ENKUlT_T0_E_clISt17integral_constantIbLb0EES1E_EEDaS19_S1A_EUlS19_E_NS1_11comp_targetILNS1_3genE10ELNS1_11target_archE1200ELNS1_3gpuE4ELNS1_3repE0EEENS1_30default_config_static_selectorELNS0_4arch9wavefront6targetE0EEEvT1_.private_seg_size, 0
	.set _ZN7rocprim17ROCPRIM_400000_NS6detail17trampoline_kernelINS0_14default_configENS1_25partition_config_selectorILNS1_17partition_subalgoE5ElNS0_10empty_typeEbEEZZNS1_14partition_implILS5_5ELb0ES3_mN6hipcub16HIPCUB_304000_NS21CountingInputIteratorIllEEPS6_NSA_22TransformInputIteratorIbN2at6native12_GLOBAL__N_19NonZeroOpIN3c107complexIfEEEEPKSL_lEENS0_5tupleIJPlS6_EEENSQ_IJSD_SD_EEES6_PiJS6_EEE10hipError_tPvRmT3_T4_T5_T6_T7_T9_mT8_P12ihipStream_tbDpT10_ENKUlT_T0_E_clISt17integral_constantIbLb0EES1E_EEDaS19_S1A_EUlS19_E_NS1_11comp_targetILNS1_3genE10ELNS1_11target_archE1200ELNS1_3gpuE4ELNS1_3repE0EEENS1_30default_config_static_selectorELNS0_4arch9wavefront6targetE0EEEvT1_.uses_vcc, 1
	.set _ZN7rocprim17ROCPRIM_400000_NS6detail17trampoline_kernelINS0_14default_configENS1_25partition_config_selectorILNS1_17partition_subalgoE5ElNS0_10empty_typeEbEEZZNS1_14partition_implILS5_5ELb0ES3_mN6hipcub16HIPCUB_304000_NS21CountingInputIteratorIllEEPS6_NSA_22TransformInputIteratorIbN2at6native12_GLOBAL__N_19NonZeroOpIN3c107complexIfEEEEPKSL_lEENS0_5tupleIJPlS6_EEENSQ_IJSD_SD_EEES6_PiJS6_EEE10hipError_tPvRmT3_T4_T5_T6_T7_T9_mT8_P12ihipStream_tbDpT10_ENKUlT_T0_E_clISt17integral_constantIbLb0EES1E_EEDaS19_S1A_EUlS19_E_NS1_11comp_targetILNS1_3genE10ELNS1_11target_archE1200ELNS1_3gpuE4ELNS1_3repE0EEENS1_30default_config_static_selectorELNS0_4arch9wavefront6targetE0EEEvT1_.uses_flat_scratch, 0
	.set _ZN7rocprim17ROCPRIM_400000_NS6detail17trampoline_kernelINS0_14default_configENS1_25partition_config_selectorILNS1_17partition_subalgoE5ElNS0_10empty_typeEbEEZZNS1_14partition_implILS5_5ELb0ES3_mN6hipcub16HIPCUB_304000_NS21CountingInputIteratorIllEEPS6_NSA_22TransformInputIteratorIbN2at6native12_GLOBAL__N_19NonZeroOpIN3c107complexIfEEEEPKSL_lEENS0_5tupleIJPlS6_EEENSQ_IJSD_SD_EEES6_PiJS6_EEE10hipError_tPvRmT3_T4_T5_T6_T7_T9_mT8_P12ihipStream_tbDpT10_ENKUlT_T0_E_clISt17integral_constantIbLb0EES1E_EEDaS19_S1A_EUlS19_E_NS1_11comp_targetILNS1_3genE10ELNS1_11target_archE1200ELNS1_3gpuE4ELNS1_3repE0EEENS1_30default_config_static_selectorELNS0_4arch9wavefront6targetE0EEEvT1_.has_dyn_sized_stack, 0
	.set _ZN7rocprim17ROCPRIM_400000_NS6detail17trampoline_kernelINS0_14default_configENS1_25partition_config_selectorILNS1_17partition_subalgoE5ElNS0_10empty_typeEbEEZZNS1_14partition_implILS5_5ELb0ES3_mN6hipcub16HIPCUB_304000_NS21CountingInputIteratorIllEEPS6_NSA_22TransformInputIteratorIbN2at6native12_GLOBAL__N_19NonZeroOpIN3c107complexIfEEEEPKSL_lEENS0_5tupleIJPlS6_EEENSQ_IJSD_SD_EEES6_PiJS6_EEE10hipError_tPvRmT3_T4_T5_T6_T7_T9_mT8_P12ihipStream_tbDpT10_ENKUlT_T0_E_clISt17integral_constantIbLb0EES1E_EEDaS19_S1A_EUlS19_E_NS1_11comp_targetILNS1_3genE10ELNS1_11target_archE1200ELNS1_3gpuE4ELNS1_3repE0EEENS1_30default_config_static_selectorELNS0_4arch9wavefront6targetE0EEEvT1_.has_recursion, 0
	.set _ZN7rocprim17ROCPRIM_400000_NS6detail17trampoline_kernelINS0_14default_configENS1_25partition_config_selectorILNS1_17partition_subalgoE5ElNS0_10empty_typeEbEEZZNS1_14partition_implILS5_5ELb0ES3_mN6hipcub16HIPCUB_304000_NS21CountingInputIteratorIllEEPS6_NSA_22TransformInputIteratorIbN2at6native12_GLOBAL__N_19NonZeroOpIN3c107complexIfEEEEPKSL_lEENS0_5tupleIJPlS6_EEENSQ_IJSD_SD_EEES6_PiJS6_EEE10hipError_tPvRmT3_T4_T5_T6_T7_T9_mT8_P12ihipStream_tbDpT10_ENKUlT_T0_E_clISt17integral_constantIbLb0EES1E_EEDaS19_S1A_EUlS19_E_NS1_11comp_targetILNS1_3genE10ELNS1_11target_archE1200ELNS1_3gpuE4ELNS1_3repE0EEENS1_30default_config_static_selectorELNS0_4arch9wavefront6targetE0EEEvT1_.has_indirect_call, 0
	.section	.AMDGPU.csdata,"",@progbits
; Kernel info:
; codeLenInByte = 6932
; TotalNumSgprs: 22
; NumVgprs: 46
; ScratchSize: 0
; MemoryBound: 0
; FloatMode: 240
; IeeeMode: 1
; LDSByteSize: 8464 bytes/workgroup (compile time only)
; SGPRBlocks: 0
; VGPRBlocks: 5
; NumSGPRsForWavesPerEU: 22
; NumVGPRsForWavesPerEU: 46
; Occupancy: 16
; WaveLimiterHint : 1
; COMPUTE_PGM_RSRC2:SCRATCH_EN: 0
; COMPUTE_PGM_RSRC2:USER_SGPR: 2
; COMPUTE_PGM_RSRC2:TRAP_HANDLER: 0
; COMPUTE_PGM_RSRC2:TGID_X_EN: 1
; COMPUTE_PGM_RSRC2:TGID_Y_EN: 0
; COMPUTE_PGM_RSRC2:TGID_Z_EN: 0
; COMPUTE_PGM_RSRC2:TIDIG_COMP_CNT: 0
	.section	.text._ZN7rocprim17ROCPRIM_400000_NS6detail17trampoline_kernelINS0_14default_configENS1_25partition_config_selectorILNS1_17partition_subalgoE5ElNS0_10empty_typeEbEEZZNS1_14partition_implILS5_5ELb0ES3_mN6hipcub16HIPCUB_304000_NS21CountingInputIteratorIllEEPS6_NSA_22TransformInputIteratorIbN2at6native12_GLOBAL__N_19NonZeroOpIN3c107complexIfEEEEPKSL_lEENS0_5tupleIJPlS6_EEENSQ_IJSD_SD_EEES6_PiJS6_EEE10hipError_tPvRmT3_T4_T5_T6_T7_T9_mT8_P12ihipStream_tbDpT10_ENKUlT_T0_E_clISt17integral_constantIbLb0EES1E_EEDaS19_S1A_EUlS19_E_NS1_11comp_targetILNS1_3genE9ELNS1_11target_archE1100ELNS1_3gpuE3ELNS1_3repE0EEENS1_30default_config_static_selectorELNS0_4arch9wavefront6targetE0EEEvT1_,"axG",@progbits,_ZN7rocprim17ROCPRIM_400000_NS6detail17trampoline_kernelINS0_14default_configENS1_25partition_config_selectorILNS1_17partition_subalgoE5ElNS0_10empty_typeEbEEZZNS1_14partition_implILS5_5ELb0ES3_mN6hipcub16HIPCUB_304000_NS21CountingInputIteratorIllEEPS6_NSA_22TransformInputIteratorIbN2at6native12_GLOBAL__N_19NonZeroOpIN3c107complexIfEEEEPKSL_lEENS0_5tupleIJPlS6_EEENSQ_IJSD_SD_EEES6_PiJS6_EEE10hipError_tPvRmT3_T4_T5_T6_T7_T9_mT8_P12ihipStream_tbDpT10_ENKUlT_T0_E_clISt17integral_constantIbLb0EES1E_EEDaS19_S1A_EUlS19_E_NS1_11comp_targetILNS1_3genE9ELNS1_11target_archE1100ELNS1_3gpuE3ELNS1_3repE0EEENS1_30default_config_static_selectorELNS0_4arch9wavefront6targetE0EEEvT1_,comdat
	.globl	_ZN7rocprim17ROCPRIM_400000_NS6detail17trampoline_kernelINS0_14default_configENS1_25partition_config_selectorILNS1_17partition_subalgoE5ElNS0_10empty_typeEbEEZZNS1_14partition_implILS5_5ELb0ES3_mN6hipcub16HIPCUB_304000_NS21CountingInputIteratorIllEEPS6_NSA_22TransformInputIteratorIbN2at6native12_GLOBAL__N_19NonZeroOpIN3c107complexIfEEEEPKSL_lEENS0_5tupleIJPlS6_EEENSQ_IJSD_SD_EEES6_PiJS6_EEE10hipError_tPvRmT3_T4_T5_T6_T7_T9_mT8_P12ihipStream_tbDpT10_ENKUlT_T0_E_clISt17integral_constantIbLb0EES1E_EEDaS19_S1A_EUlS19_E_NS1_11comp_targetILNS1_3genE9ELNS1_11target_archE1100ELNS1_3gpuE3ELNS1_3repE0EEENS1_30default_config_static_selectorELNS0_4arch9wavefront6targetE0EEEvT1_ ; -- Begin function _ZN7rocprim17ROCPRIM_400000_NS6detail17trampoline_kernelINS0_14default_configENS1_25partition_config_selectorILNS1_17partition_subalgoE5ElNS0_10empty_typeEbEEZZNS1_14partition_implILS5_5ELb0ES3_mN6hipcub16HIPCUB_304000_NS21CountingInputIteratorIllEEPS6_NSA_22TransformInputIteratorIbN2at6native12_GLOBAL__N_19NonZeroOpIN3c107complexIfEEEEPKSL_lEENS0_5tupleIJPlS6_EEENSQ_IJSD_SD_EEES6_PiJS6_EEE10hipError_tPvRmT3_T4_T5_T6_T7_T9_mT8_P12ihipStream_tbDpT10_ENKUlT_T0_E_clISt17integral_constantIbLb0EES1E_EEDaS19_S1A_EUlS19_E_NS1_11comp_targetILNS1_3genE9ELNS1_11target_archE1100ELNS1_3gpuE3ELNS1_3repE0EEENS1_30default_config_static_selectorELNS0_4arch9wavefront6targetE0EEEvT1_
	.p2align	8
	.type	_ZN7rocprim17ROCPRIM_400000_NS6detail17trampoline_kernelINS0_14default_configENS1_25partition_config_selectorILNS1_17partition_subalgoE5ElNS0_10empty_typeEbEEZZNS1_14partition_implILS5_5ELb0ES3_mN6hipcub16HIPCUB_304000_NS21CountingInputIteratorIllEEPS6_NSA_22TransformInputIteratorIbN2at6native12_GLOBAL__N_19NonZeroOpIN3c107complexIfEEEEPKSL_lEENS0_5tupleIJPlS6_EEENSQ_IJSD_SD_EEES6_PiJS6_EEE10hipError_tPvRmT3_T4_T5_T6_T7_T9_mT8_P12ihipStream_tbDpT10_ENKUlT_T0_E_clISt17integral_constantIbLb0EES1E_EEDaS19_S1A_EUlS19_E_NS1_11comp_targetILNS1_3genE9ELNS1_11target_archE1100ELNS1_3gpuE3ELNS1_3repE0EEENS1_30default_config_static_selectorELNS0_4arch9wavefront6targetE0EEEvT1_,@function
_ZN7rocprim17ROCPRIM_400000_NS6detail17trampoline_kernelINS0_14default_configENS1_25partition_config_selectorILNS1_17partition_subalgoE5ElNS0_10empty_typeEbEEZZNS1_14partition_implILS5_5ELb0ES3_mN6hipcub16HIPCUB_304000_NS21CountingInputIteratorIllEEPS6_NSA_22TransformInputIteratorIbN2at6native12_GLOBAL__N_19NonZeroOpIN3c107complexIfEEEEPKSL_lEENS0_5tupleIJPlS6_EEENSQ_IJSD_SD_EEES6_PiJS6_EEE10hipError_tPvRmT3_T4_T5_T6_T7_T9_mT8_P12ihipStream_tbDpT10_ENKUlT_T0_E_clISt17integral_constantIbLb0EES1E_EEDaS19_S1A_EUlS19_E_NS1_11comp_targetILNS1_3genE9ELNS1_11target_archE1100ELNS1_3gpuE3ELNS1_3repE0EEENS1_30default_config_static_selectorELNS0_4arch9wavefront6targetE0EEEvT1_: ; @_ZN7rocprim17ROCPRIM_400000_NS6detail17trampoline_kernelINS0_14default_configENS1_25partition_config_selectorILNS1_17partition_subalgoE5ElNS0_10empty_typeEbEEZZNS1_14partition_implILS5_5ELb0ES3_mN6hipcub16HIPCUB_304000_NS21CountingInputIteratorIllEEPS6_NSA_22TransformInputIteratorIbN2at6native12_GLOBAL__N_19NonZeroOpIN3c107complexIfEEEEPKSL_lEENS0_5tupleIJPlS6_EEENSQ_IJSD_SD_EEES6_PiJS6_EEE10hipError_tPvRmT3_T4_T5_T6_T7_T9_mT8_P12ihipStream_tbDpT10_ENKUlT_T0_E_clISt17integral_constantIbLb0EES1E_EEDaS19_S1A_EUlS19_E_NS1_11comp_targetILNS1_3genE9ELNS1_11target_archE1100ELNS1_3gpuE3ELNS1_3repE0EEENS1_30default_config_static_selectorELNS0_4arch9wavefront6targetE0EEEvT1_
; %bb.0:
	.section	.rodata,"a",@progbits
	.p2align	6, 0x0
	.amdhsa_kernel _ZN7rocprim17ROCPRIM_400000_NS6detail17trampoline_kernelINS0_14default_configENS1_25partition_config_selectorILNS1_17partition_subalgoE5ElNS0_10empty_typeEbEEZZNS1_14partition_implILS5_5ELb0ES3_mN6hipcub16HIPCUB_304000_NS21CountingInputIteratorIllEEPS6_NSA_22TransformInputIteratorIbN2at6native12_GLOBAL__N_19NonZeroOpIN3c107complexIfEEEEPKSL_lEENS0_5tupleIJPlS6_EEENSQ_IJSD_SD_EEES6_PiJS6_EEE10hipError_tPvRmT3_T4_T5_T6_T7_T9_mT8_P12ihipStream_tbDpT10_ENKUlT_T0_E_clISt17integral_constantIbLb0EES1E_EEDaS19_S1A_EUlS19_E_NS1_11comp_targetILNS1_3genE9ELNS1_11target_archE1100ELNS1_3gpuE3ELNS1_3repE0EEENS1_30default_config_static_selectorELNS0_4arch9wavefront6targetE0EEEvT1_
		.amdhsa_group_segment_fixed_size 0
		.amdhsa_private_segment_fixed_size 0
		.amdhsa_kernarg_size 120
		.amdhsa_user_sgpr_count 2
		.amdhsa_user_sgpr_dispatch_ptr 0
		.amdhsa_user_sgpr_queue_ptr 0
		.amdhsa_user_sgpr_kernarg_segment_ptr 1
		.amdhsa_user_sgpr_dispatch_id 0
		.amdhsa_user_sgpr_private_segment_size 0
		.amdhsa_wavefront_size32 1
		.amdhsa_uses_dynamic_stack 0
		.amdhsa_enable_private_segment 0
		.amdhsa_system_sgpr_workgroup_id_x 1
		.amdhsa_system_sgpr_workgroup_id_y 0
		.amdhsa_system_sgpr_workgroup_id_z 0
		.amdhsa_system_sgpr_workgroup_info 0
		.amdhsa_system_vgpr_workitem_id 0
		.amdhsa_next_free_vgpr 1
		.amdhsa_next_free_sgpr 1
		.amdhsa_reserve_vcc 0
		.amdhsa_float_round_mode_32 0
		.amdhsa_float_round_mode_16_64 0
		.amdhsa_float_denorm_mode_32 3
		.amdhsa_float_denorm_mode_16_64 3
		.amdhsa_fp16_overflow 0
		.amdhsa_workgroup_processor_mode 1
		.amdhsa_memory_ordered 1
		.amdhsa_forward_progress 1
		.amdhsa_inst_pref_size 0
		.amdhsa_round_robin_scheduling 0
		.amdhsa_exception_fp_ieee_invalid_op 0
		.amdhsa_exception_fp_denorm_src 0
		.amdhsa_exception_fp_ieee_div_zero 0
		.amdhsa_exception_fp_ieee_overflow 0
		.amdhsa_exception_fp_ieee_underflow 0
		.amdhsa_exception_fp_ieee_inexact 0
		.amdhsa_exception_int_div_zero 0
	.end_amdhsa_kernel
	.section	.text._ZN7rocprim17ROCPRIM_400000_NS6detail17trampoline_kernelINS0_14default_configENS1_25partition_config_selectorILNS1_17partition_subalgoE5ElNS0_10empty_typeEbEEZZNS1_14partition_implILS5_5ELb0ES3_mN6hipcub16HIPCUB_304000_NS21CountingInputIteratorIllEEPS6_NSA_22TransformInputIteratorIbN2at6native12_GLOBAL__N_19NonZeroOpIN3c107complexIfEEEEPKSL_lEENS0_5tupleIJPlS6_EEENSQ_IJSD_SD_EEES6_PiJS6_EEE10hipError_tPvRmT3_T4_T5_T6_T7_T9_mT8_P12ihipStream_tbDpT10_ENKUlT_T0_E_clISt17integral_constantIbLb0EES1E_EEDaS19_S1A_EUlS19_E_NS1_11comp_targetILNS1_3genE9ELNS1_11target_archE1100ELNS1_3gpuE3ELNS1_3repE0EEENS1_30default_config_static_selectorELNS0_4arch9wavefront6targetE0EEEvT1_,"axG",@progbits,_ZN7rocprim17ROCPRIM_400000_NS6detail17trampoline_kernelINS0_14default_configENS1_25partition_config_selectorILNS1_17partition_subalgoE5ElNS0_10empty_typeEbEEZZNS1_14partition_implILS5_5ELb0ES3_mN6hipcub16HIPCUB_304000_NS21CountingInputIteratorIllEEPS6_NSA_22TransformInputIteratorIbN2at6native12_GLOBAL__N_19NonZeroOpIN3c107complexIfEEEEPKSL_lEENS0_5tupleIJPlS6_EEENSQ_IJSD_SD_EEES6_PiJS6_EEE10hipError_tPvRmT3_T4_T5_T6_T7_T9_mT8_P12ihipStream_tbDpT10_ENKUlT_T0_E_clISt17integral_constantIbLb0EES1E_EEDaS19_S1A_EUlS19_E_NS1_11comp_targetILNS1_3genE9ELNS1_11target_archE1100ELNS1_3gpuE3ELNS1_3repE0EEENS1_30default_config_static_selectorELNS0_4arch9wavefront6targetE0EEEvT1_,comdat
.Lfunc_end600:
	.size	_ZN7rocprim17ROCPRIM_400000_NS6detail17trampoline_kernelINS0_14default_configENS1_25partition_config_selectorILNS1_17partition_subalgoE5ElNS0_10empty_typeEbEEZZNS1_14partition_implILS5_5ELb0ES3_mN6hipcub16HIPCUB_304000_NS21CountingInputIteratorIllEEPS6_NSA_22TransformInputIteratorIbN2at6native12_GLOBAL__N_19NonZeroOpIN3c107complexIfEEEEPKSL_lEENS0_5tupleIJPlS6_EEENSQ_IJSD_SD_EEES6_PiJS6_EEE10hipError_tPvRmT3_T4_T5_T6_T7_T9_mT8_P12ihipStream_tbDpT10_ENKUlT_T0_E_clISt17integral_constantIbLb0EES1E_EEDaS19_S1A_EUlS19_E_NS1_11comp_targetILNS1_3genE9ELNS1_11target_archE1100ELNS1_3gpuE3ELNS1_3repE0EEENS1_30default_config_static_selectorELNS0_4arch9wavefront6targetE0EEEvT1_, .Lfunc_end600-_ZN7rocprim17ROCPRIM_400000_NS6detail17trampoline_kernelINS0_14default_configENS1_25partition_config_selectorILNS1_17partition_subalgoE5ElNS0_10empty_typeEbEEZZNS1_14partition_implILS5_5ELb0ES3_mN6hipcub16HIPCUB_304000_NS21CountingInputIteratorIllEEPS6_NSA_22TransformInputIteratorIbN2at6native12_GLOBAL__N_19NonZeroOpIN3c107complexIfEEEEPKSL_lEENS0_5tupleIJPlS6_EEENSQ_IJSD_SD_EEES6_PiJS6_EEE10hipError_tPvRmT3_T4_T5_T6_T7_T9_mT8_P12ihipStream_tbDpT10_ENKUlT_T0_E_clISt17integral_constantIbLb0EES1E_EEDaS19_S1A_EUlS19_E_NS1_11comp_targetILNS1_3genE9ELNS1_11target_archE1100ELNS1_3gpuE3ELNS1_3repE0EEENS1_30default_config_static_selectorELNS0_4arch9wavefront6targetE0EEEvT1_
                                        ; -- End function
	.set _ZN7rocprim17ROCPRIM_400000_NS6detail17trampoline_kernelINS0_14default_configENS1_25partition_config_selectorILNS1_17partition_subalgoE5ElNS0_10empty_typeEbEEZZNS1_14partition_implILS5_5ELb0ES3_mN6hipcub16HIPCUB_304000_NS21CountingInputIteratorIllEEPS6_NSA_22TransformInputIteratorIbN2at6native12_GLOBAL__N_19NonZeroOpIN3c107complexIfEEEEPKSL_lEENS0_5tupleIJPlS6_EEENSQ_IJSD_SD_EEES6_PiJS6_EEE10hipError_tPvRmT3_T4_T5_T6_T7_T9_mT8_P12ihipStream_tbDpT10_ENKUlT_T0_E_clISt17integral_constantIbLb0EES1E_EEDaS19_S1A_EUlS19_E_NS1_11comp_targetILNS1_3genE9ELNS1_11target_archE1100ELNS1_3gpuE3ELNS1_3repE0EEENS1_30default_config_static_selectorELNS0_4arch9wavefront6targetE0EEEvT1_.num_vgpr, 0
	.set _ZN7rocprim17ROCPRIM_400000_NS6detail17trampoline_kernelINS0_14default_configENS1_25partition_config_selectorILNS1_17partition_subalgoE5ElNS0_10empty_typeEbEEZZNS1_14partition_implILS5_5ELb0ES3_mN6hipcub16HIPCUB_304000_NS21CountingInputIteratorIllEEPS6_NSA_22TransformInputIteratorIbN2at6native12_GLOBAL__N_19NonZeroOpIN3c107complexIfEEEEPKSL_lEENS0_5tupleIJPlS6_EEENSQ_IJSD_SD_EEES6_PiJS6_EEE10hipError_tPvRmT3_T4_T5_T6_T7_T9_mT8_P12ihipStream_tbDpT10_ENKUlT_T0_E_clISt17integral_constantIbLb0EES1E_EEDaS19_S1A_EUlS19_E_NS1_11comp_targetILNS1_3genE9ELNS1_11target_archE1100ELNS1_3gpuE3ELNS1_3repE0EEENS1_30default_config_static_selectorELNS0_4arch9wavefront6targetE0EEEvT1_.num_agpr, 0
	.set _ZN7rocprim17ROCPRIM_400000_NS6detail17trampoline_kernelINS0_14default_configENS1_25partition_config_selectorILNS1_17partition_subalgoE5ElNS0_10empty_typeEbEEZZNS1_14partition_implILS5_5ELb0ES3_mN6hipcub16HIPCUB_304000_NS21CountingInputIteratorIllEEPS6_NSA_22TransformInputIteratorIbN2at6native12_GLOBAL__N_19NonZeroOpIN3c107complexIfEEEEPKSL_lEENS0_5tupleIJPlS6_EEENSQ_IJSD_SD_EEES6_PiJS6_EEE10hipError_tPvRmT3_T4_T5_T6_T7_T9_mT8_P12ihipStream_tbDpT10_ENKUlT_T0_E_clISt17integral_constantIbLb0EES1E_EEDaS19_S1A_EUlS19_E_NS1_11comp_targetILNS1_3genE9ELNS1_11target_archE1100ELNS1_3gpuE3ELNS1_3repE0EEENS1_30default_config_static_selectorELNS0_4arch9wavefront6targetE0EEEvT1_.numbered_sgpr, 0
	.set _ZN7rocprim17ROCPRIM_400000_NS6detail17trampoline_kernelINS0_14default_configENS1_25partition_config_selectorILNS1_17partition_subalgoE5ElNS0_10empty_typeEbEEZZNS1_14partition_implILS5_5ELb0ES3_mN6hipcub16HIPCUB_304000_NS21CountingInputIteratorIllEEPS6_NSA_22TransformInputIteratorIbN2at6native12_GLOBAL__N_19NonZeroOpIN3c107complexIfEEEEPKSL_lEENS0_5tupleIJPlS6_EEENSQ_IJSD_SD_EEES6_PiJS6_EEE10hipError_tPvRmT3_T4_T5_T6_T7_T9_mT8_P12ihipStream_tbDpT10_ENKUlT_T0_E_clISt17integral_constantIbLb0EES1E_EEDaS19_S1A_EUlS19_E_NS1_11comp_targetILNS1_3genE9ELNS1_11target_archE1100ELNS1_3gpuE3ELNS1_3repE0EEENS1_30default_config_static_selectorELNS0_4arch9wavefront6targetE0EEEvT1_.num_named_barrier, 0
	.set _ZN7rocprim17ROCPRIM_400000_NS6detail17trampoline_kernelINS0_14default_configENS1_25partition_config_selectorILNS1_17partition_subalgoE5ElNS0_10empty_typeEbEEZZNS1_14partition_implILS5_5ELb0ES3_mN6hipcub16HIPCUB_304000_NS21CountingInputIteratorIllEEPS6_NSA_22TransformInputIteratorIbN2at6native12_GLOBAL__N_19NonZeroOpIN3c107complexIfEEEEPKSL_lEENS0_5tupleIJPlS6_EEENSQ_IJSD_SD_EEES6_PiJS6_EEE10hipError_tPvRmT3_T4_T5_T6_T7_T9_mT8_P12ihipStream_tbDpT10_ENKUlT_T0_E_clISt17integral_constantIbLb0EES1E_EEDaS19_S1A_EUlS19_E_NS1_11comp_targetILNS1_3genE9ELNS1_11target_archE1100ELNS1_3gpuE3ELNS1_3repE0EEENS1_30default_config_static_selectorELNS0_4arch9wavefront6targetE0EEEvT1_.private_seg_size, 0
	.set _ZN7rocprim17ROCPRIM_400000_NS6detail17trampoline_kernelINS0_14default_configENS1_25partition_config_selectorILNS1_17partition_subalgoE5ElNS0_10empty_typeEbEEZZNS1_14partition_implILS5_5ELb0ES3_mN6hipcub16HIPCUB_304000_NS21CountingInputIteratorIllEEPS6_NSA_22TransformInputIteratorIbN2at6native12_GLOBAL__N_19NonZeroOpIN3c107complexIfEEEEPKSL_lEENS0_5tupleIJPlS6_EEENSQ_IJSD_SD_EEES6_PiJS6_EEE10hipError_tPvRmT3_T4_T5_T6_T7_T9_mT8_P12ihipStream_tbDpT10_ENKUlT_T0_E_clISt17integral_constantIbLb0EES1E_EEDaS19_S1A_EUlS19_E_NS1_11comp_targetILNS1_3genE9ELNS1_11target_archE1100ELNS1_3gpuE3ELNS1_3repE0EEENS1_30default_config_static_selectorELNS0_4arch9wavefront6targetE0EEEvT1_.uses_vcc, 0
	.set _ZN7rocprim17ROCPRIM_400000_NS6detail17trampoline_kernelINS0_14default_configENS1_25partition_config_selectorILNS1_17partition_subalgoE5ElNS0_10empty_typeEbEEZZNS1_14partition_implILS5_5ELb0ES3_mN6hipcub16HIPCUB_304000_NS21CountingInputIteratorIllEEPS6_NSA_22TransformInputIteratorIbN2at6native12_GLOBAL__N_19NonZeroOpIN3c107complexIfEEEEPKSL_lEENS0_5tupleIJPlS6_EEENSQ_IJSD_SD_EEES6_PiJS6_EEE10hipError_tPvRmT3_T4_T5_T6_T7_T9_mT8_P12ihipStream_tbDpT10_ENKUlT_T0_E_clISt17integral_constantIbLb0EES1E_EEDaS19_S1A_EUlS19_E_NS1_11comp_targetILNS1_3genE9ELNS1_11target_archE1100ELNS1_3gpuE3ELNS1_3repE0EEENS1_30default_config_static_selectorELNS0_4arch9wavefront6targetE0EEEvT1_.uses_flat_scratch, 0
	.set _ZN7rocprim17ROCPRIM_400000_NS6detail17trampoline_kernelINS0_14default_configENS1_25partition_config_selectorILNS1_17partition_subalgoE5ElNS0_10empty_typeEbEEZZNS1_14partition_implILS5_5ELb0ES3_mN6hipcub16HIPCUB_304000_NS21CountingInputIteratorIllEEPS6_NSA_22TransformInputIteratorIbN2at6native12_GLOBAL__N_19NonZeroOpIN3c107complexIfEEEEPKSL_lEENS0_5tupleIJPlS6_EEENSQ_IJSD_SD_EEES6_PiJS6_EEE10hipError_tPvRmT3_T4_T5_T6_T7_T9_mT8_P12ihipStream_tbDpT10_ENKUlT_T0_E_clISt17integral_constantIbLb0EES1E_EEDaS19_S1A_EUlS19_E_NS1_11comp_targetILNS1_3genE9ELNS1_11target_archE1100ELNS1_3gpuE3ELNS1_3repE0EEENS1_30default_config_static_selectorELNS0_4arch9wavefront6targetE0EEEvT1_.has_dyn_sized_stack, 0
	.set _ZN7rocprim17ROCPRIM_400000_NS6detail17trampoline_kernelINS0_14default_configENS1_25partition_config_selectorILNS1_17partition_subalgoE5ElNS0_10empty_typeEbEEZZNS1_14partition_implILS5_5ELb0ES3_mN6hipcub16HIPCUB_304000_NS21CountingInputIteratorIllEEPS6_NSA_22TransformInputIteratorIbN2at6native12_GLOBAL__N_19NonZeroOpIN3c107complexIfEEEEPKSL_lEENS0_5tupleIJPlS6_EEENSQ_IJSD_SD_EEES6_PiJS6_EEE10hipError_tPvRmT3_T4_T5_T6_T7_T9_mT8_P12ihipStream_tbDpT10_ENKUlT_T0_E_clISt17integral_constantIbLb0EES1E_EEDaS19_S1A_EUlS19_E_NS1_11comp_targetILNS1_3genE9ELNS1_11target_archE1100ELNS1_3gpuE3ELNS1_3repE0EEENS1_30default_config_static_selectorELNS0_4arch9wavefront6targetE0EEEvT1_.has_recursion, 0
	.set _ZN7rocprim17ROCPRIM_400000_NS6detail17trampoline_kernelINS0_14default_configENS1_25partition_config_selectorILNS1_17partition_subalgoE5ElNS0_10empty_typeEbEEZZNS1_14partition_implILS5_5ELb0ES3_mN6hipcub16HIPCUB_304000_NS21CountingInputIteratorIllEEPS6_NSA_22TransformInputIteratorIbN2at6native12_GLOBAL__N_19NonZeroOpIN3c107complexIfEEEEPKSL_lEENS0_5tupleIJPlS6_EEENSQ_IJSD_SD_EEES6_PiJS6_EEE10hipError_tPvRmT3_T4_T5_T6_T7_T9_mT8_P12ihipStream_tbDpT10_ENKUlT_T0_E_clISt17integral_constantIbLb0EES1E_EEDaS19_S1A_EUlS19_E_NS1_11comp_targetILNS1_3genE9ELNS1_11target_archE1100ELNS1_3gpuE3ELNS1_3repE0EEENS1_30default_config_static_selectorELNS0_4arch9wavefront6targetE0EEEvT1_.has_indirect_call, 0
	.section	.AMDGPU.csdata,"",@progbits
; Kernel info:
; codeLenInByte = 0
; TotalNumSgprs: 0
; NumVgprs: 0
; ScratchSize: 0
; MemoryBound: 0
; FloatMode: 240
; IeeeMode: 1
; LDSByteSize: 0 bytes/workgroup (compile time only)
; SGPRBlocks: 0
; VGPRBlocks: 0
; NumSGPRsForWavesPerEU: 1
; NumVGPRsForWavesPerEU: 1
; Occupancy: 16
; WaveLimiterHint : 0
; COMPUTE_PGM_RSRC2:SCRATCH_EN: 0
; COMPUTE_PGM_RSRC2:USER_SGPR: 2
; COMPUTE_PGM_RSRC2:TRAP_HANDLER: 0
; COMPUTE_PGM_RSRC2:TGID_X_EN: 1
; COMPUTE_PGM_RSRC2:TGID_Y_EN: 0
; COMPUTE_PGM_RSRC2:TGID_Z_EN: 0
; COMPUTE_PGM_RSRC2:TIDIG_COMP_CNT: 0
	.section	.text._ZN7rocprim17ROCPRIM_400000_NS6detail17trampoline_kernelINS0_14default_configENS1_25partition_config_selectorILNS1_17partition_subalgoE5ElNS0_10empty_typeEbEEZZNS1_14partition_implILS5_5ELb0ES3_mN6hipcub16HIPCUB_304000_NS21CountingInputIteratorIllEEPS6_NSA_22TransformInputIteratorIbN2at6native12_GLOBAL__N_19NonZeroOpIN3c107complexIfEEEEPKSL_lEENS0_5tupleIJPlS6_EEENSQ_IJSD_SD_EEES6_PiJS6_EEE10hipError_tPvRmT3_T4_T5_T6_T7_T9_mT8_P12ihipStream_tbDpT10_ENKUlT_T0_E_clISt17integral_constantIbLb0EES1E_EEDaS19_S1A_EUlS19_E_NS1_11comp_targetILNS1_3genE8ELNS1_11target_archE1030ELNS1_3gpuE2ELNS1_3repE0EEENS1_30default_config_static_selectorELNS0_4arch9wavefront6targetE0EEEvT1_,"axG",@progbits,_ZN7rocprim17ROCPRIM_400000_NS6detail17trampoline_kernelINS0_14default_configENS1_25partition_config_selectorILNS1_17partition_subalgoE5ElNS0_10empty_typeEbEEZZNS1_14partition_implILS5_5ELb0ES3_mN6hipcub16HIPCUB_304000_NS21CountingInputIteratorIllEEPS6_NSA_22TransformInputIteratorIbN2at6native12_GLOBAL__N_19NonZeroOpIN3c107complexIfEEEEPKSL_lEENS0_5tupleIJPlS6_EEENSQ_IJSD_SD_EEES6_PiJS6_EEE10hipError_tPvRmT3_T4_T5_T6_T7_T9_mT8_P12ihipStream_tbDpT10_ENKUlT_T0_E_clISt17integral_constantIbLb0EES1E_EEDaS19_S1A_EUlS19_E_NS1_11comp_targetILNS1_3genE8ELNS1_11target_archE1030ELNS1_3gpuE2ELNS1_3repE0EEENS1_30default_config_static_selectorELNS0_4arch9wavefront6targetE0EEEvT1_,comdat
	.globl	_ZN7rocprim17ROCPRIM_400000_NS6detail17trampoline_kernelINS0_14default_configENS1_25partition_config_selectorILNS1_17partition_subalgoE5ElNS0_10empty_typeEbEEZZNS1_14partition_implILS5_5ELb0ES3_mN6hipcub16HIPCUB_304000_NS21CountingInputIteratorIllEEPS6_NSA_22TransformInputIteratorIbN2at6native12_GLOBAL__N_19NonZeroOpIN3c107complexIfEEEEPKSL_lEENS0_5tupleIJPlS6_EEENSQ_IJSD_SD_EEES6_PiJS6_EEE10hipError_tPvRmT3_T4_T5_T6_T7_T9_mT8_P12ihipStream_tbDpT10_ENKUlT_T0_E_clISt17integral_constantIbLb0EES1E_EEDaS19_S1A_EUlS19_E_NS1_11comp_targetILNS1_3genE8ELNS1_11target_archE1030ELNS1_3gpuE2ELNS1_3repE0EEENS1_30default_config_static_selectorELNS0_4arch9wavefront6targetE0EEEvT1_ ; -- Begin function _ZN7rocprim17ROCPRIM_400000_NS6detail17trampoline_kernelINS0_14default_configENS1_25partition_config_selectorILNS1_17partition_subalgoE5ElNS0_10empty_typeEbEEZZNS1_14partition_implILS5_5ELb0ES3_mN6hipcub16HIPCUB_304000_NS21CountingInputIteratorIllEEPS6_NSA_22TransformInputIteratorIbN2at6native12_GLOBAL__N_19NonZeroOpIN3c107complexIfEEEEPKSL_lEENS0_5tupleIJPlS6_EEENSQ_IJSD_SD_EEES6_PiJS6_EEE10hipError_tPvRmT3_T4_T5_T6_T7_T9_mT8_P12ihipStream_tbDpT10_ENKUlT_T0_E_clISt17integral_constantIbLb0EES1E_EEDaS19_S1A_EUlS19_E_NS1_11comp_targetILNS1_3genE8ELNS1_11target_archE1030ELNS1_3gpuE2ELNS1_3repE0EEENS1_30default_config_static_selectorELNS0_4arch9wavefront6targetE0EEEvT1_
	.p2align	8
	.type	_ZN7rocprim17ROCPRIM_400000_NS6detail17trampoline_kernelINS0_14default_configENS1_25partition_config_selectorILNS1_17partition_subalgoE5ElNS0_10empty_typeEbEEZZNS1_14partition_implILS5_5ELb0ES3_mN6hipcub16HIPCUB_304000_NS21CountingInputIteratorIllEEPS6_NSA_22TransformInputIteratorIbN2at6native12_GLOBAL__N_19NonZeroOpIN3c107complexIfEEEEPKSL_lEENS0_5tupleIJPlS6_EEENSQ_IJSD_SD_EEES6_PiJS6_EEE10hipError_tPvRmT3_T4_T5_T6_T7_T9_mT8_P12ihipStream_tbDpT10_ENKUlT_T0_E_clISt17integral_constantIbLb0EES1E_EEDaS19_S1A_EUlS19_E_NS1_11comp_targetILNS1_3genE8ELNS1_11target_archE1030ELNS1_3gpuE2ELNS1_3repE0EEENS1_30default_config_static_selectorELNS0_4arch9wavefront6targetE0EEEvT1_,@function
_ZN7rocprim17ROCPRIM_400000_NS6detail17trampoline_kernelINS0_14default_configENS1_25partition_config_selectorILNS1_17partition_subalgoE5ElNS0_10empty_typeEbEEZZNS1_14partition_implILS5_5ELb0ES3_mN6hipcub16HIPCUB_304000_NS21CountingInputIteratorIllEEPS6_NSA_22TransformInputIteratorIbN2at6native12_GLOBAL__N_19NonZeroOpIN3c107complexIfEEEEPKSL_lEENS0_5tupleIJPlS6_EEENSQ_IJSD_SD_EEES6_PiJS6_EEE10hipError_tPvRmT3_T4_T5_T6_T7_T9_mT8_P12ihipStream_tbDpT10_ENKUlT_T0_E_clISt17integral_constantIbLb0EES1E_EEDaS19_S1A_EUlS19_E_NS1_11comp_targetILNS1_3genE8ELNS1_11target_archE1030ELNS1_3gpuE2ELNS1_3repE0EEENS1_30default_config_static_selectorELNS0_4arch9wavefront6targetE0EEEvT1_: ; @_ZN7rocprim17ROCPRIM_400000_NS6detail17trampoline_kernelINS0_14default_configENS1_25partition_config_selectorILNS1_17partition_subalgoE5ElNS0_10empty_typeEbEEZZNS1_14partition_implILS5_5ELb0ES3_mN6hipcub16HIPCUB_304000_NS21CountingInputIteratorIllEEPS6_NSA_22TransformInputIteratorIbN2at6native12_GLOBAL__N_19NonZeroOpIN3c107complexIfEEEEPKSL_lEENS0_5tupleIJPlS6_EEENSQ_IJSD_SD_EEES6_PiJS6_EEE10hipError_tPvRmT3_T4_T5_T6_T7_T9_mT8_P12ihipStream_tbDpT10_ENKUlT_T0_E_clISt17integral_constantIbLb0EES1E_EEDaS19_S1A_EUlS19_E_NS1_11comp_targetILNS1_3genE8ELNS1_11target_archE1030ELNS1_3gpuE2ELNS1_3repE0EEENS1_30default_config_static_selectorELNS0_4arch9wavefront6targetE0EEEvT1_
; %bb.0:
	.section	.rodata,"a",@progbits
	.p2align	6, 0x0
	.amdhsa_kernel _ZN7rocprim17ROCPRIM_400000_NS6detail17trampoline_kernelINS0_14default_configENS1_25partition_config_selectorILNS1_17partition_subalgoE5ElNS0_10empty_typeEbEEZZNS1_14partition_implILS5_5ELb0ES3_mN6hipcub16HIPCUB_304000_NS21CountingInputIteratorIllEEPS6_NSA_22TransformInputIteratorIbN2at6native12_GLOBAL__N_19NonZeroOpIN3c107complexIfEEEEPKSL_lEENS0_5tupleIJPlS6_EEENSQ_IJSD_SD_EEES6_PiJS6_EEE10hipError_tPvRmT3_T4_T5_T6_T7_T9_mT8_P12ihipStream_tbDpT10_ENKUlT_T0_E_clISt17integral_constantIbLb0EES1E_EEDaS19_S1A_EUlS19_E_NS1_11comp_targetILNS1_3genE8ELNS1_11target_archE1030ELNS1_3gpuE2ELNS1_3repE0EEENS1_30default_config_static_selectorELNS0_4arch9wavefront6targetE0EEEvT1_
		.amdhsa_group_segment_fixed_size 0
		.amdhsa_private_segment_fixed_size 0
		.amdhsa_kernarg_size 120
		.amdhsa_user_sgpr_count 2
		.amdhsa_user_sgpr_dispatch_ptr 0
		.amdhsa_user_sgpr_queue_ptr 0
		.amdhsa_user_sgpr_kernarg_segment_ptr 1
		.amdhsa_user_sgpr_dispatch_id 0
		.amdhsa_user_sgpr_private_segment_size 0
		.amdhsa_wavefront_size32 1
		.amdhsa_uses_dynamic_stack 0
		.amdhsa_enable_private_segment 0
		.amdhsa_system_sgpr_workgroup_id_x 1
		.amdhsa_system_sgpr_workgroup_id_y 0
		.amdhsa_system_sgpr_workgroup_id_z 0
		.amdhsa_system_sgpr_workgroup_info 0
		.amdhsa_system_vgpr_workitem_id 0
		.amdhsa_next_free_vgpr 1
		.amdhsa_next_free_sgpr 1
		.amdhsa_reserve_vcc 0
		.amdhsa_float_round_mode_32 0
		.amdhsa_float_round_mode_16_64 0
		.amdhsa_float_denorm_mode_32 3
		.amdhsa_float_denorm_mode_16_64 3
		.amdhsa_fp16_overflow 0
		.amdhsa_workgroup_processor_mode 1
		.amdhsa_memory_ordered 1
		.amdhsa_forward_progress 1
		.amdhsa_inst_pref_size 0
		.amdhsa_round_robin_scheduling 0
		.amdhsa_exception_fp_ieee_invalid_op 0
		.amdhsa_exception_fp_denorm_src 0
		.amdhsa_exception_fp_ieee_div_zero 0
		.amdhsa_exception_fp_ieee_overflow 0
		.amdhsa_exception_fp_ieee_underflow 0
		.amdhsa_exception_fp_ieee_inexact 0
		.amdhsa_exception_int_div_zero 0
	.end_amdhsa_kernel
	.section	.text._ZN7rocprim17ROCPRIM_400000_NS6detail17trampoline_kernelINS0_14default_configENS1_25partition_config_selectorILNS1_17partition_subalgoE5ElNS0_10empty_typeEbEEZZNS1_14partition_implILS5_5ELb0ES3_mN6hipcub16HIPCUB_304000_NS21CountingInputIteratorIllEEPS6_NSA_22TransformInputIteratorIbN2at6native12_GLOBAL__N_19NonZeroOpIN3c107complexIfEEEEPKSL_lEENS0_5tupleIJPlS6_EEENSQ_IJSD_SD_EEES6_PiJS6_EEE10hipError_tPvRmT3_T4_T5_T6_T7_T9_mT8_P12ihipStream_tbDpT10_ENKUlT_T0_E_clISt17integral_constantIbLb0EES1E_EEDaS19_S1A_EUlS19_E_NS1_11comp_targetILNS1_3genE8ELNS1_11target_archE1030ELNS1_3gpuE2ELNS1_3repE0EEENS1_30default_config_static_selectorELNS0_4arch9wavefront6targetE0EEEvT1_,"axG",@progbits,_ZN7rocprim17ROCPRIM_400000_NS6detail17trampoline_kernelINS0_14default_configENS1_25partition_config_selectorILNS1_17partition_subalgoE5ElNS0_10empty_typeEbEEZZNS1_14partition_implILS5_5ELb0ES3_mN6hipcub16HIPCUB_304000_NS21CountingInputIteratorIllEEPS6_NSA_22TransformInputIteratorIbN2at6native12_GLOBAL__N_19NonZeroOpIN3c107complexIfEEEEPKSL_lEENS0_5tupleIJPlS6_EEENSQ_IJSD_SD_EEES6_PiJS6_EEE10hipError_tPvRmT3_T4_T5_T6_T7_T9_mT8_P12ihipStream_tbDpT10_ENKUlT_T0_E_clISt17integral_constantIbLb0EES1E_EEDaS19_S1A_EUlS19_E_NS1_11comp_targetILNS1_3genE8ELNS1_11target_archE1030ELNS1_3gpuE2ELNS1_3repE0EEENS1_30default_config_static_selectorELNS0_4arch9wavefront6targetE0EEEvT1_,comdat
.Lfunc_end601:
	.size	_ZN7rocprim17ROCPRIM_400000_NS6detail17trampoline_kernelINS0_14default_configENS1_25partition_config_selectorILNS1_17partition_subalgoE5ElNS0_10empty_typeEbEEZZNS1_14partition_implILS5_5ELb0ES3_mN6hipcub16HIPCUB_304000_NS21CountingInputIteratorIllEEPS6_NSA_22TransformInputIteratorIbN2at6native12_GLOBAL__N_19NonZeroOpIN3c107complexIfEEEEPKSL_lEENS0_5tupleIJPlS6_EEENSQ_IJSD_SD_EEES6_PiJS6_EEE10hipError_tPvRmT3_T4_T5_T6_T7_T9_mT8_P12ihipStream_tbDpT10_ENKUlT_T0_E_clISt17integral_constantIbLb0EES1E_EEDaS19_S1A_EUlS19_E_NS1_11comp_targetILNS1_3genE8ELNS1_11target_archE1030ELNS1_3gpuE2ELNS1_3repE0EEENS1_30default_config_static_selectorELNS0_4arch9wavefront6targetE0EEEvT1_, .Lfunc_end601-_ZN7rocprim17ROCPRIM_400000_NS6detail17trampoline_kernelINS0_14default_configENS1_25partition_config_selectorILNS1_17partition_subalgoE5ElNS0_10empty_typeEbEEZZNS1_14partition_implILS5_5ELb0ES3_mN6hipcub16HIPCUB_304000_NS21CountingInputIteratorIllEEPS6_NSA_22TransformInputIteratorIbN2at6native12_GLOBAL__N_19NonZeroOpIN3c107complexIfEEEEPKSL_lEENS0_5tupleIJPlS6_EEENSQ_IJSD_SD_EEES6_PiJS6_EEE10hipError_tPvRmT3_T4_T5_T6_T7_T9_mT8_P12ihipStream_tbDpT10_ENKUlT_T0_E_clISt17integral_constantIbLb0EES1E_EEDaS19_S1A_EUlS19_E_NS1_11comp_targetILNS1_3genE8ELNS1_11target_archE1030ELNS1_3gpuE2ELNS1_3repE0EEENS1_30default_config_static_selectorELNS0_4arch9wavefront6targetE0EEEvT1_
                                        ; -- End function
	.set _ZN7rocprim17ROCPRIM_400000_NS6detail17trampoline_kernelINS0_14default_configENS1_25partition_config_selectorILNS1_17partition_subalgoE5ElNS0_10empty_typeEbEEZZNS1_14partition_implILS5_5ELb0ES3_mN6hipcub16HIPCUB_304000_NS21CountingInputIteratorIllEEPS6_NSA_22TransformInputIteratorIbN2at6native12_GLOBAL__N_19NonZeroOpIN3c107complexIfEEEEPKSL_lEENS0_5tupleIJPlS6_EEENSQ_IJSD_SD_EEES6_PiJS6_EEE10hipError_tPvRmT3_T4_T5_T6_T7_T9_mT8_P12ihipStream_tbDpT10_ENKUlT_T0_E_clISt17integral_constantIbLb0EES1E_EEDaS19_S1A_EUlS19_E_NS1_11comp_targetILNS1_3genE8ELNS1_11target_archE1030ELNS1_3gpuE2ELNS1_3repE0EEENS1_30default_config_static_selectorELNS0_4arch9wavefront6targetE0EEEvT1_.num_vgpr, 0
	.set _ZN7rocprim17ROCPRIM_400000_NS6detail17trampoline_kernelINS0_14default_configENS1_25partition_config_selectorILNS1_17partition_subalgoE5ElNS0_10empty_typeEbEEZZNS1_14partition_implILS5_5ELb0ES3_mN6hipcub16HIPCUB_304000_NS21CountingInputIteratorIllEEPS6_NSA_22TransformInputIteratorIbN2at6native12_GLOBAL__N_19NonZeroOpIN3c107complexIfEEEEPKSL_lEENS0_5tupleIJPlS6_EEENSQ_IJSD_SD_EEES6_PiJS6_EEE10hipError_tPvRmT3_T4_T5_T6_T7_T9_mT8_P12ihipStream_tbDpT10_ENKUlT_T0_E_clISt17integral_constantIbLb0EES1E_EEDaS19_S1A_EUlS19_E_NS1_11comp_targetILNS1_3genE8ELNS1_11target_archE1030ELNS1_3gpuE2ELNS1_3repE0EEENS1_30default_config_static_selectorELNS0_4arch9wavefront6targetE0EEEvT1_.num_agpr, 0
	.set _ZN7rocprim17ROCPRIM_400000_NS6detail17trampoline_kernelINS0_14default_configENS1_25partition_config_selectorILNS1_17partition_subalgoE5ElNS0_10empty_typeEbEEZZNS1_14partition_implILS5_5ELb0ES3_mN6hipcub16HIPCUB_304000_NS21CountingInputIteratorIllEEPS6_NSA_22TransformInputIteratorIbN2at6native12_GLOBAL__N_19NonZeroOpIN3c107complexIfEEEEPKSL_lEENS0_5tupleIJPlS6_EEENSQ_IJSD_SD_EEES6_PiJS6_EEE10hipError_tPvRmT3_T4_T5_T6_T7_T9_mT8_P12ihipStream_tbDpT10_ENKUlT_T0_E_clISt17integral_constantIbLb0EES1E_EEDaS19_S1A_EUlS19_E_NS1_11comp_targetILNS1_3genE8ELNS1_11target_archE1030ELNS1_3gpuE2ELNS1_3repE0EEENS1_30default_config_static_selectorELNS0_4arch9wavefront6targetE0EEEvT1_.numbered_sgpr, 0
	.set _ZN7rocprim17ROCPRIM_400000_NS6detail17trampoline_kernelINS0_14default_configENS1_25partition_config_selectorILNS1_17partition_subalgoE5ElNS0_10empty_typeEbEEZZNS1_14partition_implILS5_5ELb0ES3_mN6hipcub16HIPCUB_304000_NS21CountingInputIteratorIllEEPS6_NSA_22TransformInputIteratorIbN2at6native12_GLOBAL__N_19NonZeroOpIN3c107complexIfEEEEPKSL_lEENS0_5tupleIJPlS6_EEENSQ_IJSD_SD_EEES6_PiJS6_EEE10hipError_tPvRmT3_T4_T5_T6_T7_T9_mT8_P12ihipStream_tbDpT10_ENKUlT_T0_E_clISt17integral_constantIbLb0EES1E_EEDaS19_S1A_EUlS19_E_NS1_11comp_targetILNS1_3genE8ELNS1_11target_archE1030ELNS1_3gpuE2ELNS1_3repE0EEENS1_30default_config_static_selectorELNS0_4arch9wavefront6targetE0EEEvT1_.num_named_barrier, 0
	.set _ZN7rocprim17ROCPRIM_400000_NS6detail17trampoline_kernelINS0_14default_configENS1_25partition_config_selectorILNS1_17partition_subalgoE5ElNS0_10empty_typeEbEEZZNS1_14partition_implILS5_5ELb0ES3_mN6hipcub16HIPCUB_304000_NS21CountingInputIteratorIllEEPS6_NSA_22TransformInputIteratorIbN2at6native12_GLOBAL__N_19NonZeroOpIN3c107complexIfEEEEPKSL_lEENS0_5tupleIJPlS6_EEENSQ_IJSD_SD_EEES6_PiJS6_EEE10hipError_tPvRmT3_T4_T5_T6_T7_T9_mT8_P12ihipStream_tbDpT10_ENKUlT_T0_E_clISt17integral_constantIbLb0EES1E_EEDaS19_S1A_EUlS19_E_NS1_11comp_targetILNS1_3genE8ELNS1_11target_archE1030ELNS1_3gpuE2ELNS1_3repE0EEENS1_30default_config_static_selectorELNS0_4arch9wavefront6targetE0EEEvT1_.private_seg_size, 0
	.set _ZN7rocprim17ROCPRIM_400000_NS6detail17trampoline_kernelINS0_14default_configENS1_25partition_config_selectorILNS1_17partition_subalgoE5ElNS0_10empty_typeEbEEZZNS1_14partition_implILS5_5ELb0ES3_mN6hipcub16HIPCUB_304000_NS21CountingInputIteratorIllEEPS6_NSA_22TransformInputIteratorIbN2at6native12_GLOBAL__N_19NonZeroOpIN3c107complexIfEEEEPKSL_lEENS0_5tupleIJPlS6_EEENSQ_IJSD_SD_EEES6_PiJS6_EEE10hipError_tPvRmT3_T4_T5_T6_T7_T9_mT8_P12ihipStream_tbDpT10_ENKUlT_T0_E_clISt17integral_constantIbLb0EES1E_EEDaS19_S1A_EUlS19_E_NS1_11comp_targetILNS1_3genE8ELNS1_11target_archE1030ELNS1_3gpuE2ELNS1_3repE0EEENS1_30default_config_static_selectorELNS0_4arch9wavefront6targetE0EEEvT1_.uses_vcc, 0
	.set _ZN7rocprim17ROCPRIM_400000_NS6detail17trampoline_kernelINS0_14default_configENS1_25partition_config_selectorILNS1_17partition_subalgoE5ElNS0_10empty_typeEbEEZZNS1_14partition_implILS5_5ELb0ES3_mN6hipcub16HIPCUB_304000_NS21CountingInputIteratorIllEEPS6_NSA_22TransformInputIteratorIbN2at6native12_GLOBAL__N_19NonZeroOpIN3c107complexIfEEEEPKSL_lEENS0_5tupleIJPlS6_EEENSQ_IJSD_SD_EEES6_PiJS6_EEE10hipError_tPvRmT3_T4_T5_T6_T7_T9_mT8_P12ihipStream_tbDpT10_ENKUlT_T0_E_clISt17integral_constantIbLb0EES1E_EEDaS19_S1A_EUlS19_E_NS1_11comp_targetILNS1_3genE8ELNS1_11target_archE1030ELNS1_3gpuE2ELNS1_3repE0EEENS1_30default_config_static_selectorELNS0_4arch9wavefront6targetE0EEEvT1_.uses_flat_scratch, 0
	.set _ZN7rocprim17ROCPRIM_400000_NS6detail17trampoline_kernelINS0_14default_configENS1_25partition_config_selectorILNS1_17partition_subalgoE5ElNS0_10empty_typeEbEEZZNS1_14partition_implILS5_5ELb0ES3_mN6hipcub16HIPCUB_304000_NS21CountingInputIteratorIllEEPS6_NSA_22TransformInputIteratorIbN2at6native12_GLOBAL__N_19NonZeroOpIN3c107complexIfEEEEPKSL_lEENS0_5tupleIJPlS6_EEENSQ_IJSD_SD_EEES6_PiJS6_EEE10hipError_tPvRmT3_T4_T5_T6_T7_T9_mT8_P12ihipStream_tbDpT10_ENKUlT_T0_E_clISt17integral_constantIbLb0EES1E_EEDaS19_S1A_EUlS19_E_NS1_11comp_targetILNS1_3genE8ELNS1_11target_archE1030ELNS1_3gpuE2ELNS1_3repE0EEENS1_30default_config_static_selectorELNS0_4arch9wavefront6targetE0EEEvT1_.has_dyn_sized_stack, 0
	.set _ZN7rocprim17ROCPRIM_400000_NS6detail17trampoline_kernelINS0_14default_configENS1_25partition_config_selectorILNS1_17partition_subalgoE5ElNS0_10empty_typeEbEEZZNS1_14partition_implILS5_5ELb0ES3_mN6hipcub16HIPCUB_304000_NS21CountingInputIteratorIllEEPS6_NSA_22TransformInputIteratorIbN2at6native12_GLOBAL__N_19NonZeroOpIN3c107complexIfEEEEPKSL_lEENS0_5tupleIJPlS6_EEENSQ_IJSD_SD_EEES6_PiJS6_EEE10hipError_tPvRmT3_T4_T5_T6_T7_T9_mT8_P12ihipStream_tbDpT10_ENKUlT_T0_E_clISt17integral_constantIbLb0EES1E_EEDaS19_S1A_EUlS19_E_NS1_11comp_targetILNS1_3genE8ELNS1_11target_archE1030ELNS1_3gpuE2ELNS1_3repE0EEENS1_30default_config_static_selectorELNS0_4arch9wavefront6targetE0EEEvT1_.has_recursion, 0
	.set _ZN7rocprim17ROCPRIM_400000_NS6detail17trampoline_kernelINS0_14default_configENS1_25partition_config_selectorILNS1_17partition_subalgoE5ElNS0_10empty_typeEbEEZZNS1_14partition_implILS5_5ELb0ES3_mN6hipcub16HIPCUB_304000_NS21CountingInputIteratorIllEEPS6_NSA_22TransformInputIteratorIbN2at6native12_GLOBAL__N_19NonZeroOpIN3c107complexIfEEEEPKSL_lEENS0_5tupleIJPlS6_EEENSQ_IJSD_SD_EEES6_PiJS6_EEE10hipError_tPvRmT3_T4_T5_T6_T7_T9_mT8_P12ihipStream_tbDpT10_ENKUlT_T0_E_clISt17integral_constantIbLb0EES1E_EEDaS19_S1A_EUlS19_E_NS1_11comp_targetILNS1_3genE8ELNS1_11target_archE1030ELNS1_3gpuE2ELNS1_3repE0EEENS1_30default_config_static_selectorELNS0_4arch9wavefront6targetE0EEEvT1_.has_indirect_call, 0
	.section	.AMDGPU.csdata,"",@progbits
; Kernel info:
; codeLenInByte = 0
; TotalNumSgprs: 0
; NumVgprs: 0
; ScratchSize: 0
; MemoryBound: 0
; FloatMode: 240
; IeeeMode: 1
; LDSByteSize: 0 bytes/workgroup (compile time only)
; SGPRBlocks: 0
; VGPRBlocks: 0
; NumSGPRsForWavesPerEU: 1
; NumVGPRsForWavesPerEU: 1
; Occupancy: 16
; WaveLimiterHint : 0
; COMPUTE_PGM_RSRC2:SCRATCH_EN: 0
; COMPUTE_PGM_RSRC2:USER_SGPR: 2
; COMPUTE_PGM_RSRC2:TRAP_HANDLER: 0
; COMPUTE_PGM_RSRC2:TGID_X_EN: 1
; COMPUTE_PGM_RSRC2:TGID_Y_EN: 0
; COMPUTE_PGM_RSRC2:TGID_Z_EN: 0
; COMPUTE_PGM_RSRC2:TIDIG_COMP_CNT: 0
	.section	.text._ZN7rocprim17ROCPRIM_400000_NS6detail17trampoline_kernelINS0_14default_configENS1_25partition_config_selectorILNS1_17partition_subalgoE5ElNS0_10empty_typeEbEEZZNS1_14partition_implILS5_5ELb0ES3_mN6hipcub16HIPCUB_304000_NS21CountingInputIteratorIllEEPS6_NSA_22TransformInputIteratorIbN2at6native12_GLOBAL__N_19NonZeroOpIN3c107complexIfEEEEPKSL_lEENS0_5tupleIJPlS6_EEENSQ_IJSD_SD_EEES6_PiJS6_EEE10hipError_tPvRmT3_T4_T5_T6_T7_T9_mT8_P12ihipStream_tbDpT10_ENKUlT_T0_E_clISt17integral_constantIbLb1EES1E_EEDaS19_S1A_EUlS19_E_NS1_11comp_targetILNS1_3genE0ELNS1_11target_archE4294967295ELNS1_3gpuE0ELNS1_3repE0EEENS1_30default_config_static_selectorELNS0_4arch9wavefront6targetE0EEEvT1_,"axG",@progbits,_ZN7rocprim17ROCPRIM_400000_NS6detail17trampoline_kernelINS0_14default_configENS1_25partition_config_selectorILNS1_17partition_subalgoE5ElNS0_10empty_typeEbEEZZNS1_14partition_implILS5_5ELb0ES3_mN6hipcub16HIPCUB_304000_NS21CountingInputIteratorIllEEPS6_NSA_22TransformInputIteratorIbN2at6native12_GLOBAL__N_19NonZeroOpIN3c107complexIfEEEEPKSL_lEENS0_5tupleIJPlS6_EEENSQ_IJSD_SD_EEES6_PiJS6_EEE10hipError_tPvRmT3_T4_T5_T6_T7_T9_mT8_P12ihipStream_tbDpT10_ENKUlT_T0_E_clISt17integral_constantIbLb1EES1E_EEDaS19_S1A_EUlS19_E_NS1_11comp_targetILNS1_3genE0ELNS1_11target_archE4294967295ELNS1_3gpuE0ELNS1_3repE0EEENS1_30default_config_static_selectorELNS0_4arch9wavefront6targetE0EEEvT1_,comdat
	.globl	_ZN7rocprim17ROCPRIM_400000_NS6detail17trampoline_kernelINS0_14default_configENS1_25partition_config_selectorILNS1_17partition_subalgoE5ElNS0_10empty_typeEbEEZZNS1_14partition_implILS5_5ELb0ES3_mN6hipcub16HIPCUB_304000_NS21CountingInputIteratorIllEEPS6_NSA_22TransformInputIteratorIbN2at6native12_GLOBAL__N_19NonZeroOpIN3c107complexIfEEEEPKSL_lEENS0_5tupleIJPlS6_EEENSQ_IJSD_SD_EEES6_PiJS6_EEE10hipError_tPvRmT3_T4_T5_T6_T7_T9_mT8_P12ihipStream_tbDpT10_ENKUlT_T0_E_clISt17integral_constantIbLb1EES1E_EEDaS19_S1A_EUlS19_E_NS1_11comp_targetILNS1_3genE0ELNS1_11target_archE4294967295ELNS1_3gpuE0ELNS1_3repE0EEENS1_30default_config_static_selectorELNS0_4arch9wavefront6targetE0EEEvT1_ ; -- Begin function _ZN7rocprim17ROCPRIM_400000_NS6detail17trampoline_kernelINS0_14default_configENS1_25partition_config_selectorILNS1_17partition_subalgoE5ElNS0_10empty_typeEbEEZZNS1_14partition_implILS5_5ELb0ES3_mN6hipcub16HIPCUB_304000_NS21CountingInputIteratorIllEEPS6_NSA_22TransformInputIteratorIbN2at6native12_GLOBAL__N_19NonZeroOpIN3c107complexIfEEEEPKSL_lEENS0_5tupleIJPlS6_EEENSQ_IJSD_SD_EEES6_PiJS6_EEE10hipError_tPvRmT3_T4_T5_T6_T7_T9_mT8_P12ihipStream_tbDpT10_ENKUlT_T0_E_clISt17integral_constantIbLb1EES1E_EEDaS19_S1A_EUlS19_E_NS1_11comp_targetILNS1_3genE0ELNS1_11target_archE4294967295ELNS1_3gpuE0ELNS1_3repE0EEENS1_30default_config_static_selectorELNS0_4arch9wavefront6targetE0EEEvT1_
	.p2align	8
	.type	_ZN7rocprim17ROCPRIM_400000_NS6detail17trampoline_kernelINS0_14default_configENS1_25partition_config_selectorILNS1_17partition_subalgoE5ElNS0_10empty_typeEbEEZZNS1_14partition_implILS5_5ELb0ES3_mN6hipcub16HIPCUB_304000_NS21CountingInputIteratorIllEEPS6_NSA_22TransformInputIteratorIbN2at6native12_GLOBAL__N_19NonZeroOpIN3c107complexIfEEEEPKSL_lEENS0_5tupleIJPlS6_EEENSQ_IJSD_SD_EEES6_PiJS6_EEE10hipError_tPvRmT3_T4_T5_T6_T7_T9_mT8_P12ihipStream_tbDpT10_ENKUlT_T0_E_clISt17integral_constantIbLb1EES1E_EEDaS19_S1A_EUlS19_E_NS1_11comp_targetILNS1_3genE0ELNS1_11target_archE4294967295ELNS1_3gpuE0ELNS1_3repE0EEENS1_30default_config_static_selectorELNS0_4arch9wavefront6targetE0EEEvT1_,@function
_ZN7rocprim17ROCPRIM_400000_NS6detail17trampoline_kernelINS0_14default_configENS1_25partition_config_selectorILNS1_17partition_subalgoE5ElNS0_10empty_typeEbEEZZNS1_14partition_implILS5_5ELb0ES3_mN6hipcub16HIPCUB_304000_NS21CountingInputIteratorIllEEPS6_NSA_22TransformInputIteratorIbN2at6native12_GLOBAL__N_19NonZeroOpIN3c107complexIfEEEEPKSL_lEENS0_5tupleIJPlS6_EEENSQ_IJSD_SD_EEES6_PiJS6_EEE10hipError_tPvRmT3_T4_T5_T6_T7_T9_mT8_P12ihipStream_tbDpT10_ENKUlT_T0_E_clISt17integral_constantIbLb1EES1E_EEDaS19_S1A_EUlS19_E_NS1_11comp_targetILNS1_3genE0ELNS1_11target_archE4294967295ELNS1_3gpuE0ELNS1_3repE0EEENS1_30default_config_static_selectorELNS0_4arch9wavefront6targetE0EEEvT1_: ; @_ZN7rocprim17ROCPRIM_400000_NS6detail17trampoline_kernelINS0_14default_configENS1_25partition_config_selectorILNS1_17partition_subalgoE5ElNS0_10empty_typeEbEEZZNS1_14partition_implILS5_5ELb0ES3_mN6hipcub16HIPCUB_304000_NS21CountingInputIteratorIllEEPS6_NSA_22TransformInputIteratorIbN2at6native12_GLOBAL__N_19NonZeroOpIN3c107complexIfEEEEPKSL_lEENS0_5tupleIJPlS6_EEENSQ_IJSD_SD_EEES6_PiJS6_EEE10hipError_tPvRmT3_T4_T5_T6_T7_T9_mT8_P12ihipStream_tbDpT10_ENKUlT_T0_E_clISt17integral_constantIbLb1EES1E_EEDaS19_S1A_EUlS19_E_NS1_11comp_targetILNS1_3genE0ELNS1_11target_archE4294967295ELNS1_3gpuE0ELNS1_3repE0EEENS1_30default_config_static_selectorELNS0_4arch9wavefront6targetE0EEEvT1_
; %bb.0:
	.section	.rodata,"a",@progbits
	.p2align	6, 0x0
	.amdhsa_kernel _ZN7rocprim17ROCPRIM_400000_NS6detail17trampoline_kernelINS0_14default_configENS1_25partition_config_selectorILNS1_17partition_subalgoE5ElNS0_10empty_typeEbEEZZNS1_14partition_implILS5_5ELb0ES3_mN6hipcub16HIPCUB_304000_NS21CountingInputIteratorIllEEPS6_NSA_22TransformInputIteratorIbN2at6native12_GLOBAL__N_19NonZeroOpIN3c107complexIfEEEEPKSL_lEENS0_5tupleIJPlS6_EEENSQ_IJSD_SD_EEES6_PiJS6_EEE10hipError_tPvRmT3_T4_T5_T6_T7_T9_mT8_P12ihipStream_tbDpT10_ENKUlT_T0_E_clISt17integral_constantIbLb1EES1E_EEDaS19_S1A_EUlS19_E_NS1_11comp_targetILNS1_3genE0ELNS1_11target_archE4294967295ELNS1_3gpuE0ELNS1_3repE0EEENS1_30default_config_static_selectorELNS0_4arch9wavefront6targetE0EEEvT1_
		.amdhsa_group_segment_fixed_size 0
		.amdhsa_private_segment_fixed_size 0
		.amdhsa_kernarg_size 136
		.amdhsa_user_sgpr_count 2
		.amdhsa_user_sgpr_dispatch_ptr 0
		.amdhsa_user_sgpr_queue_ptr 0
		.amdhsa_user_sgpr_kernarg_segment_ptr 1
		.amdhsa_user_sgpr_dispatch_id 0
		.amdhsa_user_sgpr_private_segment_size 0
		.amdhsa_wavefront_size32 1
		.amdhsa_uses_dynamic_stack 0
		.amdhsa_enable_private_segment 0
		.amdhsa_system_sgpr_workgroup_id_x 1
		.amdhsa_system_sgpr_workgroup_id_y 0
		.amdhsa_system_sgpr_workgroup_id_z 0
		.amdhsa_system_sgpr_workgroup_info 0
		.amdhsa_system_vgpr_workitem_id 0
		.amdhsa_next_free_vgpr 1
		.amdhsa_next_free_sgpr 1
		.amdhsa_reserve_vcc 0
		.amdhsa_float_round_mode_32 0
		.amdhsa_float_round_mode_16_64 0
		.amdhsa_float_denorm_mode_32 3
		.amdhsa_float_denorm_mode_16_64 3
		.amdhsa_fp16_overflow 0
		.amdhsa_workgroup_processor_mode 1
		.amdhsa_memory_ordered 1
		.amdhsa_forward_progress 1
		.amdhsa_inst_pref_size 0
		.amdhsa_round_robin_scheduling 0
		.amdhsa_exception_fp_ieee_invalid_op 0
		.amdhsa_exception_fp_denorm_src 0
		.amdhsa_exception_fp_ieee_div_zero 0
		.amdhsa_exception_fp_ieee_overflow 0
		.amdhsa_exception_fp_ieee_underflow 0
		.amdhsa_exception_fp_ieee_inexact 0
		.amdhsa_exception_int_div_zero 0
	.end_amdhsa_kernel
	.section	.text._ZN7rocprim17ROCPRIM_400000_NS6detail17trampoline_kernelINS0_14default_configENS1_25partition_config_selectorILNS1_17partition_subalgoE5ElNS0_10empty_typeEbEEZZNS1_14partition_implILS5_5ELb0ES3_mN6hipcub16HIPCUB_304000_NS21CountingInputIteratorIllEEPS6_NSA_22TransformInputIteratorIbN2at6native12_GLOBAL__N_19NonZeroOpIN3c107complexIfEEEEPKSL_lEENS0_5tupleIJPlS6_EEENSQ_IJSD_SD_EEES6_PiJS6_EEE10hipError_tPvRmT3_T4_T5_T6_T7_T9_mT8_P12ihipStream_tbDpT10_ENKUlT_T0_E_clISt17integral_constantIbLb1EES1E_EEDaS19_S1A_EUlS19_E_NS1_11comp_targetILNS1_3genE0ELNS1_11target_archE4294967295ELNS1_3gpuE0ELNS1_3repE0EEENS1_30default_config_static_selectorELNS0_4arch9wavefront6targetE0EEEvT1_,"axG",@progbits,_ZN7rocprim17ROCPRIM_400000_NS6detail17trampoline_kernelINS0_14default_configENS1_25partition_config_selectorILNS1_17partition_subalgoE5ElNS0_10empty_typeEbEEZZNS1_14partition_implILS5_5ELb0ES3_mN6hipcub16HIPCUB_304000_NS21CountingInputIteratorIllEEPS6_NSA_22TransformInputIteratorIbN2at6native12_GLOBAL__N_19NonZeroOpIN3c107complexIfEEEEPKSL_lEENS0_5tupleIJPlS6_EEENSQ_IJSD_SD_EEES6_PiJS6_EEE10hipError_tPvRmT3_T4_T5_T6_T7_T9_mT8_P12ihipStream_tbDpT10_ENKUlT_T0_E_clISt17integral_constantIbLb1EES1E_EEDaS19_S1A_EUlS19_E_NS1_11comp_targetILNS1_3genE0ELNS1_11target_archE4294967295ELNS1_3gpuE0ELNS1_3repE0EEENS1_30default_config_static_selectorELNS0_4arch9wavefront6targetE0EEEvT1_,comdat
.Lfunc_end602:
	.size	_ZN7rocprim17ROCPRIM_400000_NS6detail17trampoline_kernelINS0_14default_configENS1_25partition_config_selectorILNS1_17partition_subalgoE5ElNS0_10empty_typeEbEEZZNS1_14partition_implILS5_5ELb0ES3_mN6hipcub16HIPCUB_304000_NS21CountingInputIteratorIllEEPS6_NSA_22TransformInputIteratorIbN2at6native12_GLOBAL__N_19NonZeroOpIN3c107complexIfEEEEPKSL_lEENS0_5tupleIJPlS6_EEENSQ_IJSD_SD_EEES6_PiJS6_EEE10hipError_tPvRmT3_T4_T5_T6_T7_T9_mT8_P12ihipStream_tbDpT10_ENKUlT_T0_E_clISt17integral_constantIbLb1EES1E_EEDaS19_S1A_EUlS19_E_NS1_11comp_targetILNS1_3genE0ELNS1_11target_archE4294967295ELNS1_3gpuE0ELNS1_3repE0EEENS1_30default_config_static_selectorELNS0_4arch9wavefront6targetE0EEEvT1_, .Lfunc_end602-_ZN7rocprim17ROCPRIM_400000_NS6detail17trampoline_kernelINS0_14default_configENS1_25partition_config_selectorILNS1_17partition_subalgoE5ElNS0_10empty_typeEbEEZZNS1_14partition_implILS5_5ELb0ES3_mN6hipcub16HIPCUB_304000_NS21CountingInputIteratorIllEEPS6_NSA_22TransformInputIteratorIbN2at6native12_GLOBAL__N_19NonZeroOpIN3c107complexIfEEEEPKSL_lEENS0_5tupleIJPlS6_EEENSQ_IJSD_SD_EEES6_PiJS6_EEE10hipError_tPvRmT3_T4_T5_T6_T7_T9_mT8_P12ihipStream_tbDpT10_ENKUlT_T0_E_clISt17integral_constantIbLb1EES1E_EEDaS19_S1A_EUlS19_E_NS1_11comp_targetILNS1_3genE0ELNS1_11target_archE4294967295ELNS1_3gpuE0ELNS1_3repE0EEENS1_30default_config_static_selectorELNS0_4arch9wavefront6targetE0EEEvT1_
                                        ; -- End function
	.set _ZN7rocprim17ROCPRIM_400000_NS6detail17trampoline_kernelINS0_14default_configENS1_25partition_config_selectorILNS1_17partition_subalgoE5ElNS0_10empty_typeEbEEZZNS1_14partition_implILS5_5ELb0ES3_mN6hipcub16HIPCUB_304000_NS21CountingInputIteratorIllEEPS6_NSA_22TransformInputIteratorIbN2at6native12_GLOBAL__N_19NonZeroOpIN3c107complexIfEEEEPKSL_lEENS0_5tupleIJPlS6_EEENSQ_IJSD_SD_EEES6_PiJS6_EEE10hipError_tPvRmT3_T4_T5_T6_T7_T9_mT8_P12ihipStream_tbDpT10_ENKUlT_T0_E_clISt17integral_constantIbLb1EES1E_EEDaS19_S1A_EUlS19_E_NS1_11comp_targetILNS1_3genE0ELNS1_11target_archE4294967295ELNS1_3gpuE0ELNS1_3repE0EEENS1_30default_config_static_selectorELNS0_4arch9wavefront6targetE0EEEvT1_.num_vgpr, 0
	.set _ZN7rocprim17ROCPRIM_400000_NS6detail17trampoline_kernelINS0_14default_configENS1_25partition_config_selectorILNS1_17partition_subalgoE5ElNS0_10empty_typeEbEEZZNS1_14partition_implILS5_5ELb0ES3_mN6hipcub16HIPCUB_304000_NS21CountingInputIteratorIllEEPS6_NSA_22TransformInputIteratorIbN2at6native12_GLOBAL__N_19NonZeroOpIN3c107complexIfEEEEPKSL_lEENS0_5tupleIJPlS6_EEENSQ_IJSD_SD_EEES6_PiJS6_EEE10hipError_tPvRmT3_T4_T5_T6_T7_T9_mT8_P12ihipStream_tbDpT10_ENKUlT_T0_E_clISt17integral_constantIbLb1EES1E_EEDaS19_S1A_EUlS19_E_NS1_11comp_targetILNS1_3genE0ELNS1_11target_archE4294967295ELNS1_3gpuE0ELNS1_3repE0EEENS1_30default_config_static_selectorELNS0_4arch9wavefront6targetE0EEEvT1_.num_agpr, 0
	.set _ZN7rocprim17ROCPRIM_400000_NS6detail17trampoline_kernelINS0_14default_configENS1_25partition_config_selectorILNS1_17partition_subalgoE5ElNS0_10empty_typeEbEEZZNS1_14partition_implILS5_5ELb0ES3_mN6hipcub16HIPCUB_304000_NS21CountingInputIteratorIllEEPS6_NSA_22TransformInputIteratorIbN2at6native12_GLOBAL__N_19NonZeroOpIN3c107complexIfEEEEPKSL_lEENS0_5tupleIJPlS6_EEENSQ_IJSD_SD_EEES6_PiJS6_EEE10hipError_tPvRmT3_T4_T5_T6_T7_T9_mT8_P12ihipStream_tbDpT10_ENKUlT_T0_E_clISt17integral_constantIbLb1EES1E_EEDaS19_S1A_EUlS19_E_NS1_11comp_targetILNS1_3genE0ELNS1_11target_archE4294967295ELNS1_3gpuE0ELNS1_3repE0EEENS1_30default_config_static_selectorELNS0_4arch9wavefront6targetE0EEEvT1_.numbered_sgpr, 0
	.set _ZN7rocprim17ROCPRIM_400000_NS6detail17trampoline_kernelINS0_14default_configENS1_25partition_config_selectorILNS1_17partition_subalgoE5ElNS0_10empty_typeEbEEZZNS1_14partition_implILS5_5ELb0ES3_mN6hipcub16HIPCUB_304000_NS21CountingInputIteratorIllEEPS6_NSA_22TransformInputIteratorIbN2at6native12_GLOBAL__N_19NonZeroOpIN3c107complexIfEEEEPKSL_lEENS0_5tupleIJPlS6_EEENSQ_IJSD_SD_EEES6_PiJS6_EEE10hipError_tPvRmT3_T4_T5_T6_T7_T9_mT8_P12ihipStream_tbDpT10_ENKUlT_T0_E_clISt17integral_constantIbLb1EES1E_EEDaS19_S1A_EUlS19_E_NS1_11comp_targetILNS1_3genE0ELNS1_11target_archE4294967295ELNS1_3gpuE0ELNS1_3repE0EEENS1_30default_config_static_selectorELNS0_4arch9wavefront6targetE0EEEvT1_.num_named_barrier, 0
	.set _ZN7rocprim17ROCPRIM_400000_NS6detail17trampoline_kernelINS0_14default_configENS1_25partition_config_selectorILNS1_17partition_subalgoE5ElNS0_10empty_typeEbEEZZNS1_14partition_implILS5_5ELb0ES3_mN6hipcub16HIPCUB_304000_NS21CountingInputIteratorIllEEPS6_NSA_22TransformInputIteratorIbN2at6native12_GLOBAL__N_19NonZeroOpIN3c107complexIfEEEEPKSL_lEENS0_5tupleIJPlS6_EEENSQ_IJSD_SD_EEES6_PiJS6_EEE10hipError_tPvRmT3_T4_T5_T6_T7_T9_mT8_P12ihipStream_tbDpT10_ENKUlT_T0_E_clISt17integral_constantIbLb1EES1E_EEDaS19_S1A_EUlS19_E_NS1_11comp_targetILNS1_3genE0ELNS1_11target_archE4294967295ELNS1_3gpuE0ELNS1_3repE0EEENS1_30default_config_static_selectorELNS0_4arch9wavefront6targetE0EEEvT1_.private_seg_size, 0
	.set _ZN7rocprim17ROCPRIM_400000_NS6detail17trampoline_kernelINS0_14default_configENS1_25partition_config_selectorILNS1_17partition_subalgoE5ElNS0_10empty_typeEbEEZZNS1_14partition_implILS5_5ELb0ES3_mN6hipcub16HIPCUB_304000_NS21CountingInputIteratorIllEEPS6_NSA_22TransformInputIteratorIbN2at6native12_GLOBAL__N_19NonZeroOpIN3c107complexIfEEEEPKSL_lEENS0_5tupleIJPlS6_EEENSQ_IJSD_SD_EEES6_PiJS6_EEE10hipError_tPvRmT3_T4_T5_T6_T7_T9_mT8_P12ihipStream_tbDpT10_ENKUlT_T0_E_clISt17integral_constantIbLb1EES1E_EEDaS19_S1A_EUlS19_E_NS1_11comp_targetILNS1_3genE0ELNS1_11target_archE4294967295ELNS1_3gpuE0ELNS1_3repE0EEENS1_30default_config_static_selectorELNS0_4arch9wavefront6targetE0EEEvT1_.uses_vcc, 0
	.set _ZN7rocprim17ROCPRIM_400000_NS6detail17trampoline_kernelINS0_14default_configENS1_25partition_config_selectorILNS1_17partition_subalgoE5ElNS0_10empty_typeEbEEZZNS1_14partition_implILS5_5ELb0ES3_mN6hipcub16HIPCUB_304000_NS21CountingInputIteratorIllEEPS6_NSA_22TransformInputIteratorIbN2at6native12_GLOBAL__N_19NonZeroOpIN3c107complexIfEEEEPKSL_lEENS0_5tupleIJPlS6_EEENSQ_IJSD_SD_EEES6_PiJS6_EEE10hipError_tPvRmT3_T4_T5_T6_T7_T9_mT8_P12ihipStream_tbDpT10_ENKUlT_T0_E_clISt17integral_constantIbLb1EES1E_EEDaS19_S1A_EUlS19_E_NS1_11comp_targetILNS1_3genE0ELNS1_11target_archE4294967295ELNS1_3gpuE0ELNS1_3repE0EEENS1_30default_config_static_selectorELNS0_4arch9wavefront6targetE0EEEvT1_.uses_flat_scratch, 0
	.set _ZN7rocprim17ROCPRIM_400000_NS6detail17trampoline_kernelINS0_14default_configENS1_25partition_config_selectorILNS1_17partition_subalgoE5ElNS0_10empty_typeEbEEZZNS1_14partition_implILS5_5ELb0ES3_mN6hipcub16HIPCUB_304000_NS21CountingInputIteratorIllEEPS6_NSA_22TransformInputIteratorIbN2at6native12_GLOBAL__N_19NonZeroOpIN3c107complexIfEEEEPKSL_lEENS0_5tupleIJPlS6_EEENSQ_IJSD_SD_EEES6_PiJS6_EEE10hipError_tPvRmT3_T4_T5_T6_T7_T9_mT8_P12ihipStream_tbDpT10_ENKUlT_T0_E_clISt17integral_constantIbLb1EES1E_EEDaS19_S1A_EUlS19_E_NS1_11comp_targetILNS1_3genE0ELNS1_11target_archE4294967295ELNS1_3gpuE0ELNS1_3repE0EEENS1_30default_config_static_selectorELNS0_4arch9wavefront6targetE0EEEvT1_.has_dyn_sized_stack, 0
	.set _ZN7rocprim17ROCPRIM_400000_NS6detail17trampoline_kernelINS0_14default_configENS1_25partition_config_selectorILNS1_17partition_subalgoE5ElNS0_10empty_typeEbEEZZNS1_14partition_implILS5_5ELb0ES3_mN6hipcub16HIPCUB_304000_NS21CountingInputIteratorIllEEPS6_NSA_22TransformInputIteratorIbN2at6native12_GLOBAL__N_19NonZeroOpIN3c107complexIfEEEEPKSL_lEENS0_5tupleIJPlS6_EEENSQ_IJSD_SD_EEES6_PiJS6_EEE10hipError_tPvRmT3_T4_T5_T6_T7_T9_mT8_P12ihipStream_tbDpT10_ENKUlT_T0_E_clISt17integral_constantIbLb1EES1E_EEDaS19_S1A_EUlS19_E_NS1_11comp_targetILNS1_3genE0ELNS1_11target_archE4294967295ELNS1_3gpuE0ELNS1_3repE0EEENS1_30default_config_static_selectorELNS0_4arch9wavefront6targetE0EEEvT1_.has_recursion, 0
	.set _ZN7rocprim17ROCPRIM_400000_NS6detail17trampoline_kernelINS0_14default_configENS1_25partition_config_selectorILNS1_17partition_subalgoE5ElNS0_10empty_typeEbEEZZNS1_14partition_implILS5_5ELb0ES3_mN6hipcub16HIPCUB_304000_NS21CountingInputIteratorIllEEPS6_NSA_22TransformInputIteratorIbN2at6native12_GLOBAL__N_19NonZeroOpIN3c107complexIfEEEEPKSL_lEENS0_5tupleIJPlS6_EEENSQ_IJSD_SD_EEES6_PiJS6_EEE10hipError_tPvRmT3_T4_T5_T6_T7_T9_mT8_P12ihipStream_tbDpT10_ENKUlT_T0_E_clISt17integral_constantIbLb1EES1E_EEDaS19_S1A_EUlS19_E_NS1_11comp_targetILNS1_3genE0ELNS1_11target_archE4294967295ELNS1_3gpuE0ELNS1_3repE0EEENS1_30default_config_static_selectorELNS0_4arch9wavefront6targetE0EEEvT1_.has_indirect_call, 0
	.section	.AMDGPU.csdata,"",@progbits
; Kernel info:
; codeLenInByte = 0
; TotalNumSgprs: 0
; NumVgprs: 0
; ScratchSize: 0
; MemoryBound: 0
; FloatMode: 240
; IeeeMode: 1
; LDSByteSize: 0 bytes/workgroup (compile time only)
; SGPRBlocks: 0
; VGPRBlocks: 0
; NumSGPRsForWavesPerEU: 1
; NumVGPRsForWavesPerEU: 1
; Occupancy: 16
; WaveLimiterHint : 0
; COMPUTE_PGM_RSRC2:SCRATCH_EN: 0
; COMPUTE_PGM_RSRC2:USER_SGPR: 2
; COMPUTE_PGM_RSRC2:TRAP_HANDLER: 0
; COMPUTE_PGM_RSRC2:TGID_X_EN: 1
; COMPUTE_PGM_RSRC2:TGID_Y_EN: 0
; COMPUTE_PGM_RSRC2:TGID_Z_EN: 0
; COMPUTE_PGM_RSRC2:TIDIG_COMP_CNT: 0
	.section	.text._ZN7rocprim17ROCPRIM_400000_NS6detail17trampoline_kernelINS0_14default_configENS1_25partition_config_selectorILNS1_17partition_subalgoE5ElNS0_10empty_typeEbEEZZNS1_14partition_implILS5_5ELb0ES3_mN6hipcub16HIPCUB_304000_NS21CountingInputIteratorIllEEPS6_NSA_22TransformInputIteratorIbN2at6native12_GLOBAL__N_19NonZeroOpIN3c107complexIfEEEEPKSL_lEENS0_5tupleIJPlS6_EEENSQ_IJSD_SD_EEES6_PiJS6_EEE10hipError_tPvRmT3_T4_T5_T6_T7_T9_mT8_P12ihipStream_tbDpT10_ENKUlT_T0_E_clISt17integral_constantIbLb1EES1E_EEDaS19_S1A_EUlS19_E_NS1_11comp_targetILNS1_3genE5ELNS1_11target_archE942ELNS1_3gpuE9ELNS1_3repE0EEENS1_30default_config_static_selectorELNS0_4arch9wavefront6targetE0EEEvT1_,"axG",@progbits,_ZN7rocprim17ROCPRIM_400000_NS6detail17trampoline_kernelINS0_14default_configENS1_25partition_config_selectorILNS1_17partition_subalgoE5ElNS0_10empty_typeEbEEZZNS1_14partition_implILS5_5ELb0ES3_mN6hipcub16HIPCUB_304000_NS21CountingInputIteratorIllEEPS6_NSA_22TransformInputIteratorIbN2at6native12_GLOBAL__N_19NonZeroOpIN3c107complexIfEEEEPKSL_lEENS0_5tupleIJPlS6_EEENSQ_IJSD_SD_EEES6_PiJS6_EEE10hipError_tPvRmT3_T4_T5_T6_T7_T9_mT8_P12ihipStream_tbDpT10_ENKUlT_T0_E_clISt17integral_constantIbLb1EES1E_EEDaS19_S1A_EUlS19_E_NS1_11comp_targetILNS1_3genE5ELNS1_11target_archE942ELNS1_3gpuE9ELNS1_3repE0EEENS1_30default_config_static_selectorELNS0_4arch9wavefront6targetE0EEEvT1_,comdat
	.globl	_ZN7rocprim17ROCPRIM_400000_NS6detail17trampoline_kernelINS0_14default_configENS1_25partition_config_selectorILNS1_17partition_subalgoE5ElNS0_10empty_typeEbEEZZNS1_14partition_implILS5_5ELb0ES3_mN6hipcub16HIPCUB_304000_NS21CountingInputIteratorIllEEPS6_NSA_22TransformInputIteratorIbN2at6native12_GLOBAL__N_19NonZeroOpIN3c107complexIfEEEEPKSL_lEENS0_5tupleIJPlS6_EEENSQ_IJSD_SD_EEES6_PiJS6_EEE10hipError_tPvRmT3_T4_T5_T6_T7_T9_mT8_P12ihipStream_tbDpT10_ENKUlT_T0_E_clISt17integral_constantIbLb1EES1E_EEDaS19_S1A_EUlS19_E_NS1_11comp_targetILNS1_3genE5ELNS1_11target_archE942ELNS1_3gpuE9ELNS1_3repE0EEENS1_30default_config_static_selectorELNS0_4arch9wavefront6targetE0EEEvT1_ ; -- Begin function _ZN7rocprim17ROCPRIM_400000_NS6detail17trampoline_kernelINS0_14default_configENS1_25partition_config_selectorILNS1_17partition_subalgoE5ElNS0_10empty_typeEbEEZZNS1_14partition_implILS5_5ELb0ES3_mN6hipcub16HIPCUB_304000_NS21CountingInputIteratorIllEEPS6_NSA_22TransformInputIteratorIbN2at6native12_GLOBAL__N_19NonZeroOpIN3c107complexIfEEEEPKSL_lEENS0_5tupleIJPlS6_EEENSQ_IJSD_SD_EEES6_PiJS6_EEE10hipError_tPvRmT3_T4_T5_T6_T7_T9_mT8_P12ihipStream_tbDpT10_ENKUlT_T0_E_clISt17integral_constantIbLb1EES1E_EEDaS19_S1A_EUlS19_E_NS1_11comp_targetILNS1_3genE5ELNS1_11target_archE942ELNS1_3gpuE9ELNS1_3repE0EEENS1_30default_config_static_selectorELNS0_4arch9wavefront6targetE0EEEvT1_
	.p2align	8
	.type	_ZN7rocprim17ROCPRIM_400000_NS6detail17trampoline_kernelINS0_14default_configENS1_25partition_config_selectorILNS1_17partition_subalgoE5ElNS0_10empty_typeEbEEZZNS1_14partition_implILS5_5ELb0ES3_mN6hipcub16HIPCUB_304000_NS21CountingInputIteratorIllEEPS6_NSA_22TransformInputIteratorIbN2at6native12_GLOBAL__N_19NonZeroOpIN3c107complexIfEEEEPKSL_lEENS0_5tupleIJPlS6_EEENSQ_IJSD_SD_EEES6_PiJS6_EEE10hipError_tPvRmT3_T4_T5_T6_T7_T9_mT8_P12ihipStream_tbDpT10_ENKUlT_T0_E_clISt17integral_constantIbLb1EES1E_EEDaS19_S1A_EUlS19_E_NS1_11comp_targetILNS1_3genE5ELNS1_11target_archE942ELNS1_3gpuE9ELNS1_3repE0EEENS1_30default_config_static_selectorELNS0_4arch9wavefront6targetE0EEEvT1_,@function
_ZN7rocprim17ROCPRIM_400000_NS6detail17trampoline_kernelINS0_14default_configENS1_25partition_config_selectorILNS1_17partition_subalgoE5ElNS0_10empty_typeEbEEZZNS1_14partition_implILS5_5ELb0ES3_mN6hipcub16HIPCUB_304000_NS21CountingInputIteratorIllEEPS6_NSA_22TransformInputIteratorIbN2at6native12_GLOBAL__N_19NonZeroOpIN3c107complexIfEEEEPKSL_lEENS0_5tupleIJPlS6_EEENSQ_IJSD_SD_EEES6_PiJS6_EEE10hipError_tPvRmT3_T4_T5_T6_T7_T9_mT8_P12ihipStream_tbDpT10_ENKUlT_T0_E_clISt17integral_constantIbLb1EES1E_EEDaS19_S1A_EUlS19_E_NS1_11comp_targetILNS1_3genE5ELNS1_11target_archE942ELNS1_3gpuE9ELNS1_3repE0EEENS1_30default_config_static_selectorELNS0_4arch9wavefront6targetE0EEEvT1_: ; @_ZN7rocprim17ROCPRIM_400000_NS6detail17trampoline_kernelINS0_14default_configENS1_25partition_config_selectorILNS1_17partition_subalgoE5ElNS0_10empty_typeEbEEZZNS1_14partition_implILS5_5ELb0ES3_mN6hipcub16HIPCUB_304000_NS21CountingInputIteratorIllEEPS6_NSA_22TransformInputIteratorIbN2at6native12_GLOBAL__N_19NonZeroOpIN3c107complexIfEEEEPKSL_lEENS0_5tupleIJPlS6_EEENSQ_IJSD_SD_EEES6_PiJS6_EEE10hipError_tPvRmT3_T4_T5_T6_T7_T9_mT8_P12ihipStream_tbDpT10_ENKUlT_T0_E_clISt17integral_constantIbLb1EES1E_EEDaS19_S1A_EUlS19_E_NS1_11comp_targetILNS1_3genE5ELNS1_11target_archE942ELNS1_3gpuE9ELNS1_3repE0EEENS1_30default_config_static_selectorELNS0_4arch9wavefront6targetE0EEEvT1_
; %bb.0:
	.section	.rodata,"a",@progbits
	.p2align	6, 0x0
	.amdhsa_kernel _ZN7rocprim17ROCPRIM_400000_NS6detail17trampoline_kernelINS0_14default_configENS1_25partition_config_selectorILNS1_17partition_subalgoE5ElNS0_10empty_typeEbEEZZNS1_14partition_implILS5_5ELb0ES3_mN6hipcub16HIPCUB_304000_NS21CountingInputIteratorIllEEPS6_NSA_22TransformInputIteratorIbN2at6native12_GLOBAL__N_19NonZeroOpIN3c107complexIfEEEEPKSL_lEENS0_5tupleIJPlS6_EEENSQ_IJSD_SD_EEES6_PiJS6_EEE10hipError_tPvRmT3_T4_T5_T6_T7_T9_mT8_P12ihipStream_tbDpT10_ENKUlT_T0_E_clISt17integral_constantIbLb1EES1E_EEDaS19_S1A_EUlS19_E_NS1_11comp_targetILNS1_3genE5ELNS1_11target_archE942ELNS1_3gpuE9ELNS1_3repE0EEENS1_30default_config_static_selectorELNS0_4arch9wavefront6targetE0EEEvT1_
		.amdhsa_group_segment_fixed_size 0
		.amdhsa_private_segment_fixed_size 0
		.amdhsa_kernarg_size 136
		.amdhsa_user_sgpr_count 2
		.amdhsa_user_sgpr_dispatch_ptr 0
		.amdhsa_user_sgpr_queue_ptr 0
		.amdhsa_user_sgpr_kernarg_segment_ptr 1
		.amdhsa_user_sgpr_dispatch_id 0
		.amdhsa_user_sgpr_private_segment_size 0
		.amdhsa_wavefront_size32 1
		.amdhsa_uses_dynamic_stack 0
		.amdhsa_enable_private_segment 0
		.amdhsa_system_sgpr_workgroup_id_x 1
		.amdhsa_system_sgpr_workgroup_id_y 0
		.amdhsa_system_sgpr_workgroup_id_z 0
		.amdhsa_system_sgpr_workgroup_info 0
		.amdhsa_system_vgpr_workitem_id 0
		.amdhsa_next_free_vgpr 1
		.amdhsa_next_free_sgpr 1
		.amdhsa_reserve_vcc 0
		.amdhsa_float_round_mode_32 0
		.amdhsa_float_round_mode_16_64 0
		.amdhsa_float_denorm_mode_32 3
		.amdhsa_float_denorm_mode_16_64 3
		.amdhsa_fp16_overflow 0
		.amdhsa_workgroup_processor_mode 1
		.amdhsa_memory_ordered 1
		.amdhsa_forward_progress 1
		.amdhsa_inst_pref_size 0
		.amdhsa_round_robin_scheduling 0
		.amdhsa_exception_fp_ieee_invalid_op 0
		.amdhsa_exception_fp_denorm_src 0
		.amdhsa_exception_fp_ieee_div_zero 0
		.amdhsa_exception_fp_ieee_overflow 0
		.amdhsa_exception_fp_ieee_underflow 0
		.amdhsa_exception_fp_ieee_inexact 0
		.amdhsa_exception_int_div_zero 0
	.end_amdhsa_kernel
	.section	.text._ZN7rocprim17ROCPRIM_400000_NS6detail17trampoline_kernelINS0_14default_configENS1_25partition_config_selectorILNS1_17partition_subalgoE5ElNS0_10empty_typeEbEEZZNS1_14partition_implILS5_5ELb0ES3_mN6hipcub16HIPCUB_304000_NS21CountingInputIteratorIllEEPS6_NSA_22TransformInputIteratorIbN2at6native12_GLOBAL__N_19NonZeroOpIN3c107complexIfEEEEPKSL_lEENS0_5tupleIJPlS6_EEENSQ_IJSD_SD_EEES6_PiJS6_EEE10hipError_tPvRmT3_T4_T5_T6_T7_T9_mT8_P12ihipStream_tbDpT10_ENKUlT_T0_E_clISt17integral_constantIbLb1EES1E_EEDaS19_S1A_EUlS19_E_NS1_11comp_targetILNS1_3genE5ELNS1_11target_archE942ELNS1_3gpuE9ELNS1_3repE0EEENS1_30default_config_static_selectorELNS0_4arch9wavefront6targetE0EEEvT1_,"axG",@progbits,_ZN7rocprim17ROCPRIM_400000_NS6detail17trampoline_kernelINS0_14default_configENS1_25partition_config_selectorILNS1_17partition_subalgoE5ElNS0_10empty_typeEbEEZZNS1_14partition_implILS5_5ELb0ES3_mN6hipcub16HIPCUB_304000_NS21CountingInputIteratorIllEEPS6_NSA_22TransformInputIteratorIbN2at6native12_GLOBAL__N_19NonZeroOpIN3c107complexIfEEEEPKSL_lEENS0_5tupleIJPlS6_EEENSQ_IJSD_SD_EEES6_PiJS6_EEE10hipError_tPvRmT3_T4_T5_T6_T7_T9_mT8_P12ihipStream_tbDpT10_ENKUlT_T0_E_clISt17integral_constantIbLb1EES1E_EEDaS19_S1A_EUlS19_E_NS1_11comp_targetILNS1_3genE5ELNS1_11target_archE942ELNS1_3gpuE9ELNS1_3repE0EEENS1_30default_config_static_selectorELNS0_4arch9wavefront6targetE0EEEvT1_,comdat
.Lfunc_end603:
	.size	_ZN7rocprim17ROCPRIM_400000_NS6detail17trampoline_kernelINS0_14default_configENS1_25partition_config_selectorILNS1_17partition_subalgoE5ElNS0_10empty_typeEbEEZZNS1_14partition_implILS5_5ELb0ES3_mN6hipcub16HIPCUB_304000_NS21CountingInputIteratorIllEEPS6_NSA_22TransformInputIteratorIbN2at6native12_GLOBAL__N_19NonZeroOpIN3c107complexIfEEEEPKSL_lEENS0_5tupleIJPlS6_EEENSQ_IJSD_SD_EEES6_PiJS6_EEE10hipError_tPvRmT3_T4_T5_T6_T7_T9_mT8_P12ihipStream_tbDpT10_ENKUlT_T0_E_clISt17integral_constantIbLb1EES1E_EEDaS19_S1A_EUlS19_E_NS1_11comp_targetILNS1_3genE5ELNS1_11target_archE942ELNS1_3gpuE9ELNS1_3repE0EEENS1_30default_config_static_selectorELNS0_4arch9wavefront6targetE0EEEvT1_, .Lfunc_end603-_ZN7rocprim17ROCPRIM_400000_NS6detail17trampoline_kernelINS0_14default_configENS1_25partition_config_selectorILNS1_17partition_subalgoE5ElNS0_10empty_typeEbEEZZNS1_14partition_implILS5_5ELb0ES3_mN6hipcub16HIPCUB_304000_NS21CountingInputIteratorIllEEPS6_NSA_22TransformInputIteratorIbN2at6native12_GLOBAL__N_19NonZeroOpIN3c107complexIfEEEEPKSL_lEENS0_5tupleIJPlS6_EEENSQ_IJSD_SD_EEES6_PiJS6_EEE10hipError_tPvRmT3_T4_T5_T6_T7_T9_mT8_P12ihipStream_tbDpT10_ENKUlT_T0_E_clISt17integral_constantIbLb1EES1E_EEDaS19_S1A_EUlS19_E_NS1_11comp_targetILNS1_3genE5ELNS1_11target_archE942ELNS1_3gpuE9ELNS1_3repE0EEENS1_30default_config_static_selectorELNS0_4arch9wavefront6targetE0EEEvT1_
                                        ; -- End function
	.set _ZN7rocprim17ROCPRIM_400000_NS6detail17trampoline_kernelINS0_14default_configENS1_25partition_config_selectorILNS1_17partition_subalgoE5ElNS0_10empty_typeEbEEZZNS1_14partition_implILS5_5ELb0ES3_mN6hipcub16HIPCUB_304000_NS21CountingInputIteratorIllEEPS6_NSA_22TransformInputIteratorIbN2at6native12_GLOBAL__N_19NonZeroOpIN3c107complexIfEEEEPKSL_lEENS0_5tupleIJPlS6_EEENSQ_IJSD_SD_EEES6_PiJS6_EEE10hipError_tPvRmT3_T4_T5_T6_T7_T9_mT8_P12ihipStream_tbDpT10_ENKUlT_T0_E_clISt17integral_constantIbLb1EES1E_EEDaS19_S1A_EUlS19_E_NS1_11comp_targetILNS1_3genE5ELNS1_11target_archE942ELNS1_3gpuE9ELNS1_3repE0EEENS1_30default_config_static_selectorELNS0_4arch9wavefront6targetE0EEEvT1_.num_vgpr, 0
	.set _ZN7rocprim17ROCPRIM_400000_NS6detail17trampoline_kernelINS0_14default_configENS1_25partition_config_selectorILNS1_17partition_subalgoE5ElNS0_10empty_typeEbEEZZNS1_14partition_implILS5_5ELb0ES3_mN6hipcub16HIPCUB_304000_NS21CountingInputIteratorIllEEPS6_NSA_22TransformInputIteratorIbN2at6native12_GLOBAL__N_19NonZeroOpIN3c107complexIfEEEEPKSL_lEENS0_5tupleIJPlS6_EEENSQ_IJSD_SD_EEES6_PiJS6_EEE10hipError_tPvRmT3_T4_T5_T6_T7_T9_mT8_P12ihipStream_tbDpT10_ENKUlT_T0_E_clISt17integral_constantIbLb1EES1E_EEDaS19_S1A_EUlS19_E_NS1_11comp_targetILNS1_3genE5ELNS1_11target_archE942ELNS1_3gpuE9ELNS1_3repE0EEENS1_30default_config_static_selectorELNS0_4arch9wavefront6targetE0EEEvT1_.num_agpr, 0
	.set _ZN7rocprim17ROCPRIM_400000_NS6detail17trampoline_kernelINS0_14default_configENS1_25partition_config_selectorILNS1_17partition_subalgoE5ElNS0_10empty_typeEbEEZZNS1_14partition_implILS5_5ELb0ES3_mN6hipcub16HIPCUB_304000_NS21CountingInputIteratorIllEEPS6_NSA_22TransformInputIteratorIbN2at6native12_GLOBAL__N_19NonZeroOpIN3c107complexIfEEEEPKSL_lEENS0_5tupleIJPlS6_EEENSQ_IJSD_SD_EEES6_PiJS6_EEE10hipError_tPvRmT3_T4_T5_T6_T7_T9_mT8_P12ihipStream_tbDpT10_ENKUlT_T0_E_clISt17integral_constantIbLb1EES1E_EEDaS19_S1A_EUlS19_E_NS1_11comp_targetILNS1_3genE5ELNS1_11target_archE942ELNS1_3gpuE9ELNS1_3repE0EEENS1_30default_config_static_selectorELNS0_4arch9wavefront6targetE0EEEvT1_.numbered_sgpr, 0
	.set _ZN7rocprim17ROCPRIM_400000_NS6detail17trampoline_kernelINS0_14default_configENS1_25partition_config_selectorILNS1_17partition_subalgoE5ElNS0_10empty_typeEbEEZZNS1_14partition_implILS5_5ELb0ES3_mN6hipcub16HIPCUB_304000_NS21CountingInputIteratorIllEEPS6_NSA_22TransformInputIteratorIbN2at6native12_GLOBAL__N_19NonZeroOpIN3c107complexIfEEEEPKSL_lEENS0_5tupleIJPlS6_EEENSQ_IJSD_SD_EEES6_PiJS6_EEE10hipError_tPvRmT3_T4_T5_T6_T7_T9_mT8_P12ihipStream_tbDpT10_ENKUlT_T0_E_clISt17integral_constantIbLb1EES1E_EEDaS19_S1A_EUlS19_E_NS1_11comp_targetILNS1_3genE5ELNS1_11target_archE942ELNS1_3gpuE9ELNS1_3repE0EEENS1_30default_config_static_selectorELNS0_4arch9wavefront6targetE0EEEvT1_.num_named_barrier, 0
	.set _ZN7rocprim17ROCPRIM_400000_NS6detail17trampoline_kernelINS0_14default_configENS1_25partition_config_selectorILNS1_17partition_subalgoE5ElNS0_10empty_typeEbEEZZNS1_14partition_implILS5_5ELb0ES3_mN6hipcub16HIPCUB_304000_NS21CountingInputIteratorIllEEPS6_NSA_22TransformInputIteratorIbN2at6native12_GLOBAL__N_19NonZeroOpIN3c107complexIfEEEEPKSL_lEENS0_5tupleIJPlS6_EEENSQ_IJSD_SD_EEES6_PiJS6_EEE10hipError_tPvRmT3_T4_T5_T6_T7_T9_mT8_P12ihipStream_tbDpT10_ENKUlT_T0_E_clISt17integral_constantIbLb1EES1E_EEDaS19_S1A_EUlS19_E_NS1_11comp_targetILNS1_3genE5ELNS1_11target_archE942ELNS1_3gpuE9ELNS1_3repE0EEENS1_30default_config_static_selectorELNS0_4arch9wavefront6targetE0EEEvT1_.private_seg_size, 0
	.set _ZN7rocprim17ROCPRIM_400000_NS6detail17trampoline_kernelINS0_14default_configENS1_25partition_config_selectorILNS1_17partition_subalgoE5ElNS0_10empty_typeEbEEZZNS1_14partition_implILS5_5ELb0ES3_mN6hipcub16HIPCUB_304000_NS21CountingInputIteratorIllEEPS6_NSA_22TransformInputIteratorIbN2at6native12_GLOBAL__N_19NonZeroOpIN3c107complexIfEEEEPKSL_lEENS0_5tupleIJPlS6_EEENSQ_IJSD_SD_EEES6_PiJS6_EEE10hipError_tPvRmT3_T4_T5_T6_T7_T9_mT8_P12ihipStream_tbDpT10_ENKUlT_T0_E_clISt17integral_constantIbLb1EES1E_EEDaS19_S1A_EUlS19_E_NS1_11comp_targetILNS1_3genE5ELNS1_11target_archE942ELNS1_3gpuE9ELNS1_3repE0EEENS1_30default_config_static_selectorELNS0_4arch9wavefront6targetE0EEEvT1_.uses_vcc, 0
	.set _ZN7rocprim17ROCPRIM_400000_NS6detail17trampoline_kernelINS0_14default_configENS1_25partition_config_selectorILNS1_17partition_subalgoE5ElNS0_10empty_typeEbEEZZNS1_14partition_implILS5_5ELb0ES3_mN6hipcub16HIPCUB_304000_NS21CountingInputIteratorIllEEPS6_NSA_22TransformInputIteratorIbN2at6native12_GLOBAL__N_19NonZeroOpIN3c107complexIfEEEEPKSL_lEENS0_5tupleIJPlS6_EEENSQ_IJSD_SD_EEES6_PiJS6_EEE10hipError_tPvRmT3_T4_T5_T6_T7_T9_mT8_P12ihipStream_tbDpT10_ENKUlT_T0_E_clISt17integral_constantIbLb1EES1E_EEDaS19_S1A_EUlS19_E_NS1_11comp_targetILNS1_3genE5ELNS1_11target_archE942ELNS1_3gpuE9ELNS1_3repE0EEENS1_30default_config_static_selectorELNS0_4arch9wavefront6targetE0EEEvT1_.uses_flat_scratch, 0
	.set _ZN7rocprim17ROCPRIM_400000_NS6detail17trampoline_kernelINS0_14default_configENS1_25partition_config_selectorILNS1_17partition_subalgoE5ElNS0_10empty_typeEbEEZZNS1_14partition_implILS5_5ELb0ES3_mN6hipcub16HIPCUB_304000_NS21CountingInputIteratorIllEEPS6_NSA_22TransformInputIteratorIbN2at6native12_GLOBAL__N_19NonZeroOpIN3c107complexIfEEEEPKSL_lEENS0_5tupleIJPlS6_EEENSQ_IJSD_SD_EEES6_PiJS6_EEE10hipError_tPvRmT3_T4_T5_T6_T7_T9_mT8_P12ihipStream_tbDpT10_ENKUlT_T0_E_clISt17integral_constantIbLb1EES1E_EEDaS19_S1A_EUlS19_E_NS1_11comp_targetILNS1_3genE5ELNS1_11target_archE942ELNS1_3gpuE9ELNS1_3repE0EEENS1_30default_config_static_selectorELNS0_4arch9wavefront6targetE0EEEvT1_.has_dyn_sized_stack, 0
	.set _ZN7rocprim17ROCPRIM_400000_NS6detail17trampoline_kernelINS0_14default_configENS1_25partition_config_selectorILNS1_17partition_subalgoE5ElNS0_10empty_typeEbEEZZNS1_14partition_implILS5_5ELb0ES3_mN6hipcub16HIPCUB_304000_NS21CountingInputIteratorIllEEPS6_NSA_22TransformInputIteratorIbN2at6native12_GLOBAL__N_19NonZeroOpIN3c107complexIfEEEEPKSL_lEENS0_5tupleIJPlS6_EEENSQ_IJSD_SD_EEES6_PiJS6_EEE10hipError_tPvRmT3_T4_T5_T6_T7_T9_mT8_P12ihipStream_tbDpT10_ENKUlT_T0_E_clISt17integral_constantIbLb1EES1E_EEDaS19_S1A_EUlS19_E_NS1_11comp_targetILNS1_3genE5ELNS1_11target_archE942ELNS1_3gpuE9ELNS1_3repE0EEENS1_30default_config_static_selectorELNS0_4arch9wavefront6targetE0EEEvT1_.has_recursion, 0
	.set _ZN7rocprim17ROCPRIM_400000_NS6detail17trampoline_kernelINS0_14default_configENS1_25partition_config_selectorILNS1_17partition_subalgoE5ElNS0_10empty_typeEbEEZZNS1_14partition_implILS5_5ELb0ES3_mN6hipcub16HIPCUB_304000_NS21CountingInputIteratorIllEEPS6_NSA_22TransformInputIteratorIbN2at6native12_GLOBAL__N_19NonZeroOpIN3c107complexIfEEEEPKSL_lEENS0_5tupleIJPlS6_EEENSQ_IJSD_SD_EEES6_PiJS6_EEE10hipError_tPvRmT3_T4_T5_T6_T7_T9_mT8_P12ihipStream_tbDpT10_ENKUlT_T0_E_clISt17integral_constantIbLb1EES1E_EEDaS19_S1A_EUlS19_E_NS1_11comp_targetILNS1_3genE5ELNS1_11target_archE942ELNS1_3gpuE9ELNS1_3repE0EEENS1_30default_config_static_selectorELNS0_4arch9wavefront6targetE0EEEvT1_.has_indirect_call, 0
	.section	.AMDGPU.csdata,"",@progbits
; Kernel info:
; codeLenInByte = 0
; TotalNumSgprs: 0
; NumVgprs: 0
; ScratchSize: 0
; MemoryBound: 0
; FloatMode: 240
; IeeeMode: 1
; LDSByteSize: 0 bytes/workgroup (compile time only)
; SGPRBlocks: 0
; VGPRBlocks: 0
; NumSGPRsForWavesPerEU: 1
; NumVGPRsForWavesPerEU: 1
; Occupancy: 16
; WaveLimiterHint : 0
; COMPUTE_PGM_RSRC2:SCRATCH_EN: 0
; COMPUTE_PGM_RSRC2:USER_SGPR: 2
; COMPUTE_PGM_RSRC2:TRAP_HANDLER: 0
; COMPUTE_PGM_RSRC2:TGID_X_EN: 1
; COMPUTE_PGM_RSRC2:TGID_Y_EN: 0
; COMPUTE_PGM_RSRC2:TGID_Z_EN: 0
; COMPUTE_PGM_RSRC2:TIDIG_COMP_CNT: 0
	.section	.text._ZN7rocprim17ROCPRIM_400000_NS6detail17trampoline_kernelINS0_14default_configENS1_25partition_config_selectorILNS1_17partition_subalgoE5ElNS0_10empty_typeEbEEZZNS1_14partition_implILS5_5ELb0ES3_mN6hipcub16HIPCUB_304000_NS21CountingInputIteratorIllEEPS6_NSA_22TransformInputIteratorIbN2at6native12_GLOBAL__N_19NonZeroOpIN3c107complexIfEEEEPKSL_lEENS0_5tupleIJPlS6_EEENSQ_IJSD_SD_EEES6_PiJS6_EEE10hipError_tPvRmT3_T4_T5_T6_T7_T9_mT8_P12ihipStream_tbDpT10_ENKUlT_T0_E_clISt17integral_constantIbLb1EES1E_EEDaS19_S1A_EUlS19_E_NS1_11comp_targetILNS1_3genE4ELNS1_11target_archE910ELNS1_3gpuE8ELNS1_3repE0EEENS1_30default_config_static_selectorELNS0_4arch9wavefront6targetE0EEEvT1_,"axG",@progbits,_ZN7rocprim17ROCPRIM_400000_NS6detail17trampoline_kernelINS0_14default_configENS1_25partition_config_selectorILNS1_17partition_subalgoE5ElNS0_10empty_typeEbEEZZNS1_14partition_implILS5_5ELb0ES3_mN6hipcub16HIPCUB_304000_NS21CountingInputIteratorIllEEPS6_NSA_22TransformInputIteratorIbN2at6native12_GLOBAL__N_19NonZeroOpIN3c107complexIfEEEEPKSL_lEENS0_5tupleIJPlS6_EEENSQ_IJSD_SD_EEES6_PiJS6_EEE10hipError_tPvRmT3_T4_T5_T6_T7_T9_mT8_P12ihipStream_tbDpT10_ENKUlT_T0_E_clISt17integral_constantIbLb1EES1E_EEDaS19_S1A_EUlS19_E_NS1_11comp_targetILNS1_3genE4ELNS1_11target_archE910ELNS1_3gpuE8ELNS1_3repE0EEENS1_30default_config_static_selectorELNS0_4arch9wavefront6targetE0EEEvT1_,comdat
	.globl	_ZN7rocprim17ROCPRIM_400000_NS6detail17trampoline_kernelINS0_14default_configENS1_25partition_config_selectorILNS1_17partition_subalgoE5ElNS0_10empty_typeEbEEZZNS1_14partition_implILS5_5ELb0ES3_mN6hipcub16HIPCUB_304000_NS21CountingInputIteratorIllEEPS6_NSA_22TransformInputIteratorIbN2at6native12_GLOBAL__N_19NonZeroOpIN3c107complexIfEEEEPKSL_lEENS0_5tupleIJPlS6_EEENSQ_IJSD_SD_EEES6_PiJS6_EEE10hipError_tPvRmT3_T4_T5_T6_T7_T9_mT8_P12ihipStream_tbDpT10_ENKUlT_T0_E_clISt17integral_constantIbLb1EES1E_EEDaS19_S1A_EUlS19_E_NS1_11comp_targetILNS1_3genE4ELNS1_11target_archE910ELNS1_3gpuE8ELNS1_3repE0EEENS1_30default_config_static_selectorELNS0_4arch9wavefront6targetE0EEEvT1_ ; -- Begin function _ZN7rocprim17ROCPRIM_400000_NS6detail17trampoline_kernelINS0_14default_configENS1_25partition_config_selectorILNS1_17partition_subalgoE5ElNS0_10empty_typeEbEEZZNS1_14partition_implILS5_5ELb0ES3_mN6hipcub16HIPCUB_304000_NS21CountingInputIteratorIllEEPS6_NSA_22TransformInputIteratorIbN2at6native12_GLOBAL__N_19NonZeroOpIN3c107complexIfEEEEPKSL_lEENS0_5tupleIJPlS6_EEENSQ_IJSD_SD_EEES6_PiJS6_EEE10hipError_tPvRmT3_T4_T5_T6_T7_T9_mT8_P12ihipStream_tbDpT10_ENKUlT_T0_E_clISt17integral_constantIbLb1EES1E_EEDaS19_S1A_EUlS19_E_NS1_11comp_targetILNS1_3genE4ELNS1_11target_archE910ELNS1_3gpuE8ELNS1_3repE0EEENS1_30default_config_static_selectorELNS0_4arch9wavefront6targetE0EEEvT1_
	.p2align	8
	.type	_ZN7rocprim17ROCPRIM_400000_NS6detail17trampoline_kernelINS0_14default_configENS1_25partition_config_selectorILNS1_17partition_subalgoE5ElNS0_10empty_typeEbEEZZNS1_14partition_implILS5_5ELb0ES3_mN6hipcub16HIPCUB_304000_NS21CountingInputIteratorIllEEPS6_NSA_22TransformInputIteratorIbN2at6native12_GLOBAL__N_19NonZeroOpIN3c107complexIfEEEEPKSL_lEENS0_5tupleIJPlS6_EEENSQ_IJSD_SD_EEES6_PiJS6_EEE10hipError_tPvRmT3_T4_T5_T6_T7_T9_mT8_P12ihipStream_tbDpT10_ENKUlT_T0_E_clISt17integral_constantIbLb1EES1E_EEDaS19_S1A_EUlS19_E_NS1_11comp_targetILNS1_3genE4ELNS1_11target_archE910ELNS1_3gpuE8ELNS1_3repE0EEENS1_30default_config_static_selectorELNS0_4arch9wavefront6targetE0EEEvT1_,@function
_ZN7rocprim17ROCPRIM_400000_NS6detail17trampoline_kernelINS0_14default_configENS1_25partition_config_selectorILNS1_17partition_subalgoE5ElNS0_10empty_typeEbEEZZNS1_14partition_implILS5_5ELb0ES3_mN6hipcub16HIPCUB_304000_NS21CountingInputIteratorIllEEPS6_NSA_22TransformInputIteratorIbN2at6native12_GLOBAL__N_19NonZeroOpIN3c107complexIfEEEEPKSL_lEENS0_5tupleIJPlS6_EEENSQ_IJSD_SD_EEES6_PiJS6_EEE10hipError_tPvRmT3_T4_T5_T6_T7_T9_mT8_P12ihipStream_tbDpT10_ENKUlT_T0_E_clISt17integral_constantIbLb1EES1E_EEDaS19_S1A_EUlS19_E_NS1_11comp_targetILNS1_3genE4ELNS1_11target_archE910ELNS1_3gpuE8ELNS1_3repE0EEENS1_30default_config_static_selectorELNS0_4arch9wavefront6targetE0EEEvT1_: ; @_ZN7rocprim17ROCPRIM_400000_NS6detail17trampoline_kernelINS0_14default_configENS1_25partition_config_selectorILNS1_17partition_subalgoE5ElNS0_10empty_typeEbEEZZNS1_14partition_implILS5_5ELb0ES3_mN6hipcub16HIPCUB_304000_NS21CountingInputIteratorIllEEPS6_NSA_22TransformInputIteratorIbN2at6native12_GLOBAL__N_19NonZeroOpIN3c107complexIfEEEEPKSL_lEENS0_5tupleIJPlS6_EEENSQ_IJSD_SD_EEES6_PiJS6_EEE10hipError_tPvRmT3_T4_T5_T6_T7_T9_mT8_P12ihipStream_tbDpT10_ENKUlT_T0_E_clISt17integral_constantIbLb1EES1E_EEDaS19_S1A_EUlS19_E_NS1_11comp_targetILNS1_3genE4ELNS1_11target_archE910ELNS1_3gpuE8ELNS1_3repE0EEENS1_30default_config_static_selectorELNS0_4arch9wavefront6targetE0EEEvT1_
; %bb.0:
	.section	.rodata,"a",@progbits
	.p2align	6, 0x0
	.amdhsa_kernel _ZN7rocprim17ROCPRIM_400000_NS6detail17trampoline_kernelINS0_14default_configENS1_25partition_config_selectorILNS1_17partition_subalgoE5ElNS0_10empty_typeEbEEZZNS1_14partition_implILS5_5ELb0ES3_mN6hipcub16HIPCUB_304000_NS21CountingInputIteratorIllEEPS6_NSA_22TransformInputIteratorIbN2at6native12_GLOBAL__N_19NonZeroOpIN3c107complexIfEEEEPKSL_lEENS0_5tupleIJPlS6_EEENSQ_IJSD_SD_EEES6_PiJS6_EEE10hipError_tPvRmT3_T4_T5_T6_T7_T9_mT8_P12ihipStream_tbDpT10_ENKUlT_T0_E_clISt17integral_constantIbLb1EES1E_EEDaS19_S1A_EUlS19_E_NS1_11comp_targetILNS1_3genE4ELNS1_11target_archE910ELNS1_3gpuE8ELNS1_3repE0EEENS1_30default_config_static_selectorELNS0_4arch9wavefront6targetE0EEEvT1_
		.amdhsa_group_segment_fixed_size 0
		.amdhsa_private_segment_fixed_size 0
		.amdhsa_kernarg_size 136
		.amdhsa_user_sgpr_count 2
		.amdhsa_user_sgpr_dispatch_ptr 0
		.amdhsa_user_sgpr_queue_ptr 0
		.amdhsa_user_sgpr_kernarg_segment_ptr 1
		.amdhsa_user_sgpr_dispatch_id 0
		.amdhsa_user_sgpr_private_segment_size 0
		.amdhsa_wavefront_size32 1
		.amdhsa_uses_dynamic_stack 0
		.amdhsa_enable_private_segment 0
		.amdhsa_system_sgpr_workgroup_id_x 1
		.amdhsa_system_sgpr_workgroup_id_y 0
		.amdhsa_system_sgpr_workgroup_id_z 0
		.amdhsa_system_sgpr_workgroup_info 0
		.amdhsa_system_vgpr_workitem_id 0
		.amdhsa_next_free_vgpr 1
		.amdhsa_next_free_sgpr 1
		.amdhsa_reserve_vcc 0
		.amdhsa_float_round_mode_32 0
		.amdhsa_float_round_mode_16_64 0
		.amdhsa_float_denorm_mode_32 3
		.amdhsa_float_denorm_mode_16_64 3
		.amdhsa_fp16_overflow 0
		.amdhsa_workgroup_processor_mode 1
		.amdhsa_memory_ordered 1
		.amdhsa_forward_progress 1
		.amdhsa_inst_pref_size 0
		.amdhsa_round_robin_scheduling 0
		.amdhsa_exception_fp_ieee_invalid_op 0
		.amdhsa_exception_fp_denorm_src 0
		.amdhsa_exception_fp_ieee_div_zero 0
		.amdhsa_exception_fp_ieee_overflow 0
		.amdhsa_exception_fp_ieee_underflow 0
		.amdhsa_exception_fp_ieee_inexact 0
		.amdhsa_exception_int_div_zero 0
	.end_amdhsa_kernel
	.section	.text._ZN7rocprim17ROCPRIM_400000_NS6detail17trampoline_kernelINS0_14default_configENS1_25partition_config_selectorILNS1_17partition_subalgoE5ElNS0_10empty_typeEbEEZZNS1_14partition_implILS5_5ELb0ES3_mN6hipcub16HIPCUB_304000_NS21CountingInputIteratorIllEEPS6_NSA_22TransformInputIteratorIbN2at6native12_GLOBAL__N_19NonZeroOpIN3c107complexIfEEEEPKSL_lEENS0_5tupleIJPlS6_EEENSQ_IJSD_SD_EEES6_PiJS6_EEE10hipError_tPvRmT3_T4_T5_T6_T7_T9_mT8_P12ihipStream_tbDpT10_ENKUlT_T0_E_clISt17integral_constantIbLb1EES1E_EEDaS19_S1A_EUlS19_E_NS1_11comp_targetILNS1_3genE4ELNS1_11target_archE910ELNS1_3gpuE8ELNS1_3repE0EEENS1_30default_config_static_selectorELNS0_4arch9wavefront6targetE0EEEvT1_,"axG",@progbits,_ZN7rocprim17ROCPRIM_400000_NS6detail17trampoline_kernelINS0_14default_configENS1_25partition_config_selectorILNS1_17partition_subalgoE5ElNS0_10empty_typeEbEEZZNS1_14partition_implILS5_5ELb0ES3_mN6hipcub16HIPCUB_304000_NS21CountingInputIteratorIllEEPS6_NSA_22TransformInputIteratorIbN2at6native12_GLOBAL__N_19NonZeroOpIN3c107complexIfEEEEPKSL_lEENS0_5tupleIJPlS6_EEENSQ_IJSD_SD_EEES6_PiJS6_EEE10hipError_tPvRmT3_T4_T5_T6_T7_T9_mT8_P12ihipStream_tbDpT10_ENKUlT_T0_E_clISt17integral_constantIbLb1EES1E_EEDaS19_S1A_EUlS19_E_NS1_11comp_targetILNS1_3genE4ELNS1_11target_archE910ELNS1_3gpuE8ELNS1_3repE0EEENS1_30default_config_static_selectorELNS0_4arch9wavefront6targetE0EEEvT1_,comdat
.Lfunc_end604:
	.size	_ZN7rocprim17ROCPRIM_400000_NS6detail17trampoline_kernelINS0_14default_configENS1_25partition_config_selectorILNS1_17partition_subalgoE5ElNS0_10empty_typeEbEEZZNS1_14partition_implILS5_5ELb0ES3_mN6hipcub16HIPCUB_304000_NS21CountingInputIteratorIllEEPS6_NSA_22TransformInputIteratorIbN2at6native12_GLOBAL__N_19NonZeroOpIN3c107complexIfEEEEPKSL_lEENS0_5tupleIJPlS6_EEENSQ_IJSD_SD_EEES6_PiJS6_EEE10hipError_tPvRmT3_T4_T5_T6_T7_T9_mT8_P12ihipStream_tbDpT10_ENKUlT_T0_E_clISt17integral_constantIbLb1EES1E_EEDaS19_S1A_EUlS19_E_NS1_11comp_targetILNS1_3genE4ELNS1_11target_archE910ELNS1_3gpuE8ELNS1_3repE0EEENS1_30default_config_static_selectorELNS0_4arch9wavefront6targetE0EEEvT1_, .Lfunc_end604-_ZN7rocprim17ROCPRIM_400000_NS6detail17trampoline_kernelINS0_14default_configENS1_25partition_config_selectorILNS1_17partition_subalgoE5ElNS0_10empty_typeEbEEZZNS1_14partition_implILS5_5ELb0ES3_mN6hipcub16HIPCUB_304000_NS21CountingInputIteratorIllEEPS6_NSA_22TransformInputIteratorIbN2at6native12_GLOBAL__N_19NonZeroOpIN3c107complexIfEEEEPKSL_lEENS0_5tupleIJPlS6_EEENSQ_IJSD_SD_EEES6_PiJS6_EEE10hipError_tPvRmT3_T4_T5_T6_T7_T9_mT8_P12ihipStream_tbDpT10_ENKUlT_T0_E_clISt17integral_constantIbLb1EES1E_EEDaS19_S1A_EUlS19_E_NS1_11comp_targetILNS1_3genE4ELNS1_11target_archE910ELNS1_3gpuE8ELNS1_3repE0EEENS1_30default_config_static_selectorELNS0_4arch9wavefront6targetE0EEEvT1_
                                        ; -- End function
	.set _ZN7rocprim17ROCPRIM_400000_NS6detail17trampoline_kernelINS0_14default_configENS1_25partition_config_selectorILNS1_17partition_subalgoE5ElNS0_10empty_typeEbEEZZNS1_14partition_implILS5_5ELb0ES3_mN6hipcub16HIPCUB_304000_NS21CountingInputIteratorIllEEPS6_NSA_22TransformInputIteratorIbN2at6native12_GLOBAL__N_19NonZeroOpIN3c107complexIfEEEEPKSL_lEENS0_5tupleIJPlS6_EEENSQ_IJSD_SD_EEES6_PiJS6_EEE10hipError_tPvRmT3_T4_T5_T6_T7_T9_mT8_P12ihipStream_tbDpT10_ENKUlT_T0_E_clISt17integral_constantIbLb1EES1E_EEDaS19_S1A_EUlS19_E_NS1_11comp_targetILNS1_3genE4ELNS1_11target_archE910ELNS1_3gpuE8ELNS1_3repE0EEENS1_30default_config_static_selectorELNS0_4arch9wavefront6targetE0EEEvT1_.num_vgpr, 0
	.set _ZN7rocprim17ROCPRIM_400000_NS6detail17trampoline_kernelINS0_14default_configENS1_25partition_config_selectorILNS1_17partition_subalgoE5ElNS0_10empty_typeEbEEZZNS1_14partition_implILS5_5ELb0ES3_mN6hipcub16HIPCUB_304000_NS21CountingInputIteratorIllEEPS6_NSA_22TransformInputIteratorIbN2at6native12_GLOBAL__N_19NonZeroOpIN3c107complexIfEEEEPKSL_lEENS0_5tupleIJPlS6_EEENSQ_IJSD_SD_EEES6_PiJS6_EEE10hipError_tPvRmT3_T4_T5_T6_T7_T9_mT8_P12ihipStream_tbDpT10_ENKUlT_T0_E_clISt17integral_constantIbLb1EES1E_EEDaS19_S1A_EUlS19_E_NS1_11comp_targetILNS1_3genE4ELNS1_11target_archE910ELNS1_3gpuE8ELNS1_3repE0EEENS1_30default_config_static_selectorELNS0_4arch9wavefront6targetE0EEEvT1_.num_agpr, 0
	.set _ZN7rocprim17ROCPRIM_400000_NS6detail17trampoline_kernelINS0_14default_configENS1_25partition_config_selectorILNS1_17partition_subalgoE5ElNS0_10empty_typeEbEEZZNS1_14partition_implILS5_5ELb0ES3_mN6hipcub16HIPCUB_304000_NS21CountingInputIteratorIllEEPS6_NSA_22TransformInputIteratorIbN2at6native12_GLOBAL__N_19NonZeroOpIN3c107complexIfEEEEPKSL_lEENS0_5tupleIJPlS6_EEENSQ_IJSD_SD_EEES6_PiJS6_EEE10hipError_tPvRmT3_T4_T5_T6_T7_T9_mT8_P12ihipStream_tbDpT10_ENKUlT_T0_E_clISt17integral_constantIbLb1EES1E_EEDaS19_S1A_EUlS19_E_NS1_11comp_targetILNS1_3genE4ELNS1_11target_archE910ELNS1_3gpuE8ELNS1_3repE0EEENS1_30default_config_static_selectorELNS0_4arch9wavefront6targetE0EEEvT1_.numbered_sgpr, 0
	.set _ZN7rocprim17ROCPRIM_400000_NS6detail17trampoline_kernelINS0_14default_configENS1_25partition_config_selectorILNS1_17partition_subalgoE5ElNS0_10empty_typeEbEEZZNS1_14partition_implILS5_5ELb0ES3_mN6hipcub16HIPCUB_304000_NS21CountingInputIteratorIllEEPS6_NSA_22TransformInputIteratorIbN2at6native12_GLOBAL__N_19NonZeroOpIN3c107complexIfEEEEPKSL_lEENS0_5tupleIJPlS6_EEENSQ_IJSD_SD_EEES6_PiJS6_EEE10hipError_tPvRmT3_T4_T5_T6_T7_T9_mT8_P12ihipStream_tbDpT10_ENKUlT_T0_E_clISt17integral_constantIbLb1EES1E_EEDaS19_S1A_EUlS19_E_NS1_11comp_targetILNS1_3genE4ELNS1_11target_archE910ELNS1_3gpuE8ELNS1_3repE0EEENS1_30default_config_static_selectorELNS0_4arch9wavefront6targetE0EEEvT1_.num_named_barrier, 0
	.set _ZN7rocprim17ROCPRIM_400000_NS6detail17trampoline_kernelINS0_14default_configENS1_25partition_config_selectorILNS1_17partition_subalgoE5ElNS0_10empty_typeEbEEZZNS1_14partition_implILS5_5ELb0ES3_mN6hipcub16HIPCUB_304000_NS21CountingInputIteratorIllEEPS6_NSA_22TransformInputIteratorIbN2at6native12_GLOBAL__N_19NonZeroOpIN3c107complexIfEEEEPKSL_lEENS0_5tupleIJPlS6_EEENSQ_IJSD_SD_EEES6_PiJS6_EEE10hipError_tPvRmT3_T4_T5_T6_T7_T9_mT8_P12ihipStream_tbDpT10_ENKUlT_T0_E_clISt17integral_constantIbLb1EES1E_EEDaS19_S1A_EUlS19_E_NS1_11comp_targetILNS1_3genE4ELNS1_11target_archE910ELNS1_3gpuE8ELNS1_3repE0EEENS1_30default_config_static_selectorELNS0_4arch9wavefront6targetE0EEEvT1_.private_seg_size, 0
	.set _ZN7rocprim17ROCPRIM_400000_NS6detail17trampoline_kernelINS0_14default_configENS1_25partition_config_selectorILNS1_17partition_subalgoE5ElNS0_10empty_typeEbEEZZNS1_14partition_implILS5_5ELb0ES3_mN6hipcub16HIPCUB_304000_NS21CountingInputIteratorIllEEPS6_NSA_22TransformInputIteratorIbN2at6native12_GLOBAL__N_19NonZeroOpIN3c107complexIfEEEEPKSL_lEENS0_5tupleIJPlS6_EEENSQ_IJSD_SD_EEES6_PiJS6_EEE10hipError_tPvRmT3_T4_T5_T6_T7_T9_mT8_P12ihipStream_tbDpT10_ENKUlT_T0_E_clISt17integral_constantIbLb1EES1E_EEDaS19_S1A_EUlS19_E_NS1_11comp_targetILNS1_3genE4ELNS1_11target_archE910ELNS1_3gpuE8ELNS1_3repE0EEENS1_30default_config_static_selectorELNS0_4arch9wavefront6targetE0EEEvT1_.uses_vcc, 0
	.set _ZN7rocprim17ROCPRIM_400000_NS6detail17trampoline_kernelINS0_14default_configENS1_25partition_config_selectorILNS1_17partition_subalgoE5ElNS0_10empty_typeEbEEZZNS1_14partition_implILS5_5ELb0ES3_mN6hipcub16HIPCUB_304000_NS21CountingInputIteratorIllEEPS6_NSA_22TransformInputIteratorIbN2at6native12_GLOBAL__N_19NonZeroOpIN3c107complexIfEEEEPKSL_lEENS0_5tupleIJPlS6_EEENSQ_IJSD_SD_EEES6_PiJS6_EEE10hipError_tPvRmT3_T4_T5_T6_T7_T9_mT8_P12ihipStream_tbDpT10_ENKUlT_T0_E_clISt17integral_constantIbLb1EES1E_EEDaS19_S1A_EUlS19_E_NS1_11comp_targetILNS1_3genE4ELNS1_11target_archE910ELNS1_3gpuE8ELNS1_3repE0EEENS1_30default_config_static_selectorELNS0_4arch9wavefront6targetE0EEEvT1_.uses_flat_scratch, 0
	.set _ZN7rocprim17ROCPRIM_400000_NS6detail17trampoline_kernelINS0_14default_configENS1_25partition_config_selectorILNS1_17partition_subalgoE5ElNS0_10empty_typeEbEEZZNS1_14partition_implILS5_5ELb0ES3_mN6hipcub16HIPCUB_304000_NS21CountingInputIteratorIllEEPS6_NSA_22TransformInputIteratorIbN2at6native12_GLOBAL__N_19NonZeroOpIN3c107complexIfEEEEPKSL_lEENS0_5tupleIJPlS6_EEENSQ_IJSD_SD_EEES6_PiJS6_EEE10hipError_tPvRmT3_T4_T5_T6_T7_T9_mT8_P12ihipStream_tbDpT10_ENKUlT_T0_E_clISt17integral_constantIbLb1EES1E_EEDaS19_S1A_EUlS19_E_NS1_11comp_targetILNS1_3genE4ELNS1_11target_archE910ELNS1_3gpuE8ELNS1_3repE0EEENS1_30default_config_static_selectorELNS0_4arch9wavefront6targetE0EEEvT1_.has_dyn_sized_stack, 0
	.set _ZN7rocprim17ROCPRIM_400000_NS6detail17trampoline_kernelINS0_14default_configENS1_25partition_config_selectorILNS1_17partition_subalgoE5ElNS0_10empty_typeEbEEZZNS1_14partition_implILS5_5ELb0ES3_mN6hipcub16HIPCUB_304000_NS21CountingInputIteratorIllEEPS6_NSA_22TransformInputIteratorIbN2at6native12_GLOBAL__N_19NonZeroOpIN3c107complexIfEEEEPKSL_lEENS0_5tupleIJPlS6_EEENSQ_IJSD_SD_EEES6_PiJS6_EEE10hipError_tPvRmT3_T4_T5_T6_T7_T9_mT8_P12ihipStream_tbDpT10_ENKUlT_T0_E_clISt17integral_constantIbLb1EES1E_EEDaS19_S1A_EUlS19_E_NS1_11comp_targetILNS1_3genE4ELNS1_11target_archE910ELNS1_3gpuE8ELNS1_3repE0EEENS1_30default_config_static_selectorELNS0_4arch9wavefront6targetE0EEEvT1_.has_recursion, 0
	.set _ZN7rocprim17ROCPRIM_400000_NS6detail17trampoline_kernelINS0_14default_configENS1_25partition_config_selectorILNS1_17partition_subalgoE5ElNS0_10empty_typeEbEEZZNS1_14partition_implILS5_5ELb0ES3_mN6hipcub16HIPCUB_304000_NS21CountingInputIteratorIllEEPS6_NSA_22TransformInputIteratorIbN2at6native12_GLOBAL__N_19NonZeroOpIN3c107complexIfEEEEPKSL_lEENS0_5tupleIJPlS6_EEENSQ_IJSD_SD_EEES6_PiJS6_EEE10hipError_tPvRmT3_T4_T5_T6_T7_T9_mT8_P12ihipStream_tbDpT10_ENKUlT_T0_E_clISt17integral_constantIbLb1EES1E_EEDaS19_S1A_EUlS19_E_NS1_11comp_targetILNS1_3genE4ELNS1_11target_archE910ELNS1_3gpuE8ELNS1_3repE0EEENS1_30default_config_static_selectorELNS0_4arch9wavefront6targetE0EEEvT1_.has_indirect_call, 0
	.section	.AMDGPU.csdata,"",@progbits
; Kernel info:
; codeLenInByte = 0
; TotalNumSgprs: 0
; NumVgprs: 0
; ScratchSize: 0
; MemoryBound: 0
; FloatMode: 240
; IeeeMode: 1
; LDSByteSize: 0 bytes/workgroup (compile time only)
; SGPRBlocks: 0
; VGPRBlocks: 0
; NumSGPRsForWavesPerEU: 1
; NumVGPRsForWavesPerEU: 1
; Occupancy: 16
; WaveLimiterHint : 0
; COMPUTE_PGM_RSRC2:SCRATCH_EN: 0
; COMPUTE_PGM_RSRC2:USER_SGPR: 2
; COMPUTE_PGM_RSRC2:TRAP_HANDLER: 0
; COMPUTE_PGM_RSRC2:TGID_X_EN: 1
; COMPUTE_PGM_RSRC2:TGID_Y_EN: 0
; COMPUTE_PGM_RSRC2:TGID_Z_EN: 0
; COMPUTE_PGM_RSRC2:TIDIG_COMP_CNT: 0
	.section	.text._ZN7rocprim17ROCPRIM_400000_NS6detail17trampoline_kernelINS0_14default_configENS1_25partition_config_selectorILNS1_17partition_subalgoE5ElNS0_10empty_typeEbEEZZNS1_14partition_implILS5_5ELb0ES3_mN6hipcub16HIPCUB_304000_NS21CountingInputIteratorIllEEPS6_NSA_22TransformInputIteratorIbN2at6native12_GLOBAL__N_19NonZeroOpIN3c107complexIfEEEEPKSL_lEENS0_5tupleIJPlS6_EEENSQ_IJSD_SD_EEES6_PiJS6_EEE10hipError_tPvRmT3_T4_T5_T6_T7_T9_mT8_P12ihipStream_tbDpT10_ENKUlT_T0_E_clISt17integral_constantIbLb1EES1E_EEDaS19_S1A_EUlS19_E_NS1_11comp_targetILNS1_3genE3ELNS1_11target_archE908ELNS1_3gpuE7ELNS1_3repE0EEENS1_30default_config_static_selectorELNS0_4arch9wavefront6targetE0EEEvT1_,"axG",@progbits,_ZN7rocprim17ROCPRIM_400000_NS6detail17trampoline_kernelINS0_14default_configENS1_25partition_config_selectorILNS1_17partition_subalgoE5ElNS0_10empty_typeEbEEZZNS1_14partition_implILS5_5ELb0ES3_mN6hipcub16HIPCUB_304000_NS21CountingInputIteratorIllEEPS6_NSA_22TransformInputIteratorIbN2at6native12_GLOBAL__N_19NonZeroOpIN3c107complexIfEEEEPKSL_lEENS0_5tupleIJPlS6_EEENSQ_IJSD_SD_EEES6_PiJS6_EEE10hipError_tPvRmT3_T4_T5_T6_T7_T9_mT8_P12ihipStream_tbDpT10_ENKUlT_T0_E_clISt17integral_constantIbLb1EES1E_EEDaS19_S1A_EUlS19_E_NS1_11comp_targetILNS1_3genE3ELNS1_11target_archE908ELNS1_3gpuE7ELNS1_3repE0EEENS1_30default_config_static_selectorELNS0_4arch9wavefront6targetE0EEEvT1_,comdat
	.globl	_ZN7rocprim17ROCPRIM_400000_NS6detail17trampoline_kernelINS0_14default_configENS1_25partition_config_selectorILNS1_17partition_subalgoE5ElNS0_10empty_typeEbEEZZNS1_14partition_implILS5_5ELb0ES3_mN6hipcub16HIPCUB_304000_NS21CountingInputIteratorIllEEPS6_NSA_22TransformInputIteratorIbN2at6native12_GLOBAL__N_19NonZeroOpIN3c107complexIfEEEEPKSL_lEENS0_5tupleIJPlS6_EEENSQ_IJSD_SD_EEES6_PiJS6_EEE10hipError_tPvRmT3_T4_T5_T6_T7_T9_mT8_P12ihipStream_tbDpT10_ENKUlT_T0_E_clISt17integral_constantIbLb1EES1E_EEDaS19_S1A_EUlS19_E_NS1_11comp_targetILNS1_3genE3ELNS1_11target_archE908ELNS1_3gpuE7ELNS1_3repE0EEENS1_30default_config_static_selectorELNS0_4arch9wavefront6targetE0EEEvT1_ ; -- Begin function _ZN7rocprim17ROCPRIM_400000_NS6detail17trampoline_kernelINS0_14default_configENS1_25partition_config_selectorILNS1_17partition_subalgoE5ElNS0_10empty_typeEbEEZZNS1_14partition_implILS5_5ELb0ES3_mN6hipcub16HIPCUB_304000_NS21CountingInputIteratorIllEEPS6_NSA_22TransformInputIteratorIbN2at6native12_GLOBAL__N_19NonZeroOpIN3c107complexIfEEEEPKSL_lEENS0_5tupleIJPlS6_EEENSQ_IJSD_SD_EEES6_PiJS6_EEE10hipError_tPvRmT3_T4_T5_T6_T7_T9_mT8_P12ihipStream_tbDpT10_ENKUlT_T0_E_clISt17integral_constantIbLb1EES1E_EEDaS19_S1A_EUlS19_E_NS1_11comp_targetILNS1_3genE3ELNS1_11target_archE908ELNS1_3gpuE7ELNS1_3repE0EEENS1_30default_config_static_selectorELNS0_4arch9wavefront6targetE0EEEvT1_
	.p2align	8
	.type	_ZN7rocprim17ROCPRIM_400000_NS6detail17trampoline_kernelINS0_14default_configENS1_25partition_config_selectorILNS1_17partition_subalgoE5ElNS0_10empty_typeEbEEZZNS1_14partition_implILS5_5ELb0ES3_mN6hipcub16HIPCUB_304000_NS21CountingInputIteratorIllEEPS6_NSA_22TransformInputIteratorIbN2at6native12_GLOBAL__N_19NonZeroOpIN3c107complexIfEEEEPKSL_lEENS0_5tupleIJPlS6_EEENSQ_IJSD_SD_EEES6_PiJS6_EEE10hipError_tPvRmT3_T4_T5_T6_T7_T9_mT8_P12ihipStream_tbDpT10_ENKUlT_T0_E_clISt17integral_constantIbLb1EES1E_EEDaS19_S1A_EUlS19_E_NS1_11comp_targetILNS1_3genE3ELNS1_11target_archE908ELNS1_3gpuE7ELNS1_3repE0EEENS1_30default_config_static_selectorELNS0_4arch9wavefront6targetE0EEEvT1_,@function
_ZN7rocprim17ROCPRIM_400000_NS6detail17trampoline_kernelINS0_14default_configENS1_25partition_config_selectorILNS1_17partition_subalgoE5ElNS0_10empty_typeEbEEZZNS1_14partition_implILS5_5ELb0ES3_mN6hipcub16HIPCUB_304000_NS21CountingInputIteratorIllEEPS6_NSA_22TransformInputIteratorIbN2at6native12_GLOBAL__N_19NonZeroOpIN3c107complexIfEEEEPKSL_lEENS0_5tupleIJPlS6_EEENSQ_IJSD_SD_EEES6_PiJS6_EEE10hipError_tPvRmT3_T4_T5_T6_T7_T9_mT8_P12ihipStream_tbDpT10_ENKUlT_T0_E_clISt17integral_constantIbLb1EES1E_EEDaS19_S1A_EUlS19_E_NS1_11comp_targetILNS1_3genE3ELNS1_11target_archE908ELNS1_3gpuE7ELNS1_3repE0EEENS1_30default_config_static_selectorELNS0_4arch9wavefront6targetE0EEEvT1_: ; @_ZN7rocprim17ROCPRIM_400000_NS6detail17trampoline_kernelINS0_14default_configENS1_25partition_config_selectorILNS1_17partition_subalgoE5ElNS0_10empty_typeEbEEZZNS1_14partition_implILS5_5ELb0ES3_mN6hipcub16HIPCUB_304000_NS21CountingInputIteratorIllEEPS6_NSA_22TransformInputIteratorIbN2at6native12_GLOBAL__N_19NonZeroOpIN3c107complexIfEEEEPKSL_lEENS0_5tupleIJPlS6_EEENSQ_IJSD_SD_EEES6_PiJS6_EEE10hipError_tPvRmT3_T4_T5_T6_T7_T9_mT8_P12ihipStream_tbDpT10_ENKUlT_T0_E_clISt17integral_constantIbLb1EES1E_EEDaS19_S1A_EUlS19_E_NS1_11comp_targetILNS1_3genE3ELNS1_11target_archE908ELNS1_3gpuE7ELNS1_3repE0EEENS1_30default_config_static_selectorELNS0_4arch9wavefront6targetE0EEEvT1_
; %bb.0:
	.section	.rodata,"a",@progbits
	.p2align	6, 0x0
	.amdhsa_kernel _ZN7rocprim17ROCPRIM_400000_NS6detail17trampoline_kernelINS0_14default_configENS1_25partition_config_selectorILNS1_17partition_subalgoE5ElNS0_10empty_typeEbEEZZNS1_14partition_implILS5_5ELb0ES3_mN6hipcub16HIPCUB_304000_NS21CountingInputIteratorIllEEPS6_NSA_22TransformInputIteratorIbN2at6native12_GLOBAL__N_19NonZeroOpIN3c107complexIfEEEEPKSL_lEENS0_5tupleIJPlS6_EEENSQ_IJSD_SD_EEES6_PiJS6_EEE10hipError_tPvRmT3_T4_T5_T6_T7_T9_mT8_P12ihipStream_tbDpT10_ENKUlT_T0_E_clISt17integral_constantIbLb1EES1E_EEDaS19_S1A_EUlS19_E_NS1_11comp_targetILNS1_3genE3ELNS1_11target_archE908ELNS1_3gpuE7ELNS1_3repE0EEENS1_30default_config_static_selectorELNS0_4arch9wavefront6targetE0EEEvT1_
		.amdhsa_group_segment_fixed_size 0
		.amdhsa_private_segment_fixed_size 0
		.amdhsa_kernarg_size 136
		.amdhsa_user_sgpr_count 2
		.amdhsa_user_sgpr_dispatch_ptr 0
		.amdhsa_user_sgpr_queue_ptr 0
		.amdhsa_user_sgpr_kernarg_segment_ptr 1
		.amdhsa_user_sgpr_dispatch_id 0
		.amdhsa_user_sgpr_private_segment_size 0
		.amdhsa_wavefront_size32 1
		.amdhsa_uses_dynamic_stack 0
		.amdhsa_enable_private_segment 0
		.amdhsa_system_sgpr_workgroup_id_x 1
		.amdhsa_system_sgpr_workgroup_id_y 0
		.amdhsa_system_sgpr_workgroup_id_z 0
		.amdhsa_system_sgpr_workgroup_info 0
		.amdhsa_system_vgpr_workitem_id 0
		.amdhsa_next_free_vgpr 1
		.amdhsa_next_free_sgpr 1
		.amdhsa_reserve_vcc 0
		.amdhsa_float_round_mode_32 0
		.amdhsa_float_round_mode_16_64 0
		.amdhsa_float_denorm_mode_32 3
		.amdhsa_float_denorm_mode_16_64 3
		.amdhsa_fp16_overflow 0
		.amdhsa_workgroup_processor_mode 1
		.amdhsa_memory_ordered 1
		.amdhsa_forward_progress 1
		.amdhsa_inst_pref_size 0
		.amdhsa_round_robin_scheduling 0
		.amdhsa_exception_fp_ieee_invalid_op 0
		.amdhsa_exception_fp_denorm_src 0
		.amdhsa_exception_fp_ieee_div_zero 0
		.amdhsa_exception_fp_ieee_overflow 0
		.amdhsa_exception_fp_ieee_underflow 0
		.amdhsa_exception_fp_ieee_inexact 0
		.amdhsa_exception_int_div_zero 0
	.end_amdhsa_kernel
	.section	.text._ZN7rocprim17ROCPRIM_400000_NS6detail17trampoline_kernelINS0_14default_configENS1_25partition_config_selectorILNS1_17partition_subalgoE5ElNS0_10empty_typeEbEEZZNS1_14partition_implILS5_5ELb0ES3_mN6hipcub16HIPCUB_304000_NS21CountingInputIteratorIllEEPS6_NSA_22TransformInputIteratorIbN2at6native12_GLOBAL__N_19NonZeroOpIN3c107complexIfEEEEPKSL_lEENS0_5tupleIJPlS6_EEENSQ_IJSD_SD_EEES6_PiJS6_EEE10hipError_tPvRmT3_T4_T5_T6_T7_T9_mT8_P12ihipStream_tbDpT10_ENKUlT_T0_E_clISt17integral_constantIbLb1EES1E_EEDaS19_S1A_EUlS19_E_NS1_11comp_targetILNS1_3genE3ELNS1_11target_archE908ELNS1_3gpuE7ELNS1_3repE0EEENS1_30default_config_static_selectorELNS0_4arch9wavefront6targetE0EEEvT1_,"axG",@progbits,_ZN7rocprim17ROCPRIM_400000_NS6detail17trampoline_kernelINS0_14default_configENS1_25partition_config_selectorILNS1_17partition_subalgoE5ElNS0_10empty_typeEbEEZZNS1_14partition_implILS5_5ELb0ES3_mN6hipcub16HIPCUB_304000_NS21CountingInputIteratorIllEEPS6_NSA_22TransformInputIteratorIbN2at6native12_GLOBAL__N_19NonZeroOpIN3c107complexIfEEEEPKSL_lEENS0_5tupleIJPlS6_EEENSQ_IJSD_SD_EEES6_PiJS6_EEE10hipError_tPvRmT3_T4_T5_T6_T7_T9_mT8_P12ihipStream_tbDpT10_ENKUlT_T0_E_clISt17integral_constantIbLb1EES1E_EEDaS19_S1A_EUlS19_E_NS1_11comp_targetILNS1_3genE3ELNS1_11target_archE908ELNS1_3gpuE7ELNS1_3repE0EEENS1_30default_config_static_selectorELNS0_4arch9wavefront6targetE0EEEvT1_,comdat
.Lfunc_end605:
	.size	_ZN7rocprim17ROCPRIM_400000_NS6detail17trampoline_kernelINS0_14default_configENS1_25partition_config_selectorILNS1_17partition_subalgoE5ElNS0_10empty_typeEbEEZZNS1_14partition_implILS5_5ELb0ES3_mN6hipcub16HIPCUB_304000_NS21CountingInputIteratorIllEEPS6_NSA_22TransformInputIteratorIbN2at6native12_GLOBAL__N_19NonZeroOpIN3c107complexIfEEEEPKSL_lEENS0_5tupleIJPlS6_EEENSQ_IJSD_SD_EEES6_PiJS6_EEE10hipError_tPvRmT3_T4_T5_T6_T7_T9_mT8_P12ihipStream_tbDpT10_ENKUlT_T0_E_clISt17integral_constantIbLb1EES1E_EEDaS19_S1A_EUlS19_E_NS1_11comp_targetILNS1_3genE3ELNS1_11target_archE908ELNS1_3gpuE7ELNS1_3repE0EEENS1_30default_config_static_selectorELNS0_4arch9wavefront6targetE0EEEvT1_, .Lfunc_end605-_ZN7rocprim17ROCPRIM_400000_NS6detail17trampoline_kernelINS0_14default_configENS1_25partition_config_selectorILNS1_17partition_subalgoE5ElNS0_10empty_typeEbEEZZNS1_14partition_implILS5_5ELb0ES3_mN6hipcub16HIPCUB_304000_NS21CountingInputIteratorIllEEPS6_NSA_22TransformInputIteratorIbN2at6native12_GLOBAL__N_19NonZeroOpIN3c107complexIfEEEEPKSL_lEENS0_5tupleIJPlS6_EEENSQ_IJSD_SD_EEES6_PiJS6_EEE10hipError_tPvRmT3_T4_T5_T6_T7_T9_mT8_P12ihipStream_tbDpT10_ENKUlT_T0_E_clISt17integral_constantIbLb1EES1E_EEDaS19_S1A_EUlS19_E_NS1_11comp_targetILNS1_3genE3ELNS1_11target_archE908ELNS1_3gpuE7ELNS1_3repE0EEENS1_30default_config_static_selectorELNS0_4arch9wavefront6targetE0EEEvT1_
                                        ; -- End function
	.set _ZN7rocprim17ROCPRIM_400000_NS6detail17trampoline_kernelINS0_14default_configENS1_25partition_config_selectorILNS1_17partition_subalgoE5ElNS0_10empty_typeEbEEZZNS1_14partition_implILS5_5ELb0ES3_mN6hipcub16HIPCUB_304000_NS21CountingInputIteratorIllEEPS6_NSA_22TransformInputIteratorIbN2at6native12_GLOBAL__N_19NonZeroOpIN3c107complexIfEEEEPKSL_lEENS0_5tupleIJPlS6_EEENSQ_IJSD_SD_EEES6_PiJS6_EEE10hipError_tPvRmT3_T4_T5_T6_T7_T9_mT8_P12ihipStream_tbDpT10_ENKUlT_T0_E_clISt17integral_constantIbLb1EES1E_EEDaS19_S1A_EUlS19_E_NS1_11comp_targetILNS1_3genE3ELNS1_11target_archE908ELNS1_3gpuE7ELNS1_3repE0EEENS1_30default_config_static_selectorELNS0_4arch9wavefront6targetE0EEEvT1_.num_vgpr, 0
	.set _ZN7rocprim17ROCPRIM_400000_NS6detail17trampoline_kernelINS0_14default_configENS1_25partition_config_selectorILNS1_17partition_subalgoE5ElNS0_10empty_typeEbEEZZNS1_14partition_implILS5_5ELb0ES3_mN6hipcub16HIPCUB_304000_NS21CountingInputIteratorIllEEPS6_NSA_22TransformInputIteratorIbN2at6native12_GLOBAL__N_19NonZeroOpIN3c107complexIfEEEEPKSL_lEENS0_5tupleIJPlS6_EEENSQ_IJSD_SD_EEES6_PiJS6_EEE10hipError_tPvRmT3_T4_T5_T6_T7_T9_mT8_P12ihipStream_tbDpT10_ENKUlT_T0_E_clISt17integral_constantIbLb1EES1E_EEDaS19_S1A_EUlS19_E_NS1_11comp_targetILNS1_3genE3ELNS1_11target_archE908ELNS1_3gpuE7ELNS1_3repE0EEENS1_30default_config_static_selectorELNS0_4arch9wavefront6targetE0EEEvT1_.num_agpr, 0
	.set _ZN7rocprim17ROCPRIM_400000_NS6detail17trampoline_kernelINS0_14default_configENS1_25partition_config_selectorILNS1_17partition_subalgoE5ElNS0_10empty_typeEbEEZZNS1_14partition_implILS5_5ELb0ES3_mN6hipcub16HIPCUB_304000_NS21CountingInputIteratorIllEEPS6_NSA_22TransformInputIteratorIbN2at6native12_GLOBAL__N_19NonZeroOpIN3c107complexIfEEEEPKSL_lEENS0_5tupleIJPlS6_EEENSQ_IJSD_SD_EEES6_PiJS6_EEE10hipError_tPvRmT3_T4_T5_T6_T7_T9_mT8_P12ihipStream_tbDpT10_ENKUlT_T0_E_clISt17integral_constantIbLb1EES1E_EEDaS19_S1A_EUlS19_E_NS1_11comp_targetILNS1_3genE3ELNS1_11target_archE908ELNS1_3gpuE7ELNS1_3repE0EEENS1_30default_config_static_selectorELNS0_4arch9wavefront6targetE0EEEvT1_.numbered_sgpr, 0
	.set _ZN7rocprim17ROCPRIM_400000_NS6detail17trampoline_kernelINS0_14default_configENS1_25partition_config_selectorILNS1_17partition_subalgoE5ElNS0_10empty_typeEbEEZZNS1_14partition_implILS5_5ELb0ES3_mN6hipcub16HIPCUB_304000_NS21CountingInputIteratorIllEEPS6_NSA_22TransformInputIteratorIbN2at6native12_GLOBAL__N_19NonZeroOpIN3c107complexIfEEEEPKSL_lEENS0_5tupleIJPlS6_EEENSQ_IJSD_SD_EEES6_PiJS6_EEE10hipError_tPvRmT3_T4_T5_T6_T7_T9_mT8_P12ihipStream_tbDpT10_ENKUlT_T0_E_clISt17integral_constantIbLb1EES1E_EEDaS19_S1A_EUlS19_E_NS1_11comp_targetILNS1_3genE3ELNS1_11target_archE908ELNS1_3gpuE7ELNS1_3repE0EEENS1_30default_config_static_selectorELNS0_4arch9wavefront6targetE0EEEvT1_.num_named_barrier, 0
	.set _ZN7rocprim17ROCPRIM_400000_NS6detail17trampoline_kernelINS0_14default_configENS1_25partition_config_selectorILNS1_17partition_subalgoE5ElNS0_10empty_typeEbEEZZNS1_14partition_implILS5_5ELb0ES3_mN6hipcub16HIPCUB_304000_NS21CountingInputIteratorIllEEPS6_NSA_22TransformInputIteratorIbN2at6native12_GLOBAL__N_19NonZeroOpIN3c107complexIfEEEEPKSL_lEENS0_5tupleIJPlS6_EEENSQ_IJSD_SD_EEES6_PiJS6_EEE10hipError_tPvRmT3_T4_T5_T6_T7_T9_mT8_P12ihipStream_tbDpT10_ENKUlT_T0_E_clISt17integral_constantIbLb1EES1E_EEDaS19_S1A_EUlS19_E_NS1_11comp_targetILNS1_3genE3ELNS1_11target_archE908ELNS1_3gpuE7ELNS1_3repE0EEENS1_30default_config_static_selectorELNS0_4arch9wavefront6targetE0EEEvT1_.private_seg_size, 0
	.set _ZN7rocprim17ROCPRIM_400000_NS6detail17trampoline_kernelINS0_14default_configENS1_25partition_config_selectorILNS1_17partition_subalgoE5ElNS0_10empty_typeEbEEZZNS1_14partition_implILS5_5ELb0ES3_mN6hipcub16HIPCUB_304000_NS21CountingInputIteratorIllEEPS6_NSA_22TransformInputIteratorIbN2at6native12_GLOBAL__N_19NonZeroOpIN3c107complexIfEEEEPKSL_lEENS0_5tupleIJPlS6_EEENSQ_IJSD_SD_EEES6_PiJS6_EEE10hipError_tPvRmT3_T4_T5_T6_T7_T9_mT8_P12ihipStream_tbDpT10_ENKUlT_T0_E_clISt17integral_constantIbLb1EES1E_EEDaS19_S1A_EUlS19_E_NS1_11comp_targetILNS1_3genE3ELNS1_11target_archE908ELNS1_3gpuE7ELNS1_3repE0EEENS1_30default_config_static_selectorELNS0_4arch9wavefront6targetE0EEEvT1_.uses_vcc, 0
	.set _ZN7rocprim17ROCPRIM_400000_NS6detail17trampoline_kernelINS0_14default_configENS1_25partition_config_selectorILNS1_17partition_subalgoE5ElNS0_10empty_typeEbEEZZNS1_14partition_implILS5_5ELb0ES3_mN6hipcub16HIPCUB_304000_NS21CountingInputIteratorIllEEPS6_NSA_22TransformInputIteratorIbN2at6native12_GLOBAL__N_19NonZeroOpIN3c107complexIfEEEEPKSL_lEENS0_5tupleIJPlS6_EEENSQ_IJSD_SD_EEES6_PiJS6_EEE10hipError_tPvRmT3_T4_T5_T6_T7_T9_mT8_P12ihipStream_tbDpT10_ENKUlT_T0_E_clISt17integral_constantIbLb1EES1E_EEDaS19_S1A_EUlS19_E_NS1_11comp_targetILNS1_3genE3ELNS1_11target_archE908ELNS1_3gpuE7ELNS1_3repE0EEENS1_30default_config_static_selectorELNS0_4arch9wavefront6targetE0EEEvT1_.uses_flat_scratch, 0
	.set _ZN7rocprim17ROCPRIM_400000_NS6detail17trampoline_kernelINS0_14default_configENS1_25partition_config_selectorILNS1_17partition_subalgoE5ElNS0_10empty_typeEbEEZZNS1_14partition_implILS5_5ELb0ES3_mN6hipcub16HIPCUB_304000_NS21CountingInputIteratorIllEEPS6_NSA_22TransformInputIteratorIbN2at6native12_GLOBAL__N_19NonZeroOpIN3c107complexIfEEEEPKSL_lEENS0_5tupleIJPlS6_EEENSQ_IJSD_SD_EEES6_PiJS6_EEE10hipError_tPvRmT3_T4_T5_T6_T7_T9_mT8_P12ihipStream_tbDpT10_ENKUlT_T0_E_clISt17integral_constantIbLb1EES1E_EEDaS19_S1A_EUlS19_E_NS1_11comp_targetILNS1_3genE3ELNS1_11target_archE908ELNS1_3gpuE7ELNS1_3repE0EEENS1_30default_config_static_selectorELNS0_4arch9wavefront6targetE0EEEvT1_.has_dyn_sized_stack, 0
	.set _ZN7rocprim17ROCPRIM_400000_NS6detail17trampoline_kernelINS0_14default_configENS1_25partition_config_selectorILNS1_17partition_subalgoE5ElNS0_10empty_typeEbEEZZNS1_14partition_implILS5_5ELb0ES3_mN6hipcub16HIPCUB_304000_NS21CountingInputIteratorIllEEPS6_NSA_22TransformInputIteratorIbN2at6native12_GLOBAL__N_19NonZeroOpIN3c107complexIfEEEEPKSL_lEENS0_5tupleIJPlS6_EEENSQ_IJSD_SD_EEES6_PiJS6_EEE10hipError_tPvRmT3_T4_T5_T6_T7_T9_mT8_P12ihipStream_tbDpT10_ENKUlT_T0_E_clISt17integral_constantIbLb1EES1E_EEDaS19_S1A_EUlS19_E_NS1_11comp_targetILNS1_3genE3ELNS1_11target_archE908ELNS1_3gpuE7ELNS1_3repE0EEENS1_30default_config_static_selectorELNS0_4arch9wavefront6targetE0EEEvT1_.has_recursion, 0
	.set _ZN7rocprim17ROCPRIM_400000_NS6detail17trampoline_kernelINS0_14default_configENS1_25partition_config_selectorILNS1_17partition_subalgoE5ElNS0_10empty_typeEbEEZZNS1_14partition_implILS5_5ELb0ES3_mN6hipcub16HIPCUB_304000_NS21CountingInputIteratorIllEEPS6_NSA_22TransformInputIteratorIbN2at6native12_GLOBAL__N_19NonZeroOpIN3c107complexIfEEEEPKSL_lEENS0_5tupleIJPlS6_EEENSQ_IJSD_SD_EEES6_PiJS6_EEE10hipError_tPvRmT3_T4_T5_T6_T7_T9_mT8_P12ihipStream_tbDpT10_ENKUlT_T0_E_clISt17integral_constantIbLb1EES1E_EEDaS19_S1A_EUlS19_E_NS1_11comp_targetILNS1_3genE3ELNS1_11target_archE908ELNS1_3gpuE7ELNS1_3repE0EEENS1_30default_config_static_selectorELNS0_4arch9wavefront6targetE0EEEvT1_.has_indirect_call, 0
	.section	.AMDGPU.csdata,"",@progbits
; Kernel info:
; codeLenInByte = 0
; TotalNumSgprs: 0
; NumVgprs: 0
; ScratchSize: 0
; MemoryBound: 0
; FloatMode: 240
; IeeeMode: 1
; LDSByteSize: 0 bytes/workgroup (compile time only)
; SGPRBlocks: 0
; VGPRBlocks: 0
; NumSGPRsForWavesPerEU: 1
; NumVGPRsForWavesPerEU: 1
; Occupancy: 16
; WaveLimiterHint : 0
; COMPUTE_PGM_RSRC2:SCRATCH_EN: 0
; COMPUTE_PGM_RSRC2:USER_SGPR: 2
; COMPUTE_PGM_RSRC2:TRAP_HANDLER: 0
; COMPUTE_PGM_RSRC2:TGID_X_EN: 1
; COMPUTE_PGM_RSRC2:TGID_Y_EN: 0
; COMPUTE_PGM_RSRC2:TGID_Z_EN: 0
; COMPUTE_PGM_RSRC2:TIDIG_COMP_CNT: 0
	.section	.text._ZN7rocprim17ROCPRIM_400000_NS6detail17trampoline_kernelINS0_14default_configENS1_25partition_config_selectorILNS1_17partition_subalgoE5ElNS0_10empty_typeEbEEZZNS1_14partition_implILS5_5ELb0ES3_mN6hipcub16HIPCUB_304000_NS21CountingInputIteratorIllEEPS6_NSA_22TransformInputIteratorIbN2at6native12_GLOBAL__N_19NonZeroOpIN3c107complexIfEEEEPKSL_lEENS0_5tupleIJPlS6_EEENSQ_IJSD_SD_EEES6_PiJS6_EEE10hipError_tPvRmT3_T4_T5_T6_T7_T9_mT8_P12ihipStream_tbDpT10_ENKUlT_T0_E_clISt17integral_constantIbLb1EES1E_EEDaS19_S1A_EUlS19_E_NS1_11comp_targetILNS1_3genE2ELNS1_11target_archE906ELNS1_3gpuE6ELNS1_3repE0EEENS1_30default_config_static_selectorELNS0_4arch9wavefront6targetE0EEEvT1_,"axG",@progbits,_ZN7rocprim17ROCPRIM_400000_NS6detail17trampoline_kernelINS0_14default_configENS1_25partition_config_selectorILNS1_17partition_subalgoE5ElNS0_10empty_typeEbEEZZNS1_14partition_implILS5_5ELb0ES3_mN6hipcub16HIPCUB_304000_NS21CountingInputIteratorIllEEPS6_NSA_22TransformInputIteratorIbN2at6native12_GLOBAL__N_19NonZeroOpIN3c107complexIfEEEEPKSL_lEENS0_5tupleIJPlS6_EEENSQ_IJSD_SD_EEES6_PiJS6_EEE10hipError_tPvRmT3_T4_T5_T6_T7_T9_mT8_P12ihipStream_tbDpT10_ENKUlT_T0_E_clISt17integral_constantIbLb1EES1E_EEDaS19_S1A_EUlS19_E_NS1_11comp_targetILNS1_3genE2ELNS1_11target_archE906ELNS1_3gpuE6ELNS1_3repE0EEENS1_30default_config_static_selectorELNS0_4arch9wavefront6targetE0EEEvT1_,comdat
	.globl	_ZN7rocprim17ROCPRIM_400000_NS6detail17trampoline_kernelINS0_14default_configENS1_25partition_config_selectorILNS1_17partition_subalgoE5ElNS0_10empty_typeEbEEZZNS1_14partition_implILS5_5ELb0ES3_mN6hipcub16HIPCUB_304000_NS21CountingInputIteratorIllEEPS6_NSA_22TransformInputIteratorIbN2at6native12_GLOBAL__N_19NonZeroOpIN3c107complexIfEEEEPKSL_lEENS0_5tupleIJPlS6_EEENSQ_IJSD_SD_EEES6_PiJS6_EEE10hipError_tPvRmT3_T4_T5_T6_T7_T9_mT8_P12ihipStream_tbDpT10_ENKUlT_T0_E_clISt17integral_constantIbLb1EES1E_EEDaS19_S1A_EUlS19_E_NS1_11comp_targetILNS1_3genE2ELNS1_11target_archE906ELNS1_3gpuE6ELNS1_3repE0EEENS1_30default_config_static_selectorELNS0_4arch9wavefront6targetE0EEEvT1_ ; -- Begin function _ZN7rocprim17ROCPRIM_400000_NS6detail17trampoline_kernelINS0_14default_configENS1_25partition_config_selectorILNS1_17partition_subalgoE5ElNS0_10empty_typeEbEEZZNS1_14partition_implILS5_5ELb0ES3_mN6hipcub16HIPCUB_304000_NS21CountingInputIteratorIllEEPS6_NSA_22TransformInputIteratorIbN2at6native12_GLOBAL__N_19NonZeroOpIN3c107complexIfEEEEPKSL_lEENS0_5tupleIJPlS6_EEENSQ_IJSD_SD_EEES6_PiJS6_EEE10hipError_tPvRmT3_T4_T5_T6_T7_T9_mT8_P12ihipStream_tbDpT10_ENKUlT_T0_E_clISt17integral_constantIbLb1EES1E_EEDaS19_S1A_EUlS19_E_NS1_11comp_targetILNS1_3genE2ELNS1_11target_archE906ELNS1_3gpuE6ELNS1_3repE0EEENS1_30default_config_static_selectorELNS0_4arch9wavefront6targetE0EEEvT1_
	.p2align	8
	.type	_ZN7rocprim17ROCPRIM_400000_NS6detail17trampoline_kernelINS0_14default_configENS1_25partition_config_selectorILNS1_17partition_subalgoE5ElNS0_10empty_typeEbEEZZNS1_14partition_implILS5_5ELb0ES3_mN6hipcub16HIPCUB_304000_NS21CountingInputIteratorIllEEPS6_NSA_22TransformInputIteratorIbN2at6native12_GLOBAL__N_19NonZeroOpIN3c107complexIfEEEEPKSL_lEENS0_5tupleIJPlS6_EEENSQ_IJSD_SD_EEES6_PiJS6_EEE10hipError_tPvRmT3_T4_T5_T6_T7_T9_mT8_P12ihipStream_tbDpT10_ENKUlT_T0_E_clISt17integral_constantIbLb1EES1E_EEDaS19_S1A_EUlS19_E_NS1_11comp_targetILNS1_3genE2ELNS1_11target_archE906ELNS1_3gpuE6ELNS1_3repE0EEENS1_30default_config_static_selectorELNS0_4arch9wavefront6targetE0EEEvT1_,@function
_ZN7rocprim17ROCPRIM_400000_NS6detail17trampoline_kernelINS0_14default_configENS1_25partition_config_selectorILNS1_17partition_subalgoE5ElNS0_10empty_typeEbEEZZNS1_14partition_implILS5_5ELb0ES3_mN6hipcub16HIPCUB_304000_NS21CountingInputIteratorIllEEPS6_NSA_22TransformInputIteratorIbN2at6native12_GLOBAL__N_19NonZeroOpIN3c107complexIfEEEEPKSL_lEENS0_5tupleIJPlS6_EEENSQ_IJSD_SD_EEES6_PiJS6_EEE10hipError_tPvRmT3_T4_T5_T6_T7_T9_mT8_P12ihipStream_tbDpT10_ENKUlT_T0_E_clISt17integral_constantIbLb1EES1E_EEDaS19_S1A_EUlS19_E_NS1_11comp_targetILNS1_3genE2ELNS1_11target_archE906ELNS1_3gpuE6ELNS1_3repE0EEENS1_30default_config_static_selectorELNS0_4arch9wavefront6targetE0EEEvT1_: ; @_ZN7rocprim17ROCPRIM_400000_NS6detail17trampoline_kernelINS0_14default_configENS1_25partition_config_selectorILNS1_17partition_subalgoE5ElNS0_10empty_typeEbEEZZNS1_14partition_implILS5_5ELb0ES3_mN6hipcub16HIPCUB_304000_NS21CountingInputIteratorIllEEPS6_NSA_22TransformInputIteratorIbN2at6native12_GLOBAL__N_19NonZeroOpIN3c107complexIfEEEEPKSL_lEENS0_5tupleIJPlS6_EEENSQ_IJSD_SD_EEES6_PiJS6_EEE10hipError_tPvRmT3_T4_T5_T6_T7_T9_mT8_P12ihipStream_tbDpT10_ENKUlT_T0_E_clISt17integral_constantIbLb1EES1E_EEDaS19_S1A_EUlS19_E_NS1_11comp_targetILNS1_3genE2ELNS1_11target_archE906ELNS1_3gpuE6ELNS1_3repE0EEENS1_30default_config_static_selectorELNS0_4arch9wavefront6targetE0EEEvT1_
; %bb.0:
	.section	.rodata,"a",@progbits
	.p2align	6, 0x0
	.amdhsa_kernel _ZN7rocprim17ROCPRIM_400000_NS6detail17trampoline_kernelINS0_14default_configENS1_25partition_config_selectorILNS1_17partition_subalgoE5ElNS0_10empty_typeEbEEZZNS1_14partition_implILS5_5ELb0ES3_mN6hipcub16HIPCUB_304000_NS21CountingInputIteratorIllEEPS6_NSA_22TransformInputIteratorIbN2at6native12_GLOBAL__N_19NonZeroOpIN3c107complexIfEEEEPKSL_lEENS0_5tupleIJPlS6_EEENSQ_IJSD_SD_EEES6_PiJS6_EEE10hipError_tPvRmT3_T4_T5_T6_T7_T9_mT8_P12ihipStream_tbDpT10_ENKUlT_T0_E_clISt17integral_constantIbLb1EES1E_EEDaS19_S1A_EUlS19_E_NS1_11comp_targetILNS1_3genE2ELNS1_11target_archE906ELNS1_3gpuE6ELNS1_3repE0EEENS1_30default_config_static_selectorELNS0_4arch9wavefront6targetE0EEEvT1_
		.amdhsa_group_segment_fixed_size 0
		.amdhsa_private_segment_fixed_size 0
		.amdhsa_kernarg_size 136
		.amdhsa_user_sgpr_count 2
		.amdhsa_user_sgpr_dispatch_ptr 0
		.amdhsa_user_sgpr_queue_ptr 0
		.amdhsa_user_sgpr_kernarg_segment_ptr 1
		.amdhsa_user_sgpr_dispatch_id 0
		.amdhsa_user_sgpr_private_segment_size 0
		.amdhsa_wavefront_size32 1
		.amdhsa_uses_dynamic_stack 0
		.amdhsa_enable_private_segment 0
		.amdhsa_system_sgpr_workgroup_id_x 1
		.amdhsa_system_sgpr_workgroup_id_y 0
		.amdhsa_system_sgpr_workgroup_id_z 0
		.amdhsa_system_sgpr_workgroup_info 0
		.amdhsa_system_vgpr_workitem_id 0
		.amdhsa_next_free_vgpr 1
		.amdhsa_next_free_sgpr 1
		.amdhsa_reserve_vcc 0
		.amdhsa_float_round_mode_32 0
		.amdhsa_float_round_mode_16_64 0
		.amdhsa_float_denorm_mode_32 3
		.amdhsa_float_denorm_mode_16_64 3
		.amdhsa_fp16_overflow 0
		.amdhsa_workgroup_processor_mode 1
		.amdhsa_memory_ordered 1
		.amdhsa_forward_progress 1
		.amdhsa_inst_pref_size 0
		.amdhsa_round_robin_scheduling 0
		.amdhsa_exception_fp_ieee_invalid_op 0
		.amdhsa_exception_fp_denorm_src 0
		.amdhsa_exception_fp_ieee_div_zero 0
		.amdhsa_exception_fp_ieee_overflow 0
		.amdhsa_exception_fp_ieee_underflow 0
		.amdhsa_exception_fp_ieee_inexact 0
		.amdhsa_exception_int_div_zero 0
	.end_amdhsa_kernel
	.section	.text._ZN7rocprim17ROCPRIM_400000_NS6detail17trampoline_kernelINS0_14default_configENS1_25partition_config_selectorILNS1_17partition_subalgoE5ElNS0_10empty_typeEbEEZZNS1_14partition_implILS5_5ELb0ES3_mN6hipcub16HIPCUB_304000_NS21CountingInputIteratorIllEEPS6_NSA_22TransformInputIteratorIbN2at6native12_GLOBAL__N_19NonZeroOpIN3c107complexIfEEEEPKSL_lEENS0_5tupleIJPlS6_EEENSQ_IJSD_SD_EEES6_PiJS6_EEE10hipError_tPvRmT3_T4_T5_T6_T7_T9_mT8_P12ihipStream_tbDpT10_ENKUlT_T0_E_clISt17integral_constantIbLb1EES1E_EEDaS19_S1A_EUlS19_E_NS1_11comp_targetILNS1_3genE2ELNS1_11target_archE906ELNS1_3gpuE6ELNS1_3repE0EEENS1_30default_config_static_selectorELNS0_4arch9wavefront6targetE0EEEvT1_,"axG",@progbits,_ZN7rocprim17ROCPRIM_400000_NS6detail17trampoline_kernelINS0_14default_configENS1_25partition_config_selectorILNS1_17partition_subalgoE5ElNS0_10empty_typeEbEEZZNS1_14partition_implILS5_5ELb0ES3_mN6hipcub16HIPCUB_304000_NS21CountingInputIteratorIllEEPS6_NSA_22TransformInputIteratorIbN2at6native12_GLOBAL__N_19NonZeroOpIN3c107complexIfEEEEPKSL_lEENS0_5tupleIJPlS6_EEENSQ_IJSD_SD_EEES6_PiJS6_EEE10hipError_tPvRmT3_T4_T5_T6_T7_T9_mT8_P12ihipStream_tbDpT10_ENKUlT_T0_E_clISt17integral_constantIbLb1EES1E_EEDaS19_S1A_EUlS19_E_NS1_11comp_targetILNS1_3genE2ELNS1_11target_archE906ELNS1_3gpuE6ELNS1_3repE0EEENS1_30default_config_static_selectorELNS0_4arch9wavefront6targetE0EEEvT1_,comdat
.Lfunc_end606:
	.size	_ZN7rocprim17ROCPRIM_400000_NS6detail17trampoline_kernelINS0_14default_configENS1_25partition_config_selectorILNS1_17partition_subalgoE5ElNS0_10empty_typeEbEEZZNS1_14partition_implILS5_5ELb0ES3_mN6hipcub16HIPCUB_304000_NS21CountingInputIteratorIllEEPS6_NSA_22TransformInputIteratorIbN2at6native12_GLOBAL__N_19NonZeroOpIN3c107complexIfEEEEPKSL_lEENS0_5tupleIJPlS6_EEENSQ_IJSD_SD_EEES6_PiJS6_EEE10hipError_tPvRmT3_T4_T5_T6_T7_T9_mT8_P12ihipStream_tbDpT10_ENKUlT_T0_E_clISt17integral_constantIbLb1EES1E_EEDaS19_S1A_EUlS19_E_NS1_11comp_targetILNS1_3genE2ELNS1_11target_archE906ELNS1_3gpuE6ELNS1_3repE0EEENS1_30default_config_static_selectorELNS0_4arch9wavefront6targetE0EEEvT1_, .Lfunc_end606-_ZN7rocprim17ROCPRIM_400000_NS6detail17trampoline_kernelINS0_14default_configENS1_25partition_config_selectorILNS1_17partition_subalgoE5ElNS0_10empty_typeEbEEZZNS1_14partition_implILS5_5ELb0ES3_mN6hipcub16HIPCUB_304000_NS21CountingInputIteratorIllEEPS6_NSA_22TransformInputIteratorIbN2at6native12_GLOBAL__N_19NonZeroOpIN3c107complexIfEEEEPKSL_lEENS0_5tupleIJPlS6_EEENSQ_IJSD_SD_EEES6_PiJS6_EEE10hipError_tPvRmT3_T4_T5_T6_T7_T9_mT8_P12ihipStream_tbDpT10_ENKUlT_T0_E_clISt17integral_constantIbLb1EES1E_EEDaS19_S1A_EUlS19_E_NS1_11comp_targetILNS1_3genE2ELNS1_11target_archE906ELNS1_3gpuE6ELNS1_3repE0EEENS1_30default_config_static_selectorELNS0_4arch9wavefront6targetE0EEEvT1_
                                        ; -- End function
	.set _ZN7rocprim17ROCPRIM_400000_NS6detail17trampoline_kernelINS0_14default_configENS1_25partition_config_selectorILNS1_17partition_subalgoE5ElNS0_10empty_typeEbEEZZNS1_14partition_implILS5_5ELb0ES3_mN6hipcub16HIPCUB_304000_NS21CountingInputIteratorIllEEPS6_NSA_22TransformInputIteratorIbN2at6native12_GLOBAL__N_19NonZeroOpIN3c107complexIfEEEEPKSL_lEENS0_5tupleIJPlS6_EEENSQ_IJSD_SD_EEES6_PiJS6_EEE10hipError_tPvRmT3_T4_T5_T6_T7_T9_mT8_P12ihipStream_tbDpT10_ENKUlT_T0_E_clISt17integral_constantIbLb1EES1E_EEDaS19_S1A_EUlS19_E_NS1_11comp_targetILNS1_3genE2ELNS1_11target_archE906ELNS1_3gpuE6ELNS1_3repE0EEENS1_30default_config_static_selectorELNS0_4arch9wavefront6targetE0EEEvT1_.num_vgpr, 0
	.set _ZN7rocprim17ROCPRIM_400000_NS6detail17trampoline_kernelINS0_14default_configENS1_25partition_config_selectorILNS1_17partition_subalgoE5ElNS0_10empty_typeEbEEZZNS1_14partition_implILS5_5ELb0ES3_mN6hipcub16HIPCUB_304000_NS21CountingInputIteratorIllEEPS6_NSA_22TransformInputIteratorIbN2at6native12_GLOBAL__N_19NonZeroOpIN3c107complexIfEEEEPKSL_lEENS0_5tupleIJPlS6_EEENSQ_IJSD_SD_EEES6_PiJS6_EEE10hipError_tPvRmT3_T4_T5_T6_T7_T9_mT8_P12ihipStream_tbDpT10_ENKUlT_T0_E_clISt17integral_constantIbLb1EES1E_EEDaS19_S1A_EUlS19_E_NS1_11comp_targetILNS1_3genE2ELNS1_11target_archE906ELNS1_3gpuE6ELNS1_3repE0EEENS1_30default_config_static_selectorELNS0_4arch9wavefront6targetE0EEEvT1_.num_agpr, 0
	.set _ZN7rocprim17ROCPRIM_400000_NS6detail17trampoline_kernelINS0_14default_configENS1_25partition_config_selectorILNS1_17partition_subalgoE5ElNS0_10empty_typeEbEEZZNS1_14partition_implILS5_5ELb0ES3_mN6hipcub16HIPCUB_304000_NS21CountingInputIteratorIllEEPS6_NSA_22TransformInputIteratorIbN2at6native12_GLOBAL__N_19NonZeroOpIN3c107complexIfEEEEPKSL_lEENS0_5tupleIJPlS6_EEENSQ_IJSD_SD_EEES6_PiJS6_EEE10hipError_tPvRmT3_T4_T5_T6_T7_T9_mT8_P12ihipStream_tbDpT10_ENKUlT_T0_E_clISt17integral_constantIbLb1EES1E_EEDaS19_S1A_EUlS19_E_NS1_11comp_targetILNS1_3genE2ELNS1_11target_archE906ELNS1_3gpuE6ELNS1_3repE0EEENS1_30default_config_static_selectorELNS0_4arch9wavefront6targetE0EEEvT1_.numbered_sgpr, 0
	.set _ZN7rocprim17ROCPRIM_400000_NS6detail17trampoline_kernelINS0_14default_configENS1_25partition_config_selectorILNS1_17partition_subalgoE5ElNS0_10empty_typeEbEEZZNS1_14partition_implILS5_5ELb0ES3_mN6hipcub16HIPCUB_304000_NS21CountingInputIteratorIllEEPS6_NSA_22TransformInputIteratorIbN2at6native12_GLOBAL__N_19NonZeroOpIN3c107complexIfEEEEPKSL_lEENS0_5tupleIJPlS6_EEENSQ_IJSD_SD_EEES6_PiJS6_EEE10hipError_tPvRmT3_T4_T5_T6_T7_T9_mT8_P12ihipStream_tbDpT10_ENKUlT_T0_E_clISt17integral_constantIbLb1EES1E_EEDaS19_S1A_EUlS19_E_NS1_11comp_targetILNS1_3genE2ELNS1_11target_archE906ELNS1_3gpuE6ELNS1_3repE0EEENS1_30default_config_static_selectorELNS0_4arch9wavefront6targetE0EEEvT1_.num_named_barrier, 0
	.set _ZN7rocprim17ROCPRIM_400000_NS6detail17trampoline_kernelINS0_14default_configENS1_25partition_config_selectorILNS1_17partition_subalgoE5ElNS0_10empty_typeEbEEZZNS1_14partition_implILS5_5ELb0ES3_mN6hipcub16HIPCUB_304000_NS21CountingInputIteratorIllEEPS6_NSA_22TransformInputIteratorIbN2at6native12_GLOBAL__N_19NonZeroOpIN3c107complexIfEEEEPKSL_lEENS0_5tupleIJPlS6_EEENSQ_IJSD_SD_EEES6_PiJS6_EEE10hipError_tPvRmT3_T4_T5_T6_T7_T9_mT8_P12ihipStream_tbDpT10_ENKUlT_T0_E_clISt17integral_constantIbLb1EES1E_EEDaS19_S1A_EUlS19_E_NS1_11comp_targetILNS1_3genE2ELNS1_11target_archE906ELNS1_3gpuE6ELNS1_3repE0EEENS1_30default_config_static_selectorELNS0_4arch9wavefront6targetE0EEEvT1_.private_seg_size, 0
	.set _ZN7rocprim17ROCPRIM_400000_NS6detail17trampoline_kernelINS0_14default_configENS1_25partition_config_selectorILNS1_17partition_subalgoE5ElNS0_10empty_typeEbEEZZNS1_14partition_implILS5_5ELb0ES3_mN6hipcub16HIPCUB_304000_NS21CountingInputIteratorIllEEPS6_NSA_22TransformInputIteratorIbN2at6native12_GLOBAL__N_19NonZeroOpIN3c107complexIfEEEEPKSL_lEENS0_5tupleIJPlS6_EEENSQ_IJSD_SD_EEES6_PiJS6_EEE10hipError_tPvRmT3_T4_T5_T6_T7_T9_mT8_P12ihipStream_tbDpT10_ENKUlT_T0_E_clISt17integral_constantIbLb1EES1E_EEDaS19_S1A_EUlS19_E_NS1_11comp_targetILNS1_3genE2ELNS1_11target_archE906ELNS1_3gpuE6ELNS1_3repE0EEENS1_30default_config_static_selectorELNS0_4arch9wavefront6targetE0EEEvT1_.uses_vcc, 0
	.set _ZN7rocprim17ROCPRIM_400000_NS6detail17trampoline_kernelINS0_14default_configENS1_25partition_config_selectorILNS1_17partition_subalgoE5ElNS0_10empty_typeEbEEZZNS1_14partition_implILS5_5ELb0ES3_mN6hipcub16HIPCUB_304000_NS21CountingInputIteratorIllEEPS6_NSA_22TransformInputIteratorIbN2at6native12_GLOBAL__N_19NonZeroOpIN3c107complexIfEEEEPKSL_lEENS0_5tupleIJPlS6_EEENSQ_IJSD_SD_EEES6_PiJS6_EEE10hipError_tPvRmT3_T4_T5_T6_T7_T9_mT8_P12ihipStream_tbDpT10_ENKUlT_T0_E_clISt17integral_constantIbLb1EES1E_EEDaS19_S1A_EUlS19_E_NS1_11comp_targetILNS1_3genE2ELNS1_11target_archE906ELNS1_3gpuE6ELNS1_3repE0EEENS1_30default_config_static_selectorELNS0_4arch9wavefront6targetE0EEEvT1_.uses_flat_scratch, 0
	.set _ZN7rocprim17ROCPRIM_400000_NS6detail17trampoline_kernelINS0_14default_configENS1_25partition_config_selectorILNS1_17partition_subalgoE5ElNS0_10empty_typeEbEEZZNS1_14partition_implILS5_5ELb0ES3_mN6hipcub16HIPCUB_304000_NS21CountingInputIteratorIllEEPS6_NSA_22TransformInputIteratorIbN2at6native12_GLOBAL__N_19NonZeroOpIN3c107complexIfEEEEPKSL_lEENS0_5tupleIJPlS6_EEENSQ_IJSD_SD_EEES6_PiJS6_EEE10hipError_tPvRmT3_T4_T5_T6_T7_T9_mT8_P12ihipStream_tbDpT10_ENKUlT_T0_E_clISt17integral_constantIbLb1EES1E_EEDaS19_S1A_EUlS19_E_NS1_11comp_targetILNS1_3genE2ELNS1_11target_archE906ELNS1_3gpuE6ELNS1_3repE0EEENS1_30default_config_static_selectorELNS0_4arch9wavefront6targetE0EEEvT1_.has_dyn_sized_stack, 0
	.set _ZN7rocprim17ROCPRIM_400000_NS6detail17trampoline_kernelINS0_14default_configENS1_25partition_config_selectorILNS1_17partition_subalgoE5ElNS0_10empty_typeEbEEZZNS1_14partition_implILS5_5ELb0ES3_mN6hipcub16HIPCUB_304000_NS21CountingInputIteratorIllEEPS6_NSA_22TransformInputIteratorIbN2at6native12_GLOBAL__N_19NonZeroOpIN3c107complexIfEEEEPKSL_lEENS0_5tupleIJPlS6_EEENSQ_IJSD_SD_EEES6_PiJS6_EEE10hipError_tPvRmT3_T4_T5_T6_T7_T9_mT8_P12ihipStream_tbDpT10_ENKUlT_T0_E_clISt17integral_constantIbLb1EES1E_EEDaS19_S1A_EUlS19_E_NS1_11comp_targetILNS1_3genE2ELNS1_11target_archE906ELNS1_3gpuE6ELNS1_3repE0EEENS1_30default_config_static_selectorELNS0_4arch9wavefront6targetE0EEEvT1_.has_recursion, 0
	.set _ZN7rocprim17ROCPRIM_400000_NS6detail17trampoline_kernelINS0_14default_configENS1_25partition_config_selectorILNS1_17partition_subalgoE5ElNS0_10empty_typeEbEEZZNS1_14partition_implILS5_5ELb0ES3_mN6hipcub16HIPCUB_304000_NS21CountingInputIteratorIllEEPS6_NSA_22TransformInputIteratorIbN2at6native12_GLOBAL__N_19NonZeroOpIN3c107complexIfEEEEPKSL_lEENS0_5tupleIJPlS6_EEENSQ_IJSD_SD_EEES6_PiJS6_EEE10hipError_tPvRmT3_T4_T5_T6_T7_T9_mT8_P12ihipStream_tbDpT10_ENKUlT_T0_E_clISt17integral_constantIbLb1EES1E_EEDaS19_S1A_EUlS19_E_NS1_11comp_targetILNS1_3genE2ELNS1_11target_archE906ELNS1_3gpuE6ELNS1_3repE0EEENS1_30default_config_static_selectorELNS0_4arch9wavefront6targetE0EEEvT1_.has_indirect_call, 0
	.section	.AMDGPU.csdata,"",@progbits
; Kernel info:
; codeLenInByte = 0
; TotalNumSgprs: 0
; NumVgprs: 0
; ScratchSize: 0
; MemoryBound: 0
; FloatMode: 240
; IeeeMode: 1
; LDSByteSize: 0 bytes/workgroup (compile time only)
; SGPRBlocks: 0
; VGPRBlocks: 0
; NumSGPRsForWavesPerEU: 1
; NumVGPRsForWavesPerEU: 1
; Occupancy: 16
; WaveLimiterHint : 0
; COMPUTE_PGM_RSRC2:SCRATCH_EN: 0
; COMPUTE_PGM_RSRC2:USER_SGPR: 2
; COMPUTE_PGM_RSRC2:TRAP_HANDLER: 0
; COMPUTE_PGM_RSRC2:TGID_X_EN: 1
; COMPUTE_PGM_RSRC2:TGID_Y_EN: 0
; COMPUTE_PGM_RSRC2:TGID_Z_EN: 0
; COMPUTE_PGM_RSRC2:TIDIG_COMP_CNT: 0
	.section	.text._ZN7rocprim17ROCPRIM_400000_NS6detail17trampoline_kernelINS0_14default_configENS1_25partition_config_selectorILNS1_17partition_subalgoE5ElNS0_10empty_typeEbEEZZNS1_14partition_implILS5_5ELb0ES3_mN6hipcub16HIPCUB_304000_NS21CountingInputIteratorIllEEPS6_NSA_22TransformInputIteratorIbN2at6native12_GLOBAL__N_19NonZeroOpIN3c107complexIfEEEEPKSL_lEENS0_5tupleIJPlS6_EEENSQ_IJSD_SD_EEES6_PiJS6_EEE10hipError_tPvRmT3_T4_T5_T6_T7_T9_mT8_P12ihipStream_tbDpT10_ENKUlT_T0_E_clISt17integral_constantIbLb1EES1E_EEDaS19_S1A_EUlS19_E_NS1_11comp_targetILNS1_3genE10ELNS1_11target_archE1200ELNS1_3gpuE4ELNS1_3repE0EEENS1_30default_config_static_selectorELNS0_4arch9wavefront6targetE0EEEvT1_,"axG",@progbits,_ZN7rocprim17ROCPRIM_400000_NS6detail17trampoline_kernelINS0_14default_configENS1_25partition_config_selectorILNS1_17partition_subalgoE5ElNS0_10empty_typeEbEEZZNS1_14partition_implILS5_5ELb0ES3_mN6hipcub16HIPCUB_304000_NS21CountingInputIteratorIllEEPS6_NSA_22TransformInputIteratorIbN2at6native12_GLOBAL__N_19NonZeroOpIN3c107complexIfEEEEPKSL_lEENS0_5tupleIJPlS6_EEENSQ_IJSD_SD_EEES6_PiJS6_EEE10hipError_tPvRmT3_T4_T5_T6_T7_T9_mT8_P12ihipStream_tbDpT10_ENKUlT_T0_E_clISt17integral_constantIbLb1EES1E_EEDaS19_S1A_EUlS19_E_NS1_11comp_targetILNS1_3genE10ELNS1_11target_archE1200ELNS1_3gpuE4ELNS1_3repE0EEENS1_30default_config_static_selectorELNS0_4arch9wavefront6targetE0EEEvT1_,comdat
	.globl	_ZN7rocprim17ROCPRIM_400000_NS6detail17trampoline_kernelINS0_14default_configENS1_25partition_config_selectorILNS1_17partition_subalgoE5ElNS0_10empty_typeEbEEZZNS1_14partition_implILS5_5ELb0ES3_mN6hipcub16HIPCUB_304000_NS21CountingInputIteratorIllEEPS6_NSA_22TransformInputIteratorIbN2at6native12_GLOBAL__N_19NonZeroOpIN3c107complexIfEEEEPKSL_lEENS0_5tupleIJPlS6_EEENSQ_IJSD_SD_EEES6_PiJS6_EEE10hipError_tPvRmT3_T4_T5_T6_T7_T9_mT8_P12ihipStream_tbDpT10_ENKUlT_T0_E_clISt17integral_constantIbLb1EES1E_EEDaS19_S1A_EUlS19_E_NS1_11comp_targetILNS1_3genE10ELNS1_11target_archE1200ELNS1_3gpuE4ELNS1_3repE0EEENS1_30default_config_static_selectorELNS0_4arch9wavefront6targetE0EEEvT1_ ; -- Begin function _ZN7rocprim17ROCPRIM_400000_NS6detail17trampoline_kernelINS0_14default_configENS1_25partition_config_selectorILNS1_17partition_subalgoE5ElNS0_10empty_typeEbEEZZNS1_14partition_implILS5_5ELb0ES3_mN6hipcub16HIPCUB_304000_NS21CountingInputIteratorIllEEPS6_NSA_22TransformInputIteratorIbN2at6native12_GLOBAL__N_19NonZeroOpIN3c107complexIfEEEEPKSL_lEENS0_5tupleIJPlS6_EEENSQ_IJSD_SD_EEES6_PiJS6_EEE10hipError_tPvRmT3_T4_T5_T6_T7_T9_mT8_P12ihipStream_tbDpT10_ENKUlT_T0_E_clISt17integral_constantIbLb1EES1E_EEDaS19_S1A_EUlS19_E_NS1_11comp_targetILNS1_3genE10ELNS1_11target_archE1200ELNS1_3gpuE4ELNS1_3repE0EEENS1_30default_config_static_selectorELNS0_4arch9wavefront6targetE0EEEvT1_
	.p2align	8
	.type	_ZN7rocprim17ROCPRIM_400000_NS6detail17trampoline_kernelINS0_14default_configENS1_25partition_config_selectorILNS1_17partition_subalgoE5ElNS0_10empty_typeEbEEZZNS1_14partition_implILS5_5ELb0ES3_mN6hipcub16HIPCUB_304000_NS21CountingInputIteratorIllEEPS6_NSA_22TransformInputIteratorIbN2at6native12_GLOBAL__N_19NonZeroOpIN3c107complexIfEEEEPKSL_lEENS0_5tupleIJPlS6_EEENSQ_IJSD_SD_EEES6_PiJS6_EEE10hipError_tPvRmT3_T4_T5_T6_T7_T9_mT8_P12ihipStream_tbDpT10_ENKUlT_T0_E_clISt17integral_constantIbLb1EES1E_EEDaS19_S1A_EUlS19_E_NS1_11comp_targetILNS1_3genE10ELNS1_11target_archE1200ELNS1_3gpuE4ELNS1_3repE0EEENS1_30default_config_static_selectorELNS0_4arch9wavefront6targetE0EEEvT1_,@function
_ZN7rocprim17ROCPRIM_400000_NS6detail17trampoline_kernelINS0_14default_configENS1_25partition_config_selectorILNS1_17partition_subalgoE5ElNS0_10empty_typeEbEEZZNS1_14partition_implILS5_5ELb0ES3_mN6hipcub16HIPCUB_304000_NS21CountingInputIteratorIllEEPS6_NSA_22TransformInputIteratorIbN2at6native12_GLOBAL__N_19NonZeroOpIN3c107complexIfEEEEPKSL_lEENS0_5tupleIJPlS6_EEENSQ_IJSD_SD_EEES6_PiJS6_EEE10hipError_tPvRmT3_T4_T5_T6_T7_T9_mT8_P12ihipStream_tbDpT10_ENKUlT_T0_E_clISt17integral_constantIbLb1EES1E_EEDaS19_S1A_EUlS19_E_NS1_11comp_targetILNS1_3genE10ELNS1_11target_archE1200ELNS1_3gpuE4ELNS1_3repE0EEENS1_30default_config_static_selectorELNS0_4arch9wavefront6targetE0EEEvT1_: ; @_ZN7rocprim17ROCPRIM_400000_NS6detail17trampoline_kernelINS0_14default_configENS1_25partition_config_selectorILNS1_17partition_subalgoE5ElNS0_10empty_typeEbEEZZNS1_14partition_implILS5_5ELb0ES3_mN6hipcub16HIPCUB_304000_NS21CountingInputIteratorIllEEPS6_NSA_22TransformInputIteratorIbN2at6native12_GLOBAL__N_19NonZeroOpIN3c107complexIfEEEEPKSL_lEENS0_5tupleIJPlS6_EEENSQ_IJSD_SD_EEES6_PiJS6_EEE10hipError_tPvRmT3_T4_T5_T6_T7_T9_mT8_P12ihipStream_tbDpT10_ENKUlT_T0_E_clISt17integral_constantIbLb1EES1E_EEDaS19_S1A_EUlS19_E_NS1_11comp_targetILNS1_3genE10ELNS1_11target_archE1200ELNS1_3gpuE4ELNS1_3repE0EEENS1_30default_config_static_selectorELNS0_4arch9wavefront6targetE0EEEvT1_
; %bb.0:
	s_endpgm
	.section	.rodata,"a",@progbits
	.p2align	6, 0x0
	.amdhsa_kernel _ZN7rocprim17ROCPRIM_400000_NS6detail17trampoline_kernelINS0_14default_configENS1_25partition_config_selectorILNS1_17partition_subalgoE5ElNS0_10empty_typeEbEEZZNS1_14partition_implILS5_5ELb0ES3_mN6hipcub16HIPCUB_304000_NS21CountingInputIteratorIllEEPS6_NSA_22TransformInputIteratorIbN2at6native12_GLOBAL__N_19NonZeroOpIN3c107complexIfEEEEPKSL_lEENS0_5tupleIJPlS6_EEENSQ_IJSD_SD_EEES6_PiJS6_EEE10hipError_tPvRmT3_T4_T5_T6_T7_T9_mT8_P12ihipStream_tbDpT10_ENKUlT_T0_E_clISt17integral_constantIbLb1EES1E_EEDaS19_S1A_EUlS19_E_NS1_11comp_targetILNS1_3genE10ELNS1_11target_archE1200ELNS1_3gpuE4ELNS1_3repE0EEENS1_30default_config_static_selectorELNS0_4arch9wavefront6targetE0EEEvT1_
		.amdhsa_group_segment_fixed_size 0
		.amdhsa_private_segment_fixed_size 0
		.amdhsa_kernarg_size 136
		.amdhsa_user_sgpr_count 2
		.amdhsa_user_sgpr_dispatch_ptr 0
		.amdhsa_user_sgpr_queue_ptr 0
		.amdhsa_user_sgpr_kernarg_segment_ptr 1
		.amdhsa_user_sgpr_dispatch_id 0
		.amdhsa_user_sgpr_private_segment_size 0
		.amdhsa_wavefront_size32 1
		.amdhsa_uses_dynamic_stack 0
		.amdhsa_enable_private_segment 0
		.amdhsa_system_sgpr_workgroup_id_x 1
		.amdhsa_system_sgpr_workgroup_id_y 0
		.amdhsa_system_sgpr_workgroup_id_z 0
		.amdhsa_system_sgpr_workgroup_info 0
		.amdhsa_system_vgpr_workitem_id 0
		.amdhsa_next_free_vgpr 1
		.amdhsa_next_free_sgpr 1
		.amdhsa_reserve_vcc 0
		.amdhsa_float_round_mode_32 0
		.amdhsa_float_round_mode_16_64 0
		.amdhsa_float_denorm_mode_32 3
		.amdhsa_float_denorm_mode_16_64 3
		.amdhsa_fp16_overflow 0
		.amdhsa_workgroup_processor_mode 1
		.amdhsa_memory_ordered 1
		.amdhsa_forward_progress 1
		.amdhsa_inst_pref_size 1
		.amdhsa_round_robin_scheduling 0
		.amdhsa_exception_fp_ieee_invalid_op 0
		.amdhsa_exception_fp_denorm_src 0
		.amdhsa_exception_fp_ieee_div_zero 0
		.amdhsa_exception_fp_ieee_overflow 0
		.amdhsa_exception_fp_ieee_underflow 0
		.amdhsa_exception_fp_ieee_inexact 0
		.amdhsa_exception_int_div_zero 0
	.end_amdhsa_kernel
	.section	.text._ZN7rocprim17ROCPRIM_400000_NS6detail17trampoline_kernelINS0_14default_configENS1_25partition_config_selectorILNS1_17partition_subalgoE5ElNS0_10empty_typeEbEEZZNS1_14partition_implILS5_5ELb0ES3_mN6hipcub16HIPCUB_304000_NS21CountingInputIteratorIllEEPS6_NSA_22TransformInputIteratorIbN2at6native12_GLOBAL__N_19NonZeroOpIN3c107complexIfEEEEPKSL_lEENS0_5tupleIJPlS6_EEENSQ_IJSD_SD_EEES6_PiJS6_EEE10hipError_tPvRmT3_T4_T5_T6_T7_T9_mT8_P12ihipStream_tbDpT10_ENKUlT_T0_E_clISt17integral_constantIbLb1EES1E_EEDaS19_S1A_EUlS19_E_NS1_11comp_targetILNS1_3genE10ELNS1_11target_archE1200ELNS1_3gpuE4ELNS1_3repE0EEENS1_30default_config_static_selectorELNS0_4arch9wavefront6targetE0EEEvT1_,"axG",@progbits,_ZN7rocprim17ROCPRIM_400000_NS6detail17trampoline_kernelINS0_14default_configENS1_25partition_config_selectorILNS1_17partition_subalgoE5ElNS0_10empty_typeEbEEZZNS1_14partition_implILS5_5ELb0ES3_mN6hipcub16HIPCUB_304000_NS21CountingInputIteratorIllEEPS6_NSA_22TransformInputIteratorIbN2at6native12_GLOBAL__N_19NonZeroOpIN3c107complexIfEEEEPKSL_lEENS0_5tupleIJPlS6_EEENSQ_IJSD_SD_EEES6_PiJS6_EEE10hipError_tPvRmT3_T4_T5_T6_T7_T9_mT8_P12ihipStream_tbDpT10_ENKUlT_T0_E_clISt17integral_constantIbLb1EES1E_EEDaS19_S1A_EUlS19_E_NS1_11comp_targetILNS1_3genE10ELNS1_11target_archE1200ELNS1_3gpuE4ELNS1_3repE0EEENS1_30default_config_static_selectorELNS0_4arch9wavefront6targetE0EEEvT1_,comdat
.Lfunc_end607:
	.size	_ZN7rocprim17ROCPRIM_400000_NS6detail17trampoline_kernelINS0_14default_configENS1_25partition_config_selectorILNS1_17partition_subalgoE5ElNS0_10empty_typeEbEEZZNS1_14partition_implILS5_5ELb0ES3_mN6hipcub16HIPCUB_304000_NS21CountingInputIteratorIllEEPS6_NSA_22TransformInputIteratorIbN2at6native12_GLOBAL__N_19NonZeroOpIN3c107complexIfEEEEPKSL_lEENS0_5tupleIJPlS6_EEENSQ_IJSD_SD_EEES6_PiJS6_EEE10hipError_tPvRmT3_T4_T5_T6_T7_T9_mT8_P12ihipStream_tbDpT10_ENKUlT_T0_E_clISt17integral_constantIbLb1EES1E_EEDaS19_S1A_EUlS19_E_NS1_11comp_targetILNS1_3genE10ELNS1_11target_archE1200ELNS1_3gpuE4ELNS1_3repE0EEENS1_30default_config_static_selectorELNS0_4arch9wavefront6targetE0EEEvT1_, .Lfunc_end607-_ZN7rocprim17ROCPRIM_400000_NS6detail17trampoline_kernelINS0_14default_configENS1_25partition_config_selectorILNS1_17partition_subalgoE5ElNS0_10empty_typeEbEEZZNS1_14partition_implILS5_5ELb0ES3_mN6hipcub16HIPCUB_304000_NS21CountingInputIteratorIllEEPS6_NSA_22TransformInputIteratorIbN2at6native12_GLOBAL__N_19NonZeroOpIN3c107complexIfEEEEPKSL_lEENS0_5tupleIJPlS6_EEENSQ_IJSD_SD_EEES6_PiJS6_EEE10hipError_tPvRmT3_T4_T5_T6_T7_T9_mT8_P12ihipStream_tbDpT10_ENKUlT_T0_E_clISt17integral_constantIbLb1EES1E_EEDaS19_S1A_EUlS19_E_NS1_11comp_targetILNS1_3genE10ELNS1_11target_archE1200ELNS1_3gpuE4ELNS1_3repE0EEENS1_30default_config_static_selectorELNS0_4arch9wavefront6targetE0EEEvT1_
                                        ; -- End function
	.set _ZN7rocprim17ROCPRIM_400000_NS6detail17trampoline_kernelINS0_14default_configENS1_25partition_config_selectorILNS1_17partition_subalgoE5ElNS0_10empty_typeEbEEZZNS1_14partition_implILS5_5ELb0ES3_mN6hipcub16HIPCUB_304000_NS21CountingInputIteratorIllEEPS6_NSA_22TransformInputIteratorIbN2at6native12_GLOBAL__N_19NonZeroOpIN3c107complexIfEEEEPKSL_lEENS0_5tupleIJPlS6_EEENSQ_IJSD_SD_EEES6_PiJS6_EEE10hipError_tPvRmT3_T4_T5_T6_T7_T9_mT8_P12ihipStream_tbDpT10_ENKUlT_T0_E_clISt17integral_constantIbLb1EES1E_EEDaS19_S1A_EUlS19_E_NS1_11comp_targetILNS1_3genE10ELNS1_11target_archE1200ELNS1_3gpuE4ELNS1_3repE0EEENS1_30default_config_static_selectorELNS0_4arch9wavefront6targetE0EEEvT1_.num_vgpr, 0
	.set _ZN7rocprim17ROCPRIM_400000_NS6detail17trampoline_kernelINS0_14default_configENS1_25partition_config_selectorILNS1_17partition_subalgoE5ElNS0_10empty_typeEbEEZZNS1_14partition_implILS5_5ELb0ES3_mN6hipcub16HIPCUB_304000_NS21CountingInputIteratorIllEEPS6_NSA_22TransformInputIteratorIbN2at6native12_GLOBAL__N_19NonZeroOpIN3c107complexIfEEEEPKSL_lEENS0_5tupleIJPlS6_EEENSQ_IJSD_SD_EEES6_PiJS6_EEE10hipError_tPvRmT3_T4_T5_T6_T7_T9_mT8_P12ihipStream_tbDpT10_ENKUlT_T0_E_clISt17integral_constantIbLb1EES1E_EEDaS19_S1A_EUlS19_E_NS1_11comp_targetILNS1_3genE10ELNS1_11target_archE1200ELNS1_3gpuE4ELNS1_3repE0EEENS1_30default_config_static_selectorELNS0_4arch9wavefront6targetE0EEEvT1_.num_agpr, 0
	.set _ZN7rocprim17ROCPRIM_400000_NS6detail17trampoline_kernelINS0_14default_configENS1_25partition_config_selectorILNS1_17partition_subalgoE5ElNS0_10empty_typeEbEEZZNS1_14partition_implILS5_5ELb0ES3_mN6hipcub16HIPCUB_304000_NS21CountingInputIteratorIllEEPS6_NSA_22TransformInputIteratorIbN2at6native12_GLOBAL__N_19NonZeroOpIN3c107complexIfEEEEPKSL_lEENS0_5tupleIJPlS6_EEENSQ_IJSD_SD_EEES6_PiJS6_EEE10hipError_tPvRmT3_T4_T5_T6_T7_T9_mT8_P12ihipStream_tbDpT10_ENKUlT_T0_E_clISt17integral_constantIbLb1EES1E_EEDaS19_S1A_EUlS19_E_NS1_11comp_targetILNS1_3genE10ELNS1_11target_archE1200ELNS1_3gpuE4ELNS1_3repE0EEENS1_30default_config_static_selectorELNS0_4arch9wavefront6targetE0EEEvT1_.numbered_sgpr, 0
	.set _ZN7rocprim17ROCPRIM_400000_NS6detail17trampoline_kernelINS0_14default_configENS1_25partition_config_selectorILNS1_17partition_subalgoE5ElNS0_10empty_typeEbEEZZNS1_14partition_implILS5_5ELb0ES3_mN6hipcub16HIPCUB_304000_NS21CountingInputIteratorIllEEPS6_NSA_22TransformInputIteratorIbN2at6native12_GLOBAL__N_19NonZeroOpIN3c107complexIfEEEEPKSL_lEENS0_5tupleIJPlS6_EEENSQ_IJSD_SD_EEES6_PiJS6_EEE10hipError_tPvRmT3_T4_T5_T6_T7_T9_mT8_P12ihipStream_tbDpT10_ENKUlT_T0_E_clISt17integral_constantIbLb1EES1E_EEDaS19_S1A_EUlS19_E_NS1_11comp_targetILNS1_3genE10ELNS1_11target_archE1200ELNS1_3gpuE4ELNS1_3repE0EEENS1_30default_config_static_selectorELNS0_4arch9wavefront6targetE0EEEvT1_.num_named_barrier, 0
	.set _ZN7rocprim17ROCPRIM_400000_NS6detail17trampoline_kernelINS0_14default_configENS1_25partition_config_selectorILNS1_17partition_subalgoE5ElNS0_10empty_typeEbEEZZNS1_14partition_implILS5_5ELb0ES3_mN6hipcub16HIPCUB_304000_NS21CountingInputIteratorIllEEPS6_NSA_22TransformInputIteratorIbN2at6native12_GLOBAL__N_19NonZeroOpIN3c107complexIfEEEEPKSL_lEENS0_5tupleIJPlS6_EEENSQ_IJSD_SD_EEES6_PiJS6_EEE10hipError_tPvRmT3_T4_T5_T6_T7_T9_mT8_P12ihipStream_tbDpT10_ENKUlT_T0_E_clISt17integral_constantIbLb1EES1E_EEDaS19_S1A_EUlS19_E_NS1_11comp_targetILNS1_3genE10ELNS1_11target_archE1200ELNS1_3gpuE4ELNS1_3repE0EEENS1_30default_config_static_selectorELNS0_4arch9wavefront6targetE0EEEvT1_.private_seg_size, 0
	.set _ZN7rocprim17ROCPRIM_400000_NS6detail17trampoline_kernelINS0_14default_configENS1_25partition_config_selectorILNS1_17partition_subalgoE5ElNS0_10empty_typeEbEEZZNS1_14partition_implILS5_5ELb0ES3_mN6hipcub16HIPCUB_304000_NS21CountingInputIteratorIllEEPS6_NSA_22TransformInputIteratorIbN2at6native12_GLOBAL__N_19NonZeroOpIN3c107complexIfEEEEPKSL_lEENS0_5tupleIJPlS6_EEENSQ_IJSD_SD_EEES6_PiJS6_EEE10hipError_tPvRmT3_T4_T5_T6_T7_T9_mT8_P12ihipStream_tbDpT10_ENKUlT_T0_E_clISt17integral_constantIbLb1EES1E_EEDaS19_S1A_EUlS19_E_NS1_11comp_targetILNS1_3genE10ELNS1_11target_archE1200ELNS1_3gpuE4ELNS1_3repE0EEENS1_30default_config_static_selectorELNS0_4arch9wavefront6targetE0EEEvT1_.uses_vcc, 0
	.set _ZN7rocprim17ROCPRIM_400000_NS6detail17trampoline_kernelINS0_14default_configENS1_25partition_config_selectorILNS1_17partition_subalgoE5ElNS0_10empty_typeEbEEZZNS1_14partition_implILS5_5ELb0ES3_mN6hipcub16HIPCUB_304000_NS21CountingInputIteratorIllEEPS6_NSA_22TransformInputIteratorIbN2at6native12_GLOBAL__N_19NonZeroOpIN3c107complexIfEEEEPKSL_lEENS0_5tupleIJPlS6_EEENSQ_IJSD_SD_EEES6_PiJS6_EEE10hipError_tPvRmT3_T4_T5_T6_T7_T9_mT8_P12ihipStream_tbDpT10_ENKUlT_T0_E_clISt17integral_constantIbLb1EES1E_EEDaS19_S1A_EUlS19_E_NS1_11comp_targetILNS1_3genE10ELNS1_11target_archE1200ELNS1_3gpuE4ELNS1_3repE0EEENS1_30default_config_static_selectorELNS0_4arch9wavefront6targetE0EEEvT1_.uses_flat_scratch, 0
	.set _ZN7rocprim17ROCPRIM_400000_NS6detail17trampoline_kernelINS0_14default_configENS1_25partition_config_selectorILNS1_17partition_subalgoE5ElNS0_10empty_typeEbEEZZNS1_14partition_implILS5_5ELb0ES3_mN6hipcub16HIPCUB_304000_NS21CountingInputIteratorIllEEPS6_NSA_22TransformInputIteratorIbN2at6native12_GLOBAL__N_19NonZeroOpIN3c107complexIfEEEEPKSL_lEENS0_5tupleIJPlS6_EEENSQ_IJSD_SD_EEES6_PiJS6_EEE10hipError_tPvRmT3_T4_T5_T6_T7_T9_mT8_P12ihipStream_tbDpT10_ENKUlT_T0_E_clISt17integral_constantIbLb1EES1E_EEDaS19_S1A_EUlS19_E_NS1_11comp_targetILNS1_3genE10ELNS1_11target_archE1200ELNS1_3gpuE4ELNS1_3repE0EEENS1_30default_config_static_selectorELNS0_4arch9wavefront6targetE0EEEvT1_.has_dyn_sized_stack, 0
	.set _ZN7rocprim17ROCPRIM_400000_NS6detail17trampoline_kernelINS0_14default_configENS1_25partition_config_selectorILNS1_17partition_subalgoE5ElNS0_10empty_typeEbEEZZNS1_14partition_implILS5_5ELb0ES3_mN6hipcub16HIPCUB_304000_NS21CountingInputIteratorIllEEPS6_NSA_22TransformInputIteratorIbN2at6native12_GLOBAL__N_19NonZeroOpIN3c107complexIfEEEEPKSL_lEENS0_5tupleIJPlS6_EEENSQ_IJSD_SD_EEES6_PiJS6_EEE10hipError_tPvRmT3_T4_T5_T6_T7_T9_mT8_P12ihipStream_tbDpT10_ENKUlT_T0_E_clISt17integral_constantIbLb1EES1E_EEDaS19_S1A_EUlS19_E_NS1_11comp_targetILNS1_3genE10ELNS1_11target_archE1200ELNS1_3gpuE4ELNS1_3repE0EEENS1_30default_config_static_selectorELNS0_4arch9wavefront6targetE0EEEvT1_.has_recursion, 0
	.set _ZN7rocprim17ROCPRIM_400000_NS6detail17trampoline_kernelINS0_14default_configENS1_25partition_config_selectorILNS1_17partition_subalgoE5ElNS0_10empty_typeEbEEZZNS1_14partition_implILS5_5ELb0ES3_mN6hipcub16HIPCUB_304000_NS21CountingInputIteratorIllEEPS6_NSA_22TransformInputIteratorIbN2at6native12_GLOBAL__N_19NonZeroOpIN3c107complexIfEEEEPKSL_lEENS0_5tupleIJPlS6_EEENSQ_IJSD_SD_EEES6_PiJS6_EEE10hipError_tPvRmT3_T4_T5_T6_T7_T9_mT8_P12ihipStream_tbDpT10_ENKUlT_T0_E_clISt17integral_constantIbLb1EES1E_EEDaS19_S1A_EUlS19_E_NS1_11comp_targetILNS1_3genE10ELNS1_11target_archE1200ELNS1_3gpuE4ELNS1_3repE0EEENS1_30default_config_static_selectorELNS0_4arch9wavefront6targetE0EEEvT1_.has_indirect_call, 0
	.section	.AMDGPU.csdata,"",@progbits
; Kernel info:
; codeLenInByte = 4
; TotalNumSgprs: 0
; NumVgprs: 0
; ScratchSize: 0
; MemoryBound: 0
; FloatMode: 240
; IeeeMode: 1
; LDSByteSize: 0 bytes/workgroup (compile time only)
; SGPRBlocks: 0
; VGPRBlocks: 0
; NumSGPRsForWavesPerEU: 1
; NumVGPRsForWavesPerEU: 1
; Occupancy: 16
; WaveLimiterHint : 0
; COMPUTE_PGM_RSRC2:SCRATCH_EN: 0
; COMPUTE_PGM_RSRC2:USER_SGPR: 2
; COMPUTE_PGM_RSRC2:TRAP_HANDLER: 0
; COMPUTE_PGM_RSRC2:TGID_X_EN: 1
; COMPUTE_PGM_RSRC2:TGID_Y_EN: 0
; COMPUTE_PGM_RSRC2:TGID_Z_EN: 0
; COMPUTE_PGM_RSRC2:TIDIG_COMP_CNT: 0
	.section	.text._ZN7rocprim17ROCPRIM_400000_NS6detail17trampoline_kernelINS0_14default_configENS1_25partition_config_selectorILNS1_17partition_subalgoE5ElNS0_10empty_typeEbEEZZNS1_14partition_implILS5_5ELb0ES3_mN6hipcub16HIPCUB_304000_NS21CountingInputIteratorIllEEPS6_NSA_22TransformInputIteratorIbN2at6native12_GLOBAL__N_19NonZeroOpIN3c107complexIfEEEEPKSL_lEENS0_5tupleIJPlS6_EEENSQ_IJSD_SD_EEES6_PiJS6_EEE10hipError_tPvRmT3_T4_T5_T6_T7_T9_mT8_P12ihipStream_tbDpT10_ENKUlT_T0_E_clISt17integral_constantIbLb1EES1E_EEDaS19_S1A_EUlS19_E_NS1_11comp_targetILNS1_3genE9ELNS1_11target_archE1100ELNS1_3gpuE3ELNS1_3repE0EEENS1_30default_config_static_selectorELNS0_4arch9wavefront6targetE0EEEvT1_,"axG",@progbits,_ZN7rocprim17ROCPRIM_400000_NS6detail17trampoline_kernelINS0_14default_configENS1_25partition_config_selectorILNS1_17partition_subalgoE5ElNS0_10empty_typeEbEEZZNS1_14partition_implILS5_5ELb0ES3_mN6hipcub16HIPCUB_304000_NS21CountingInputIteratorIllEEPS6_NSA_22TransformInputIteratorIbN2at6native12_GLOBAL__N_19NonZeroOpIN3c107complexIfEEEEPKSL_lEENS0_5tupleIJPlS6_EEENSQ_IJSD_SD_EEES6_PiJS6_EEE10hipError_tPvRmT3_T4_T5_T6_T7_T9_mT8_P12ihipStream_tbDpT10_ENKUlT_T0_E_clISt17integral_constantIbLb1EES1E_EEDaS19_S1A_EUlS19_E_NS1_11comp_targetILNS1_3genE9ELNS1_11target_archE1100ELNS1_3gpuE3ELNS1_3repE0EEENS1_30default_config_static_selectorELNS0_4arch9wavefront6targetE0EEEvT1_,comdat
	.globl	_ZN7rocprim17ROCPRIM_400000_NS6detail17trampoline_kernelINS0_14default_configENS1_25partition_config_selectorILNS1_17partition_subalgoE5ElNS0_10empty_typeEbEEZZNS1_14partition_implILS5_5ELb0ES3_mN6hipcub16HIPCUB_304000_NS21CountingInputIteratorIllEEPS6_NSA_22TransformInputIteratorIbN2at6native12_GLOBAL__N_19NonZeroOpIN3c107complexIfEEEEPKSL_lEENS0_5tupleIJPlS6_EEENSQ_IJSD_SD_EEES6_PiJS6_EEE10hipError_tPvRmT3_T4_T5_T6_T7_T9_mT8_P12ihipStream_tbDpT10_ENKUlT_T0_E_clISt17integral_constantIbLb1EES1E_EEDaS19_S1A_EUlS19_E_NS1_11comp_targetILNS1_3genE9ELNS1_11target_archE1100ELNS1_3gpuE3ELNS1_3repE0EEENS1_30default_config_static_selectorELNS0_4arch9wavefront6targetE0EEEvT1_ ; -- Begin function _ZN7rocprim17ROCPRIM_400000_NS6detail17trampoline_kernelINS0_14default_configENS1_25partition_config_selectorILNS1_17partition_subalgoE5ElNS0_10empty_typeEbEEZZNS1_14partition_implILS5_5ELb0ES3_mN6hipcub16HIPCUB_304000_NS21CountingInputIteratorIllEEPS6_NSA_22TransformInputIteratorIbN2at6native12_GLOBAL__N_19NonZeroOpIN3c107complexIfEEEEPKSL_lEENS0_5tupleIJPlS6_EEENSQ_IJSD_SD_EEES6_PiJS6_EEE10hipError_tPvRmT3_T4_T5_T6_T7_T9_mT8_P12ihipStream_tbDpT10_ENKUlT_T0_E_clISt17integral_constantIbLb1EES1E_EEDaS19_S1A_EUlS19_E_NS1_11comp_targetILNS1_3genE9ELNS1_11target_archE1100ELNS1_3gpuE3ELNS1_3repE0EEENS1_30default_config_static_selectorELNS0_4arch9wavefront6targetE0EEEvT1_
	.p2align	8
	.type	_ZN7rocprim17ROCPRIM_400000_NS6detail17trampoline_kernelINS0_14default_configENS1_25partition_config_selectorILNS1_17partition_subalgoE5ElNS0_10empty_typeEbEEZZNS1_14partition_implILS5_5ELb0ES3_mN6hipcub16HIPCUB_304000_NS21CountingInputIteratorIllEEPS6_NSA_22TransformInputIteratorIbN2at6native12_GLOBAL__N_19NonZeroOpIN3c107complexIfEEEEPKSL_lEENS0_5tupleIJPlS6_EEENSQ_IJSD_SD_EEES6_PiJS6_EEE10hipError_tPvRmT3_T4_T5_T6_T7_T9_mT8_P12ihipStream_tbDpT10_ENKUlT_T0_E_clISt17integral_constantIbLb1EES1E_EEDaS19_S1A_EUlS19_E_NS1_11comp_targetILNS1_3genE9ELNS1_11target_archE1100ELNS1_3gpuE3ELNS1_3repE0EEENS1_30default_config_static_selectorELNS0_4arch9wavefront6targetE0EEEvT1_,@function
_ZN7rocprim17ROCPRIM_400000_NS6detail17trampoline_kernelINS0_14default_configENS1_25partition_config_selectorILNS1_17partition_subalgoE5ElNS0_10empty_typeEbEEZZNS1_14partition_implILS5_5ELb0ES3_mN6hipcub16HIPCUB_304000_NS21CountingInputIteratorIllEEPS6_NSA_22TransformInputIteratorIbN2at6native12_GLOBAL__N_19NonZeroOpIN3c107complexIfEEEEPKSL_lEENS0_5tupleIJPlS6_EEENSQ_IJSD_SD_EEES6_PiJS6_EEE10hipError_tPvRmT3_T4_T5_T6_T7_T9_mT8_P12ihipStream_tbDpT10_ENKUlT_T0_E_clISt17integral_constantIbLb1EES1E_EEDaS19_S1A_EUlS19_E_NS1_11comp_targetILNS1_3genE9ELNS1_11target_archE1100ELNS1_3gpuE3ELNS1_3repE0EEENS1_30default_config_static_selectorELNS0_4arch9wavefront6targetE0EEEvT1_: ; @_ZN7rocprim17ROCPRIM_400000_NS6detail17trampoline_kernelINS0_14default_configENS1_25partition_config_selectorILNS1_17partition_subalgoE5ElNS0_10empty_typeEbEEZZNS1_14partition_implILS5_5ELb0ES3_mN6hipcub16HIPCUB_304000_NS21CountingInputIteratorIllEEPS6_NSA_22TransformInputIteratorIbN2at6native12_GLOBAL__N_19NonZeroOpIN3c107complexIfEEEEPKSL_lEENS0_5tupleIJPlS6_EEENSQ_IJSD_SD_EEES6_PiJS6_EEE10hipError_tPvRmT3_T4_T5_T6_T7_T9_mT8_P12ihipStream_tbDpT10_ENKUlT_T0_E_clISt17integral_constantIbLb1EES1E_EEDaS19_S1A_EUlS19_E_NS1_11comp_targetILNS1_3genE9ELNS1_11target_archE1100ELNS1_3gpuE3ELNS1_3repE0EEENS1_30default_config_static_selectorELNS0_4arch9wavefront6targetE0EEEvT1_
; %bb.0:
	.section	.rodata,"a",@progbits
	.p2align	6, 0x0
	.amdhsa_kernel _ZN7rocprim17ROCPRIM_400000_NS6detail17trampoline_kernelINS0_14default_configENS1_25partition_config_selectorILNS1_17partition_subalgoE5ElNS0_10empty_typeEbEEZZNS1_14partition_implILS5_5ELb0ES3_mN6hipcub16HIPCUB_304000_NS21CountingInputIteratorIllEEPS6_NSA_22TransformInputIteratorIbN2at6native12_GLOBAL__N_19NonZeroOpIN3c107complexIfEEEEPKSL_lEENS0_5tupleIJPlS6_EEENSQ_IJSD_SD_EEES6_PiJS6_EEE10hipError_tPvRmT3_T4_T5_T6_T7_T9_mT8_P12ihipStream_tbDpT10_ENKUlT_T0_E_clISt17integral_constantIbLb1EES1E_EEDaS19_S1A_EUlS19_E_NS1_11comp_targetILNS1_3genE9ELNS1_11target_archE1100ELNS1_3gpuE3ELNS1_3repE0EEENS1_30default_config_static_selectorELNS0_4arch9wavefront6targetE0EEEvT1_
		.amdhsa_group_segment_fixed_size 0
		.amdhsa_private_segment_fixed_size 0
		.amdhsa_kernarg_size 136
		.amdhsa_user_sgpr_count 2
		.amdhsa_user_sgpr_dispatch_ptr 0
		.amdhsa_user_sgpr_queue_ptr 0
		.amdhsa_user_sgpr_kernarg_segment_ptr 1
		.amdhsa_user_sgpr_dispatch_id 0
		.amdhsa_user_sgpr_private_segment_size 0
		.amdhsa_wavefront_size32 1
		.amdhsa_uses_dynamic_stack 0
		.amdhsa_enable_private_segment 0
		.amdhsa_system_sgpr_workgroup_id_x 1
		.amdhsa_system_sgpr_workgroup_id_y 0
		.amdhsa_system_sgpr_workgroup_id_z 0
		.amdhsa_system_sgpr_workgroup_info 0
		.amdhsa_system_vgpr_workitem_id 0
		.amdhsa_next_free_vgpr 1
		.amdhsa_next_free_sgpr 1
		.amdhsa_reserve_vcc 0
		.amdhsa_float_round_mode_32 0
		.amdhsa_float_round_mode_16_64 0
		.amdhsa_float_denorm_mode_32 3
		.amdhsa_float_denorm_mode_16_64 3
		.amdhsa_fp16_overflow 0
		.amdhsa_workgroup_processor_mode 1
		.amdhsa_memory_ordered 1
		.amdhsa_forward_progress 1
		.amdhsa_inst_pref_size 0
		.amdhsa_round_robin_scheduling 0
		.amdhsa_exception_fp_ieee_invalid_op 0
		.amdhsa_exception_fp_denorm_src 0
		.amdhsa_exception_fp_ieee_div_zero 0
		.amdhsa_exception_fp_ieee_overflow 0
		.amdhsa_exception_fp_ieee_underflow 0
		.amdhsa_exception_fp_ieee_inexact 0
		.amdhsa_exception_int_div_zero 0
	.end_amdhsa_kernel
	.section	.text._ZN7rocprim17ROCPRIM_400000_NS6detail17trampoline_kernelINS0_14default_configENS1_25partition_config_selectorILNS1_17partition_subalgoE5ElNS0_10empty_typeEbEEZZNS1_14partition_implILS5_5ELb0ES3_mN6hipcub16HIPCUB_304000_NS21CountingInputIteratorIllEEPS6_NSA_22TransformInputIteratorIbN2at6native12_GLOBAL__N_19NonZeroOpIN3c107complexIfEEEEPKSL_lEENS0_5tupleIJPlS6_EEENSQ_IJSD_SD_EEES6_PiJS6_EEE10hipError_tPvRmT3_T4_T5_T6_T7_T9_mT8_P12ihipStream_tbDpT10_ENKUlT_T0_E_clISt17integral_constantIbLb1EES1E_EEDaS19_S1A_EUlS19_E_NS1_11comp_targetILNS1_3genE9ELNS1_11target_archE1100ELNS1_3gpuE3ELNS1_3repE0EEENS1_30default_config_static_selectorELNS0_4arch9wavefront6targetE0EEEvT1_,"axG",@progbits,_ZN7rocprim17ROCPRIM_400000_NS6detail17trampoline_kernelINS0_14default_configENS1_25partition_config_selectorILNS1_17partition_subalgoE5ElNS0_10empty_typeEbEEZZNS1_14partition_implILS5_5ELb0ES3_mN6hipcub16HIPCUB_304000_NS21CountingInputIteratorIllEEPS6_NSA_22TransformInputIteratorIbN2at6native12_GLOBAL__N_19NonZeroOpIN3c107complexIfEEEEPKSL_lEENS0_5tupleIJPlS6_EEENSQ_IJSD_SD_EEES6_PiJS6_EEE10hipError_tPvRmT3_T4_T5_T6_T7_T9_mT8_P12ihipStream_tbDpT10_ENKUlT_T0_E_clISt17integral_constantIbLb1EES1E_EEDaS19_S1A_EUlS19_E_NS1_11comp_targetILNS1_3genE9ELNS1_11target_archE1100ELNS1_3gpuE3ELNS1_3repE0EEENS1_30default_config_static_selectorELNS0_4arch9wavefront6targetE0EEEvT1_,comdat
.Lfunc_end608:
	.size	_ZN7rocprim17ROCPRIM_400000_NS6detail17trampoline_kernelINS0_14default_configENS1_25partition_config_selectorILNS1_17partition_subalgoE5ElNS0_10empty_typeEbEEZZNS1_14partition_implILS5_5ELb0ES3_mN6hipcub16HIPCUB_304000_NS21CountingInputIteratorIllEEPS6_NSA_22TransformInputIteratorIbN2at6native12_GLOBAL__N_19NonZeroOpIN3c107complexIfEEEEPKSL_lEENS0_5tupleIJPlS6_EEENSQ_IJSD_SD_EEES6_PiJS6_EEE10hipError_tPvRmT3_T4_T5_T6_T7_T9_mT8_P12ihipStream_tbDpT10_ENKUlT_T0_E_clISt17integral_constantIbLb1EES1E_EEDaS19_S1A_EUlS19_E_NS1_11comp_targetILNS1_3genE9ELNS1_11target_archE1100ELNS1_3gpuE3ELNS1_3repE0EEENS1_30default_config_static_selectorELNS0_4arch9wavefront6targetE0EEEvT1_, .Lfunc_end608-_ZN7rocprim17ROCPRIM_400000_NS6detail17trampoline_kernelINS0_14default_configENS1_25partition_config_selectorILNS1_17partition_subalgoE5ElNS0_10empty_typeEbEEZZNS1_14partition_implILS5_5ELb0ES3_mN6hipcub16HIPCUB_304000_NS21CountingInputIteratorIllEEPS6_NSA_22TransformInputIteratorIbN2at6native12_GLOBAL__N_19NonZeroOpIN3c107complexIfEEEEPKSL_lEENS0_5tupleIJPlS6_EEENSQ_IJSD_SD_EEES6_PiJS6_EEE10hipError_tPvRmT3_T4_T5_T6_T7_T9_mT8_P12ihipStream_tbDpT10_ENKUlT_T0_E_clISt17integral_constantIbLb1EES1E_EEDaS19_S1A_EUlS19_E_NS1_11comp_targetILNS1_3genE9ELNS1_11target_archE1100ELNS1_3gpuE3ELNS1_3repE0EEENS1_30default_config_static_selectorELNS0_4arch9wavefront6targetE0EEEvT1_
                                        ; -- End function
	.set _ZN7rocprim17ROCPRIM_400000_NS6detail17trampoline_kernelINS0_14default_configENS1_25partition_config_selectorILNS1_17partition_subalgoE5ElNS0_10empty_typeEbEEZZNS1_14partition_implILS5_5ELb0ES3_mN6hipcub16HIPCUB_304000_NS21CountingInputIteratorIllEEPS6_NSA_22TransformInputIteratorIbN2at6native12_GLOBAL__N_19NonZeroOpIN3c107complexIfEEEEPKSL_lEENS0_5tupleIJPlS6_EEENSQ_IJSD_SD_EEES6_PiJS6_EEE10hipError_tPvRmT3_T4_T5_T6_T7_T9_mT8_P12ihipStream_tbDpT10_ENKUlT_T0_E_clISt17integral_constantIbLb1EES1E_EEDaS19_S1A_EUlS19_E_NS1_11comp_targetILNS1_3genE9ELNS1_11target_archE1100ELNS1_3gpuE3ELNS1_3repE0EEENS1_30default_config_static_selectorELNS0_4arch9wavefront6targetE0EEEvT1_.num_vgpr, 0
	.set _ZN7rocprim17ROCPRIM_400000_NS6detail17trampoline_kernelINS0_14default_configENS1_25partition_config_selectorILNS1_17partition_subalgoE5ElNS0_10empty_typeEbEEZZNS1_14partition_implILS5_5ELb0ES3_mN6hipcub16HIPCUB_304000_NS21CountingInputIteratorIllEEPS6_NSA_22TransformInputIteratorIbN2at6native12_GLOBAL__N_19NonZeroOpIN3c107complexIfEEEEPKSL_lEENS0_5tupleIJPlS6_EEENSQ_IJSD_SD_EEES6_PiJS6_EEE10hipError_tPvRmT3_T4_T5_T6_T7_T9_mT8_P12ihipStream_tbDpT10_ENKUlT_T0_E_clISt17integral_constantIbLb1EES1E_EEDaS19_S1A_EUlS19_E_NS1_11comp_targetILNS1_3genE9ELNS1_11target_archE1100ELNS1_3gpuE3ELNS1_3repE0EEENS1_30default_config_static_selectorELNS0_4arch9wavefront6targetE0EEEvT1_.num_agpr, 0
	.set _ZN7rocprim17ROCPRIM_400000_NS6detail17trampoline_kernelINS0_14default_configENS1_25partition_config_selectorILNS1_17partition_subalgoE5ElNS0_10empty_typeEbEEZZNS1_14partition_implILS5_5ELb0ES3_mN6hipcub16HIPCUB_304000_NS21CountingInputIteratorIllEEPS6_NSA_22TransformInputIteratorIbN2at6native12_GLOBAL__N_19NonZeroOpIN3c107complexIfEEEEPKSL_lEENS0_5tupleIJPlS6_EEENSQ_IJSD_SD_EEES6_PiJS6_EEE10hipError_tPvRmT3_T4_T5_T6_T7_T9_mT8_P12ihipStream_tbDpT10_ENKUlT_T0_E_clISt17integral_constantIbLb1EES1E_EEDaS19_S1A_EUlS19_E_NS1_11comp_targetILNS1_3genE9ELNS1_11target_archE1100ELNS1_3gpuE3ELNS1_3repE0EEENS1_30default_config_static_selectorELNS0_4arch9wavefront6targetE0EEEvT1_.numbered_sgpr, 0
	.set _ZN7rocprim17ROCPRIM_400000_NS6detail17trampoline_kernelINS0_14default_configENS1_25partition_config_selectorILNS1_17partition_subalgoE5ElNS0_10empty_typeEbEEZZNS1_14partition_implILS5_5ELb0ES3_mN6hipcub16HIPCUB_304000_NS21CountingInputIteratorIllEEPS6_NSA_22TransformInputIteratorIbN2at6native12_GLOBAL__N_19NonZeroOpIN3c107complexIfEEEEPKSL_lEENS0_5tupleIJPlS6_EEENSQ_IJSD_SD_EEES6_PiJS6_EEE10hipError_tPvRmT3_T4_T5_T6_T7_T9_mT8_P12ihipStream_tbDpT10_ENKUlT_T0_E_clISt17integral_constantIbLb1EES1E_EEDaS19_S1A_EUlS19_E_NS1_11comp_targetILNS1_3genE9ELNS1_11target_archE1100ELNS1_3gpuE3ELNS1_3repE0EEENS1_30default_config_static_selectorELNS0_4arch9wavefront6targetE0EEEvT1_.num_named_barrier, 0
	.set _ZN7rocprim17ROCPRIM_400000_NS6detail17trampoline_kernelINS0_14default_configENS1_25partition_config_selectorILNS1_17partition_subalgoE5ElNS0_10empty_typeEbEEZZNS1_14partition_implILS5_5ELb0ES3_mN6hipcub16HIPCUB_304000_NS21CountingInputIteratorIllEEPS6_NSA_22TransformInputIteratorIbN2at6native12_GLOBAL__N_19NonZeroOpIN3c107complexIfEEEEPKSL_lEENS0_5tupleIJPlS6_EEENSQ_IJSD_SD_EEES6_PiJS6_EEE10hipError_tPvRmT3_T4_T5_T6_T7_T9_mT8_P12ihipStream_tbDpT10_ENKUlT_T0_E_clISt17integral_constantIbLb1EES1E_EEDaS19_S1A_EUlS19_E_NS1_11comp_targetILNS1_3genE9ELNS1_11target_archE1100ELNS1_3gpuE3ELNS1_3repE0EEENS1_30default_config_static_selectorELNS0_4arch9wavefront6targetE0EEEvT1_.private_seg_size, 0
	.set _ZN7rocprim17ROCPRIM_400000_NS6detail17trampoline_kernelINS0_14default_configENS1_25partition_config_selectorILNS1_17partition_subalgoE5ElNS0_10empty_typeEbEEZZNS1_14partition_implILS5_5ELb0ES3_mN6hipcub16HIPCUB_304000_NS21CountingInputIteratorIllEEPS6_NSA_22TransformInputIteratorIbN2at6native12_GLOBAL__N_19NonZeroOpIN3c107complexIfEEEEPKSL_lEENS0_5tupleIJPlS6_EEENSQ_IJSD_SD_EEES6_PiJS6_EEE10hipError_tPvRmT3_T4_T5_T6_T7_T9_mT8_P12ihipStream_tbDpT10_ENKUlT_T0_E_clISt17integral_constantIbLb1EES1E_EEDaS19_S1A_EUlS19_E_NS1_11comp_targetILNS1_3genE9ELNS1_11target_archE1100ELNS1_3gpuE3ELNS1_3repE0EEENS1_30default_config_static_selectorELNS0_4arch9wavefront6targetE0EEEvT1_.uses_vcc, 0
	.set _ZN7rocprim17ROCPRIM_400000_NS6detail17trampoline_kernelINS0_14default_configENS1_25partition_config_selectorILNS1_17partition_subalgoE5ElNS0_10empty_typeEbEEZZNS1_14partition_implILS5_5ELb0ES3_mN6hipcub16HIPCUB_304000_NS21CountingInputIteratorIllEEPS6_NSA_22TransformInputIteratorIbN2at6native12_GLOBAL__N_19NonZeroOpIN3c107complexIfEEEEPKSL_lEENS0_5tupleIJPlS6_EEENSQ_IJSD_SD_EEES6_PiJS6_EEE10hipError_tPvRmT3_T4_T5_T6_T7_T9_mT8_P12ihipStream_tbDpT10_ENKUlT_T0_E_clISt17integral_constantIbLb1EES1E_EEDaS19_S1A_EUlS19_E_NS1_11comp_targetILNS1_3genE9ELNS1_11target_archE1100ELNS1_3gpuE3ELNS1_3repE0EEENS1_30default_config_static_selectorELNS0_4arch9wavefront6targetE0EEEvT1_.uses_flat_scratch, 0
	.set _ZN7rocprim17ROCPRIM_400000_NS6detail17trampoline_kernelINS0_14default_configENS1_25partition_config_selectorILNS1_17partition_subalgoE5ElNS0_10empty_typeEbEEZZNS1_14partition_implILS5_5ELb0ES3_mN6hipcub16HIPCUB_304000_NS21CountingInputIteratorIllEEPS6_NSA_22TransformInputIteratorIbN2at6native12_GLOBAL__N_19NonZeroOpIN3c107complexIfEEEEPKSL_lEENS0_5tupleIJPlS6_EEENSQ_IJSD_SD_EEES6_PiJS6_EEE10hipError_tPvRmT3_T4_T5_T6_T7_T9_mT8_P12ihipStream_tbDpT10_ENKUlT_T0_E_clISt17integral_constantIbLb1EES1E_EEDaS19_S1A_EUlS19_E_NS1_11comp_targetILNS1_3genE9ELNS1_11target_archE1100ELNS1_3gpuE3ELNS1_3repE0EEENS1_30default_config_static_selectorELNS0_4arch9wavefront6targetE0EEEvT1_.has_dyn_sized_stack, 0
	.set _ZN7rocprim17ROCPRIM_400000_NS6detail17trampoline_kernelINS0_14default_configENS1_25partition_config_selectorILNS1_17partition_subalgoE5ElNS0_10empty_typeEbEEZZNS1_14partition_implILS5_5ELb0ES3_mN6hipcub16HIPCUB_304000_NS21CountingInputIteratorIllEEPS6_NSA_22TransformInputIteratorIbN2at6native12_GLOBAL__N_19NonZeroOpIN3c107complexIfEEEEPKSL_lEENS0_5tupleIJPlS6_EEENSQ_IJSD_SD_EEES6_PiJS6_EEE10hipError_tPvRmT3_T4_T5_T6_T7_T9_mT8_P12ihipStream_tbDpT10_ENKUlT_T0_E_clISt17integral_constantIbLb1EES1E_EEDaS19_S1A_EUlS19_E_NS1_11comp_targetILNS1_3genE9ELNS1_11target_archE1100ELNS1_3gpuE3ELNS1_3repE0EEENS1_30default_config_static_selectorELNS0_4arch9wavefront6targetE0EEEvT1_.has_recursion, 0
	.set _ZN7rocprim17ROCPRIM_400000_NS6detail17trampoline_kernelINS0_14default_configENS1_25partition_config_selectorILNS1_17partition_subalgoE5ElNS0_10empty_typeEbEEZZNS1_14partition_implILS5_5ELb0ES3_mN6hipcub16HIPCUB_304000_NS21CountingInputIteratorIllEEPS6_NSA_22TransformInputIteratorIbN2at6native12_GLOBAL__N_19NonZeroOpIN3c107complexIfEEEEPKSL_lEENS0_5tupleIJPlS6_EEENSQ_IJSD_SD_EEES6_PiJS6_EEE10hipError_tPvRmT3_T4_T5_T6_T7_T9_mT8_P12ihipStream_tbDpT10_ENKUlT_T0_E_clISt17integral_constantIbLb1EES1E_EEDaS19_S1A_EUlS19_E_NS1_11comp_targetILNS1_3genE9ELNS1_11target_archE1100ELNS1_3gpuE3ELNS1_3repE0EEENS1_30default_config_static_selectorELNS0_4arch9wavefront6targetE0EEEvT1_.has_indirect_call, 0
	.section	.AMDGPU.csdata,"",@progbits
; Kernel info:
; codeLenInByte = 0
; TotalNumSgprs: 0
; NumVgprs: 0
; ScratchSize: 0
; MemoryBound: 0
; FloatMode: 240
; IeeeMode: 1
; LDSByteSize: 0 bytes/workgroup (compile time only)
; SGPRBlocks: 0
; VGPRBlocks: 0
; NumSGPRsForWavesPerEU: 1
; NumVGPRsForWavesPerEU: 1
; Occupancy: 16
; WaveLimiterHint : 0
; COMPUTE_PGM_RSRC2:SCRATCH_EN: 0
; COMPUTE_PGM_RSRC2:USER_SGPR: 2
; COMPUTE_PGM_RSRC2:TRAP_HANDLER: 0
; COMPUTE_PGM_RSRC2:TGID_X_EN: 1
; COMPUTE_PGM_RSRC2:TGID_Y_EN: 0
; COMPUTE_PGM_RSRC2:TGID_Z_EN: 0
; COMPUTE_PGM_RSRC2:TIDIG_COMP_CNT: 0
	.section	.text._ZN7rocprim17ROCPRIM_400000_NS6detail17trampoline_kernelINS0_14default_configENS1_25partition_config_selectorILNS1_17partition_subalgoE5ElNS0_10empty_typeEbEEZZNS1_14partition_implILS5_5ELb0ES3_mN6hipcub16HIPCUB_304000_NS21CountingInputIteratorIllEEPS6_NSA_22TransformInputIteratorIbN2at6native12_GLOBAL__N_19NonZeroOpIN3c107complexIfEEEEPKSL_lEENS0_5tupleIJPlS6_EEENSQ_IJSD_SD_EEES6_PiJS6_EEE10hipError_tPvRmT3_T4_T5_T6_T7_T9_mT8_P12ihipStream_tbDpT10_ENKUlT_T0_E_clISt17integral_constantIbLb1EES1E_EEDaS19_S1A_EUlS19_E_NS1_11comp_targetILNS1_3genE8ELNS1_11target_archE1030ELNS1_3gpuE2ELNS1_3repE0EEENS1_30default_config_static_selectorELNS0_4arch9wavefront6targetE0EEEvT1_,"axG",@progbits,_ZN7rocprim17ROCPRIM_400000_NS6detail17trampoline_kernelINS0_14default_configENS1_25partition_config_selectorILNS1_17partition_subalgoE5ElNS0_10empty_typeEbEEZZNS1_14partition_implILS5_5ELb0ES3_mN6hipcub16HIPCUB_304000_NS21CountingInputIteratorIllEEPS6_NSA_22TransformInputIteratorIbN2at6native12_GLOBAL__N_19NonZeroOpIN3c107complexIfEEEEPKSL_lEENS0_5tupleIJPlS6_EEENSQ_IJSD_SD_EEES6_PiJS6_EEE10hipError_tPvRmT3_T4_T5_T6_T7_T9_mT8_P12ihipStream_tbDpT10_ENKUlT_T0_E_clISt17integral_constantIbLb1EES1E_EEDaS19_S1A_EUlS19_E_NS1_11comp_targetILNS1_3genE8ELNS1_11target_archE1030ELNS1_3gpuE2ELNS1_3repE0EEENS1_30default_config_static_selectorELNS0_4arch9wavefront6targetE0EEEvT1_,comdat
	.globl	_ZN7rocprim17ROCPRIM_400000_NS6detail17trampoline_kernelINS0_14default_configENS1_25partition_config_selectorILNS1_17partition_subalgoE5ElNS0_10empty_typeEbEEZZNS1_14partition_implILS5_5ELb0ES3_mN6hipcub16HIPCUB_304000_NS21CountingInputIteratorIllEEPS6_NSA_22TransformInputIteratorIbN2at6native12_GLOBAL__N_19NonZeroOpIN3c107complexIfEEEEPKSL_lEENS0_5tupleIJPlS6_EEENSQ_IJSD_SD_EEES6_PiJS6_EEE10hipError_tPvRmT3_T4_T5_T6_T7_T9_mT8_P12ihipStream_tbDpT10_ENKUlT_T0_E_clISt17integral_constantIbLb1EES1E_EEDaS19_S1A_EUlS19_E_NS1_11comp_targetILNS1_3genE8ELNS1_11target_archE1030ELNS1_3gpuE2ELNS1_3repE0EEENS1_30default_config_static_selectorELNS0_4arch9wavefront6targetE0EEEvT1_ ; -- Begin function _ZN7rocprim17ROCPRIM_400000_NS6detail17trampoline_kernelINS0_14default_configENS1_25partition_config_selectorILNS1_17partition_subalgoE5ElNS0_10empty_typeEbEEZZNS1_14partition_implILS5_5ELb0ES3_mN6hipcub16HIPCUB_304000_NS21CountingInputIteratorIllEEPS6_NSA_22TransformInputIteratorIbN2at6native12_GLOBAL__N_19NonZeroOpIN3c107complexIfEEEEPKSL_lEENS0_5tupleIJPlS6_EEENSQ_IJSD_SD_EEES6_PiJS6_EEE10hipError_tPvRmT3_T4_T5_T6_T7_T9_mT8_P12ihipStream_tbDpT10_ENKUlT_T0_E_clISt17integral_constantIbLb1EES1E_EEDaS19_S1A_EUlS19_E_NS1_11comp_targetILNS1_3genE8ELNS1_11target_archE1030ELNS1_3gpuE2ELNS1_3repE0EEENS1_30default_config_static_selectorELNS0_4arch9wavefront6targetE0EEEvT1_
	.p2align	8
	.type	_ZN7rocprim17ROCPRIM_400000_NS6detail17trampoline_kernelINS0_14default_configENS1_25partition_config_selectorILNS1_17partition_subalgoE5ElNS0_10empty_typeEbEEZZNS1_14partition_implILS5_5ELb0ES3_mN6hipcub16HIPCUB_304000_NS21CountingInputIteratorIllEEPS6_NSA_22TransformInputIteratorIbN2at6native12_GLOBAL__N_19NonZeroOpIN3c107complexIfEEEEPKSL_lEENS0_5tupleIJPlS6_EEENSQ_IJSD_SD_EEES6_PiJS6_EEE10hipError_tPvRmT3_T4_T5_T6_T7_T9_mT8_P12ihipStream_tbDpT10_ENKUlT_T0_E_clISt17integral_constantIbLb1EES1E_EEDaS19_S1A_EUlS19_E_NS1_11comp_targetILNS1_3genE8ELNS1_11target_archE1030ELNS1_3gpuE2ELNS1_3repE0EEENS1_30default_config_static_selectorELNS0_4arch9wavefront6targetE0EEEvT1_,@function
_ZN7rocprim17ROCPRIM_400000_NS6detail17trampoline_kernelINS0_14default_configENS1_25partition_config_selectorILNS1_17partition_subalgoE5ElNS0_10empty_typeEbEEZZNS1_14partition_implILS5_5ELb0ES3_mN6hipcub16HIPCUB_304000_NS21CountingInputIteratorIllEEPS6_NSA_22TransformInputIteratorIbN2at6native12_GLOBAL__N_19NonZeroOpIN3c107complexIfEEEEPKSL_lEENS0_5tupleIJPlS6_EEENSQ_IJSD_SD_EEES6_PiJS6_EEE10hipError_tPvRmT3_T4_T5_T6_T7_T9_mT8_P12ihipStream_tbDpT10_ENKUlT_T0_E_clISt17integral_constantIbLb1EES1E_EEDaS19_S1A_EUlS19_E_NS1_11comp_targetILNS1_3genE8ELNS1_11target_archE1030ELNS1_3gpuE2ELNS1_3repE0EEENS1_30default_config_static_selectorELNS0_4arch9wavefront6targetE0EEEvT1_: ; @_ZN7rocprim17ROCPRIM_400000_NS6detail17trampoline_kernelINS0_14default_configENS1_25partition_config_selectorILNS1_17partition_subalgoE5ElNS0_10empty_typeEbEEZZNS1_14partition_implILS5_5ELb0ES3_mN6hipcub16HIPCUB_304000_NS21CountingInputIteratorIllEEPS6_NSA_22TransformInputIteratorIbN2at6native12_GLOBAL__N_19NonZeroOpIN3c107complexIfEEEEPKSL_lEENS0_5tupleIJPlS6_EEENSQ_IJSD_SD_EEES6_PiJS6_EEE10hipError_tPvRmT3_T4_T5_T6_T7_T9_mT8_P12ihipStream_tbDpT10_ENKUlT_T0_E_clISt17integral_constantIbLb1EES1E_EEDaS19_S1A_EUlS19_E_NS1_11comp_targetILNS1_3genE8ELNS1_11target_archE1030ELNS1_3gpuE2ELNS1_3repE0EEENS1_30default_config_static_selectorELNS0_4arch9wavefront6targetE0EEEvT1_
; %bb.0:
	.section	.rodata,"a",@progbits
	.p2align	6, 0x0
	.amdhsa_kernel _ZN7rocprim17ROCPRIM_400000_NS6detail17trampoline_kernelINS0_14default_configENS1_25partition_config_selectorILNS1_17partition_subalgoE5ElNS0_10empty_typeEbEEZZNS1_14partition_implILS5_5ELb0ES3_mN6hipcub16HIPCUB_304000_NS21CountingInputIteratorIllEEPS6_NSA_22TransformInputIteratorIbN2at6native12_GLOBAL__N_19NonZeroOpIN3c107complexIfEEEEPKSL_lEENS0_5tupleIJPlS6_EEENSQ_IJSD_SD_EEES6_PiJS6_EEE10hipError_tPvRmT3_T4_T5_T6_T7_T9_mT8_P12ihipStream_tbDpT10_ENKUlT_T0_E_clISt17integral_constantIbLb1EES1E_EEDaS19_S1A_EUlS19_E_NS1_11comp_targetILNS1_3genE8ELNS1_11target_archE1030ELNS1_3gpuE2ELNS1_3repE0EEENS1_30default_config_static_selectorELNS0_4arch9wavefront6targetE0EEEvT1_
		.amdhsa_group_segment_fixed_size 0
		.amdhsa_private_segment_fixed_size 0
		.amdhsa_kernarg_size 136
		.amdhsa_user_sgpr_count 2
		.amdhsa_user_sgpr_dispatch_ptr 0
		.amdhsa_user_sgpr_queue_ptr 0
		.amdhsa_user_sgpr_kernarg_segment_ptr 1
		.amdhsa_user_sgpr_dispatch_id 0
		.amdhsa_user_sgpr_private_segment_size 0
		.amdhsa_wavefront_size32 1
		.amdhsa_uses_dynamic_stack 0
		.amdhsa_enable_private_segment 0
		.amdhsa_system_sgpr_workgroup_id_x 1
		.amdhsa_system_sgpr_workgroup_id_y 0
		.amdhsa_system_sgpr_workgroup_id_z 0
		.amdhsa_system_sgpr_workgroup_info 0
		.amdhsa_system_vgpr_workitem_id 0
		.amdhsa_next_free_vgpr 1
		.amdhsa_next_free_sgpr 1
		.amdhsa_reserve_vcc 0
		.amdhsa_float_round_mode_32 0
		.amdhsa_float_round_mode_16_64 0
		.amdhsa_float_denorm_mode_32 3
		.amdhsa_float_denorm_mode_16_64 3
		.amdhsa_fp16_overflow 0
		.amdhsa_workgroup_processor_mode 1
		.amdhsa_memory_ordered 1
		.amdhsa_forward_progress 1
		.amdhsa_inst_pref_size 0
		.amdhsa_round_robin_scheduling 0
		.amdhsa_exception_fp_ieee_invalid_op 0
		.amdhsa_exception_fp_denorm_src 0
		.amdhsa_exception_fp_ieee_div_zero 0
		.amdhsa_exception_fp_ieee_overflow 0
		.amdhsa_exception_fp_ieee_underflow 0
		.amdhsa_exception_fp_ieee_inexact 0
		.amdhsa_exception_int_div_zero 0
	.end_amdhsa_kernel
	.section	.text._ZN7rocprim17ROCPRIM_400000_NS6detail17trampoline_kernelINS0_14default_configENS1_25partition_config_selectorILNS1_17partition_subalgoE5ElNS0_10empty_typeEbEEZZNS1_14partition_implILS5_5ELb0ES3_mN6hipcub16HIPCUB_304000_NS21CountingInputIteratorIllEEPS6_NSA_22TransformInputIteratorIbN2at6native12_GLOBAL__N_19NonZeroOpIN3c107complexIfEEEEPKSL_lEENS0_5tupleIJPlS6_EEENSQ_IJSD_SD_EEES6_PiJS6_EEE10hipError_tPvRmT3_T4_T5_T6_T7_T9_mT8_P12ihipStream_tbDpT10_ENKUlT_T0_E_clISt17integral_constantIbLb1EES1E_EEDaS19_S1A_EUlS19_E_NS1_11comp_targetILNS1_3genE8ELNS1_11target_archE1030ELNS1_3gpuE2ELNS1_3repE0EEENS1_30default_config_static_selectorELNS0_4arch9wavefront6targetE0EEEvT1_,"axG",@progbits,_ZN7rocprim17ROCPRIM_400000_NS6detail17trampoline_kernelINS0_14default_configENS1_25partition_config_selectorILNS1_17partition_subalgoE5ElNS0_10empty_typeEbEEZZNS1_14partition_implILS5_5ELb0ES3_mN6hipcub16HIPCUB_304000_NS21CountingInputIteratorIllEEPS6_NSA_22TransformInputIteratorIbN2at6native12_GLOBAL__N_19NonZeroOpIN3c107complexIfEEEEPKSL_lEENS0_5tupleIJPlS6_EEENSQ_IJSD_SD_EEES6_PiJS6_EEE10hipError_tPvRmT3_T4_T5_T6_T7_T9_mT8_P12ihipStream_tbDpT10_ENKUlT_T0_E_clISt17integral_constantIbLb1EES1E_EEDaS19_S1A_EUlS19_E_NS1_11comp_targetILNS1_3genE8ELNS1_11target_archE1030ELNS1_3gpuE2ELNS1_3repE0EEENS1_30default_config_static_selectorELNS0_4arch9wavefront6targetE0EEEvT1_,comdat
.Lfunc_end609:
	.size	_ZN7rocprim17ROCPRIM_400000_NS6detail17trampoline_kernelINS0_14default_configENS1_25partition_config_selectorILNS1_17partition_subalgoE5ElNS0_10empty_typeEbEEZZNS1_14partition_implILS5_5ELb0ES3_mN6hipcub16HIPCUB_304000_NS21CountingInputIteratorIllEEPS6_NSA_22TransformInputIteratorIbN2at6native12_GLOBAL__N_19NonZeroOpIN3c107complexIfEEEEPKSL_lEENS0_5tupleIJPlS6_EEENSQ_IJSD_SD_EEES6_PiJS6_EEE10hipError_tPvRmT3_T4_T5_T6_T7_T9_mT8_P12ihipStream_tbDpT10_ENKUlT_T0_E_clISt17integral_constantIbLb1EES1E_EEDaS19_S1A_EUlS19_E_NS1_11comp_targetILNS1_3genE8ELNS1_11target_archE1030ELNS1_3gpuE2ELNS1_3repE0EEENS1_30default_config_static_selectorELNS0_4arch9wavefront6targetE0EEEvT1_, .Lfunc_end609-_ZN7rocprim17ROCPRIM_400000_NS6detail17trampoline_kernelINS0_14default_configENS1_25partition_config_selectorILNS1_17partition_subalgoE5ElNS0_10empty_typeEbEEZZNS1_14partition_implILS5_5ELb0ES3_mN6hipcub16HIPCUB_304000_NS21CountingInputIteratorIllEEPS6_NSA_22TransformInputIteratorIbN2at6native12_GLOBAL__N_19NonZeroOpIN3c107complexIfEEEEPKSL_lEENS0_5tupleIJPlS6_EEENSQ_IJSD_SD_EEES6_PiJS6_EEE10hipError_tPvRmT3_T4_T5_T6_T7_T9_mT8_P12ihipStream_tbDpT10_ENKUlT_T0_E_clISt17integral_constantIbLb1EES1E_EEDaS19_S1A_EUlS19_E_NS1_11comp_targetILNS1_3genE8ELNS1_11target_archE1030ELNS1_3gpuE2ELNS1_3repE0EEENS1_30default_config_static_selectorELNS0_4arch9wavefront6targetE0EEEvT1_
                                        ; -- End function
	.set _ZN7rocprim17ROCPRIM_400000_NS6detail17trampoline_kernelINS0_14default_configENS1_25partition_config_selectorILNS1_17partition_subalgoE5ElNS0_10empty_typeEbEEZZNS1_14partition_implILS5_5ELb0ES3_mN6hipcub16HIPCUB_304000_NS21CountingInputIteratorIllEEPS6_NSA_22TransformInputIteratorIbN2at6native12_GLOBAL__N_19NonZeroOpIN3c107complexIfEEEEPKSL_lEENS0_5tupleIJPlS6_EEENSQ_IJSD_SD_EEES6_PiJS6_EEE10hipError_tPvRmT3_T4_T5_T6_T7_T9_mT8_P12ihipStream_tbDpT10_ENKUlT_T0_E_clISt17integral_constantIbLb1EES1E_EEDaS19_S1A_EUlS19_E_NS1_11comp_targetILNS1_3genE8ELNS1_11target_archE1030ELNS1_3gpuE2ELNS1_3repE0EEENS1_30default_config_static_selectorELNS0_4arch9wavefront6targetE0EEEvT1_.num_vgpr, 0
	.set _ZN7rocprim17ROCPRIM_400000_NS6detail17trampoline_kernelINS0_14default_configENS1_25partition_config_selectorILNS1_17partition_subalgoE5ElNS0_10empty_typeEbEEZZNS1_14partition_implILS5_5ELb0ES3_mN6hipcub16HIPCUB_304000_NS21CountingInputIteratorIllEEPS6_NSA_22TransformInputIteratorIbN2at6native12_GLOBAL__N_19NonZeroOpIN3c107complexIfEEEEPKSL_lEENS0_5tupleIJPlS6_EEENSQ_IJSD_SD_EEES6_PiJS6_EEE10hipError_tPvRmT3_T4_T5_T6_T7_T9_mT8_P12ihipStream_tbDpT10_ENKUlT_T0_E_clISt17integral_constantIbLb1EES1E_EEDaS19_S1A_EUlS19_E_NS1_11comp_targetILNS1_3genE8ELNS1_11target_archE1030ELNS1_3gpuE2ELNS1_3repE0EEENS1_30default_config_static_selectorELNS0_4arch9wavefront6targetE0EEEvT1_.num_agpr, 0
	.set _ZN7rocprim17ROCPRIM_400000_NS6detail17trampoline_kernelINS0_14default_configENS1_25partition_config_selectorILNS1_17partition_subalgoE5ElNS0_10empty_typeEbEEZZNS1_14partition_implILS5_5ELb0ES3_mN6hipcub16HIPCUB_304000_NS21CountingInputIteratorIllEEPS6_NSA_22TransformInputIteratorIbN2at6native12_GLOBAL__N_19NonZeroOpIN3c107complexIfEEEEPKSL_lEENS0_5tupleIJPlS6_EEENSQ_IJSD_SD_EEES6_PiJS6_EEE10hipError_tPvRmT3_T4_T5_T6_T7_T9_mT8_P12ihipStream_tbDpT10_ENKUlT_T0_E_clISt17integral_constantIbLb1EES1E_EEDaS19_S1A_EUlS19_E_NS1_11comp_targetILNS1_3genE8ELNS1_11target_archE1030ELNS1_3gpuE2ELNS1_3repE0EEENS1_30default_config_static_selectorELNS0_4arch9wavefront6targetE0EEEvT1_.numbered_sgpr, 0
	.set _ZN7rocprim17ROCPRIM_400000_NS6detail17trampoline_kernelINS0_14default_configENS1_25partition_config_selectorILNS1_17partition_subalgoE5ElNS0_10empty_typeEbEEZZNS1_14partition_implILS5_5ELb0ES3_mN6hipcub16HIPCUB_304000_NS21CountingInputIteratorIllEEPS6_NSA_22TransformInputIteratorIbN2at6native12_GLOBAL__N_19NonZeroOpIN3c107complexIfEEEEPKSL_lEENS0_5tupleIJPlS6_EEENSQ_IJSD_SD_EEES6_PiJS6_EEE10hipError_tPvRmT3_T4_T5_T6_T7_T9_mT8_P12ihipStream_tbDpT10_ENKUlT_T0_E_clISt17integral_constantIbLb1EES1E_EEDaS19_S1A_EUlS19_E_NS1_11comp_targetILNS1_3genE8ELNS1_11target_archE1030ELNS1_3gpuE2ELNS1_3repE0EEENS1_30default_config_static_selectorELNS0_4arch9wavefront6targetE0EEEvT1_.num_named_barrier, 0
	.set _ZN7rocprim17ROCPRIM_400000_NS6detail17trampoline_kernelINS0_14default_configENS1_25partition_config_selectorILNS1_17partition_subalgoE5ElNS0_10empty_typeEbEEZZNS1_14partition_implILS5_5ELb0ES3_mN6hipcub16HIPCUB_304000_NS21CountingInputIteratorIllEEPS6_NSA_22TransformInputIteratorIbN2at6native12_GLOBAL__N_19NonZeroOpIN3c107complexIfEEEEPKSL_lEENS0_5tupleIJPlS6_EEENSQ_IJSD_SD_EEES6_PiJS6_EEE10hipError_tPvRmT3_T4_T5_T6_T7_T9_mT8_P12ihipStream_tbDpT10_ENKUlT_T0_E_clISt17integral_constantIbLb1EES1E_EEDaS19_S1A_EUlS19_E_NS1_11comp_targetILNS1_3genE8ELNS1_11target_archE1030ELNS1_3gpuE2ELNS1_3repE0EEENS1_30default_config_static_selectorELNS0_4arch9wavefront6targetE0EEEvT1_.private_seg_size, 0
	.set _ZN7rocprim17ROCPRIM_400000_NS6detail17trampoline_kernelINS0_14default_configENS1_25partition_config_selectorILNS1_17partition_subalgoE5ElNS0_10empty_typeEbEEZZNS1_14partition_implILS5_5ELb0ES3_mN6hipcub16HIPCUB_304000_NS21CountingInputIteratorIllEEPS6_NSA_22TransformInputIteratorIbN2at6native12_GLOBAL__N_19NonZeroOpIN3c107complexIfEEEEPKSL_lEENS0_5tupleIJPlS6_EEENSQ_IJSD_SD_EEES6_PiJS6_EEE10hipError_tPvRmT3_T4_T5_T6_T7_T9_mT8_P12ihipStream_tbDpT10_ENKUlT_T0_E_clISt17integral_constantIbLb1EES1E_EEDaS19_S1A_EUlS19_E_NS1_11comp_targetILNS1_3genE8ELNS1_11target_archE1030ELNS1_3gpuE2ELNS1_3repE0EEENS1_30default_config_static_selectorELNS0_4arch9wavefront6targetE0EEEvT1_.uses_vcc, 0
	.set _ZN7rocprim17ROCPRIM_400000_NS6detail17trampoline_kernelINS0_14default_configENS1_25partition_config_selectorILNS1_17partition_subalgoE5ElNS0_10empty_typeEbEEZZNS1_14partition_implILS5_5ELb0ES3_mN6hipcub16HIPCUB_304000_NS21CountingInputIteratorIllEEPS6_NSA_22TransformInputIteratorIbN2at6native12_GLOBAL__N_19NonZeroOpIN3c107complexIfEEEEPKSL_lEENS0_5tupleIJPlS6_EEENSQ_IJSD_SD_EEES6_PiJS6_EEE10hipError_tPvRmT3_T4_T5_T6_T7_T9_mT8_P12ihipStream_tbDpT10_ENKUlT_T0_E_clISt17integral_constantIbLb1EES1E_EEDaS19_S1A_EUlS19_E_NS1_11comp_targetILNS1_3genE8ELNS1_11target_archE1030ELNS1_3gpuE2ELNS1_3repE0EEENS1_30default_config_static_selectorELNS0_4arch9wavefront6targetE0EEEvT1_.uses_flat_scratch, 0
	.set _ZN7rocprim17ROCPRIM_400000_NS6detail17trampoline_kernelINS0_14default_configENS1_25partition_config_selectorILNS1_17partition_subalgoE5ElNS0_10empty_typeEbEEZZNS1_14partition_implILS5_5ELb0ES3_mN6hipcub16HIPCUB_304000_NS21CountingInputIteratorIllEEPS6_NSA_22TransformInputIteratorIbN2at6native12_GLOBAL__N_19NonZeroOpIN3c107complexIfEEEEPKSL_lEENS0_5tupleIJPlS6_EEENSQ_IJSD_SD_EEES6_PiJS6_EEE10hipError_tPvRmT3_T4_T5_T6_T7_T9_mT8_P12ihipStream_tbDpT10_ENKUlT_T0_E_clISt17integral_constantIbLb1EES1E_EEDaS19_S1A_EUlS19_E_NS1_11comp_targetILNS1_3genE8ELNS1_11target_archE1030ELNS1_3gpuE2ELNS1_3repE0EEENS1_30default_config_static_selectorELNS0_4arch9wavefront6targetE0EEEvT1_.has_dyn_sized_stack, 0
	.set _ZN7rocprim17ROCPRIM_400000_NS6detail17trampoline_kernelINS0_14default_configENS1_25partition_config_selectorILNS1_17partition_subalgoE5ElNS0_10empty_typeEbEEZZNS1_14partition_implILS5_5ELb0ES3_mN6hipcub16HIPCUB_304000_NS21CountingInputIteratorIllEEPS6_NSA_22TransformInputIteratorIbN2at6native12_GLOBAL__N_19NonZeroOpIN3c107complexIfEEEEPKSL_lEENS0_5tupleIJPlS6_EEENSQ_IJSD_SD_EEES6_PiJS6_EEE10hipError_tPvRmT3_T4_T5_T6_T7_T9_mT8_P12ihipStream_tbDpT10_ENKUlT_T0_E_clISt17integral_constantIbLb1EES1E_EEDaS19_S1A_EUlS19_E_NS1_11comp_targetILNS1_3genE8ELNS1_11target_archE1030ELNS1_3gpuE2ELNS1_3repE0EEENS1_30default_config_static_selectorELNS0_4arch9wavefront6targetE0EEEvT1_.has_recursion, 0
	.set _ZN7rocprim17ROCPRIM_400000_NS6detail17trampoline_kernelINS0_14default_configENS1_25partition_config_selectorILNS1_17partition_subalgoE5ElNS0_10empty_typeEbEEZZNS1_14partition_implILS5_5ELb0ES3_mN6hipcub16HIPCUB_304000_NS21CountingInputIteratorIllEEPS6_NSA_22TransformInputIteratorIbN2at6native12_GLOBAL__N_19NonZeroOpIN3c107complexIfEEEEPKSL_lEENS0_5tupleIJPlS6_EEENSQ_IJSD_SD_EEES6_PiJS6_EEE10hipError_tPvRmT3_T4_T5_T6_T7_T9_mT8_P12ihipStream_tbDpT10_ENKUlT_T0_E_clISt17integral_constantIbLb1EES1E_EEDaS19_S1A_EUlS19_E_NS1_11comp_targetILNS1_3genE8ELNS1_11target_archE1030ELNS1_3gpuE2ELNS1_3repE0EEENS1_30default_config_static_selectorELNS0_4arch9wavefront6targetE0EEEvT1_.has_indirect_call, 0
	.section	.AMDGPU.csdata,"",@progbits
; Kernel info:
; codeLenInByte = 0
; TotalNumSgprs: 0
; NumVgprs: 0
; ScratchSize: 0
; MemoryBound: 0
; FloatMode: 240
; IeeeMode: 1
; LDSByteSize: 0 bytes/workgroup (compile time only)
; SGPRBlocks: 0
; VGPRBlocks: 0
; NumSGPRsForWavesPerEU: 1
; NumVGPRsForWavesPerEU: 1
; Occupancy: 16
; WaveLimiterHint : 0
; COMPUTE_PGM_RSRC2:SCRATCH_EN: 0
; COMPUTE_PGM_RSRC2:USER_SGPR: 2
; COMPUTE_PGM_RSRC2:TRAP_HANDLER: 0
; COMPUTE_PGM_RSRC2:TGID_X_EN: 1
; COMPUTE_PGM_RSRC2:TGID_Y_EN: 0
; COMPUTE_PGM_RSRC2:TGID_Z_EN: 0
; COMPUTE_PGM_RSRC2:TIDIG_COMP_CNT: 0
	.section	.text._ZN7rocprim17ROCPRIM_400000_NS6detail17trampoline_kernelINS0_14default_configENS1_25partition_config_selectorILNS1_17partition_subalgoE5ElNS0_10empty_typeEbEEZZNS1_14partition_implILS5_5ELb0ES3_mN6hipcub16HIPCUB_304000_NS21CountingInputIteratorIllEEPS6_NSA_22TransformInputIteratorIbN2at6native12_GLOBAL__N_19NonZeroOpIN3c107complexIfEEEEPKSL_lEENS0_5tupleIJPlS6_EEENSQ_IJSD_SD_EEES6_PiJS6_EEE10hipError_tPvRmT3_T4_T5_T6_T7_T9_mT8_P12ihipStream_tbDpT10_ENKUlT_T0_E_clISt17integral_constantIbLb1EES1D_IbLb0EEEEDaS19_S1A_EUlS19_E_NS1_11comp_targetILNS1_3genE0ELNS1_11target_archE4294967295ELNS1_3gpuE0ELNS1_3repE0EEENS1_30default_config_static_selectorELNS0_4arch9wavefront6targetE0EEEvT1_,"axG",@progbits,_ZN7rocprim17ROCPRIM_400000_NS6detail17trampoline_kernelINS0_14default_configENS1_25partition_config_selectorILNS1_17partition_subalgoE5ElNS0_10empty_typeEbEEZZNS1_14partition_implILS5_5ELb0ES3_mN6hipcub16HIPCUB_304000_NS21CountingInputIteratorIllEEPS6_NSA_22TransformInputIteratorIbN2at6native12_GLOBAL__N_19NonZeroOpIN3c107complexIfEEEEPKSL_lEENS0_5tupleIJPlS6_EEENSQ_IJSD_SD_EEES6_PiJS6_EEE10hipError_tPvRmT3_T4_T5_T6_T7_T9_mT8_P12ihipStream_tbDpT10_ENKUlT_T0_E_clISt17integral_constantIbLb1EES1D_IbLb0EEEEDaS19_S1A_EUlS19_E_NS1_11comp_targetILNS1_3genE0ELNS1_11target_archE4294967295ELNS1_3gpuE0ELNS1_3repE0EEENS1_30default_config_static_selectorELNS0_4arch9wavefront6targetE0EEEvT1_,comdat
	.globl	_ZN7rocprim17ROCPRIM_400000_NS6detail17trampoline_kernelINS0_14default_configENS1_25partition_config_selectorILNS1_17partition_subalgoE5ElNS0_10empty_typeEbEEZZNS1_14partition_implILS5_5ELb0ES3_mN6hipcub16HIPCUB_304000_NS21CountingInputIteratorIllEEPS6_NSA_22TransformInputIteratorIbN2at6native12_GLOBAL__N_19NonZeroOpIN3c107complexIfEEEEPKSL_lEENS0_5tupleIJPlS6_EEENSQ_IJSD_SD_EEES6_PiJS6_EEE10hipError_tPvRmT3_T4_T5_T6_T7_T9_mT8_P12ihipStream_tbDpT10_ENKUlT_T0_E_clISt17integral_constantIbLb1EES1D_IbLb0EEEEDaS19_S1A_EUlS19_E_NS1_11comp_targetILNS1_3genE0ELNS1_11target_archE4294967295ELNS1_3gpuE0ELNS1_3repE0EEENS1_30default_config_static_selectorELNS0_4arch9wavefront6targetE0EEEvT1_ ; -- Begin function _ZN7rocprim17ROCPRIM_400000_NS6detail17trampoline_kernelINS0_14default_configENS1_25partition_config_selectorILNS1_17partition_subalgoE5ElNS0_10empty_typeEbEEZZNS1_14partition_implILS5_5ELb0ES3_mN6hipcub16HIPCUB_304000_NS21CountingInputIteratorIllEEPS6_NSA_22TransformInputIteratorIbN2at6native12_GLOBAL__N_19NonZeroOpIN3c107complexIfEEEEPKSL_lEENS0_5tupleIJPlS6_EEENSQ_IJSD_SD_EEES6_PiJS6_EEE10hipError_tPvRmT3_T4_T5_T6_T7_T9_mT8_P12ihipStream_tbDpT10_ENKUlT_T0_E_clISt17integral_constantIbLb1EES1D_IbLb0EEEEDaS19_S1A_EUlS19_E_NS1_11comp_targetILNS1_3genE0ELNS1_11target_archE4294967295ELNS1_3gpuE0ELNS1_3repE0EEENS1_30default_config_static_selectorELNS0_4arch9wavefront6targetE0EEEvT1_
	.p2align	8
	.type	_ZN7rocprim17ROCPRIM_400000_NS6detail17trampoline_kernelINS0_14default_configENS1_25partition_config_selectorILNS1_17partition_subalgoE5ElNS0_10empty_typeEbEEZZNS1_14partition_implILS5_5ELb0ES3_mN6hipcub16HIPCUB_304000_NS21CountingInputIteratorIllEEPS6_NSA_22TransformInputIteratorIbN2at6native12_GLOBAL__N_19NonZeroOpIN3c107complexIfEEEEPKSL_lEENS0_5tupleIJPlS6_EEENSQ_IJSD_SD_EEES6_PiJS6_EEE10hipError_tPvRmT3_T4_T5_T6_T7_T9_mT8_P12ihipStream_tbDpT10_ENKUlT_T0_E_clISt17integral_constantIbLb1EES1D_IbLb0EEEEDaS19_S1A_EUlS19_E_NS1_11comp_targetILNS1_3genE0ELNS1_11target_archE4294967295ELNS1_3gpuE0ELNS1_3repE0EEENS1_30default_config_static_selectorELNS0_4arch9wavefront6targetE0EEEvT1_,@function
_ZN7rocprim17ROCPRIM_400000_NS6detail17trampoline_kernelINS0_14default_configENS1_25partition_config_selectorILNS1_17partition_subalgoE5ElNS0_10empty_typeEbEEZZNS1_14partition_implILS5_5ELb0ES3_mN6hipcub16HIPCUB_304000_NS21CountingInputIteratorIllEEPS6_NSA_22TransformInputIteratorIbN2at6native12_GLOBAL__N_19NonZeroOpIN3c107complexIfEEEEPKSL_lEENS0_5tupleIJPlS6_EEENSQ_IJSD_SD_EEES6_PiJS6_EEE10hipError_tPvRmT3_T4_T5_T6_T7_T9_mT8_P12ihipStream_tbDpT10_ENKUlT_T0_E_clISt17integral_constantIbLb1EES1D_IbLb0EEEEDaS19_S1A_EUlS19_E_NS1_11comp_targetILNS1_3genE0ELNS1_11target_archE4294967295ELNS1_3gpuE0ELNS1_3repE0EEENS1_30default_config_static_selectorELNS0_4arch9wavefront6targetE0EEEvT1_: ; @_ZN7rocprim17ROCPRIM_400000_NS6detail17trampoline_kernelINS0_14default_configENS1_25partition_config_selectorILNS1_17partition_subalgoE5ElNS0_10empty_typeEbEEZZNS1_14partition_implILS5_5ELb0ES3_mN6hipcub16HIPCUB_304000_NS21CountingInputIteratorIllEEPS6_NSA_22TransformInputIteratorIbN2at6native12_GLOBAL__N_19NonZeroOpIN3c107complexIfEEEEPKSL_lEENS0_5tupleIJPlS6_EEENSQ_IJSD_SD_EEES6_PiJS6_EEE10hipError_tPvRmT3_T4_T5_T6_T7_T9_mT8_P12ihipStream_tbDpT10_ENKUlT_T0_E_clISt17integral_constantIbLb1EES1D_IbLb0EEEEDaS19_S1A_EUlS19_E_NS1_11comp_targetILNS1_3genE0ELNS1_11target_archE4294967295ELNS1_3gpuE0ELNS1_3repE0EEENS1_30default_config_static_selectorELNS0_4arch9wavefront6targetE0EEEvT1_
; %bb.0:
	.section	.rodata,"a",@progbits
	.p2align	6, 0x0
	.amdhsa_kernel _ZN7rocprim17ROCPRIM_400000_NS6detail17trampoline_kernelINS0_14default_configENS1_25partition_config_selectorILNS1_17partition_subalgoE5ElNS0_10empty_typeEbEEZZNS1_14partition_implILS5_5ELb0ES3_mN6hipcub16HIPCUB_304000_NS21CountingInputIteratorIllEEPS6_NSA_22TransformInputIteratorIbN2at6native12_GLOBAL__N_19NonZeroOpIN3c107complexIfEEEEPKSL_lEENS0_5tupleIJPlS6_EEENSQ_IJSD_SD_EEES6_PiJS6_EEE10hipError_tPvRmT3_T4_T5_T6_T7_T9_mT8_P12ihipStream_tbDpT10_ENKUlT_T0_E_clISt17integral_constantIbLb1EES1D_IbLb0EEEEDaS19_S1A_EUlS19_E_NS1_11comp_targetILNS1_3genE0ELNS1_11target_archE4294967295ELNS1_3gpuE0ELNS1_3repE0EEENS1_30default_config_static_selectorELNS0_4arch9wavefront6targetE0EEEvT1_
		.amdhsa_group_segment_fixed_size 0
		.amdhsa_private_segment_fixed_size 0
		.amdhsa_kernarg_size 120
		.amdhsa_user_sgpr_count 2
		.amdhsa_user_sgpr_dispatch_ptr 0
		.amdhsa_user_sgpr_queue_ptr 0
		.amdhsa_user_sgpr_kernarg_segment_ptr 1
		.amdhsa_user_sgpr_dispatch_id 0
		.amdhsa_user_sgpr_private_segment_size 0
		.amdhsa_wavefront_size32 1
		.amdhsa_uses_dynamic_stack 0
		.amdhsa_enable_private_segment 0
		.amdhsa_system_sgpr_workgroup_id_x 1
		.amdhsa_system_sgpr_workgroup_id_y 0
		.amdhsa_system_sgpr_workgroup_id_z 0
		.amdhsa_system_sgpr_workgroup_info 0
		.amdhsa_system_vgpr_workitem_id 0
		.amdhsa_next_free_vgpr 1
		.amdhsa_next_free_sgpr 1
		.amdhsa_reserve_vcc 0
		.amdhsa_float_round_mode_32 0
		.amdhsa_float_round_mode_16_64 0
		.amdhsa_float_denorm_mode_32 3
		.amdhsa_float_denorm_mode_16_64 3
		.amdhsa_fp16_overflow 0
		.amdhsa_workgroup_processor_mode 1
		.amdhsa_memory_ordered 1
		.amdhsa_forward_progress 1
		.amdhsa_inst_pref_size 0
		.amdhsa_round_robin_scheduling 0
		.amdhsa_exception_fp_ieee_invalid_op 0
		.amdhsa_exception_fp_denorm_src 0
		.amdhsa_exception_fp_ieee_div_zero 0
		.amdhsa_exception_fp_ieee_overflow 0
		.amdhsa_exception_fp_ieee_underflow 0
		.amdhsa_exception_fp_ieee_inexact 0
		.amdhsa_exception_int_div_zero 0
	.end_amdhsa_kernel
	.section	.text._ZN7rocprim17ROCPRIM_400000_NS6detail17trampoline_kernelINS0_14default_configENS1_25partition_config_selectorILNS1_17partition_subalgoE5ElNS0_10empty_typeEbEEZZNS1_14partition_implILS5_5ELb0ES3_mN6hipcub16HIPCUB_304000_NS21CountingInputIteratorIllEEPS6_NSA_22TransformInputIteratorIbN2at6native12_GLOBAL__N_19NonZeroOpIN3c107complexIfEEEEPKSL_lEENS0_5tupleIJPlS6_EEENSQ_IJSD_SD_EEES6_PiJS6_EEE10hipError_tPvRmT3_T4_T5_T6_T7_T9_mT8_P12ihipStream_tbDpT10_ENKUlT_T0_E_clISt17integral_constantIbLb1EES1D_IbLb0EEEEDaS19_S1A_EUlS19_E_NS1_11comp_targetILNS1_3genE0ELNS1_11target_archE4294967295ELNS1_3gpuE0ELNS1_3repE0EEENS1_30default_config_static_selectorELNS0_4arch9wavefront6targetE0EEEvT1_,"axG",@progbits,_ZN7rocprim17ROCPRIM_400000_NS6detail17trampoline_kernelINS0_14default_configENS1_25partition_config_selectorILNS1_17partition_subalgoE5ElNS0_10empty_typeEbEEZZNS1_14partition_implILS5_5ELb0ES3_mN6hipcub16HIPCUB_304000_NS21CountingInputIteratorIllEEPS6_NSA_22TransformInputIteratorIbN2at6native12_GLOBAL__N_19NonZeroOpIN3c107complexIfEEEEPKSL_lEENS0_5tupleIJPlS6_EEENSQ_IJSD_SD_EEES6_PiJS6_EEE10hipError_tPvRmT3_T4_T5_T6_T7_T9_mT8_P12ihipStream_tbDpT10_ENKUlT_T0_E_clISt17integral_constantIbLb1EES1D_IbLb0EEEEDaS19_S1A_EUlS19_E_NS1_11comp_targetILNS1_3genE0ELNS1_11target_archE4294967295ELNS1_3gpuE0ELNS1_3repE0EEENS1_30default_config_static_selectorELNS0_4arch9wavefront6targetE0EEEvT1_,comdat
.Lfunc_end610:
	.size	_ZN7rocprim17ROCPRIM_400000_NS6detail17trampoline_kernelINS0_14default_configENS1_25partition_config_selectorILNS1_17partition_subalgoE5ElNS0_10empty_typeEbEEZZNS1_14partition_implILS5_5ELb0ES3_mN6hipcub16HIPCUB_304000_NS21CountingInputIteratorIllEEPS6_NSA_22TransformInputIteratorIbN2at6native12_GLOBAL__N_19NonZeroOpIN3c107complexIfEEEEPKSL_lEENS0_5tupleIJPlS6_EEENSQ_IJSD_SD_EEES6_PiJS6_EEE10hipError_tPvRmT3_T4_T5_T6_T7_T9_mT8_P12ihipStream_tbDpT10_ENKUlT_T0_E_clISt17integral_constantIbLb1EES1D_IbLb0EEEEDaS19_S1A_EUlS19_E_NS1_11comp_targetILNS1_3genE0ELNS1_11target_archE4294967295ELNS1_3gpuE0ELNS1_3repE0EEENS1_30default_config_static_selectorELNS0_4arch9wavefront6targetE0EEEvT1_, .Lfunc_end610-_ZN7rocprim17ROCPRIM_400000_NS6detail17trampoline_kernelINS0_14default_configENS1_25partition_config_selectorILNS1_17partition_subalgoE5ElNS0_10empty_typeEbEEZZNS1_14partition_implILS5_5ELb0ES3_mN6hipcub16HIPCUB_304000_NS21CountingInputIteratorIllEEPS6_NSA_22TransformInputIteratorIbN2at6native12_GLOBAL__N_19NonZeroOpIN3c107complexIfEEEEPKSL_lEENS0_5tupleIJPlS6_EEENSQ_IJSD_SD_EEES6_PiJS6_EEE10hipError_tPvRmT3_T4_T5_T6_T7_T9_mT8_P12ihipStream_tbDpT10_ENKUlT_T0_E_clISt17integral_constantIbLb1EES1D_IbLb0EEEEDaS19_S1A_EUlS19_E_NS1_11comp_targetILNS1_3genE0ELNS1_11target_archE4294967295ELNS1_3gpuE0ELNS1_3repE0EEENS1_30default_config_static_selectorELNS0_4arch9wavefront6targetE0EEEvT1_
                                        ; -- End function
	.set _ZN7rocprim17ROCPRIM_400000_NS6detail17trampoline_kernelINS0_14default_configENS1_25partition_config_selectorILNS1_17partition_subalgoE5ElNS0_10empty_typeEbEEZZNS1_14partition_implILS5_5ELb0ES3_mN6hipcub16HIPCUB_304000_NS21CountingInputIteratorIllEEPS6_NSA_22TransformInputIteratorIbN2at6native12_GLOBAL__N_19NonZeroOpIN3c107complexIfEEEEPKSL_lEENS0_5tupleIJPlS6_EEENSQ_IJSD_SD_EEES6_PiJS6_EEE10hipError_tPvRmT3_T4_T5_T6_T7_T9_mT8_P12ihipStream_tbDpT10_ENKUlT_T0_E_clISt17integral_constantIbLb1EES1D_IbLb0EEEEDaS19_S1A_EUlS19_E_NS1_11comp_targetILNS1_3genE0ELNS1_11target_archE4294967295ELNS1_3gpuE0ELNS1_3repE0EEENS1_30default_config_static_selectorELNS0_4arch9wavefront6targetE0EEEvT1_.num_vgpr, 0
	.set _ZN7rocprim17ROCPRIM_400000_NS6detail17trampoline_kernelINS0_14default_configENS1_25partition_config_selectorILNS1_17partition_subalgoE5ElNS0_10empty_typeEbEEZZNS1_14partition_implILS5_5ELb0ES3_mN6hipcub16HIPCUB_304000_NS21CountingInputIteratorIllEEPS6_NSA_22TransformInputIteratorIbN2at6native12_GLOBAL__N_19NonZeroOpIN3c107complexIfEEEEPKSL_lEENS0_5tupleIJPlS6_EEENSQ_IJSD_SD_EEES6_PiJS6_EEE10hipError_tPvRmT3_T4_T5_T6_T7_T9_mT8_P12ihipStream_tbDpT10_ENKUlT_T0_E_clISt17integral_constantIbLb1EES1D_IbLb0EEEEDaS19_S1A_EUlS19_E_NS1_11comp_targetILNS1_3genE0ELNS1_11target_archE4294967295ELNS1_3gpuE0ELNS1_3repE0EEENS1_30default_config_static_selectorELNS0_4arch9wavefront6targetE0EEEvT1_.num_agpr, 0
	.set _ZN7rocprim17ROCPRIM_400000_NS6detail17trampoline_kernelINS0_14default_configENS1_25partition_config_selectorILNS1_17partition_subalgoE5ElNS0_10empty_typeEbEEZZNS1_14partition_implILS5_5ELb0ES3_mN6hipcub16HIPCUB_304000_NS21CountingInputIteratorIllEEPS6_NSA_22TransformInputIteratorIbN2at6native12_GLOBAL__N_19NonZeroOpIN3c107complexIfEEEEPKSL_lEENS0_5tupleIJPlS6_EEENSQ_IJSD_SD_EEES6_PiJS6_EEE10hipError_tPvRmT3_T4_T5_T6_T7_T9_mT8_P12ihipStream_tbDpT10_ENKUlT_T0_E_clISt17integral_constantIbLb1EES1D_IbLb0EEEEDaS19_S1A_EUlS19_E_NS1_11comp_targetILNS1_3genE0ELNS1_11target_archE4294967295ELNS1_3gpuE0ELNS1_3repE0EEENS1_30default_config_static_selectorELNS0_4arch9wavefront6targetE0EEEvT1_.numbered_sgpr, 0
	.set _ZN7rocprim17ROCPRIM_400000_NS6detail17trampoline_kernelINS0_14default_configENS1_25partition_config_selectorILNS1_17partition_subalgoE5ElNS0_10empty_typeEbEEZZNS1_14partition_implILS5_5ELb0ES3_mN6hipcub16HIPCUB_304000_NS21CountingInputIteratorIllEEPS6_NSA_22TransformInputIteratorIbN2at6native12_GLOBAL__N_19NonZeroOpIN3c107complexIfEEEEPKSL_lEENS0_5tupleIJPlS6_EEENSQ_IJSD_SD_EEES6_PiJS6_EEE10hipError_tPvRmT3_T4_T5_T6_T7_T9_mT8_P12ihipStream_tbDpT10_ENKUlT_T0_E_clISt17integral_constantIbLb1EES1D_IbLb0EEEEDaS19_S1A_EUlS19_E_NS1_11comp_targetILNS1_3genE0ELNS1_11target_archE4294967295ELNS1_3gpuE0ELNS1_3repE0EEENS1_30default_config_static_selectorELNS0_4arch9wavefront6targetE0EEEvT1_.num_named_barrier, 0
	.set _ZN7rocprim17ROCPRIM_400000_NS6detail17trampoline_kernelINS0_14default_configENS1_25partition_config_selectorILNS1_17partition_subalgoE5ElNS0_10empty_typeEbEEZZNS1_14partition_implILS5_5ELb0ES3_mN6hipcub16HIPCUB_304000_NS21CountingInputIteratorIllEEPS6_NSA_22TransformInputIteratorIbN2at6native12_GLOBAL__N_19NonZeroOpIN3c107complexIfEEEEPKSL_lEENS0_5tupleIJPlS6_EEENSQ_IJSD_SD_EEES6_PiJS6_EEE10hipError_tPvRmT3_T4_T5_T6_T7_T9_mT8_P12ihipStream_tbDpT10_ENKUlT_T0_E_clISt17integral_constantIbLb1EES1D_IbLb0EEEEDaS19_S1A_EUlS19_E_NS1_11comp_targetILNS1_3genE0ELNS1_11target_archE4294967295ELNS1_3gpuE0ELNS1_3repE0EEENS1_30default_config_static_selectorELNS0_4arch9wavefront6targetE0EEEvT1_.private_seg_size, 0
	.set _ZN7rocprim17ROCPRIM_400000_NS6detail17trampoline_kernelINS0_14default_configENS1_25partition_config_selectorILNS1_17partition_subalgoE5ElNS0_10empty_typeEbEEZZNS1_14partition_implILS5_5ELb0ES3_mN6hipcub16HIPCUB_304000_NS21CountingInputIteratorIllEEPS6_NSA_22TransformInputIteratorIbN2at6native12_GLOBAL__N_19NonZeroOpIN3c107complexIfEEEEPKSL_lEENS0_5tupleIJPlS6_EEENSQ_IJSD_SD_EEES6_PiJS6_EEE10hipError_tPvRmT3_T4_T5_T6_T7_T9_mT8_P12ihipStream_tbDpT10_ENKUlT_T0_E_clISt17integral_constantIbLb1EES1D_IbLb0EEEEDaS19_S1A_EUlS19_E_NS1_11comp_targetILNS1_3genE0ELNS1_11target_archE4294967295ELNS1_3gpuE0ELNS1_3repE0EEENS1_30default_config_static_selectorELNS0_4arch9wavefront6targetE0EEEvT1_.uses_vcc, 0
	.set _ZN7rocprim17ROCPRIM_400000_NS6detail17trampoline_kernelINS0_14default_configENS1_25partition_config_selectorILNS1_17partition_subalgoE5ElNS0_10empty_typeEbEEZZNS1_14partition_implILS5_5ELb0ES3_mN6hipcub16HIPCUB_304000_NS21CountingInputIteratorIllEEPS6_NSA_22TransformInputIteratorIbN2at6native12_GLOBAL__N_19NonZeroOpIN3c107complexIfEEEEPKSL_lEENS0_5tupleIJPlS6_EEENSQ_IJSD_SD_EEES6_PiJS6_EEE10hipError_tPvRmT3_T4_T5_T6_T7_T9_mT8_P12ihipStream_tbDpT10_ENKUlT_T0_E_clISt17integral_constantIbLb1EES1D_IbLb0EEEEDaS19_S1A_EUlS19_E_NS1_11comp_targetILNS1_3genE0ELNS1_11target_archE4294967295ELNS1_3gpuE0ELNS1_3repE0EEENS1_30default_config_static_selectorELNS0_4arch9wavefront6targetE0EEEvT1_.uses_flat_scratch, 0
	.set _ZN7rocprim17ROCPRIM_400000_NS6detail17trampoline_kernelINS0_14default_configENS1_25partition_config_selectorILNS1_17partition_subalgoE5ElNS0_10empty_typeEbEEZZNS1_14partition_implILS5_5ELb0ES3_mN6hipcub16HIPCUB_304000_NS21CountingInputIteratorIllEEPS6_NSA_22TransformInputIteratorIbN2at6native12_GLOBAL__N_19NonZeroOpIN3c107complexIfEEEEPKSL_lEENS0_5tupleIJPlS6_EEENSQ_IJSD_SD_EEES6_PiJS6_EEE10hipError_tPvRmT3_T4_T5_T6_T7_T9_mT8_P12ihipStream_tbDpT10_ENKUlT_T0_E_clISt17integral_constantIbLb1EES1D_IbLb0EEEEDaS19_S1A_EUlS19_E_NS1_11comp_targetILNS1_3genE0ELNS1_11target_archE4294967295ELNS1_3gpuE0ELNS1_3repE0EEENS1_30default_config_static_selectorELNS0_4arch9wavefront6targetE0EEEvT1_.has_dyn_sized_stack, 0
	.set _ZN7rocprim17ROCPRIM_400000_NS6detail17trampoline_kernelINS0_14default_configENS1_25partition_config_selectorILNS1_17partition_subalgoE5ElNS0_10empty_typeEbEEZZNS1_14partition_implILS5_5ELb0ES3_mN6hipcub16HIPCUB_304000_NS21CountingInputIteratorIllEEPS6_NSA_22TransformInputIteratorIbN2at6native12_GLOBAL__N_19NonZeroOpIN3c107complexIfEEEEPKSL_lEENS0_5tupleIJPlS6_EEENSQ_IJSD_SD_EEES6_PiJS6_EEE10hipError_tPvRmT3_T4_T5_T6_T7_T9_mT8_P12ihipStream_tbDpT10_ENKUlT_T0_E_clISt17integral_constantIbLb1EES1D_IbLb0EEEEDaS19_S1A_EUlS19_E_NS1_11comp_targetILNS1_3genE0ELNS1_11target_archE4294967295ELNS1_3gpuE0ELNS1_3repE0EEENS1_30default_config_static_selectorELNS0_4arch9wavefront6targetE0EEEvT1_.has_recursion, 0
	.set _ZN7rocprim17ROCPRIM_400000_NS6detail17trampoline_kernelINS0_14default_configENS1_25partition_config_selectorILNS1_17partition_subalgoE5ElNS0_10empty_typeEbEEZZNS1_14partition_implILS5_5ELb0ES3_mN6hipcub16HIPCUB_304000_NS21CountingInputIteratorIllEEPS6_NSA_22TransformInputIteratorIbN2at6native12_GLOBAL__N_19NonZeroOpIN3c107complexIfEEEEPKSL_lEENS0_5tupleIJPlS6_EEENSQ_IJSD_SD_EEES6_PiJS6_EEE10hipError_tPvRmT3_T4_T5_T6_T7_T9_mT8_P12ihipStream_tbDpT10_ENKUlT_T0_E_clISt17integral_constantIbLb1EES1D_IbLb0EEEEDaS19_S1A_EUlS19_E_NS1_11comp_targetILNS1_3genE0ELNS1_11target_archE4294967295ELNS1_3gpuE0ELNS1_3repE0EEENS1_30default_config_static_selectorELNS0_4arch9wavefront6targetE0EEEvT1_.has_indirect_call, 0
	.section	.AMDGPU.csdata,"",@progbits
; Kernel info:
; codeLenInByte = 0
; TotalNumSgprs: 0
; NumVgprs: 0
; ScratchSize: 0
; MemoryBound: 0
; FloatMode: 240
; IeeeMode: 1
; LDSByteSize: 0 bytes/workgroup (compile time only)
; SGPRBlocks: 0
; VGPRBlocks: 0
; NumSGPRsForWavesPerEU: 1
; NumVGPRsForWavesPerEU: 1
; Occupancy: 16
; WaveLimiterHint : 0
; COMPUTE_PGM_RSRC2:SCRATCH_EN: 0
; COMPUTE_PGM_RSRC2:USER_SGPR: 2
; COMPUTE_PGM_RSRC2:TRAP_HANDLER: 0
; COMPUTE_PGM_RSRC2:TGID_X_EN: 1
; COMPUTE_PGM_RSRC2:TGID_Y_EN: 0
; COMPUTE_PGM_RSRC2:TGID_Z_EN: 0
; COMPUTE_PGM_RSRC2:TIDIG_COMP_CNT: 0
	.section	.text._ZN7rocprim17ROCPRIM_400000_NS6detail17trampoline_kernelINS0_14default_configENS1_25partition_config_selectorILNS1_17partition_subalgoE5ElNS0_10empty_typeEbEEZZNS1_14partition_implILS5_5ELb0ES3_mN6hipcub16HIPCUB_304000_NS21CountingInputIteratorIllEEPS6_NSA_22TransformInputIteratorIbN2at6native12_GLOBAL__N_19NonZeroOpIN3c107complexIfEEEEPKSL_lEENS0_5tupleIJPlS6_EEENSQ_IJSD_SD_EEES6_PiJS6_EEE10hipError_tPvRmT3_T4_T5_T6_T7_T9_mT8_P12ihipStream_tbDpT10_ENKUlT_T0_E_clISt17integral_constantIbLb1EES1D_IbLb0EEEEDaS19_S1A_EUlS19_E_NS1_11comp_targetILNS1_3genE5ELNS1_11target_archE942ELNS1_3gpuE9ELNS1_3repE0EEENS1_30default_config_static_selectorELNS0_4arch9wavefront6targetE0EEEvT1_,"axG",@progbits,_ZN7rocprim17ROCPRIM_400000_NS6detail17trampoline_kernelINS0_14default_configENS1_25partition_config_selectorILNS1_17partition_subalgoE5ElNS0_10empty_typeEbEEZZNS1_14partition_implILS5_5ELb0ES3_mN6hipcub16HIPCUB_304000_NS21CountingInputIteratorIllEEPS6_NSA_22TransformInputIteratorIbN2at6native12_GLOBAL__N_19NonZeroOpIN3c107complexIfEEEEPKSL_lEENS0_5tupleIJPlS6_EEENSQ_IJSD_SD_EEES6_PiJS6_EEE10hipError_tPvRmT3_T4_T5_T6_T7_T9_mT8_P12ihipStream_tbDpT10_ENKUlT_T0_E_clISt17integral_constantIbLb1EES1D_IbLb0EEEEDaS19_S1A_EUlS19_E_NS1_11comp_targetILNS1_3genE5ELNS1_11target_archE942ELNS1_3gpuE9ELNS1_3repE0EEENS1_30default_config_static_selectorELNS0_4arch9wavefront6targetE0EEEvT1_,comdat
	.globl	_ZN7rocprim17ROCPRIM_400000_NS6detail17trampoline_kernelINS0_14default_configENS1_25partition_config_selectorILNS1_17partition_subalgoE5ElNS0_10empty_typeEbEEZZNS1_14partition_implILS5_5ELb0ES3_mN6hipcub16HIPCUB_304000_NS21CountingInputIteratorIllEEPS6_NSA_22TransformInputIteratorIbN2at6native12_GLOBAL__N_19NonZeroOpIN3c107complexIfEEEEPKSL_lEENS0_5tupleIJPlS6_EEENSQ_IJSD_SD_EEES6_PiJS6_EEE10hipError_tPvRmT3_T4_T5_T6_T7_T9_mT8_P12ihipStream_tbDpT10_ENKUlT_T0_E_clISt17integral_constantIbLb1EES1D_IbLb0EEEEDaS19_S1A_EUlS19_E_NS1_11comp_targetILNS1_3genE5ELNS1_11target_archE942ELNS1_3gpuE9ELNS1_3repE0EEENS1_30default_config_static_selectorELNS0_4arch9wavefront6targetE0EEEvT1_ ; -- Begin function _ZN7rocprim17ROCPRIM_400000_NS6detail17trampoline_kernelINS0_14default_configENS1_25partition_config_selectorILNS1_17partition_subalgoE5ElNS0_10empty_typeEbEEZZNS1_14partition_implILS5_5ELb0ES3_mN6hipcub16HIPCUB_304000_NS21CountingInputIteratorIllEEPS6_NSA_22TransformInputIteratorIbN2at6native12_GLOBAL__N_19NonZeroOpIN3c107complexIfEEEEPKSL_lEENS0_5tupleIJPlS6_EEENSQ_IJSD_SD_EEES6_PiJS6_EEE10hipError_tPvRmT3_T4_T5_T6_T7_T9_mT8_P12ihipStream_tbDpT10_ENKUlT_T0_E_clISt17integral_constantIbLb1EES1D_IbLb0EEEEDaS19_S1A_EUlS19_E_NS1_11comp_targetILNS1_3genE5ELNS1_11target_archE942ELNS1_3gpuE9ELNS1_3repE0EEENS1_30default_config_static_selectorELNS0_4arch9wavefront6targetE0EEEvT1_
	.p2align	8
	.type	_ZN7rocprim17ROCPRIM_400000_NS6detail17trampoline_kernelINS0_14default_configENS1_25partition_config_selectorILNS1_17partition_subalgoE5ElNS0_10empty_typeEbEEZZNS1_14partition_implILS5_5ELb0ES3_mN6hipcub16HIPCUB_304000_NS21CountingInputIteratorIllEEPS6_NSA_22TransformInputIteratorIbN2at6native12_GLOBAL__N_19NonZeroOpIN3c107complexIfEEEEPKSL_lEENS0_5tupleIJPlS6_EEENSQ_IJSD_SD_EEES6_PiJS6_EEE10hipError_tPvRmT3_T4_T5_T6_T7_T9_mT8_P12ihipStream_tbDpT10_ENKUlT_T0_E_clISt17integral_constantIbLb1EES1D_IbLb0EEEEDaS19_S1A_EUlS19_E_NS1_11comp_targetILNS1_3genE5ELNS1_11target_archE942ELNS1_3gpuE9ELNS1_3repE0EEENS1_30default_config_static_selectorELNS0_4arch9wavefront6targetE0EEEvT1_,@function
_ZN7rocprim17ROCPRIM_400000_NS6detail17trampoline_kernelINS0_14default_configENS1_25partition_config_selectorILNS1_17partition_subalgoE5ElNS0_10empty_typeEbEEZZNS1_14partition_implILS5_5ELb0ES3_mN6hipcub16HIPCUB_304000_NS21CountingInputIteratorIllEEPS6_NSA_22TransformInputIteratorIbN2at6native12_GLOBAL__N_19NonZeroOpIN3c107complexIfEEEEPKSL_lEENS0_5tupleIJPlS6_EEENSQ_IJSD_SD_EEES6_PiJS6_EEE10hipError_tPvRmT3_T4_T5_T6_T7_T9_mT8_P12ihipStream_tbDpT10_ENKUlT_T0_E_clISt17integral_constantIbLb1EES1D_IbLb0EEEEDaS19_S1A_EUlS19_E_NS1_11comp_targetILNS1_3genE5ELNS1_11target_archE942ELNS1_3gpuE9ELNS1_3repE0EEENS1_30default_config_static_selectorELNS0_4arch9wavefront6targetE0EEEvT1_: ; @_ZN7rocprim17ROCPRIM_400000_NS6detail17trampoline_kernelINS0_14default_configENS1_25partition_config_selectorILNS1_17partition_subalgoE5ElNS0_10empty_typeEbEEZZNS1_14partition_implILS5_5ELb0ES3_mN6hipcub16HIPCUB_304000_NS21CountingInputIteratorIllEEPS6_NSA_22TransformInputIteratorIbN2at6native12_GLOBAL__N_19NonZeroOpIN3c107complexIfEEEEPKSL_lEENS0_5tupleIJPlS6_EEENSQ_IJSD_SD_EEES6_PiJS6_EEE10hipError_tPvRmT3_T4_T5_T6_T7_T9_mT8_P12ihipStream_tbDpT10_ENKUlT_T0_E_clISt17integral_constantIbLb1EES1D_IbLb0EEEEDaS19_S1A_EUlS19_E_NS1_11comp_targetILNS1_3genE5ELNS1_11target_archE942ELNS1_3gpuE9ELNS1_3repE0EEENS1_30default_config_static_selectorELNS0_4arch9wavefront6targetE0EEEvT1_
; %bb.0:
	.section	.rodata,"a",@progbits
	.p2align	6, 0x0
	.amdhsa_kernel _ZN7rocprim17ROCPRIM_400000_NS6detail17trampoline_kernelINS0_14default_configENS1_25partition_config_selectorILNS1_17partition_subalgoE5ElNS0_10empty_typeEbEEZZNS1_14partition_implILS5_5ELb0ES3_mN6hipcub16HIPCUB_304000_NS21CountingInputIteratorIllEEPS6_NSA_22TransformInputIteratorIbN2at6native12_GLOBAL__N_19NonZeroOpIN3c107complexIfEEEEPKSL_lEENS0_5tupleIJPlS6_EEENSQ_IJSD_SD_EEES6_PiJS6_EEE10hipError_tPvRmT3_T4_T5_T6_T7_T9_mT8_P12ihipStream_tbDpT10_ENKUlT_T0_E_clISt17integral_constantIbLb1EES1D_IbLb0EEEEDaS19_S1A_EUlS19_E_NS1_11comp_targetILNS1_3genE5ELNS1_11target_archE942ELNS1_3gpuE9ELNS1_3repE0EEENS1_30default_config_static_selectorELNS0_4arch9wavefront6targetE0EEEvT1_
		.amdhsa_group_segment_fixed_size 0
		.amdhsa_private_segment_fixed_size 0
		.amdhsa_kernarg_size 120
		.amdhsa_user_sgpr_count 2
		.amdhsa_user_sgpr_dispatch_ptr 0
		.amdhsa_user_sgpr_queue_ptr 0
		.amdhsa_user_sgpr_kernarg_segment_ptr 1
		.amdhsa_user_sgpr_dispatch_id 0
		.amdhsa_user_sgpr_private_segment_size 0
		.amdhsa_wavefront_size32 1
		.amdhsa_uses_dynamic_stack 0
		.amdhsa_enable_private_segment 0
		.amdhsa_system_sgpr_workgroup_id_x 1
		.amdhsa_system_sgpr_workgroup_id_y 0
		.amdhsa_system_sgpr_workgroup_id_z 0
		.amdhsa_system_sgpr_workgroup_info 0
		.amdhsa_system_vgpr_workitem_id 0
		.amdhsa_next_free_vgpr 1
		.amdhsa_next_free_sgpr 1
		.amdhsa_reserve_vcc 0
		.amdhsa_float_round_mode_32 0
		.amdhsa_float_round_mode_16_64 0
		.amdhsa_float_denorm_mode_32 3
		.amdhsa_float_denorm_mode_16_64 3
		.amdhsa_fp16_overflow 0
		.amdhsa_workgroup_processor_mode 1
		.amdhsa_memory_ordered 1
		.amdhsa_forward_progress 1
		.amdhsa_inst_pref_size 0
		.amdhsa_round_robin_scheduling 0
		.amdhsa_exception_fp_ieee_invalid_op 0
		.amdhsa_exception_fp_denorm_src 0
		.amdhsa_exception_fp_ieee_div_zero 0
		.amdhsa_exception_fp_ieee_overflow 0
		.amdhsa_exception_fp_ieee_underflow 0
		.amdhsa_exception_fp_ieee_inexact 0
		.amdhsa_exception_int_div_zero 0
	.end_amdhsa_kernel
	.section	.text._ZN7rocprim17ROCPRIM_400000_NS6detail17trampoline_kernelINS0_14default_configENS1_25partition_config_selectorILNS1_17partition_subalgoE5ElNS0_10empty_typeEbEEZZNS1_14partition_implILS5_5ELb0ES3_mN6hipcub16HIPCUB_304000_NS21CountingInputIteratorIllEEPS6_NSA_22TransformInputIteratorIbN2at6native12_GLOBAL__N_19NonZeroOpIN3c107complexIfEEEEPKSL_lEENS0_5tupleIJPlS6_EEENSQ_IJSD_SD_EEES6_PiJS6_EEE10hipError_tPvRmT3_T4_T5_T6_T7_T9_mT8_P12ihipStream_tbDpT10_ENKUlT_T0_E_clISt17integral_constantIbLb1EES1D_IbLb0EEEEDaS19_S1A_EUlS19_E_NS1_11comp_targetILNS1_3genE5ELNS1_11target_archE942ELNS1_3gpuE9ELNS1_3repE0EEENS1_30default_config_static_selectorELNS0_4arch9wavefront6targetE0EEEvT1_,"axG",@progbits,_ZN7rocprim17ROCPRIM_400000_NS6detail17trampoline_kernelINS0_14default_configENS1_25partition_config_selectorILNS1_17partition_subalgoE5ElNS0_10empty_typeEbEEZZNS1_14partition_implILS5_5ELb0ES3_mN6hipcub16HIPCUB_304000_NS21CountingInputIteratorIllEEPS6_NSA_22TransformInputIteratorIbN2at6native12_GLOBAL__N_19NonZeroOpIN3c107complexIfEEEEPKSL_lEENS0_5tupleIJPlS6_EEENSQ_IJSD_SD_EEES6_PiJS6_EEE10hipError_tPvRmT3_T4_T5_T6_T7_T9_mT8_P12ihipStream_tbDpT10_ENKUlT_T0_E_clISt17integral_constantIbLb1EES1D_IbLb0EEEEDaS19_S1A_EUlS19_E_NS1_11comp_targetILNS1_3genE5ELNS1_11target_archE942ELNS1_3gpuE9ELNS1_3repE0EEENS1_30default_config_static_selectorELNS0_4arch9wavefront6targetE0EEEvT1_,comdat
.Lfunc_end611:
	.size	_ZN7rocprim17ROCPRIM_400000_NS6detail17trampoline_kernelINS0_14default_configENS1_25partition_config_selectorILNS1_17partition_subalgoE5ElNS0_10empty_typeEbEEZZNS1_14partition_implILS5_5ELb0ES3_mN6hipcub16HIPCUB_304000_NS21CountingInputIteratorIllEEPS6_NSA_22TransformInputIteratorIbN2at6native12_GLOBAL__N_19NonZeroOpIN3c107complexIfEEEEPKSL_lEENS0_5tupleIJPlS6_EEENSQ_IJSD_SD_EEES6_PiJS6_EEE10hipError_tPvRmT3_T4_T5_T6_T7_T9_mT8_P12ihipStream_tbDpT10_ENKUlT_T0_E_clISt17integral_constantIbLb1EES1D_IbLb0EEEEDaS19_S1A_EUlS19_E_NS1_11comp_targetILNS1_3genE5ELNS1_11target_archE942ELNS1_3gpuE9ELNS1_3repE0EEENS1_30default_config_static_selectorELNS0_4arch9wavefront6targetE0EEEvT1_, .Lfunc_end611-_ZN7rocprim17ROCPRIM_400000_NS6detail17trampoline_kernelINS0_14default_configENS1_25partition_config_selectorILNS1_17partition_subalgoE5ElNS0_10empty_typeEbEEZZNS1_14partition_implILS5_5ELb0ES3_mN6hipcub16HIPCUB_304000_NS21CountingInputIteratorIllEEPS6_NSA_22TransformInputIteratorIbN2at6native12_GLOBAL__N_19NonZeroOpIN3c107complexIfEEEEPKSL_lEENS0_5tupleIJPlS6_EEENSQ_IJSD_SD_EEES6_PiJS6_EEE10hipError_tPvRmT3_T4_T5_T6_T7_T9_mT8_P12ihipStream_tbDpT10_ENKUlT_T0_E_clISt17integral_constantIbLb1EES1D_IbLb0EEEEDaS19_S1A_EUlS19_E_NS1_11comp_targetILNS1_3genE5ELNS1_11target_archE942ELNS1_3gpuE9ELNS1_3repE0EEENS1_30default_config_static_selectorELNS0_4arch9wavefront6targetE0EEEvT1_
                                        ; -- End function
	.set _ZN7rocprim17ROCPRIM_400000_NS6detail17trampoline_kernelINS0_14default_configENS1_25partition_config_selectorILNS1_17partition_subalgoE5ElNS0_10empty_typeEbEEZZNS1_14partition_implILS5_5ELb0ES3_mN6hipcub16HIPCUB_304000_NS21CountingInputIteratorIllEEPS6_NSA_22TransformInputIteratorIbN2at6native12_GLOBAL__N_19NonZeroOpIN3c107complexIfEEEEPKSL_lEENS0_5tupleIJPlS6_EEENSQ_IJSD_SD_EEES6_PiJS6_EEE10hipError_tPvRmT3_T4_T5_T6_T7_T9_mT8_P12ihipStream_tbDpT10_ENKUlT_T0_E_clISt17integral_constantIbLb1EES1D_IbLb0EEEEDaS19_S1A_EUlS19_E_NS1_11comp_targetILNS1_3genE5ELNS1_11target_archE942ELNS1_3gpuE9ELNS1_3repE0EEENS1_30default_config_static_selectorELNS0_4arch9wavefront6targetE0EEEvT1_.num_vgpr, 0
	.set _ZN7rocprim17ROCPRIM_400000_NS6detail17trampoline_kernelINS0_14default_configENS1_25partition_config_selectorILNS1_17partition_subalgoE5ElNS0_10empty_typeEbEEZZNS1_14partition_implILS5_5ELb0ES3_mN6hipcub16HIPCUB_304000_NS21CountingInputIteratorIllEEPS6_NSA_22TransformInputIteratorIbN2at6native12_GLOBAL__N_19NonZeroOpIN3c107complexIfEEEEPKSL_lEENS0_5tupleIJPlS6_EEENSQ_IJSD_SD_EEES6_PiJS6_EEE10hipError_tPvRmT3_T4_T5_T6_T7_T9_mT8_P12ihipStream_tbDpT10_ENKUlT_T0_E_clISt17integral_constantIbLb1EES1D_IbLb0EEEEDaS19_S1A_EUlS19_E_NS1_11comp_targetILNS1_3genE5ELNS1_11target_archE942ELNS1_3gpuE9ELNS1_3repE0EEENS1_30default_config_static_selectorELNS0_4arch9wavefront6targetE0EEEvT1_.num_agpr, 0
	.set _ZN7rocprim17ROCPRIM_400000_NS6detail17trampoline_kernelINS0_14default_configENS1_25partition_config_selectorILNS1_17partition_subalgoE5ElNS0_10empty_typeEbEEZZNS1_14partition_implILS5_5ELb0ES3_mN6hipcub16HIPCUB_304000_NS21CountingInputIteratorIllEEPS6_NSA_22TransformInputIteratorIbN2at6native12_GLOBAL__N_19NonZeroOpIN3c107complexIfEEEEPKSL_lEENS0_5tupleIJPlS6_EEENSQ_IJSD_SD_EEES6_PiJS6_EEE10hipError_tPvRmT3_T4_T5_T6_T7_T9_mT8_P12ihipStream_tbDpT10_ENKUlT_T0_E_clISt17integral_constantIbLb1EES1D_IbLb0EEEEDaS19_S1A_EUlS19_E_NS1_11comp_targetILNS1_3genE5ELNS1_11target_archE942ELNS1_3gpuE9ELNS1_3repE0EEENS1_30default_config_static_selectorELNS0_4arch9wavefront6targetE0EEEvT1_.numbered_sgpr, 0
	.set _ZN7rocprim17ROCPRIM_400000_NS6detail17trampoline_kernelINS0_14default_configENS1_25partition_config_selectorILNS1_17partition_subalgoE5ElNS0_10empty_typeEbEEZZNS1_14partition_implILS5_5ELb0ES3_mN6hipcub16HIPCUB_304000_NS21CountingInputIteratorIllEEPS6_NSA_22TransformInputIteratorIbN2at6native12_GLOBAL__N_19NonZeroOpIN3c107complexIfEEEEPKSL_lEENS0_5tupleIJPlS6_EEENSQ_IJSD_SD_EEES6_PiJS6_EEE10hipError_tPvRmT3_T4_T5_T6_T7_T9_mT8_P12ihipStream_tbDpT10_ENKUlT_T0_E_clISt17integral_constantIbLb1EES1D_IbLb0EEEEDaS19_S1A_EUlS19_E_NS1_11comp_targetILNS1_3genE5ELNS1_11target_archE942ELNS1_3gpuE9ELNS1_3repE0EEENS1_30default_config_static_selectorELNS0_4arch9wavefront6targetE0EEEvT1_.num_named_barrier, 0
	.set _ZN7rocprim17ROCPRIM_400000_NS6detail17trampoline_kernelINS0_14default_configENS1_25partition_config_selectorILNS1_17partition_subalgoE5ElNS0_10empty_typeEbEEZZNS1_14partition_implILS5_5ELb0ES3_mN6hipcub16HIPCUB_304000_NS21CountingInputIteratorIllEEPS6_NSA_22TransformInputIteratorIbN2at6native12_GLOBAL__N_19NonZeroOpIN3c107complexIfEEEEPKSL_lEENS0_5tupleIJPlS6_EEENSQ_IJSD_SD_EEES6_PiJS6_EEE10hipError_tPvRmT3_T4_T5_T6_T7_T9_mT8_P12ihipStream_tbDpT10_ENKUlT_T0_E_clISt17integral_constantIbLb1EES1D_IbLb0EEEEDaS19_S1A_EUlS19_E_NS1_11comp_targetILNS1_3genE5ELNS1_11target_archE942ELNS1_3gpuE9ELNS1_3repE0EEENS1_30default_config_static_selectorELNS0_4arch9wavefront6targetE0EEEvT1_.private_seg_size, 0
	.set _ZN7rocprim17ROCPRIM_400000_NS6detail17trampoline_kernelINS0_14default_configENS1_25partition_config_selectorILNS1_17partition_subalgoE5ElNS0_10empty_typeEbEEZZNS1_14partition_implILS5_5ELb0ES3_mN6hipcub16HIPCUB_304000_NS21CountingInputIteratorIllEEPS6_NSA_22TransformInputIteratorIbN2at6native12_GLOBAL__N_19NonZeroOpIN3c107complexIfEEEEPKSL_lEENS0_5tupleIJPlS6_EEENSQ_IJSD_SD_EEES6_PiJS6_EEE10hipError_tPvRmT3_T4_T5_T6_T7_T9_mT8_P12ihipStream_tbDpT10_ENKUlT_T0_E_clISt17integral_constantIbLb1EES1D_IbLb0EEEEDaS19_S1A_EUlS19_E_NS1_11comp_targetILNS1_3genE5ELNS1_11target_archE942ELNS1_3gpuE9ELNS1_3repE0EEENS1_30default_config_static_selectorELNS0_4arch9wavefront6targetE0EEEvT1_.uses_vcc, 0
	.set _ZN7rocprim17ROCPRIM_400000_NS6detail17trampoline_kernelINS0_14default_configENS1_25partition_config_selectorILNS1_17partition_subalgoE5ElNS0_10empty_typeEbEEZZNS1_14partition_implILS5_5ELb0ES3_mN6hipcub16HIPCUB_304000_NS21CountingInputIteratorIllEEPS6_NSA_22TransformInputIteratorIbN2at6native12_GLOBAL__N_19NonZeroOpIN3c107complexIfEEEEPKSL_lEENS0_5tupleIJPlS6_EEENSQ_IJSD_SD_EEES6_PiJS6_EEE10hipError_tPvRmT3_T4_T5_T6_T7_T9_mT8_P12ihipStream_tbDpT10_ENKUlT_T0_E_clISt17integral_constantIbLb1EES1D_IbLb0EEEEDaS19_S1A_EUlS19_E_NS1_11comp_targetILNS1_3genE5ELNS1_11target_archE942ELNS1_3gpuE9ELNS1_3repE0EEENS1_30default_config_static_selectorELNS0_4arch9wavefront6targetE0EEEvT1_.uses_flat_scratch, 0
	.set _ZN7rocprim17ROCPRIM_400000_NS6detail17trampoline_kernelINS0_14default_configENS1_25partition_config_selectorILNS1_17partition_subalgoE5ElNS0_10empty_typeEbEEZZNS1_14partition_implILS5_5ELb0ES3_mN6hipcub16HIPCUB_304000_NS21CountingInputIteratorIllEEPS6_NSA_22TransformInputIteratorIbN2at6native12_GLOBAL__N_19NonZeroOpIN3c107complexIfEEEEPKSL_lEENS0_5tupleIJPlS6_EEENSQ_IJSD_SD_EEES6_PiJS6_EEE10hipError_tPvRmT3_T4_T5_T6_T7_T9_mT8_P12ihipStream_tbDpT10_ENKUlT_T0_E_clISt17integral_constantIbLb1EES1D_IbLb0EEEEDaS19_S1A_EUlS19_E_NS1_11comp_targetILNS1_3genE5ELNS1_11target_archE942ELNS1_3gpuE9ELNS1_3repE0EEENS1_30default_config_static_selectorELNS0_4arch9wavefront6targetE0EEEvT1_.has_dyn_sized_stack, 0
	.set _ZN7rocprim17ROCPRIM_400000_NS6detail17trampoline_kernelINS0_14default_configENS1_25partition_config_selectorILNS1_17partition_subalgoE5ElNS0_10empty_typeEbEEZZNS1_14partition_implILS5_5ELb0ES3_mN6hipcub16HIPCUB_304000_NS21CountingInputIteratorIllEEPS6_NSA_22TransformInputIteratorIbN2at6native12_GLOBAL__N_19NonZeroOpIN3c107complexIfEEEEPKSL_lEENS0_5tupleIJPlS6_EEENSQ_IJSD_SD_EEES6_PiJS6_EEE10hipError_tPvRmT3_T4_T5_T6_T7_T9_mT8_P12ihipStream_tbDpT10_ENKUlT_T0_E_clISt17integral_constantIbLb1EES1D_IbLb0EEEEDaS19_S1A_EUlS19_E_NS1_11comp_targetILNS1_3genE5ELNS1_11target_archE942ELNS1_3gpuE9ELNS1_3repE0EEENS1_30default_config_static_selectorELNS0_4arch9wavefront6targetE0EEEvT1_.has_recursion, 0
	.set _ZN7rocprim17ROCPRIM_400000_NS6detail17trampoline_kernelINS0_14default_configENS1_25partition_config_selectorILNS1_17partition_subalgoE5ElNS0_10empty_typeEbEEZZNS1_14partition_implILS5_5ELb0ES3_mN6hipcub16HIPCUB_304000_NS21CountingInputIteratorIllEEPS6_NSA_22TransformInputIteratorIbN2at6native12_GLOBAL__N_19NonZeroOpIN3c107complexIfEEEEPKSL_lEENS0_5tupleIJPlS6_EEENSQ_IJSD_SD_EEES6_PiJS6_EEE10hipError_tPvRmT3_T4_T5_T6_T7_T9_mT8_P12ihipStream_tbDpT10_ENKUlT_T0_E_clISt17integral_constantIbLb1EES1D_IbLb0EEEEDaS19_S1A_EUlS19_E_NS1_11comp_targetILNS1_3genE5ELNS1_11target_archE942ELNS1_3gpuE9ELNS1_3repE0EEENS1_30default_config_static_selectorELNS0_4arch9wavefront6targetE0EEEvT1_.has_indirect_call, 0
	.section	.AMDGPU.csdata,"",@progbits
; Kernel info:
; codeLenInByte = 0
; TotalNumSgprs: 0
; NumVgprs: 0
; ScratchSize: 0
; MemoryBound: 0
; FloatMode: 240
; IeeeMode: 1
; LDSByteSize: 0 bytes/workgroup (compile time only)
; SGPRBlocks: 0
; VGPRBlocks: 0
; NumSGPRsForWavesPerEU: 1
; NumVGPRsForWavesPerEU: 1
; Occupancy: 16
; WaveLimiterHint : 0
; COMPUTE_PGM_RSRC2:SCRATCH_EN: 0
; COMPUTE_PGM_RSRC2:USER_SGPR: 2
; COMPUTE_PGM_RSRC2:TRAP_HANDLER: 0
; COMPUTE_PGM_RSRC2:TGID_X_EN: 1
; COMPUTE_PGM_RSRC2:TGID_Y_EN: 0
; COMPUTE_PGM_RSRC2:TGID_Z_EN: 0
; COMPUTE_PGM_RSRC2:TIDIG_COMP_CNT: 0
	.section	.text._ZN7rocprim17ROCPRIM_400000_NS6detail17trampoline_kernelINS0_14default_configENS1_25partition_config_selectorILNS1_17partition_subalgoE5ElNS0_10empty_typeEbEEZZNS1_14partition_implILS5_5ELb0ES3_mN6hipcub16HIPCUB_304000_NS21CountingInputIteratorIllEEPS6_NSA_22TransformInputIteratorIbN2at6native12_GLOBAL__N_19NonZeroOpIN3c107complexIfEEEEPKSL_lEENS0_5tupleIJPlS6_EEENSQ_IJSD_SD_EEES6_PiJS6_EEE10hipError_tPvRmT3_T4_T5_T6_T7_T9_mT8_P12ihipStream_tbDpT10_ENKUlT_T0_E_clISt17integral_constantIbLb1EES1D_IbLb0EEEEDaS19_S1A_EUlS19_E_NS1_11comp_targetILNS1_3genE4ELNS1_11target_archE910ELNS1_3gpuE8ELNS1_3repE0EEENS1_30default_config_static_selectorELNS0_4arch9wavefront6targetE0EEEvT1_,"axG",@progbits,_ZN7rocprim17ROCPRIM_400000_NS6detail17trampoline_kernelINS0_14default_configENS1_25partition_config_selectorILNS1_17partition_subalgoE5ElNS0_10empty_typeEbEEZZNS1_14partition_implILS5_5ELb0ES3_mN6hipcub16HIPCUB_304000_NS21CountingInputIteratorIllEEPS6_NSA_22TransformInputIteratorIbN2at6native12_GLOBAL__N_19NonZeroOpIN3c107complexIfEEEEPKSL_lEENS0_5tupleIJPlS6_EEENSQ_IJSD_SD_EEES6_PiJS6_EEE10hipError_tPvRmT3_T4_T5_T6_T7_T9_mT8_P12ihipStream_tbDpT10_ENKUlT_T0_E_clISt17integral_constantIbLb1EES1D_IbLb0EEEEDaS19_S1A_EUlS19_E_NS1_11comp_targetILNS1_3genE4ELNS1_11target_archE910ELNS1_3gpuE8ELNS1_3repE0EEENS1_30default_config_static_selectorELNS0_4arch9wavefront6targetE0EEEvT1_,comdat
	.globl	_ZN7rocprim17ROCPRIM_400000_NS6detail17trampoline_kernelINS0_14default_configENS1_25partition_config_selectorILNS1_17partition_subalgoE5ElNS0_10empty_typeEbEEZZNS1_14partition_implILS5_5ELb0ES3_mN6hipcub16HIPCUB_304000_NS21CountingInputIteratorIllEEPS6_NSA_22TransformInputIteratorIbN2at6native12_GLOBAL__N_19NonZeroOpIN3c107complexIfEEEEPKSL_lEENS0_5tupleIJPlS6_EEENSQ_IJSD_SD_EEES6_PiJS6_EEE10hipError_tPvRmT3_T4_T5_T6_T7_T9_mT8_P12ihipStream_tbDpT10_ENKUlT_T0_E_clISt17integral_constantIbLb1EES1D_IbLb0EEEEDaS19_S1A_EUlS19_E_NS1_11comp_targetILNS1_3genE4ELNS1_11target_archE910ELNS1_3gpuE8ELNS1_3repE0EEENS1_30default_config_static_selectorELNS0_4arch9wavefront6targetE0EEEvT1_ ; -- Begin function _ZN7rocprim17ROCPRIM_400000_NS6detail17trampoline_kernelINS0_14default_configENS1_25partition_config_selectorILNS1_17partition_subalgoE5ElNS0_10empty_typeEbEEZZNS1_14partition_implILS5_5ELb0ES3_mN6hipcub16HIPCUB_304000_NS21CountingInputIteratorIllEEPS6_NSA_22TransformInputIteratorIbN2at6native12_GLOBAL__N_19NonZeroOpIN3c107complexIfEEEEPKSL_lEENS0_5tupleIJPlS6_EEENSQ_IJSD_SD_EEES6_PiJS6_EEE10hipError_tPvRmT3_T4_T5_T6_T7_T9_mT8_P12ihipStream_tbDpT10_ENKUlT_T0_E_clISt17integral_constantIbLb1EES1D_IbLb0EEEEDaS19_S1A_EUlS19_E_NS1_11comp_targetILNS1_3genE4ELNS1_11target_archE910ELNS1_3gpuE8ELNS1_3repE0EEENS1_30default_config_static_selectorELNS0_4arch9wavefront6targetE0EEEvT1_
	.p2align	8
	.type	_ZN7rocprim17ROCPRIM_400000_NS6detail17trampoline_kernelINS0_14default_configENS1_25partition_config_selectorILNS1_17partition_subalgoE5ElNS0_10empty_typeEbEEZZNS1_14partition_implILS5_5ELb0ES3_mN6hipcub16HIPCUB_304000_NS21CountingInputIteratorIllEEPS6_NSA_22TransformInputIteratorIbN2at6native12_GLOBAL__N_19NonZeroOpIN3c107complexIfEEEEPKSL_lEENS0_5tupleIJPlS6_EEENSQ_IJSD_SD_EEES6_PiJS6_EEE10hipError_tPvRmT3_T4_T5_T6_T7_T9_mT8_P12ihipStream_tbDpT10_ENKUlT_T0_E_clISt17integral_constantIbLb1EES1D_IbLb0EEEEDaS19_S1A_EUlS19_E_NS1_11comp_targetILNS1_3genE4ELNS1_11target_archE910ELNS1_3gpuE8ELNS1_3repE0EEENS1_30default_config_static_selectorELNS0_4arch9wavefront6targetE0EEEvT1_,@function
_ZN7rocprim17ROCPRIM_400000_NS6detail17trampoline_kernelINS0_14default_configENS1_25partition_config_selectorILNS1_17partition_subalgoE5ElNS0_10empty_typeEbEEZZNS1_14partition_implILS5_5ELb0ES3_mN6hipcub16HIPCUB_304000_NS21CountingInputIteratorIllEEPS6_NSA_22TransformInputIteratorIbN2at6native12_GLOBAL__N_19NonZeroOpIN3c107complexIfEEEEPKSL_lEENS0_5tupleIJPlS6_EEENSQ_IJSD_SD_EEES6_PiJS6_EEE10hipError_tPvRmT3_T4_T5_T6_T7_T9_mT8_P12ihipStream_tbDpT10_ENKUlT_T0_E_clISt17integral_constantIbLb1EES1D_IbLb0EEEEDaS19_S1A_EUlS19_E_NS1_11comp_targetILNS1_3genE4ELNS1_11target_archE910ELNS1_3gpuE8ELNS1_3repE0EEENS1_30default_config_static_selectorELNS0_4arch9wavefront6targetE0EEEvT1_: ; @_ZN7rocprim17ROCPRIM_400000_NS6detail17trampoline_kernelINS0_14default_configENS1_25partition_config_selectorILNS1_17partition_subalgoE5ElNS0_10empty_typeEbEEZZNS1_14partition_implILS5_5ELb0ES3_mN6hipcub16HIPCUB_304000_NS21CountingInputIteratorIllEEPS6_NSA_22TransformInputIteratorIbN2at6native12_GLOBAL__N_19NonZeroOpIN3c107complexIfEEEEPKSL_lEENS0_5tupleIJPlS6_EEENSQ_IJSD_SD_EEES6_PiJS6_EEE10hipError_tPvRmT3_T4_T5_T6_T7_T9_mT8_P12ihipStream_tbDpT10_ENKUlT_T0_E_clISt17integral_constantIbLb1EES1D_IbLb0EEEEDaS19_S1A_EUlS19_E_NS1_11comp_targetILNS1_3genE4ELNS1_11target_archE910ELNS1_3gpuE8ELNS1_3repE0EEENS1_30default_config_static_selectorELNS0_4arch9wavefront6targetE0EEEvT1_
; %bb.0:
	.section	.rodata,"a",@progbits
	.p2align	6, 0x0
	.amdhsa_kernel _ZN7rocprim17ROCPRIM_400000_NS6detail17trampoline_kernelINS0_14default_configENS1_25partition_config_selectorILNS1_17partition_subalgoE5ElNS0_10empty_typeEbEEZZNS1_14partition_implILS5_5ELb0ES3_mN6hipcub16HIPCUB_304000_NS21CountingInputIteratorIllEEPS6_NSA_22TransformInputIteratorIbN2at6native12_GLOBAL__N_19NonZeroOpIN3c107complexIfEEEEPKSL_lEENS0_5tupleIJPlS6_EEENSQ_IJSD_SD_EEES6_PiJS6_EEE10hipError_tPvRmT3_T4_T5_T6_T7_T9_mT8_P12ihipStream_tbDpT10_ENKUlT_T0_E_clISt17integral_constantIbLb1EES1D_IbLb0EEEEDaS19_S1A_EUlS19_E_NS1_11comp_targetILNS1_3genE4ELNS1_11target_archE910ELNS1_3gpuE8ELNS1_3repE0EEENS1_30default_config_static_selectorELNS0_4arch9wavefront6targetE0EEEvT1_
		.amdhsa_group_segment_fixed_size 0
		.amdhsa_private_segment_fixed_size 0
		.amdhsa_kernarg_size 120
		.amdhsa_user_sgpr_count 2
		.amdhsa_user_sgpr_dispatch_ptr 0
		.amdhsa_user_sgpr_queue_ptr 0
		.amdhsa_user_sgpr_kernarg_segment_ptr 1
		.amdhsa_user_sgpr_dispatch_id 0
		.amdhsa_user_sgpr_private_segment_size 0
		.amdhsa_wavefront_size32 1
		.amdhsa_uses_dynamic_stack 0
		.amdhsa_enable_private_segment 0
		.amdhsa_system_sgpr_workgroup_id_x 1
		.amdhsa_system_sgpr_workgroup_id_y 0
		.amdhsa_system_sgpr_workgroup_id_z 0
		.amdhsa_system_sgpr_workgroup_info 0
		.amdhsa_system_vgpr_workitem_id 0
		.amdhsa_next_free_vgpr 1
		.amdhsa_next_free_sgpr 1
		.amdhsa_reserve_vcc 0
		.amdhsa_float_round_mode_32 0
		.amdhsa_float_round_mode_16_64 0
		.amdhsa_float_denorm_mode_32 3
		.amdhsa_float_denorm_mode_16_64 3
		.amdhsa_fp16_overflow 0
		.amdhsa_workgroup_processor_mode 1
		.amdhsa_memory_ordered 1
		.amdhsa_forward_progress 1
		.amdhsa_inst_pref_size 0
		.amdhsa_round_robin_scheduling 0
		.amdhsa_exception_fp_ieee_invalid_op 0
		.amdhsa_exception_fp_denorm_src 0
		.amdhsa_exception_fp_ieee_div_zero 0
		.amdhsa_exception_fp_ieee_overflow 0
		.amdhsa_exception_fp_ieee_underflow 0
		.amdhsa_exception_fp_ieee_inexact 0
		.amdhsa_exception_int_div_zero 0
	.end_amdhsa_kernel
	.section	.text._ZN7rocprim17ROCPRIM_400000_NS6detail17trampoline_kernelINS0_14default_configENS1_25partition_config_selectorILNS1_17partition_subalgoE5ElNS0_10empty_typeEbEEZZNS1_14partition_implILS5_5ELb0ES3_mN6hipcub16HIPCUB_304000_NS21CountingInputIteratorIllEEPS6_NSA_22TransformInputIteratorIbN2at6native12_GLOBAL__N_19NonZeroOpIN3c107complexIfEEEEPKSL_lEENS0_5tupleIJPlS6_EEENSQ_IJSD_SD_EEES6_PiJS6_EEE10hipError_tPvRmT3_T4_T5_T6_T7_T9_mT8_P12ihipStream_tbDpT10_ENKUlT_T0_E_clISt17integral_constantIbLb1EES1D_IbLb0EEEEDaS19_S1A_EUlS19_E_NS1_11comp_targetILNS1_3genE4ELNS1_11target_archE910ELNS1_3gpuE8ELNS1_3repE0EEENS1_30default_config_static_selectorELNS0_4arch9wavefront6targetE0EEEvT1_,"axG",@progbits,_ZN7rocprim17ROCPRIM_400000_NS6detail17trampoline_kernelINS0_14default_configENS1_25partition_config_selectorILNS1_17partition_subalgoE5ElNS0_10empty_typeEbEEZZNS1_14partition_implILS5_5ELb0ES3_mN6hipcub16HIPCUB_304000_NS21CountingInputIteratorIllEEPS6_NSA_22TransformInputIteratorIbN2at6native12_GLOBAL__N_19NonZeroOpIN3c107complexIfEEEEPKSL_lEENS0_5tupleIJPlS6_EEENSQ_IJSD_SD_EEES6_PiJS6_EEE10hipError_tPvRmT3_T4_T5_T6_T7_T9_mT8_P12ihipStream_tbDpT10_ENKUlT_T0_E_clISt17integral_constantIbLb1EES1D_IbLb0EEEEDaS19_S1A_EUlS19_E_NS1_11comp_targetILNS1_3genE4ELNS1_11target_archE910ELNS1_3gpuE8ELNS1_3repE0EEENS1_30default_config_static_selectorELNS0_4arch9wavefront6targetE0EEEvT1_,comdat
.Lfunc_end612:
	.size	_ZN7rocprim17ROCPRIM_400000_NS6detail17trampoline_kernelINS0_14default_configENS1_25partition_config_selectorILNS1_17partition_subalgoE5ElNS0_10empty_typeEbEEZZNS1_14partition_implILS5_5ELb0ES3_mN6hipcub16HIPCUB_304000_NS21CountingInputIteratorIllEEPS6_NSA_22TransformInputIteratorIbN2at6native12_GLOBAL__N_19NonZeroOpIN3c107complexIfEEEEPKSL_lEENS0_5tupleIJPlS6_EEENSQ_IJSD_SD_EEES6_PiJS6_EEE10hipError_tPvRmT3_T4_T5_T6_T7_T9_mT8_P12ihipStream_tbDpT10_ENKUlT_T0_E_clISt17integral_constantIbLb1EES1D_IbLb0EEEEDaS19_S1A_EUlS19_E_NS1_11comp_targetILNS1_3genE4ELNS1_11target_archE910ELNS1_3gpuE8ELNS1_3repE0EEENS1_30default_config_static_selectorELNS0_4arch9wavefront6targetE0EEEvT1_, .Lfunc_end612-_ZN7rocprim17ROCPRIM_400000_NS6detail17trampoline_kernelINS0_14default_configENS1_25partition_config_selectorILNS1_17partition_subalgoE5ElNS0_10empty_typeEbEEZZNS1_14partition_implILS5_5ELb0ES3_mN6hipcub16HIPCUB_304000_NS21CountingInputIteratorIllEEPS6_NSA_22TransformInputIteratorIbN2at6native12_GLOBAL__N_19NonZeroOpIN3c107complexIfEEEEPKSL_lEENS0_5tupleIJPlS6_EEENSQ_IJSD_SD_EEES6_PiJS6_EEE10hipError_tPvRmT3_T4_T5_T6_T7_T9_mT8_P12ihipStream_tbDpT10_ENKUlT_T0_E_clISt17integral_constantIbLb1EES1D_IbLb0EEEEDaS19_S1A_EUlS19_E_NS1_11comp_targetILNS1_3genE4ELNS1_11target_archE910ELNS1_3gpuE8ELNS1_3repE0EEENS1_30default_config_static_selectorELNS0_4arch9wavefront6targetE0EEEvT1_
                                        ; -- End function
	.set _ZN7rocprim17ROCPRIM_400000_NS6detail17trampoline_kernelINS0_14default_configENS1_25partition_config_selectorILNS1_17partition_subalgoE5ElNS0_10empty_typeEbEEZZNS1_14partition_implILS5_5ELb0ES3_mN6hipcub16HIPCUB_304000_NS21CountingInputIteratorIllEEPS6_NSA_22TransformInputIteratorIbN2at6native12_GLOBAL__N_19NonZeroOpIN3c107complexIfEEEEPKSL_lEENS0_5tupleIJPlS6_EEENSQ_IJSD_SD_EEES6_PiJS6_EEE10hipError_tPvRmT3_T4_T5_T6_T7_T9_mT8_P12ihipStream_tbDpT10_ENKUlT_T0_E_clISt17integral_constantIbLb1EES1D_IbLb0EEEEDaS19_S1A_EUlS19_E_NS1_11comp_targetILNS1_3genE4ELNS1_11target_archE910ELNS1_3gpuE8ELNS1_3repE0EEENS1_30default_config_static_selectorELNS0_4arch9wavefront6targetE0EEEvT1_.num_vgpr, 0
	.set _ZN7rocprim17ROCPRIM_400000_NS6detail17trampoline_kernelINS0_14default_configENS1_25partition_config_selectorILNS1_17partition_subalgoE5ElNS0_10empty_typeEbEEZZNS1_14partition_implILS5_5ELb0ES3_mN6hipcub16HIPCUB_304000_NS21CountingInputIteratorIllEEPS6_NSA_22TransformInputIteratorIbN2at6native12_GLOBAL__N_19NonZeroOpIN3c107complexIfEEEEPKSL_lEENS0_5tupleIJPlS6_EEENSQ_IJSD_SD_EEES6_PiJS6_EEE10hipError_tPvRmT3_T4_T5_T6_T7_T9_mT8_P12ihipStream_tbDpT10_ENKUlT_T0_E_clISt17integral_constantIbLb1EES1D_IbLb0EEEEDaS19_S1A_EUlS19_E_NS1_11comp_targetILNS1_3genE4ELNS1_11target_archE910ELNS1_3gpuE8ELNS1_3repE0EEENS1_30default_config_static_selectorELNS0_4arch9wavefront6targetE0EEEvT1_.num_agpr, 0
	.set _ZN7rocprim17ROCPRIM_400000_NS6detail17trampoline_kernelINS0_14default_configENS1_25partition_config_selectorILNS1_17partition_subalgoE5ElNS0_10empty_typeEbEEZZNS1_14partition_implILS5_5ELb0ES3_mN6hipcub16HIPCUB_304000_NS21CountingInputIteratorIllEEPS6_NSA_22TransformInputIteratorIbN2at6native12_GLOBAL__N_19NonZeroOpIN3c107complexIfEEEEPKSL_lEENS0_5tupleIJPlS6_EEENSQ_IJSD_SD_EEES6_PiJS6_EEE10hipError_tPvRmT3_T4_T5_T6_T7_T9_mT8_P12ihipStream_tbDpT10_ENKUlT_T0_E_clISt17integral_constantIbLb1EES1D_IbLb0EEEEDaS19_S1A_EUlS19_E_NS1_11comp_targetILNS1_3genE4ELNS1_11target_archE910ELNS1_3gpuE8ELNS1_3repE0EEENS1_30default_config_static_selectorELNS0_4arch9wavefront6targetE0EEEvT1_.numbered_sgpr, 0
	.set _ZN7rocprim17ROCPRIM_400000_NS6detail17trampoline_kernelINS0_14default_configENS1_25partition_config_selectorILNS1_17partition_subalgoE5ElNS0_10empty_typeEbEEZZNS1_14partition_implILS5_5ELb0ES3_mN6hipcub16HIPCUB_304000_NS21CountingInputIteratorIllEEPS6_NSA_22TransformInputIteratorIbN2at6native12_GLOBAL__N_19NonZeroOpIN3c107complexIfEEEEPKSL_lEENS0_5tupleIJPlS6_EEENSQ_IJSD_SD_EEES6_PiJS6_EEE10hipError_tPvRmT3_T4_T5_T6_T7_T9_mT8_P12ihipStream_tbDpT10_ENKUlT_T0_E_clISt17integral_constantIbLb1EES1D_IbLb0EEEEDaS19_S1A_EUlS19_E_NS1_11comp_targetILNS1_3genE4ELNS1_11target_archE910ELNS1_3gpuE8ELNS1_3repE0EEENS1_30default_config_static_selectorELNS0_4arch9wavefront6targetE0EEEvT1_.num_named_barrier, 0
	.set _ZN7rocprim17ROCPRIM_400000_NS6detail17trampoline_kernelINS0_14default_configENS1_25partition_config_selectorILNS1_17partition_subalgoE5ElNS0_10empty_typeEbEEZZNS1_14partition_implILS5_5ELb0ES3_mN6hipcub16HIPCUB_304000_NS21CountingInputIteratorIllEEPS6_NSA_22TransformInputIteratorIbN2at6native12_GLOBAL__N_19NonZeroOpIN3c107complexIfEEEEPKSL_lEENS0_5tupleIJPlS6_EEENSQ_IJSD_SD_EEES6_PiJS6_EEE10hipError_tPvRmT3_T4_T5_T6_T7_T9_mT8_P12ihipStream_tbDpT10_ENKUlT_T0_E_clISt17integral_constantIbLb1EES1D_IbLb0EEEEDaS19_S1A_EUlS19_E_NS1_11comp_targetILNS1_3genE4ELNS1_11target_archE910ELNS1_3gpuE8ELNS1_3repE0EEENS1_30default_config_static_selectorELNS0_4arch9wavefront6targetE0EEEvT1_.private_seg_size, 0
	.set _ZN7rocprim17ROCPRIM_400000_NS6detail17trampoline_kernelINS0_14default_configENS1_25partition_config_selectorILNS1_17partition_subalgoE5ElNS0_10empty_typeEbEEZZNS1_14partition_implILS5_5ELb0ES3_mN6hipcub16HIPCUB_304000_NS21CountingInputIteratorIllEEPS6_NSA_22TransformInputIteratorIbN2at6native12_GLOBAL__N_19NonZeroOpIN3c107complexIfEEEEPKSL_lEENS0_5tupleIJPlS6_EEENSQ_IJSD_SD_EEES6_PiJS6_EEE10hipError_tPvRmT3_T4_T5_T6_T7_T9_mT8_P12ihipStream_tbDpT10_ENKUlT_T0_E_clISt17integral_constantIbLb1EES1D_IbLb0EEEEDaS19_S1A_EUlS19_E_NS1_11comp_targetILNS1_3genE4ELNS1_11target_archE910ELNS1_3gpuE8ELNS1_3repE0EEENS1_30default_config_static_selectorELNS0_4arch9wavefront6targetE0EEEvT1_.uses_vcc, 0
	.set _ZN7rocprim17ROCPRIM_400000_NS6detail17trampoline_kernelINS0_14default_configENS1_25partition_config_selectorILNS1_17partition_subalgoE5ElNS0_10empty_typeEbEEZZNS1_14partition_implILS5_5ELb0ES3_mN6hipcub16HIPCUB_304000_NS21CountingInputIteratorIllEEPS6_NSA_22TransformInputIteratorIbN2at6native12_GLOBAL__N_19NonZeroOpIN3c107complexIfEEEEPKSL_lEENS0_5tupleIJPlS6_EEENSQ_IJSD_SD_EEES6_PiJS6_EEE10hipError_tPvRmT3_T4_T5_T6_T7_T9_mT8_P12ihipStream_tbDpT10_ENKUlT_T0_E_clISt17integral_constantIbLb1EES1D_IbLb0EEEEDaS19_S1A_EUlS19_E_NS1_11comp_targetILNS1_3genE4ELNS1_11target_archE910ELNS1_3gpuE8ELNS1_3repE0EEENS1_30default_config_static_selectorELNS0_4arch9wavefront6targetE0EEEvT1_.uses_flat_scratch, 0
	.set _ZN7rocprim17ROCPRIM_400000_NS6detail17trampoline_kernelINS0_14default_configENS1_25partition_config_selectorILNS1_17partition_subalgoE5ElNS0_10empty_typeEbEEZZNS1_14partition_implILS5_5ELb0ES3_mN6hipcub16HIPCUB_304000_NS21CountingInputIteratorIllEEPS6_NSA_22TransformInputIteratorIbN2at6native12_GLOBAL__N_19NonZeroOpIN3c107complexIfEEEEPKSL_lEENS0_5tupleIJPlS6_EEENSQ_IJSD_SD_EEES6_PiJS6_EEE10hipError_tPvRmT3_T4_T5_T6_T7_T9_mT8_P12ihipStream_tbDpT10_ENKUlT_T0_E_clISt17integral_constantIbLb1EES1D_IbLb0EEEEDaS19_S1A_EUlS19_E_NS1_11comp_targetILNS1_3genE4ELNS1_11target_archE910ELNS1_3gpuE8ELNS1_3repE0EEENS1_30default_config_static_selectorELNS0_4arch9wavefront6targetE0EEEvT1_.has_dyn_sized_stack, 0
	.set _ZN7rocprim17ROCPRIM_400000_NS6detail17trampoline_kernelINS0_14default_configENS1_25partition_config_selectorILNS1_17partition_subalgoE5ElNS0_10empty_typeEbEEZZNS1_14partition_implILS5_5ELb0ES3_mN6hipcub16HIPCUB_304000_NS21CountingInputIteratorIllEEPS6_NSA_22TransformInputIteratorIbN2at6native12_GLOBAL__N_19NonZeroOpIN3c107complexIfEEEEPKSL_lEENS0_5tupleIJPlS6_EEENSQ_IJSD_SD_EEES6_PiJS6_EEE10hipError_tPvRmT3_T4_T5_T6_T7_T9_mT8_P12ihipStream_tbDpT10_ENKUlT_T0_E_clISt17integral_constantIbLb1EES1D_IbLb0EEEEDaS19_S1A_EUlS19_E_NS1_11comp_targetILNS1_3genE4ELNS1_11target_archE910ELNS1_3gpuE8ELNS1_3repE0EEENS1_30default_config_static_selectorELNS0_4arch9wavefront6targetE0EEEvT1_.has_recursion, 0
	.set _ZN7rocprim17ROCPRIM_400000_NS6detail17trampoline_kernelINS0_14default_configENS1_25partition_config_selectorILNS1_17partition_subalgoE5ElNS0_10empty_typeEbEEZZNS1_14partition_implILS5_5ELb0ES3_mN6hipcub16HIPCUB_304000_NS21CountingInputIteratorIllEEPS6_NSA_22TransformInputIteratorIbN2at6native12_GLOBAL__N_19NonZeroOpIN3c107complexIfEEEEPKSL_lEENS0_5tupleIJPlS6_EEENSQ_IJSD_SD_EEES6_PiJS6_EEE10hipError_tPvRmT3_T4_T5_T6_T7_T9_mT8_P12ihipStream_tbDpT10_ENKUlT_T0_E_clISt17integral_constantIbLb1EES1D_IbLb0EEEEDaS19_S1A_EUlS19_E_NS1_11comp_targetILNS1_3genE4ELNS1_11target_archE910ELNS1_3gpuE8ELNS1_3repE0EEENS1_30default_config_static_selectorELNS0_4arch9wavefront6targetE0EEEvT1_.has_indirect_call, 0
	.section	.AMDGPU.csdata,"",@progbits
; Kernel info:
; codeLenInByte = 0
; TotalNumSgprs: 0
; NumVgprs: 0
; ScratchSize: 0
; MemoryBound: 0
; FloatMode: 240
; IeeeMode: 1
; LDSByteSize: 0 bytes/workgroup (compile time only)
; SGPRBlocks: 0
; VGPRBlocks: 0
; NumSGPRsForWavesPerEU: 1
; NumVGPRsForWavesPerEU: 1
; Occupancy: 16
; WaveLimiterHint : 0
; COMPUTE_PGM_RSRC2:SCRATCH_EN: 0
; COMPUTE_PGM_RSRC2:USER_SGPR: 2
; COMPUTE_PGM_RSRC2:TRAP_HANDLER: 0
; COMPUTE_PGM_RSRC2:TGID_X_EN: 1
; COMPUTE_PGM_RSRC2:TGID_Y_EN: 0
; COMPUTE_PGM_RSRC2:TGID_Z_EN: 0
; COMPUTE_PGM_RSRC2:TIDIG_COMP_CNT: 0
	.section	.text._ZN7rocprim17ROCPRIM_400000_NS6detail17trampoline_kernelINS0_14default_configENS1_25partition_config_selectorILNS1_17partition_subalgoE5ElNS0_10empty_typeEbEEZZNS1_14partition_implILS5_5ELb0ES3_mN6hipcub16HIPCUB_304000_NS21CountingInputIteratorIllEEPS6_NSA_22TransformInputIteratorIbN2at6native12_GLOBAL__N_19NonZeroOpIN3c107complexIfEEEEPKSL_lEENS0_5tupleIJPlS6_EEENSQ_IJSD_SD_EEES6_PiJS6_EEE10hipError_tPvRmT3_T4_T5_T6_T7_T9_mT8_P12ihipStream_tbDpT10_ENKUlT_T0_E_clISt17integral_constantIbLb1EES1D_IbLb0EEEEDaS19_S1A_EUlS19_E_NS1_11comp_targetILNS1_3genE3ELNS1_11target_archE908ELNS1_3gpuE7ELNS1_3repE0EEENS1_30default_config_static_selectorELNS0_4arch9wavefront6targetE0EEEvT1_,"axG",@progbits,_ZN7rocprim17ROCPRIM_400000_NS6detail17trampoline_kernelINS0_14default_configENS1_25partition_config_selectorILNS1_17partition_subalgoE5ElNS0_10empty_typeEbEEZZNS1_14partition_implILS5_5ELb0ES3_mN6hipcub16HIPCUB_304000_NS21CountingInputIteratorIllEEPS6_NSA_22TransformInputIteratorIbN2at6native12_GLOBAL__N_19NonZeroOpIN3c107complexIfEEEEPKSL_lEENS0_5tupleIJPlS6_EEENSQ_IJSD_SD_EEES6_PiJS6_EEE10hipError_tPvRmT3_T4_T5_T6_T7_T9_mT8_P12ihipStream_tbDpT10_ENKUlT_T0_E_clISt17integral_constantIbLb1EES1D_IbLb0EEEEDaS19_S1A_EUlS19_E_NS1_11comp_targetILNS1_3genE3ELNS1_11target_archE908ELNS1_3gpuE7ELNS1_3repE0EEENS1_30default_config_static_selectorELNS0_4arch9wavefront6targetE0EEEvT1_,comdat
	.globl	_ZN7rocprim17ROCPRIM_400000_NS6detail17trampoline_kernelINS0_14default_configENS1_25partition_config_selectorILNS1_17partition_subalgoE5ElNS0_10empty_typeEbEEZZNS1_14partition_implILS5_5ELb0ES3_mN6hipcub16HIPCUB_304000_NS21CountingInputIteratorIllEEPS6_NSA_22TransformInputIteratorIbN2at6native12_GLOBAL__N_19NonZeroOpIN3c107complexIfEEEEPKSL_lEENS0_5tupleIJPlS6_EEENSQ_IJSD_SD_EEES6_PiJS6_EEE10hipError_tPvRmT3_T4_T5_T6_T7_T9_mT8_P12ihipStream_tbDpT10_ENKUlT_T0_E_clISt17integral_constantIbLb1EES1D_IbLb0EEEEDaS19_S1A_EUlS19_E_NS1_11comp_targetILNS1_3genE3ELNS1_11target_archE908ELNS1_3gpuE7ELNS1_3repE0EEENS1_30default_config_static_selectorELNS0_4arch9wavefront6targetE0EEEvT1_ ; -- Begin function _ZN7rocprim17ROCPRIM_400000_NS6detail17trampoline_kernelINS0_14default_configENS1_25partition_config_selectorILNS1_17partition_subalgoE5ElNS0_10empty_typeEbEEZZNS1_14partition_implILS5_5ELb0ES3_mN6hipcub16HIPCUB_304000_NS21CountingInputIteratorIllEEPS6_NSA_22TransformInputIteratorIbN2at6native12_GLOBAL__N_19NonZeroOpIN3c107complexIfEEEEPKSL_lEENS0_5tupleIJPlS6_EEENSQ_IJSD_SD_EEES6_PiJS6_EEE10hipError_tPvRmT3_T4_T5_T6_T7_T9_mT8_P12ihipStream_tbDpT10_ENKUlT_T0_E_clISt17integral_constantIbLb1EES1D_IbLb0EEEEDaS19_S1A_EUlS19_E_NS1_11comp_targetILNS1_3genE3ELNS1_11target_archE908ELNS1_3gpuE7ELNS1_3repE0EEENS1_30default_config_static_selectorELNS0_4arch9wavefront6targetE0EEEvT1_
	.p2align	8
	.type	_ZN7rocprim17ROCPRIM_400000_NS6detail17trampoline_kernelINS0_14default_configENS1_25partition_config_selectorILNS1_17partition_subalgoE5ElNS0_10empty_typeEbEEZZNS1_14partition_implILS5_5ELb0ES3_mN6hipcub16HIPCUB_304000_NS21CountingInputIteratorIllEEPS6_NSA_22TransformInputIteratorIbN2at6native12_GLOBAL__N_19NonZeroOpIN3c107complexIfEEEEPKSL_lEENS0_5tupleIJPlS6_EEENSQ_IJSD_SD_EEES6_PiJS6_EEE10hipError_tPvRmT3_T4_T5_T6_T7_T9_mT8_P12ihipStream_tbDpT10_ENKUlT_T0_E_clISt17integral_constantIbLb1EES1D_IbLb0EEEEDaS19_S1A_EUlS19_E_NS1_11comp_targetILNS1_3genE3ELNS1_11target_archE908ELNS1_3gpuE7ELNS1_3repE0EEENS1_30default_config_static_selectorELNS0_4arch9wavefront6targetE0EEEvT1_,@function
_ZN7rocprim17ROCPRIM_400000_NS6detail17trampoline_kernelINS0_14default_configENS1_25partition_config_selectorILNS1_17partition_subalgoE5ElNS0_10empty_typeEbEEZZNS1_14partition_implILS5_5ELb0ES3_mN6hipcub16HIPCUB_304000_NS21CountingInputIteratorIllEEPS6_NSA_22TransformInputIteratorIbN2at6native12_GLOBAL__N_19NonZeroOpIN3c107complexIfEEEEPKSL_lEENS0_5tupleIJPlS6_EEENSQ_IJSD_SD_EEES6_PiJS6_EEE10hipError_tPvRmT3_T4_T5_T6_T7_T9_mT8_P12ihipStream_tbDpT10_ENKUlT_T0_E_clISt17integral_constantIbLb1EES1D_IbLb0EEEEDaS19_S1A_EUlS19_E_NS1_11comp_targetILNS1_3genE3ELNS1_11target_archE908ELNS1_3gpuE7ELNS1_3repE0EEENS1_30default_config_static_selectorELNS0_4arch9wavefront6targetE0EEEvT1_: ; @_ZN7rocprim17ROCPRIM_400000_NS6detail17trampoline_kernelINS0_14default_configENS1_25partition_config_selectorILNS1_17partition_subalgoE5ElNS0_10empty_typeEbEEZZNS1_14partition_implILS5_5ELb0ES3_mN6hipcub16HIPCUB_304000_NS21CountingInputIteratorIllEEPS6_NSA_22TransformInputIteratorIbN2at6native12_GLOBAL__N_19NonZeroOpIN3c107complexIfEEEEPKSL_lEENS0_5tupleIJPlS6_EEENSQ_IJSD_SD_EEES6_PiJS6_EEE10hipError_tPvRmT3_T4_T5_T6_T7_T9_mT8_P12ihipStream_tbDpT10_ENKUlT_T0_E_clISt17integral_constantIbLb1EES1D_IbLb0EEEEDaS19_S1A_EUlS19_E_NS1_11comp_targetILNS1_3genE3ELNS1_11target_archE908ELNS1_3gpuE7ELNS1_3repE0EEENS1_30default_config_static_selectorELNS0_4arch9wavefront6targetE0EEEvT1_
; %bb.0:
	.section	.rodata,"a",@progbits
	.p2align	6, 0x0
	.amdhsa_kernel _ZN7rocprim17ROCPRIM_400000_NS6detail17trampoline_kernelINS0_14default_configENS1_25partition_config_selectorILNS1_17partition_subalgoE5ElNS0_10empty_typeEbEEZZNS1_14partition_implILS5_5ELb0ES3_mN6hipcub16HIPCUB_304000_NS21CountingInputIteratorIllEEPS6_NSA_22TransformInputIteratorIbN2at6native12_GLOBAL__N_19NonZeroOpIN3c107complexIfEEEEPKSL_lEENS0_5tupleIJPlS6_EEENSQ_IJSD_SD_EEES6_PiJS6_EEE10hipError_tPvRmT3_T4_T5_T6_T7_T9_mT8_P12ihipStream_tbDpT10_ENKUlT_T0_E_clISt17integral_constantIbLb1EES1D_IbLb0EEEEDaS19_S1A_EUlS19_E_NS1_11comp_targetILNS1_3genE3ELNS1_11target_archE908ELNS1_3gpuE7ELNS1_3repE0EEENS1_30default_config_static_selectorELNS0_4arch9wavefront6targetE0EEEvT1_
		.amdhsa_group_segment_fixed_size 0
		.amdhsa_private_segment_fixed_size 0
		.amdhsa_kernarg_size 120
		.amdhsa_user_sgpr_count 2
		.amdhsa_user_sgpr_dispatch_ptr 0
		.amdhsa_user_sgpr_queue_ptr 0
		.amdhsa_user_sgpr_kernarg_segment_ptr 1
		.amdhsa_user_sgpr_dispatch_id 0
		.amdhsa_user_sgpr_private_segment_size 0
		.amdhsa_wavefront_size32 1
		.amdhsa_uses_dynamic_stack 0
		.amdhsa_enable_private_segment 0
		.amdhsa_system_sgpr_workgroup_id_x 1
		.amdhsa_system_sgpr_workgroup_id_y 0
		.amdhsa_system_sgpr_workgroup_id_z 0
		.amdhsa_system_sgpr_workgroup_info 0
		.amdhsa_system_vgpr_workitem_id 0
		.amdhsa_next_free_vgpr 1
		.amdhsa_next_free_sgpr 1
		.amdhsa_reserve_vcc 0
		.amdhsa_float_round_mode_32 0
		.amdhsa_float_round_mode_16_64 0
		.amdhsa_float_denorm_mode_32 3
		.amdhsa_float_denorm_mode_16_64 3
		.amdhsa_fp16_overflow 0
		.amdhsa_workgroup_processor_mode 1
		.amdhsa_memory_ordered 1
		.amdhsa_forward_progress 1
		.amdhsa_inst_pref_size 0
		.amdhsa_round_robin_scheduling 0
		.amdhsa_exception_fp_ieee_invalid_op 0
		.amdhsa_exception_fp_denorm_src 0
		.amdhsa_exception_fp_ieee_div_zero 0
		.amdhsa_exception_fp_ieee_overflow 0
		.amdhsa_exception_fp_ieee_underflow 0
		.amdhsa_exception_fp_ieee_inexact 0
		.amdhsa_exception_int_div_zero 0
	.end_amdhsa_kernel
	.section	.text._ZN7rocprim17ROCPRIM_400000_NS6detail17trampoline_kernelINS0_14default_configENS1_25partition_config_selectorILNS1_17partition_subalgoE5ElNS0_10empty_typeEbEEZZNS1_14partition_implILS5_5ELb0ES3_mN6hipcub16HIPCUB_304000_NS21CountingInputIteratorIllEEPS6_NSA_22TransformInputIteratorIbN2at6native12_GLOBAL__N_19NonZeroOpIN3c107complexIfEEEEPKSL_lEENS0_5tupleIJPlS6_EEENSQ_IJSD_SD_EEES6_PiJS6_EEE10hipError_tPvRmT3_T4_T5_T6_T7_T9_mT8_P12ihipStream_tbDpT10_ENKUlT_T0_E_clISt17integral_constantIbLb1EES1D_IbLb0EEEEDaS19_S1A_EUlS19_E_NS1_11comp_targetILNS1_3genE3ELNS1_11target_archE908ELNS1_3gpuE7ELNS1_3repE0EEENS1_30default_config_static_selectorELNS0_4arch9wavefront6targetE0EEEvT1_,"axG",@progbits,_ZN7rocprim17ROCPRIM_400000_NS6detail17trampoline_kernelINS0_14default_configENS1_25partition_config_selectorILNS1_17partition_subalgoE5ElNS0_10empty_typeEbEEZZNS1_14partition_implILS5_5ELb0ES3_mN6hipcub16HIPCUB_304000_NS21CountingInputIteratorIllEEPS6_NSA_22TransformInputIteratorIbN2at6native12_GLOBAL__N_19NonZeroOpIN3c107complexIfEEEEPKSL_lEENS0_5tupleIJPlS6_EEENSQ_IJSD_SD_EEES6_PiJS6_EEE10hipError_tPvRmT3_T4_T5_T6_T7_T9_mT8_P12ihipStream_tbDpT10_ENKUlT_T0_E_clISt17integral_constantIbLb1EES1D_IbLb0EEEEDaS19_S1A_EUlS19_E_NS1_11comp_targetILNS1_3genE3ELNS1_11target_archE908ELNS1_3gpuE7ELNS1_3repE0EEENS1_30default_config_static_selectorELNS0_4arch9wavefront6targetE0EEEvT1_,comdat
.Lfunc_end613:
	.size	_ZN7rocprim17ROCPRIM_400000_NS6detail17trampoline_kernelINS0_14default_configENS1_25partition_config_selectorILNS1_17partition_subalgoE5ElNS0_10empty_typeEbEEZZNS1_14partition_implILS5_5ELb0ES3_mN6hipcub16HIPCUB_304000_NS21CountingInputIteratorIllEEPS6_NSA_22TransformInputIteratorIbN2at6native12_GLOBAL__N_19NonZeroOpIN3c107complexIfEEEEPKSL_lEENS0_5tupleIJPlS6_EEENSQ_IJSD_SD_EEES6_PiJS6_EEE10hipError_tPvRmT3_T4_T5_T6_T7_T9_mT8_P12ihipStream_tbDpT10_ENKUlT_T0_E_clISt17integral_constantIbLb1EES1D_IbLb0EEEEDaS19_S1A_EUlS19_E_NS1_11comp_targetILNS1_3genE3ELNS1_11target_archE908ELNS1_3gpuE7ELNS1_3repE0EEENS1_30default_config_static_selectorELNS0_4arch9wavefront6targetE0EEEvT1_, .Lfunc_end613-_ZN7rocprim17ROCPRIM_400000_NS6detail17trampoline_kernelINS0_14default_configENS1_25partition_config_selectorILNS1_17partition_subalgoE5ElNS0_10empty_typeEbEEZZNS1_14partition_implILS5_5ELb0ES3_mN6hipcub16HIPCUB_304000_NS21CountingInputIteratorIllEEPS6_NSA_22TransformInputIteratorIbN2at6native12_GLOBAL__N_19NonZeroOpIN3c107complexIfEEEEPKSL_lEENS0_5tupleIJPlS6_EEENSQ_IJSD_SD_EEES6_PiJS6_EEE10hipError_tPvRmT3_T4_T5_T6_T7_T9_mT8_P12ihipStream_tbDpT10_ENKUlT_T0_E_clISt17integral_constantIbLb1EES1D_IbLb0EEEEDaS19_S1A_EUlS19_E_NS1_11comp_targetILNS1_3genE3ELNS1_11target_archE908ELNS1_3gpuE7ELNS1_3repE0EEENS1_30default_config_static_selectorELNS0_4arch9wavefront6targetE0EEEvT1_
                                        ; -- End function
	.set _ZN7rocprim17ROCPRIM_400000_NS6detail17trampoline_kernelINS0_14default_configENS1_25partition_config_selectorILNS1_17partition_subalgoE5ElNS0_10empty_typeEbEEZZNS1_14partition_implILS5_5ELb0ES3_mN6hipcub16HIPCUB_304000_NS21CountingInputIteratorIllEEPS6_NSA_22TransformInputIteratorIbN2at6native12_GLOBAL__N_19NonZeroOpIN3c107complexIfEEEEPKSL_lEENS0_5tupleIJPlS6_EEENSQ_IJSD_SD_EEES6_PiJS6_EEE10hipError_tPvRmT3_T4_T5_T6_T7_T9_mT8_P12ihipStream_tbDpT10_ENKUlT_T0_E_clISt17integral_constantIbLb1EES1D_IbLb0EEEEDaS19_S1A_EUlS19_E_NS1_11comp_targetILNS1_3genE3ELNS1_11target_archE908ELNS1_3gpuE7ELNS1_3repE0EEENS1_30default_config_static_selectorELNS0_4arch9wavefront6targetE0EEEvT1_.num_vgpr, 0
	.set _ZN7rocprim17ROCPRIM_400000_NS6detail17trampoline_kernelINS0_14default_configENS1_25partition_config_selectorILNS1_17partition_subalgoE5ElNS0_10empty_typeEbEEZZNS1_14partition_implILS5_5ELb0ES3_mN6hipcub16HIPCUB_304000_NS21CountingInputIteratorIllEEPS6_NSA_22TransformInputIteratorIbN2at6native12_GLOBAL__N_19NonZeroOpIN3c107complexIfEEEEPKSL_lEENS0_5tupleIJPlS6_EEENSQ_IJSD_SD_EEES6_PiJS6_EEE10hipError_tPvRmT3_T4_T5_T6_T7_T9_mT8_P12ihipStream_tbDpT10_ENKUlT_T0_E_clISt17integral_constantIbLb1EES1D_IbLb0EEEEDaS19_S1A_EUlS19_E_NS1_11comp_targetILNS1_3genE3ELNS1_11target_archE908ELNS1_3gpuE7ELNS1_3repE0EEENS1_30default_config_static_selectorELNS0_4arch9wavefront6targetE0EEEvT1_.num_agpr, 0
	.set _ZN7rocprim17ROCPRIM_400000_NS6detail17trampoline_kernelINS0_14default_configENS1_25partition_config_selectorILNS1_17partition_subalgoE5ElNS0_10empty_typeEbEEZZNS1_14partition_implILS5_5ELb0ES3_mN6hipcub16HIPCUB_304000_NS21CountingInputIteratorIllEEPS6_NSA_22TransformInputIteratorIbN2at6native12_GLOBAL__N_19NonZeroOpIN3c107complexIfEEEEPKSL_lEENS0_5tupleIJPlS6_EEENSQ_IJSD_SD_EEES6_PiJS6_EEE10hipError_tPvRmT3_T4_T5_T6_T7_T9_mT8_P12ihipStream_tbDpT10_ENKUlT_T0_E_clISt17integral_constantIbLb1EES1D_IbLb0EEEEDaS19_S1A_EUlS19_E_NS1_11comp_targetILNS1_3genE3ELNS1_11target_archE908ELNS1_3gpuE7ELNS1_3repE0EEENS1_30default_config_static_selectorELNS0_4arch9wavefront6targetE0EEEvT1_.numbered_sgpr, 0
	.set _ZN7rocprim17ROCPRIM_400000_NS6detail17trampoline_kernelINS0_14default_configENS1_25partition_config_selectorILNS1_17partition_subalgoE5ElNS0_10empty_typeEbEEZZNS1_14partition_implILS5_5ELb0ES3_mN6hipcub16HIPCUB_304000_NS21CountingInputIteratorIllEEPS6_NSA_22TransformInputIteratorIbN2at6native12_GLOBAL__N_19NonZeroOpIN3c107complexIfEEEEPKSL_lEENS0_5tupleIJPlS6_EEENSQ_IJSD_SD_EEES6_PiJS6_EEE10hipError_tPvRmT3_T4_T5_T6_T7_T9_mT8_P12ihipStream_tbDpT10_ENKUlT_T0_E_clISt17integral_constantIbLb1EES1D_IbLb0EEEEDaS19_S1A_EUlS19_E_NS1_11comp_targetILNS1_3genE3ELNS1_11target_archE908ELNS1_3gpuE7ELNS1_3repE0EEENS1_30default_config_static_selectorELNS0_4arch9wavefront6targetE0EEEvT1_.num_named_barrier, 0
	.set _ZN7rocprim17ROCPRIM_400000_NS6detail17trampoline_kernelINS0_14default_configENS1_25partition_config_selectorILNS1_17partition_subalgoE5ElNS0_10empty_typeEbEEZZNS1_14partition_implILS5_5ELb0ES3_mN6hipcub16HIPCUB_304000_NS21CountingInputIteratorIllEEPS6_NSA_22TransformInputIteratorIbN2at6native12_GLOBAL__N_19NonZeroOpIN3c107complexIfEEEEPKSL_lEENS0_5tupleIJPlS6_EEENSQ_IJSD_SD_EEES6_PiJS6_EEE10hipError_tPvRmT3_T4_T5_T6_T7_T9_mT8_P12ihipStream_tbDpT10_ENKUlT_T0_E_clISt17integral_constantIbLb1EES1D_IbLb0EEEEDaS19_S1A_EUlS19_E_NS1_11comp_targetILNS1_3genE3ELNS1_11target_archE908ELNS1_3gpuE7ELNS1_3repE0EEENS1_30default_config_static_selectorELNS0_4arch9wavefront6targetE0EEEvT1_.private_seg_size, 0
	.set _ZN7rocprim17ROCPRIM_400000_NS6detail17trampoline_kernelINS0_14default_configENS1_25partition_config_selectorILNS1_17partition_subalgoE5ElNS0_10empty_typeEbEEZZNS1_14partition_implILS5_5ELb0ES3_mN6hipcub16HIPCUB_304000_NS21CountingInputIteratorIllEEPS6_NSA_22TransformInputIteratorIbN2at6native12_GLOBAL__N_19NonZeroOpIN3c107complexIfEEEEPKSL_lEENS0_5tupleIJPlS6_EEENSQ_IJSD_SD_EEES6_PiJS6_EEE10hipError_tPvRmT3_T4_T5_T6_T7_T9_mT8_P12ihipStream_tbDpT10_ENKUlT_T0_E_clISt17integral_constantIbLb1EES1D_IbLb0EEEEDaS19_S1A_EUlS19_E_NS1_11comp_targetILNS1_3genE3ELNS1_11target_archE908ELNS1_3gpuE7ELNS1_3repE0EEENS1_30default_config_static_selectorELNS0_4arch9wavefront6targetE0EEEvT1_.uses_vcc, 0
	.set _ZN7rocprim17ROCPRIM_400000_NS6detail17trampoline_kernelINS0_14default_configENS1_25partition_config_selectorILNS1_17partition_subalgoE5ElNS0_10empty_typeEbEEZZNS1_14partition_implILS5_5ELb0ES3_mN6hipcub16HIPCUB_304000_NS21CountingInputIteratorIllEEPS6_NSA_22TransformInputIteratorIbN2at6native12_GLOBAL__N_19NonZeroOpIN3c107complexIfEEEEPKSL_lEENS0_5tupleIJPlS6_EEENSQ_IJSD_SD_EEES6_PiJS6_EEE10hipError_tPvRmT3_T4_T5_T6_T7_T9_mT8_P12ihipStream_tbDpT10_ENKUlT_T0_E_clISt17integral_constantIbLb1EES1D_IbLb0EEEEDaS19_S1A_EUlS19_E_NS1_11comp_targetILNS1_3genE3ELNS1_11target_archE908ELNS1_3gpuE7ELNS1_3repE0EEENS1_30default_config_static_selectorELNS0_4arch9wavefront6targetE0EEEvT1_.uses_flat_scratch, 0
	.set _ZN7rocprim17ROCPRIM_400000_NS6detail17trampoline_kernelINS0_14default_configENS1_25partition_config_selectorILNS1_17partition_subalgoE5ElNS0_10empty_typeEbEEZZNS1_14partition_implILS5_5ELb0ES3_mN6hipcub16HIPCUB_304000_NS21CountingInputIteratorIllEEPS6_NSA_22TransformInputIteratorIbN2at6native12_GLOBAL__N_19NonZeroOpIN3c107complexIfEEEEPKSL_lEENS0_5tupleIJPlS6_EEENSQ_IJSD_SD_EEES6_PiJS6_EEE10hipError_tPvRmT3_T4_T5_T6_T7_T9_mT8_P12ihipStream_tbDpT10_ENKUlT_T0_E_clISt17integral_constantIbLb1EES1D_IbLb0EEEEDaS19_S1A_EUlS19_E_NS1_11comp_targetILNS1_3genE3ELNS1_11target_archE908ELNS1_3gpuE7ELNS1_3repE0EEENS1_30default_config_static_selectorELNS0_4arch9wavefront6targetE0EEEvT1_.has_dyn_sized_stack, 0
	.set _ZN7rocprim17ROCPRIM_400000_NS6detail17trampoline_kernelINS0_14default_configENS1_25partition_config_selectorILNS1_17partition_subalgoE5ElNS0_10empty_typeEbEEZZNS1_14partition_implILS5_5ELb0ES3_mN6hipcub16HIPCUB_304000_NS21CountingInputIteratorIllEEPS6_NSA_22TransformInputIteratorIbN2at6native12_GLOBAL__N_19NonZeroOpIN3c107complexIfEEEEPKSL_lEENS0_5tupleIJPlS6_EEENSQ_IJSD_SD_EEES6_PiJS6_EEE10hipError_tPvRmT3_T4_T5_T6_T7_T9_mT8_P12ihipStream_tbDpT10_ENKUlT_T0_E_clISt17integral_constantIbLb1EES1D_IbLb0EEEEDaS19_S1A_EUlS19_E_NS1_11comp_targetILNS1_3genE3ELNS1_11target_archE908ELNS1_3gpuE7ELNS1_3repE0EEENS1_30default_config_static_selectorELNS0_4arch9wavefront6targetE0EEEvT1_.has_recursion, 0
	.set _ZN7rocprim17ROCPRIM_400000_NS6detail17trampoline_kernelINS0_14default_configENS1_25partition_config_selectorILNS1_17partition_subalgoE5ElNS0_10empty_typeEbEEZZNS1_14partition_implILS5_5ELb0ES3_mN6hipcub16HIPCUB_304000_NS21CountingInputIteratorIllEEPS6_NSA_22TransformInputIteratorIbN2at6native12_GLOBAL__N_19NonZeroOpIN3c107complexIfEEEEPKSL_lEENS0_5tupleIJPlS6_EEENSQ_IJSD_SD_EEES6_PiJS6_EEE10hipError_tPvRmT3_T4_T5_T6_T7_T9_mT8_P12ihipStream_tbDpT10_ENKUlT_T0_E_clISt17integral_constantIbLb1EES1D_IbLb0EEEEDaS19_S1A_EUlS19_E_NS1_11comp_targetILNS1_3genE3ELNS1_11target_archE908ELNS1_3gpuE7ELNS1_3repE0EEENS1_30default_config_static_selectorELNS0_4arch9wavefront6targetE0EEEvT1_.has_indirect_call, 0
	.section	.AMDGPU.csdata,"",@progbits
; Kernel info:
; codeLenInByte = 0
; TotalNumSgprs: 0
; NumVgprs: 0
; ScratchSize: 0
; MemoryBound: 0
; FloatMode: 240
; IeeeMode: 1
; LDSByteSize: 0 bytes/workgroup (compile time only)
; SGPRBlocks: 0
; VGPRBlocks: 0
; NumSGPRsForWavesPerEU: 1
; NumVGPRsForWavesPerEU: 1
; Occupancy: 16
; WaveLimiterHint : 0
; COMPUTE_PGM_RSRC2:SCRATCH_EN: 0
; COMPUTE_PGM_RSRC2:USER_SGPR: 2
; COMPUTE_PGM_RSRC2:TRAP_HANDLER: 0
; COMPUTE_PGM_RSRC2:TGID_X_EN: 1
; COMPUTE_PGM_RSRC2:TGID_Y_EN: 0
; COMPUTE_PGM_RSRC2:TGID_Z_EN: 0
; COMPUTE_PGM_RSRC2:TIDIG_COMP_CNT: 0
	.section	.text._ZN7rocprim17ROCPRIM_400000_NS6detail17trampoline_kernelINS0_14default_configENS1_25partition_config_selectorILNS1_17partition_subalgoE5ElNS0_10empty_typeEbEEZZNS1_14partition_implILS5_5ELb0ES3_mN6hipcub16HIPCUB_304000_NS21CountingInputIteratorIllEEPS6_NSA_22TransformInputIteratorIbN2at6native12_GLOBAL__N_19NonZeroOpIN3c107complexIfEEEEPKSL_lEENS0_5tupleIJPlS6_EEENSQ_IJSD_SD_EEES6_PiJS6_EEE10hipError_tPvRmT3_T4_T5_T6_T7_T9_mT8_P12ihipStream_tbDpT10_ENKUlT_T0_E_clISt17integral_constantIbLb1EES1D_IbLb0EEEEDaS19_S1A_EUlS19_E_NS1_11comp_targetILNS1_3genE2ELNS1_11target_archE906ELNS1_3gpuE6ELNS1_3repE0EEENS1_30default_config_static_selectorELNS0_4arch9wavefront6targetE0EEEvT1_,"axG",@progbits,_ZN7rocprim17ROCPRIM_400000_NS6detail17trampoline_kernelINS0_14default_configENS1_25partition_config_selectorILNS1_17partition_subalgoE5ElNS0_10empty_typeEbEEZZNS1_14partition_implILS5_5ELb0ES3_mN6hipcub16HIPCUB_304000_NS21CountingInputIteratorIllEEPS6_NSA_22TransformInputIteratorIbN2at6native12_GLOBAL__N_19NonZeroOpIN3c107complexIfEEEEPKSL_lEENS0_5tupleIJPlS6_EEENSQ_IJSD_SD_EEES6_PiJS6_EEE10hipError_tPvRmT3_T4_T5_T6_T7_T9_mT8_P12ihipStream_tbDpT10_ENKUlT_T0_E_clISt17integral_constantIbLb1EES1D_IbLb0EEEEDaS19_S1A_EUlS19_E_NS1_11comp_targetILNS1_3genE2ELNS1_11target_archE906ELNS1_3gpuE6ELNS1_3repE0EEENS1_30default_config_static_selectorELNS0_4arch9wavefront6targetE0EEEvT1_,comdat
	.globl	_ZN7rocprim17ROCPRIM_400000_NS6detail17trampoline_kernelINS0_14default_configENS1_25partition_config_selectorILNS1_17partition_subalgoE5ElNS0_10empty_typeEbEEZZNS1_14partition_implILS5_5ELb0ES3_mN6hipcub16HIPCUB_304000_NS21CountingInputIteratorIllEEPS6_NSA_22TransformInputIteratorIbN2at6native12_GLOBAL__N_19NonZeroOpIN3c107complexIfEEEEPKSL_lEENS0_5tupleIJPlS6_EEENSQ_IJSD_SD_EEES6_PiJS6_EEE10hipError_tPvRmT3_T4_T5_T6_T7_T9_mT8_P12ihipStream_tbDpT10_ENKUlT_T0_E_clISt17integral_constantIbLb1EES1D_IbLb0EEEEDaS19_S1A_EUlS19_E_NS1_11comp_targetILNS1_3genE2ELNS1_11target_archE906ELNS1_3gpuE6ELNS1_3repE0EEENS1_30default_config_static_selectorELNS0_4arch9wavefront6targetE0EEEvT1_ ; -- Begin function _ZN7rocprim17ROCPRIM_400000_NS6detail17trampoline_kernelINS0_14default_configENS1_25partition_config_selectorILNS1_17partition_subalgoE5ElNS0_10empty_typeEbEEZZNS1_14partition_implILS5_5ELb0ES3_mN6hipcub16HIPCUB_304000_NS21CountingInputIteratorIllEEPS6_NSA_22TransformInputIteratorIbN2at6native12_GLOBAL__N_19NonZeroOpIN3c107complexIfEEEEPKSL_lEENS0_5tupleIJPlS6_EEENSQ_IJSD_SD_EEES6_PiJS6_EEE10hipError_tPvRmT3_T4_T5_T6_T7_T9_mT8_P12ihipStream_tbDpT10_ENKUlT_T0_E_clISt17integral_constantIbLb1EES1D_IbLb0EEEEDaS19_S1A_EUlS19_E_NS1_11comp_targetILNS1_3genE2ELNS1_11target_archE906ELNS1_3gpuE6ELNS1_3repE0EEENS1_30default_config_static_selectorELNS0_4arch9wavefront6targetE0EEEvT1_
	.p2align	8
	.type	_ZN7rocprim17ROCPRIM_400000_NS6detail17trampoline_kernelINS0_14default_configENS1_25partition_config_selectorILNS1_17partition_subalgoE5ElNS0_10empty_typeEbEEZZNS1_14partition_implILS5_5ELb0ES3_mN6hipcub16HIPCUB_304000_NS21CountingInputIteratorIllEEPS6_NSA_22TransformInputIteratorIbN2at6native12_GLOBAL__N_19NonZeroOpIN3c107complexIfEEEEPKSL_lEENS0_5tupleIJPlS6_EEENSQ_IJSD_SD_EEES6_PiJS6_EEE10hipError_tPvRmT3_T4_T5_T6_T7_T9_mT8_P12ihipStream_tbDpT10_ENKUlT_T0_E_clISt17integral_constantIbLb1EES1D_IbLb0EEEEDaS19_S1A_EUlS19_E_NS1_11comp_targetILNS1_3genE2ELNS1_11target_archE906ELNS1_3gpuE6ELNS1_3repE0EEENS1_30default_config_static_selectorELNS0_4arch9wavefront6targetE0EEEvT1_,@function
_ZN7rocprim17ROCPRIM_400000_NS6detail17trampoline_kernelINS0_14default_configENS1_25partition_config_selectorILNS1_17partition_subalgoE5ElNS0_10empty_typeEbEEZZNS1_14partition_implILS5_5ELb0ES3_mN6hipcub16HIPCUB_304000_NS21CountingInputIteratorIllEEPS6_NSA_22TransformInputIteratorIbN2at6native12_GLOBAL__N_19NonZeroOpIN3c107complexIfEEEEPKSL_lEENS0_5tupleIJPlS6_EEENSQ_IJSD_SD_EEES6_PiJS6_EEE10hipError_tPvRmT3_T4_T5_T6_T7_T9_mT8_P12ihipStream_tbDpT10_ENKUlT_T0_E_clISt17integral_constantIbLb1EES1D_IbLb0EEEEDaS19_S1A_EUlS19_E_NS1_11comp_targetILNS1_3genE2ELNS1_11target_archE906ELNS1_3gpuE6ELNS1_3repE0EEENS1_30default_config_static_selectorELNS0_4arch9wavefront6targetE0EEEvT1_: ; @_ZN7rocprim17ROCPRIM_400000_NS6detail17trampoline_kernelINS0_14default_configENS1_25partition_config_selectorILNS1_17partition_subalgoE5ElNS0_10empty_typeEbEEZZNS1_14partition_implILS5_5ELb0ES3_mN6hipcub16HIPCUB_304000_NS21CountingInputIteratorIllEEPS6_NSA_22TransformInputIteratorIbN2at6native12_GLOBAL__N_19NonZeroOpIN3c107complexIfEEEEPKSL_lEENS0_5tupleIJPlS6_EEENSQ_IJSD_SD_EEES6_PiJS6_EEE10hipError_tPvRmT3_T4_T5_T6_T7_T9_mT8_P12ihipStream_tbDpT10_ENKUlT_T0_E_clISt17integral_constantIbLb1EES1D_IbLb0EEEEDaS19_S1A_EUlS19_E_NS1_11comp_targetILNS1_3genE2ELNS1_11target_archE906ELNS1_3gpuE6ELNS1_3repE0EEENS1_30default_config_static_selectorELNS0_4arch9wavefront6targetE0EEEvT1_
; %bb.0:
	.section	.rodata,"a",@progbits
	.p2align	6, 0x0
	.amdhsa_kernel _ZN7rocprim17ROCPRIM_400000_NS6detail17trampoline_kernelINS0_14default_configENS1_25partition_config_selectorILNS1_17partition_subalgoE5ElNS0_10empty_typeEbEEZZNS1_14partition_implILS5_5ELb0ES3_mN6hipcub16HIPCUB_304000_NS21CountingInputIteratorIllEEPS6_NSA_22TransformInputIteratorIbN2at6native12_GLOBAL__N_19NonZeroOpIN3c107complexIfEEEEPKSL_lEENS0_5tupleIJPlS6_EEENSQ_IJSD_SD_EEES6_PiJS6_EEE10hipError_tPvRmT3_T4_T5_T6_T7_T9_mT8_P12ihipStream_tbDpT10_ENKUlT_T0_E_clISt17integral_constantIbLb1EES1D_IbLb0EEEEDaS19_S1A_EUlS19_E_NS1_11comp_targetILNS1_3genE2ELNS1_11target_archE906ELNS1_3gpuE6ELNS1_3repE0EEENS1_30default_config_static_selectorELNS0_4arch9wavefront6targetE0EEEvT1_
		.amdhsa_group_segment_fixed_size 0
		.amdhsa_private_segment_fixed_size 0
		.amdhsa_kernarg_size 120
		.amdhsa_user_sgpr_count 2
		.amdhsa_user_sgpr_dispatch_ptr 0
		.amdhsa_user_sgpr_queue_ptr 0
		.amdhsa_user_sgpr_kernarg_segment_ptr 1
		.amdhsa_user_sgpr_dispatch_id 0
		.amdhsa_user_sgpr_private_segment_size 0
		.amdhsa_wavefront_size32 1
		.amdhsa_uses_dynamic_stack 0
		.amdhsa_enable_private_segment 0
		.amdhsa_system_sgpr_workgroup_id_x 1
		.amdhsa_system_sgpr_workgroup_id_y 0
		.amdhsa_system_sgpr_workgroup_id_z 0
		.amdhsa_system_sgpr_workgroup_info 0
		.amdhsa_system_vgpr_workitem_id 0
		.amdhsa_next_free_vgpr 1
		.amdhsa_next_free_sgpr 1
		.amdhsa_reserve_vcc 0
		.amdhsa_float_round_mode_32 0
		.amdhsa_float_round_mode_16_64 0
		.amdhsa_float_denorm_mode_32 3
		.amdhsa_float_denorm_mode_16_64 3
		.amdhsa_fp16_overflow 0
		.amdhsa_workgroup_processor_mode 1
		.amdhsa_memory_ordered 1
		.amdhsa_forward_progress 1
		.amdhsa_inst_pref_size 0
		.amdhsa_round_robin_scheduling 0
		.amdhsa_exception_fp_ieee_invalid_op 0
		.amdhsa_exception_fp_denorm_src 0
		.amdhsa_exception_fp_ieee_div_zero 0
		.amdhsa_exception_fp_ieee_overflow 0
		.amdhsa_exception_fp_ieee_underflow 0
		.amdhsa_exception_fp_ieee_inexact 0
		.amdhsa_exception_int_div_zero 0
	.end_amdhsa_kernel
	.section	.text._ZN7rocprim17ROCPRIM_400000_NS6detail17trampoline_kernelINS0_14default_configENS1_25partition_config_selectorILNS1_17partition_subalgoE5ElNS0_10empty_typeEbEEZZNS1_14partition_implILS5_5ELb0ES3_mN6hipcub16HIPCUB_304000_NS21CountingInputIteratorIllEEPS6_NSA_22TransformInputIteratorIbN2at6native12_GLOBAL__N_19NonZeroOpIN3c107complexIfEEEEPKSL_lEENS0_5tupleIJPlS6_EEENSQ_IJSD_SD_EEES6_PiJS6_EEE10hipError_tPvRmT3_T4_T5_T6_T7_T9_mT8_P12ihipStream_tbDpT10_ENKUlT_T0_E_clISt17integral_constantIbLb1EES1D_IbLb0EEEEDaS19_S1A_EUlS19_E_NS1_11comp_targetILNS1_3genE2ELNS1_11target_archE906ELNS1_3gpuE6ELNS1_3repE0EEENS1_30default_config_static_selectorELNS0_4arch9wavefront6targetE0EEEvT1_,"axG",@progbits,_ZN7rocprim17ROCPRIM_400000_NS6detail17trampoline_kernelINS0_14default_configENS1_25partition_config_selectorILNS1_17partition_subalgoE5ElNS0_10empty_typeEbEEZZNS1_14partition_implILS5_5ELb0ES3_mN6hipcub16HIPCUB_304000_NS21CountingInputIteratorIllEEPS6_NSA_22TransformInputIteratorIbN2at6native12_GLOBAL__N_19NonZeroOpIN3c107complexIfEEEEPKSL_lEENS0_5tupleIJPlS6_EEENSQ_IJSD_SD_EEES6_PiJS6_EEE10hipError_tPvRmT3_T4_T5_T6_T7_T9_mT8_P12ihipStream_tbDpT10_ENKUlT_T0_E_clISt17integral_constantIbLb1EES1D_IbLb0EEEEDaS19_S1A_EUlS19_E_NS1_11comp_targetILNS1_3genE2ELNS1_11target_archE906ELNS1_3gpuE6ELNS1_3repE0EEENS1_30default_config_static_selectorELNS0_4arch9wavefront6targetE0EEEvT1_,comdat
.Lfunc_end614:
	.size	_ZN7rocprim17ROCPRIM_400000_NS6detail17trampoline_kernelINS0_14default_configENS1_25partition_config_selectorILNS1_17partition_subalgoE5ElNS0_10empty_typeEbEEZZNS1_14partition_implILS5_5ELb0ES3_mN6hipcub16HIPCUB_304000_NS21CountingInputIteratorIllEEPS6_NSA_22TransformInputIteratorIbN2at6native12_GLOBAL__N_19NonZeroOpIN3c107complexIfEEEEPKSL_lEENS0_5tupleIJPlS6_EEENSQ_IJSD_SD_EEES6_PiJS6_EEE10hipError_tPvRmT3_T4_T5_T6_T7_T9_mT8_P12ihipStream_tbDpT10_ENKUlT_T0_E_clISt17integral_constantIbLb1EES1D_IbLb0EEEEDaS19_S1A_EUlS19_E_NS1_11comp_targetILNS1_3genE2ELNS1_11target_archE906ELNS1_3gpuE6ELNS1_3repE0EEENS1_30default_config_static_selectorELNS0_4arch9wavefront6targetE0EEEvT1_, .Lfunc_end614-_ZN7rocprim17ROCPRIM_400000_NS6detail17trampoline_kernelINS0_14default_configENS1_25partition_config_selectorILNS1_17partition_subalgoE5ElNS0_10empty_typeEbEEZZNS1_14partition_implILS5_5ELb0ES3_mN6hipcub16HIPCUB_304000_NS21CountingInputIteratorIllEEPS6_NSA_22TransformInputIteratorIbN2at6native12_GLOBAL__N_19NonZeroOpIN3c107complexIfEEEEPKSL_lEENS0_5tupleIJPlS6_EEENSQ_IJSD_SD_EEES6_PiJS6_EEE10hipError_tPvRmT3_T4_T5_T6_T7_T9_mT8_P12ihipStream_tbDpT10_ENKUlT_T0_E_clISt17integral_constantIbLb1EES1D_IbLb0EEEEDaS19_S1A_EUlS19_E_NS1_11comp_targetILNS1_3genE2ELNS1_11target_archE906ELNS1_3gpuE6ELNS1_3repE0EEENS1_30default_config_static_selectorELNS0_4arch9wavefront6targetE0EEEvT1_
                                        ; -- End function
	.set _ZN7rocprim17ROCPRIM_400000_NS6detail17trampoline_kernelINS0_14default_configENS1_25partition_config_selectorILNS1_17partition_subalgoE5ElNS0_10empty_typeEbEEZZNS1_14partition_implILS5_5ELb0ES3_mN6hipcub16HIPCUB_304000_NS21CountingInputIteratorIllEEPS6_NSA_22TransformInputIteratorIbN2at6native12_GLOBAL__N_19NonZeroOpIN3c107complexIfEEEEPKSL_lEENS0_5tupleIJPlS6_EEENSQ_IJSD_SD_EEES6_PiJS6_EEE10hipError_tPvRmT3_T4_T5_T6_T7_T9_mT8_P12ihipStream_tbDpT10_ENKUlT_T0_E_clISt17integral_constantIbLb1EES1D_IbLb0EEEEDaS19_S1A_EUlS19_E_NS1_11comp_targetILNS1_3genE2ELNS1_11target_archE906ELNS1_3gpuE6ELNS1_3repE0EEENS1_30default_config_static_selectorELNS0_4arch9wavefront6targetE0EEEvT1_.num_vgpr, 0
	.set _ZN7rocprim17ROCPRIM_400000_NS6detail17trampoline_kernelINS0_14default_configENS1_25partition_config_selectorILNS1_17partition_subalgoE5ElNS0_10empty_typeEbEEZZNS1_14partition_implILS5_5ELb0ES3_mN6hipcub16HIPCUB_304000_NS21CountingInputIteratorIllEEPS6_NSA_22TransformInputIteratorIbN2at6native12_GLOBAL__N_19NonZeroOpIN3c107complexIfEEEEPKSL_lEENS0_5tupleIJPlS6_EEENSQ_IJSD_SD_EEES6_PiJS6_EEE10hipError_tPvRmT3_T4_T5_T6_T7_T9_mT8_P12ihipStream_tbDpT10_ENKUlT_T0_E_clISt17integral_constantIbLb1EES1D_IbLb0EEEEDaS19_S1A_EUlS19_E_NS1_11comp_targetILNS1_3genE2ELNS1_11target_archE906ELNS1_3gpuE6ELNS1_3repE0EEENS1_30default_config_static_selectorELNS0_4arch9wavefront6targetE0EEEvT1_.num_agpr, 0
	.set _ZN7rocprim17ROCPRIM_400000_NS6detail17trampoline_kernelINS0_14default_configENS1_25partition_config_selectorILNS1_17partition_subalgoE5ElNS0_10empty_typeEbEEZZNS1_14partition_implILS5_5ELb0ES3_mN6hipcub16HIPCUB_304000_NS21CountingInputIteratorIllEEPS6_NSA_22TransformInputIteratorIbN2at6native12_GLOBAL__N_19NonZeroOpIN3c107complexIfEEEEPKSL_lEENS0_5tupleIJPlS6_EEENSQ_IJSD_SD_EEES6_PiJS6_EEE10hipError_tPvRmT3_T4_T5_T6_T7_T9_mT8_P12ihipStream_tbDpT10_ENKUlT_T0_E_clISt17integral_constantIbLb1EES1D_IbLb0EEEEDaS19_S1A_EUlS19_E_NS1_11comp_targetILNS1_3genE2ELNS1_11target_archE906ELNS1_3gpuE6ELNS1_3repE0EEENS1_30default_config_static_selectorELNS0_4arch9wavefront6targetE0EEEvT1_.numbered_sgpr, 0
	.set _ZN7rocprim17ROCPRIM_400000_NS6detail17trampoline_kernelINS0_14default_configENS1_25partition_config_selectorILNS1_17partition_subalgoE5ElNS0_10empty_typeEbEEZZNS1_14partition_implILS5_5ELb0ES3_mN6hipcub16HIPCUB_304000_NS21CountingInputIteratorIllEEPS6_NSA_22TransformInputIteratorIbN2at6native12_GLOBAL__N_19NonZeroOpIN3c107complexIfEEEEPKSL_lEENS0_5tupleIJPlS6_EEENSQ_IJSD_SD_EEES6_PiJS6_EEE10hipError_tPvRmT3_T4_T5_T6_T7_T9_mT8_P12ihipStream_tbDpT10_ENKUlT_T0_E_clISt17integral_constantIbLb1EES1D_IbLb0EEEEDaS19_S1A_EUlS19_E_NS1_11comp_targetILNS1_3genE2ELNS1_11target_archE906ELNS1_3gpuE6ELNS1_3repE0EEENS1_30default_config_static_selectorELNS0_4arch9wavefront6targetE0EEEvT1_.num_named_barrier, 0
	.set _ZN7rocprim17ROCPRIM_400000_NS6detail17trampoline_kernelINS0_14default_configENS1_25partition_config_selectorILNS1_17partition_subalgoE5ElNS0_10empty_typeEbEEZZNS1_14partition_implILS5_5ELb0ES3_mN6hipcub16HIPCUB_304000_NS21CountingInputIteratorIllEEPS6_NSA_22TransformInputIteratorIbN2at6native12_GLOBAL__N_19NonZeroOpIN3c107complexIfEEEEPKSL_lEENS0_5tupleIJPlS6_EEENSQ_IJSD_SD_EEES6_PiJS6_EEE10hipError_tPvRmT3_T4_T5_T6_T7_T9_mT8_P12ihipStream_tbDpT10_ENKUlT_T0_E_clISt17integral_constantIbLb1EES1D_IbLb0EEEEDaS19_S1A_EUlS19_E_NS1_11comp_targetILNS1_3genE2ELNS1_11target_archE906ELNS1_3gpuE6ELNS1_3repE0EEENS1_30default_config_static_selectorELNS0_4arch9wavefront6targetE0EEEvT1_.private_seg_size, 0
	.set _ZN7rocprim17ROCPRIM_400000_NS6detail17trampoline_kernelINS0_14default_configENS1_25partition_config_selectorILNS1_17partition_subalgoE5ElNS0_10empty_typeEbEEZZNS1_14partition_implILS5_5ELb0ES3_mN6hipcub16HIPCUB_304000_NS21CountingInputIteratorIllEEPS6_NSA_22TransformInputIteratorIbN2at6native12_GLOBAL__N_19NonZeroOpIN3c107complexIfEEEEPKSL_lEENS0_5tupleIJPlS6_EEENSQ_IJSD_SD_EEES6_PiJS6_EEE10hipError_tPvRmT3_T4_T5_T6_T7_T9_mT8_P12ihipStream_tbDpT10_ENKUlT_T0_E_clISt17integral_constantIbLb1EES1D_IbLb0EEEEDaS19_S1A_EUlS19_E_NS1_11comp_targetILNS1_3genE2ELNS1_11target_archE906ELNS1_3gpuE6ELNS1_3repE0EEENS1_30default_config_static_selectorELNS0_4arch9wavefront6targetE0EEEvT1_.uses_vcc, 0
	.set _ZN7rocprim17ROCPRIM_400000_NS6detail17trampoline_kernelINS0_14default_configENS1_25partition_config_selectorILNS1_17partition_subalgoE5ElNS0_10empty_typeEbEEZZNS1_14partition_implILS5_5ELb0ES3_mN6hipcub16HIPCUB_304000_NS21CountingInputIteratorIllEEPS6_NSA_22TransformInputIteratorIbN2at6native12_GLOBAL__N_19NonZeroOpIN3c107complexIfEEEEPKSL_lEENS0_5tupleIJPlS6_EEENSQ_IJSD_SD_EEES6_PiJS6_EEE10hipError_tPvRmT3_T4_T5_T6_T7_T9_mT8_P12ihipStream_tbDpT10_ENKUlT_T0_E_clISt17integral_constantIbLb1EES1D_IbLb0EEEEDaS19_S1A_EUlS19_E_NS1_11comp_targetILNS1_3genE2ELNS1_11target_archE906ELNS1_3gpuE6ELNS1_3repE0EEENS1_30default_config_static_selectorELNS0_4arch9wavefront6targetE0EEEvT1_.uses_flat_scratch, 0
	.set _ZN7rocprim17ROCPRIM_400000_NS6detail17trampoline_kernelINS0_14default_configENS1_25partition_config_selectorILNS1_17partition_subalgoE5ElNS0_10empty_typeEbEEZZNS1_14partition_implILS5_5ELb0ES3_mN6hipcub16HIPCUB_304000_NS21CountingInputIteratorIllEEPS6_NSA_22TransformInputIteratorIbN2at6native12_GLOBAL__N_19NonZeroOpIN3c107complexIfEEEEPKSL_lEENS0_5tupleIJPlS6_EEENSQ_IJSD_SD_EEES6_PiJS6_EEE10hipError_tPvRmT3_T4_T5_T6_T7_T9_mT8_P12ihipStream_tbDpT10_ENKUlT_T0_E_clISt17integral_constantIbLb1EES1D_IbLb0EEEEDaS19_S1A_EUlS19_E_NS1_11comp_targetILNS1_3genE2ELNS1_11target_archE906ELNS1_3gpuE6ELNS1_3repE0EEENS1_30default_config_static_selectorELNS0_4arch9wavefront6targetE0EEEvT1_.has_dyn_sized_stack, 0
	.set _ZN7rocprim17ROCPRIM_400000_NS6detail17trampoline_kernelINS0_14default_configENS1_25partition_config_selectorILNS1_17partition_subalgoE5ElNS0_10empty_typeEbEEZZNS1_14partition_implILS5_5ELb0ES3_mN6hipcub16HIPCUB_304000_NS21CountingInputIteratorIllEEPS6_NSA_22TransformInputIteratorIbN2at6native12_GLOBAL__N_19NonZeroOpIN3c107complexIfEEEEPKSL_lEENS0_5tupleIJPlS6_EEENSQ_IJSD_SD_EEES6_PiJS6_EEE10hipError_tPvRmT3_T4_T5_T6_T7_T9_mT8_P12ihipStream_tbDpT10_ENKUlT_T0_E_clISt17integral_constantIbLb1EES1D_IbLb0EEEEDaS19_S1A_EUlS19_E_NS1_11comp_targetILNS1_3genE2ELNS1_11target_archE906ELNS1_3gpuE6ELNS1_3repE0EEENS1_30default_config_static_selectorELNS0_4arch9wavefront6targetE0EEEvT1_.has_recursion, 0
	.set _ZN7rocprim17ROCPRIM_400000_NS6detail17trampoline_kernelINS0_14default_configENS1_25partition_config_selectorILNS1_17partition_subalgoE5ElNS0_10empty_typeEbEEZZNS1_14partition_implILS5_5ELb0ES3_mN6hipcub16HIPCUB_304000_NS21CountingInputIteratorIllEEPS6_NSA_22TransformInputIteratorIbN2at6native12_GLOBAL__N_19NonZeroOpIN3c107complexIfEEEEPKSL_lEENS0_5tupleIJPlS6_EEENSQ_IJSD_SD_EEES6_PiJS6_EEE10hipError_tPvRmT3_T4_T5_T6_T7_T9_mT8_P12ihipStream_tbDpT10_ENKUlT_T0_E_clISt17integral_constantIbLb1EES1D_IbLb0EEEEDaS19_S1A_EUlS19_E_NS1_11comp_targetILNS1_3genE2ELNS1_11target_archE906ELNS1_3gpuE6ELNS1_3repE0EEENS1_30default_config_static_selectorELNS0_4arch9wavefront6targetE0EEEvT1_.has_indirect_call, 0
	.section	.AMDGPU.csdata,"",@progbits
; Kernel info:
; codeLenInByte = 0
; TotalNumSgprs: 0
; NumVgprs: 0
; ScratchSize: 0
; MemoryBound: 0
; FloatMode: 240
; IeeeMode: 1
; LDSByteSize: 0 bytes/workgroup (compile time only)
; SGPRBlocks: 0
; VGPRBlocks: 0
; NumSGPRsForWavesPerEU: 1
; NumVGPRsForWavesPerEU: 1
; Occupancy: 16
; WaveLimiterHint : 0
; COMPUTE_PGM_RSRC2:SCRATCH_EN: 0
; COMPUTE_PGM_RSRC2:USER_SGPR: 2
; COMPUTE_PGM_RSRC2:TRAP_HANDLER: 0
; COMPUTE_PGM_RSRC2:TGID_X_EN: 1
; COMPUTE_PGM_RSRC2:TGID_Y_EN: 0
; COMPUTE_PGM_RSRC2:TGID_Z_EN: 0
; COMPUTE_PGM_RSRC2:TIDIG_COMP_CNT: 0
	.section	.text._ZN7rocprim17ROCPRIM_400000_NS6detail17trampoline_kernelINS0_14default_configENS1_25partition_config_selectorILNS1_17partition_subalgoE5ElNS0_10empty_typeEbEEZZNS1_14partition_implILS5_5ELb0ES3_mN6hipcub16HIPCUB_304000_NS21CountingInputIteratorIllEEPS6_NSA_22TransformInputIteratorIbN2at6native12_GLOBAL__N_19NonZeroOpIN3c107complexIfEEEEPKSL_lEENS0_5tupleIJPlS6_EEENSQ_IJSD_SD_EEES6_PiJS6_EEE10hipError_tPvRmT3_T4_T5_T6_T7_T9_mT8_P12ihipStream_tbDpT10_ENKUlT_T0_E_clISt17integral_constantIbLb1EES1D_IbLb0EEEEDaS19_S1A_EUlS19_E_NS1_11comp_targetILNS1_3genE10ELNS1_11target_archE1200ELNS1_3gpuE4ELNS1_3repE0EEENS1_30default_config_static_selectorELNS0_4arch9wavefront6targetE0EEEvT1_,"axG",@progbits,_ZN7rocprim17ROCPRIM_400000_NS6detail17trampoline_kernelINS0_14default_configENS1_25partition_config_selectorILNS1_17partition_subalgoE5ElNS0_10empty_typeEbEEZZNS1_14partition_implILS5_5ELb0ES3_mN6hipcub16HIPCUB_304000_NS21CountingInputIteratorIllEEPS6_NSA_22TransformInputIteratorIbN2at6native12_GLOBAL__N_19NonZeroOpIN3c107complexIfEEEEPKSL_lEENS0_5tupleIJPlS6_EEENSQ_IJSD_SD_EEES6_PiJS6_EEE10hipError_tPvRmT3_T4_T5_T6_T7_T9_mT8_P12ihipStream_tbDpT10_ENKUlT_T0_E_clISt17integral_constantIbLb1EES1D_IbLb0EEEEDaS19_S1A_EUlS19_E_NS1_11comp_targetILNS1_3genE10ELNS1_11target_archE1200ELNS1_3gpuE4ELNS1_3repE0EEENS1_30default_config_static_selectorELNS0_4arch9wavefront6targetE0EEEvT1_,comdat
	.globl	_ZN7rocprim17ROCPRIM_400000_NS6detail17trampoline_kernelINS0_14default_configENS1_25partition_config_selectorILNS1_17partition_subalgoE5ElNS0_10empty_typeEbEEZZNS1_14partition_implILS5_5ELb0ES3_mN6hipcub16HIPCUB_304000_NS21CountingInputIteratorIllEEPS6_NSA_22TransformInputIteratorIbN2at6native12_GLOBAL__N_19NonZeroOpIN3c107complexIfEEEEPKSL_lEENS0_5tupleIJPlS6_EEENSQ_IJSD_SD_EEES6_PiJS6_EEE10hipError_tPvRmT3_T4_T5_T6_T7_T9_mT8_P12ihipStream_tbDpT10_ENKUlT_T0_E_clISt17integral_constantIbLb1EES1D_IbLb0EEEEDaS19_S1A_EUlS19_E_NS1_11comp_targetILNS1_3genE10ELNS1_11target_archE1200ELNS1_3gpuE4ELNS1_3repE0EEENS1_30default_config_static_selectorELNS0_4arch9wavefront6targetE0EEEvT1_ ; -- Begin function _ZN7rocprim17ROCPRIM_400000_NS6detail17trampoline_kernelINS0_14default_configENS1_25partition_config_selectorILNS1_17partition_subalgoE5ElNS0_10empty_typeEbEEZZNS1_14partition_implILS5_5ELb0ES3_mN6hipcub16HIPCUB_304000_NS21CountingInputIteratorIllEEPS6_NSA_22TransformInputIteratorIbN2at6native12_GLOBAL__N_19NonZeroOpIN3c107complexIfEEEEPKSL_lEENS0_5tupleIJPlS6_EEENSQ_IJSD_SD_EEES6_PiJS6_EEE10hipError_tPvRmT3_T4_T5_T6_T7_T9_mT8_P12ihipStream_tbDpT10_ENKUlT_T0_E_clISt17integral_constantIbLb1EES1D_IbLb0EEEEDaS19_S1A_EUlS19_E_NS1_11comp_targetILNS1_3genE10ELNS1_11target_archE1200ELNS1_3gpuE4ELNS1_3repE0EEENS1_30default_config_static_selectorELNS0_4arch9wavefront6targetE0EEEvT1_
	.p2align	8
	.type	_ZN7rocprim17ROCPRIM_400000_NS6detail17trampoline_kernelINS0_14default_configENS1_25partition_config_selectorILNS1_17partition_subalgoE5ElNS0_10empty_typeEbEEZZNS1_14partition_implILS5_5ELb0ES3_mN6hipcub16HIPCUB_304000_NS21CountingInputIteratorIllEEPS6_NSA_22TransformInputIteratorIbN2at6native12_GLOBAL__N_19NonZeroOpIN3c107complexIfEEEEPKSL_lEENS0_5tupleIJPlS6_EEENSQ_IJSD_SD_EEES6_PiJS6_EEE10hipError_tPvRmT3_T4_T5_T6_T7_T9_mT8_P12ihipStream_tbDpT10_ENKUlT_T0_E_clISt17integral_constantIbLb1EES1D_IbLb0EEEEDaS19_S1A_EUlS19_E_NS1_11comp_targetILNS1_3genE10ELNS1_11target_archE1200ELNS1_3gpuE4ELNS1_3repE0EEENS1_30default_config_static_selectorELNS0_4arch9wavefront6targetE0EEEvT1_,@function
_ZN7rocprim17ROCPRIM_400000_NS6detail17trampoline_kernelINS0_14default_configENS1_25partition_config_selectorILNS1_17partition_subalgoE5ElNS0_10empty_typeEbEEZZNS1_14partition_implILS5_5ELb0ES3_mN6hipcub16HIPCUB_304000_NS21CountingInputIteratorIllEEPS6_NSA_22TransformInputIteratorIbN2at6native12_GLOBAL__N_19NonZeroOpIN3c107complexIfEEEEPKSL_lEENS0_5tupleIJPlS6_EEENSQ_IJSD_SD_EEES6_PiJS6_EEE10hipError_tPvRmT3_T4_T5_T6_T7_T9_mT8_P12ihipStream_tbDpT10_ENKUlT_T0_E_clISt17integral_constantIbLb1EES1D_IbLb0EEEEDaS19_S1A_EUlS19_E_NS1_11comp_targetILNS1_3genE10ELNS1_11target_archE1200ELNS1_3gpuE4ELNS1_3repE0EEENS1_30default_config_static_selectorELNS0_4arch9wavefront6targetE0EEEvT1_: ; @_ZN7rocprim17ROCPRIM_400000_NS6detail17trampoline_kernelINS0_14default_configENS1_25partition_config_selectorILNS1_17partition_subalgoE5ElNS0_10empty_typeEbEEZZNS1_14partition_implILS5_5ELb0ES3_mN6hipcub16HIPCUB_304000_NS21CountingInputIteratorIllEEPS6_NSA_22TransformInputIteratorIbN2at6native12_GLOBAL__N_19NonZeroOpIN3c107complexIfEEEEPKSL_lEENS0_5tupleIJPlS6_EEENSQ_IJSD_SD_EEES6_PiJS6_EEE10hipError_tPvRmT3_T4_T5_T6_T7_T9_mT8_P12ihipStream_tbDpT10_ENKUlT_T0_E_clISt17integral_constantIbLb1EES1D_IbLb0EEEEDaS19_S1A_EUlS19_E_NS1_11comp_targetILNS1_3genE10ELNS1_11target_archE1200ELNS1_3gpuE4ELNS1_3repE0EEENS1_30default_config_static_selectorELNS0_4arch9wavefront6targetE0EEEvT1_
; %bb.0:
	s_endpgm
	.section	.rodata,"a",@progbits
	.p2align	6, 0x0
	.amdhsa_kernel _ZN7rocprim17ROCPRIM_400000_NS6detail17trampoline_kernelINS0_14default_configENS1_25partition_config_selectorILNS1_17partition_subalgoE5ElNS0_10empty_typeEbEEZZNS1_14partition_implILS5_5ELb0ES3_mN6hipcub16HIPCUB_304000_NS21CountingInputIteratorIllEEPS6_NSA_22TransformInputIteratorIbN2at6native12_GLOBAL__N_19NonZeroOpIN3c107complexIfEEEEPKSL_lEENS0_5tupleIJPlS6_EEENSQ_IJSD_SD_EEES6_PiJS6_EEE10hipError_tPvRmT3_T4_T5_T6_T7_T9_mT8_P12ihipStream_tbDpT10_ENKUlT_T0_E_clISt17integral_constantIbLb1EES1D_IbLb0EEEEDaS19_S1A_EUlS19_E_NS1_11comp_targetILNS1_3genE10ELNS1_11target_archE1200ELNS1_3gpuE4ELNS1_3repE0EEENS1_30default_config_static_selectorELNS0_4arch9wavefront6targetE0EEEvT1_
		.amdhsa_group_segment_fixed_size 0
		.amdhsa_private_segment_fixed_size 0
		.amdhsa_kernarg_size 120
		.amdhsa_user_sgpr_count 2
		.amdhsa_user_sgpr_dispatch_ptr 0
		.amdhsa_user_sgpr_queue_ptr 0
		.amdhsa_user_sgpr_kernarg_segment_ptr 1
		.amdhsa_user_sgpr_dispatch_id 0
		.amdhsa_user_sgpr_private_segment_size 0
		.amdhsa_wavefront_size32 1
		.amdhsa_uses_dynamic_stack 0
		.amdhsa_enable_private_segment 0
		.amdhsa_system_sgpr_workgroup_id_x 1
		.amdhsa_system_sgpr_workgroup_id_y 0
		.amdhsa_system_sgpr_workgroup_id_z 0
		.amdhsa_system_sgpr_workgroup_info 0
		.amdhsa_system_vgpr_workitem_id 0
		.amdhsa_next_free_vgpr 1
		.amdhsa_next_free_sgpr 1
		.amdhsa_reserve_vcc 0
		.amdhsa_float_round_mode_32 0
		.amdhsa_float_round_mode_16_64 0
		.amdhsa_float_denorm_mode_32 3
		.amdhsa_float_denorm_mode_16_64 3
		.amdhsa_fp16_overflow 0
		.amdhsa_workgroup_processor_mode 1
		.amdhsa_memory_ordered 1
		.amdhsa_forward_progress 1
		.amdhsa_inst_pref_size 1
		.amdhsa_round_robin_scheduling 0
		.amdhsa_exception_fp_ieee_invalid_op 0
		.amdhsa_exception_fp_denorm_src 0
		.amdhsa_exception_fp_ieee_div_zero 0
		.amdhsa_exception_fp_ieee_overflow 0
		.amdhsa_exception_fp_ieee_underflow 0
		.amdhsa_exception_fp_ieee_inexact 0
		.amdhsa_exception_int_div_zero 0
	.end_amdhsa_kernel
	.section	.text._ZN7rocprim17ROCPRIM_400000_NS6detail17trampoline_kernelINS0_14default_configENS1_25partition_config_selectorILNS1_17partition_subalgoE5ElNS0_10empty_typeEbEEZZNS1_14partition_implILS5_5ELb0ES3_mN6hipcub16HIPCUB_304000_NS21CountingInputIteratorIllEEPS6_NSA_22TransformInputIteratorIbN2at6native12_GLOBAL__N_19NonZeroOpIN3c107complexIfEEEEPKSL_lEENS0_5tupleIJPlS6_EEENSQ_IJSD_SD_EEES6_PiJS6_EEE10hipError_tPvRmT3_T4_T5_T6_T7_T9_mT8_P12ihipStream_tbDpT10_ENKUlT_T0_E_clISt17integral_constantIbLb1EES1D_IbLb0EEEEDaS19_S1A_EUlS19_E_NS1_11comp_targetILNS1_3genE10ELNS1_11target_archE1200ELNS1_3gpuE4ELNS1_3repE0EEENS1_30default_config_static_selectorELNS0_4arch9wavefront6targetE0EEEvT1_,"axG",@progbits,_ZN7rocprim17ROCPRIM_400000_NS6detail17trampoline_kernelINS0_14default_configENS1_25partition_config_selectorILNS1_17partition_subalgoE5ElNS0_10empty_typeEbEEZZNS1_14partition_implILS5_5ELb0ES3_mN6hipcub16HIPCUB_304000_NS21CountingInputIteratorIllEEPS6_NSA_22TransformInputIteratorIbN2at6native12_GLOBAL__N_19NonZeroOpIN3c107complexIfEEEEPKSL_lEENS0_5tupleIJPlS6_EEENSQ_IJSD_SD_EEES6_PiJS6_EEE10hipError_tPvRmT3_T4_T5_T6_T7_T9_mT8_P12ihipStream_tbDpT10_ENKUlT_T0_E_clISt17integral_constantIbLb1EES1D_IbLb0EEEEDaS19_S1A_EUlS19_E_NS1_11comp_targetILNS1_3genE10ELNS1_11target_archE1200ELNS1_3gpuE4ELNS1_3repE0EEENS1_30default_config_static_selectorELNS0_4arch9wavefront6targetE0EEEvT1_,comdat
.Lfunc_end615:
	.size	_ZN7rocprim17ROCPRIM_400000_NS6detail17trampoline_kernelINS0_14default_configENS1_25partition_config_selectorILNS1_17partition_subalgoE5ElNS0_10empty_typeEbEEZZNS1_14partition_implILS5_5ELb0ES3_mN6hipcub16HIPCUB_304000_NS21CountingInputIteratorIllEEPS6_NSA_22TransformInputIteratorIbN2at6native12_GLOBAL__N_19NonZeroOpIN3c107complexIfEEEEPKSL_lEENS0_5tupleIJPlS6_EEENSQ_IJSD_SD_EEES6_PiJS6_EEE10hipError_tPvRmT3_T4_T5_T6_T7_T9_mT8_P12ihipStream_tbDpT10_ENKUlT_T0_E_clISt17integral_constantIbLb1EES1D_IbLb0EEEEDaS19_S1A_EUlS19_E_NS1_11comp_targetILNS1_3genE10ELNS1_11target_archE1200ELNS1_3gpuE4ELNS1_3repE0EEENS1_30default_config_static_selectorELNS0_4arch9wavefront6targetE0EEEvT1_, .Lfunc_end615-_ZN7rocprim17ROCPRIM_400000_NS6detail17trampoline_kernelINS0_14default_configENS1_25partition_config_selectorILNS1_17partition_subalgoE5ElNS0_10empty_typeEbEEZZNS1_14partition_implILS5_5ELb0ES3_mN6hipcub16HIPCUB_304000_NS21CountingInputIteratorIllEEPS6_NSA_22TransformInputIteratorIbN2at6native12_GLOBAL__N_19NonZeroOpIN3c107complexIfEEEEPKSL_lEENS0_5tupleIJPlS6_EEENSQ_IJSD_SD_EEES6_PiJS6_EEE10hipError_tPvRmT3_T4_T5_T6_T7_T9_mT8_P12ihipStream_tbDpT10_ENKUlT_T0_E_clISt17integral_constantIbLb1EES1D_IbLb0EEEEDaS19_S1A_EUlS19_E_NS1_11comp_targetILNS1_3genE10ELNS1_11target_archE1200ELNS1_3gpuE4ELNS1_3repE0EEENS1_30default_config_static_selectorELNS0_4arch9wavefront6targetE0EEEvT1_
                                        ; -- End function
	.set _ZN7rocprim17ROCPRIM_400000_NS6detail17trampoline_kernelINS0_14default_configENS1_25partition_config_selectorILNS1_17partition_subalgoE5ElNS0_10empty_typeEbEEZZNS1_14partition_implILS5_5ELb0ES3_mN6hipcub16HIPCUB_304000_NS21CountingInputIteratorIllEEPS6_NSA_22TransformInputIteratorIbN2at6native12_GLOBAL__N_19NonZeroOpIN3c107complexIfEEEEPKSL_lEENS0_5tupleIJPlS6_EEENSQ_IJSD_SD_EEES6_PiJS6_EEE10hipError_tPvRmT3_T4_T5_T6_T7_T9_mT8_P12ihipStream_tbDpT10_ENKUlT_T0_E_clISt17integral_constantIbLb1EES1D_IbLb0EEEEDaS19_S1A_EUlS19_E_NS1_11comp_targetILNS1_3genE10ELNS1_11target_archE1200ELNS1_3gpuE4ELNS1_3repE0EEENS1_30default_config_static_selectorELNS0_4arch9wavefront6targetE0EEEvT1_.num_vgpr, 0
	.set _ZN7rocprim17ROCPRIM_400000_NS6detail17trampoline_kernelINS0_14default_configENS1_25partition_config_selectorILNS1_17partition_subalgoE5ElNS0_10empty_typeEbEEZZNS1_14partition_implILS5_5ELb0ES3_mN6hipcub16HIPCUB_304000_NS21CountingInputIteratorIllEEPS6_NSA_22TransformInputIteratorIbN2at6native12_GLOBAL__N_19NonZeroOpIN3c107complexIfEEEEPKSL_lEENS0_5tupleIJPlS6_EEENSQ_IJSD_SD_EEES6_PiJS6_EEE10hipError_tPvRmT3_T4_T5_T6_T7_T9_mT8_P12ihipStream_tbDpT10_ENKUlT_T0_E_clISt17integral_constantIbLb1EES1D_IbLb0EEEEDaS19_S1A_EUlS19_E_NS1_11comp_targetILNS1_3genE10ELNS1_11target_archE1200ELNS1_3gpuE4ELNS1_3repE0EEENS1_30default_config_static_selectorELNS0_4arch9wavefront6targetE0EEEvT1_.num_agpr, 0
	.set _ZN7rocprim17ROCPRIM_400000_NS6detail17trampoline_kernelINS0_14default_configENS1_25partition_config_selectorILNS1_17partition_subalgoE5ElNS0_10empty_typeEbEEZZNS1_14partition_implILS5_5ELb0ES3_mN6hipcub16HIPCUB_304000_NS21CountingInputIteratorIllEEPS6_NSA_22TransformInputIteratorIbN2at6native12_GLOBAL__N_19NonZeroOpIN3c107complexIfEEEEPKSL_lEENS0_5tupleIJPlS6_EEENSQ_IJSD_SD_EEES6_PiJS6_EEE10hipError_tPvRmT3_T4_T5_T6_T7_T9_mT8_P12ihipStream_tbDpT10_ENKUlT_T0_E_clISt17integral_constantIbLb1EES1D_IbLb0EEEEDaS19_S1A_EUlS19_E_NS1_11comp_targetILNS1_3genE10ELNS1_11target_archE1200ELNS1_3gpuE4ELNS1_3repE0EEENS1_30default_config_static_selectorELNS0_4arch9wavefront6targetE0EEEvT1_.numbered_sgpr, 0
	.set _ZN7rocprim17ROCPRIM_400000_NS6detail17trampoline_kernelINS0_14default_configENS1_25partition_config_selectorILNS1_17partition_subalgoE5ElNS0_10empty_typeEbEEZZNS1_14partition_implILS5_5ELb0ES3_mN6hipcub16HIPCUB_304000_NS21CountingInputIteratorIllEEPS6_NSA_22TransformInputIteratorIbN2at6native12_GLOBAL__N_19NonZeroOpIN3c107complexIfEEEEPKSL_lEENS0_5tupleIJPlS6_EEENSQ_IJSD_SD_EEES6_PiJS6_EEE10hipError_tPvRmT3_T4_T5_T6_T7_T9_mT8_P12ihipStream_tbDpT10_ENKUlT_T0_E_clISt17integral_constantIbLb1EES1D_IbLb0EEEEDaS19_S1A_EUlS19_E_NS1_11comp_targetILNS1_3genE10ELNS1_11target_archE1200ELNS1_3gpuE4ELNS1_3repE0EEENS1_30default_config_static_selectorELNS0_4arch9wavefront6targetE0EEEvT1_.num_named_barrier, 0
	.set _ZN7rocprim17ROCPRIM_400000_NS6detail17trampoline_kernelINS0_14default_configENS1_25partition_config_selectorILNS1_17partition_subalgoE5ElNS0_10empty_typeEbEEZZNS1_14partition_implILS5_5ELb0ES3_mN6hipcub16HIPCUB_304000_NS21CountingInputIteratorIllEEPS6_NSA_22TransformInputIteratorIbN2at6native12_GLOBAL__N_19NonZeroOpIN3c107complexIfEEEEPKSL_lEENS0_5tupleIJPlS6_EEENSQ_IJSD_SD_EEES6_PiJS6_EEE10hipError_tPvRmT3_T4_T5_T6_T7_T9_mT8_P12ihipStream_tbDpT10_ENKUlT_T0_E_clISt17integral_constantIbLb1EES1D_IbLb0EEEEDaS19_S1A_EUlS19_E_NS1_11comp_targetILNS1_3genE10ELNS1_11target_archE1200ELNS1_3gpuE4ELNS1_3repE0EEENS1_30default_config_static_selectorELNS0_4arch9wavefront6targetE0EEEvT1_.private_seg_size, 0
	.set _ZN7rocprim17ROCPRIM_400000_NS6detail17trampoline_kernelINS0_14default_configENS1_25partition_config_selectorILNS1_17partition_subalgoE5ElNS0_10empty_typeEbEEZZNS1_14partition_implILS5_5ELb0ES3_mN6hipcub16HIPCUB_304000_NS21CountingInputIteratorIllEEPS6_NSA_22TransformInputIteratorIbN2at6native12_GLOBAL__N_19NonZeroOpIN3c107complexIfEEEEPKSL_lEENS0_5tupleIJPlS6_EEENSQ_IJSD_SD_EEES6_PiJS6_EEE10hipError_tPvRmT3_T4_T5_T6_T7_T9_mT8_P12ihipStream_tbDpT10_ENKUlT_T0_E_clISt17integral_constantIbLb1EES1D_IbLb0EEEEDaS19_S1A_EUlS19_E_NS1_11comp_targetILNS1_3genE10ELNS1_11target_archE1200ELNS1_3gpuE4ELNS1_3repE0EEENS1_30default_config_static_selectorELNS0_4arch9wavefront6targetE0EEEvT1_.uses_vcc, 0
	.set _ZN7rocprim17ROCPRIM_400000_NS6detail17trampoline_kernelINS0_14default_configENS1_25partition_config_selectorILNS1_17partition_subalgoE5ElNS0_10empty_typeEbEEZZNS1_14partition_implILS5_5ELb0ES3_mN6hipcub16HIPCUB_304000_NS21CountingInputIteratorIllEEPS6_NSA_22TransformInputIteratorIbN2at6native12_GLOBAL__N_19NonZeroOpIN3c107complexIfEEEEPKSL_lEENS0_5tupleIJPlS6_EEENSQ_IJSD_SD_EEES6_PiJS6_EEE10hipError_tPvRmT3_T4_T5_T6_T7_T9_mT8_P12ihipStream_tbDpT10_ENKUlT_T0_E_clISt17integral_constantIbLb1EES1D_IbLb0EEEEDaS19_S1A_EUlS19_E_NS1_11comp_targetILNS1_3genE10ELNS1_11target_archE1200ELNS1_3gpuE4ELNS1_3repE0EEENS1_30default_config_static_selectorELNS0_4arch9wavefront6targetE0EEEvT1_.uses_flat_scratch, 0
	.set _ZN7rocprim17ROCPRIM_400000_NS6detail17trampoline_kernelINS0_14default_configENS1_25partition_config_selectorILNS1_17partition_subalgoE5ElNS0_10empty_typeEbEEZZNS1_14partition_implILS5_5ELb0ES3_mN6hipcub16HIPCUB_304000_NS21CountingInputIteratorIllEEPS6_NSA_22TransformInputIteratorIbN2at6native12_GLOBAL__N_19NonZeroOpIN3c107complexIfEEEEPKSL_lEENS0_5tupleIJPlS6_EEENSQ_IJSD_SD_EEES6_PiJS6_EEE10hipError_tPvRmT3_T4_T5_T6_T7_T9_mT8_P12ihipStream_tbDpT10_ENKUlT_T0_E_clISt17integral_constantIbLb1EES1D_IbLb0EEEEDaS19_S1A_EUlS19_E_NS1_11comp_targetILNS1_3genE10ELNS1_11target_archE1200ELNS1_3gpuE4ELNS1_3repE0EEENS1_30default_config_static_selectorELNS0_4arch9wavefront6targetE0EEEvT1_.has_dyn_sized_stack, 0
	.set _ZN7rocprim17ROCPRIM_400000_NS6detail17trampoline_kernelINS0_14default_configENS1_25partition_config_selectorILNS1_17partition_subalgoE5ElNS0_10empty_typeEbEEZZNS1_14partition_implILS5_5ELb0ES3_mN6hipcub16HIPCUB_304000_NS21CountingInputIteratorIllEEPS6_NSA_22TransformInputIteratorIbN2at6native12_GLOBAL__N_19NonZeroOpIN3c107complexIfEEEEPKSL_lEENS0_5tupleIJPlS6_EEENSQ_IJSD_SD_EEES6_PiJS6_EEE10hipError_tPvRmT3_T4_T5_T6_T7_T9_mT8_P12ihipStream_tbDpT10_ENKUlT_T0_E_clISt17integral_constantIbLb1EES1D_IbLb0EEEEDaS19_S1A_EUlS19_E_NS1_11comp_targetILNS1_3genE10ELNS1_11target_archE1200ELNS1_3gpuE4ELNS1_3repE0EEENS1_30default_config_static_selectorELNS0_4arch9wavefront6targetE0EEEvT1_.has_recursion, 0
	.set _ZN7rocprim17ROCPRIM_400000_NS6detail17trampoline_kernelINS0_14default_configENS1_25partition_config_selectorILNS1_17partition_subalgoE5ElNS0_10empty_typeEbEEZZNS1_14partition_implILS5_5ELb0ES3_mN6hipcub16HIPCUB_304000_NS21CountingInputIteratorIllEEPS6_NSA_22TransformInputIteratorIbN2at6native12_GLOBAL__N_19NonZeroOpIN3c107complexIfEEEEPKSL_lEENS0_5tupleIJPlS6_EEENSQ_IJSD_SD_EEES6_PiJS6_EEE10hipError_tPvRmT3_T4_T5_T6_T7_T9_mT8_P12ihipStream_tbDpT10_ENKUlT_T0_E_clISt17integral_constantIbLb1EES1D_IbLb0EEEEDaS19_S1A_EUlS19_E_NS1_11comp_targetILNS1_3genE10ELNS1_11target_archE1200ELNS1_3gpuE4ELNS1_3repE0EEENS1_30default_config_static_selectorELNS0_4arch9wavefront6targetE0EEEvT1_.has_indirect_call, 0
	.section	.AMDGPU.csdata,"",@progbits
; Kernel info:
; codeLenInByte = 4
; TotalNumSgprs: 0
; NumVgprs: 0
; ScratchSize: 0
; MemoryBound: 0
; FloatMode: 240
; IeeeMode: 1
; LDSByteSize: 0 bytes/workgroup (compile time only)
; SGPRBlocks: 0
; VGPRBlocks: 0
; NumSGPRsForWavesPerEU: 1
; NumVGPRsForWavesPerEU: 1
; Occupancy: 16
; WaveLimiterHint : 0
; COMPUTE_PGM_RSRC2:SCRATCH_EN: 0
; COMPUTE_PGM_RSRC2:USER_SGPR: 2
; COMPUTE_PGM_RSRC2:TRAP_HANDLER: 0
; COMPUTE_PGM_RSRC2:TGID_X_EN: 1
; COMPUTE_PGM_RSRC2:TGID_Y_EN: 0
; COMPUTE_PGM_RSRC2:TGID_Z_EN: 0
; COMPUTE_PGM_RSRC2:TIDIG_COMP_CNT: 0
	.section	.text._ZN7rocprim17ROCPRIM_400000_NS6detail17trampoline_kernelINS0_14default_configENS1_25partition_config_selectorILNS1_17partition_subalgoE5ElNS0_10empty_typeEbEEZZNS1_14partition_implILS5_5ELb0ES3_mN6hipcub16HIPCUB_304000_NS21CountingInputIteratorIllEEPS6_NSA_22TransformInputIteratorIbN2at6native12_GLOBAL__N_19NonZeroOpIN3c107complexIfEEEEPKSL_lEENS0_5tupleIJPlS6_EEENSQ_IJSD_SD_EEES6_PiJS6_EEE10hipError_tPvRmT3_T4_T5_T6_T7_T9_mT8_P12ihipStream_tbDpT10_ENKUlT_T0_E_clISt17integral_constantIbLb1EES1D_IbLb0EEEEDaS19_S1A_EUlS19_E_NS1_11comp_targetILNS1_3genE9ELNS1_11target_archE1100ELNS1_3gpuE3ELNS1_3repE0EEENS1_30default_config_static_selectorELNS0_4arch9wavefront6targetE0EEEvT1_,"axG",@progbits,_ZN7rocprim17ROCPRIM_400000_NS6detail17trampoline_kernelINS0_14default_configENS1_25partition_config_selectorILNS1_17partition_subalgoE5ElNS0_10empty_typeEbEEZZNS1_14partition_implILS5_5ELb0ES3_mN6hipcub16HIPCUB_304000_NS21CountingInputIteratorIllEEPS6_NSA_22TransformInputIteratorIbN2at6native12_GLOBAL__N_19NonZeroOpIN3c107complexIfEEEEPKSL_lEENS0_5tupleIJPlS6_EEENSQ_IJSD_SD_EEES6_PiJS6_EEE10hipError_tPvRmT3_T4_T5_T6_T7_T9_mT8_P12ihipStream_tbDpT10_ENKUlT_T0_E_clISt17integral_constantIbLb1EES1D_IbLb0EEEEDaS19_S1A_EUlS19_E_NS1_11comp_targetILNS1_3genE9ELNS1_11target_archE1100ELNS1_3gpuE3ELNS1_3repE0EEENS1_30default_config_static_selectorELNS0_4arch9wavefront6targetE0EEEvT1_,comdat
	.globl	_ZN7rocprim17ROCPRIM_400000_NS6detail17trampoline_kernelINS0_14default_configENS1_25partition_config_selectorILNS1_17partition_subalgoE5ElNS0_10empty_typeEbEEZZNS1_14partition_implILS5_5ELb0ES3_mN6hipcub16HIPCUB_304000_NS21CountingInputIteratorIllEEPS6_NSA_22TransformInputIteratorIbN2at6native12_GLOBAL__N_19NonZeroOpIN3c107complexIfEEEEPKSL_lEENS0_5tupleIJPlS6_EEENSQ_IJSD_SD_EEES6_PiJS6_EEE10hipError_tPvRmT3_T4_T5_T6_T7_T9_mT8_P12ihipStream_tbDpT10_ENKUlT_T0_E_clISt17integral_constantIbLb1EES1D_IbLb0EEEEDaS19_S1A_EUlS19_E_NS1_11comp_targetILNS1_3genE9ELNS1_11target_archE1100ELNS1_3gpuE3ELNS1_3repE0EEENS1_30default_config_static_selectorELNS0_4arch9wavefront6targetE0EEEvT1_ ; -- Begin function _ZN7rocprim17ROCPRIM_400000_NS6detail17trampoline_kernelINS0_14default_configENS1_25partition_config_selectorILNS1_17partition_subalgoE5ElNS0_10empty_typeEbEEZZNS1_14partition_implILS5_5ELb0ES3_mN6hipcub16HIPCUB_304000_NS21CountingInputIteratorIllEEPS6_NSA_22TransformInputIteratorIbN2at6native12_GLOBAL__N_19NonZeroOpIN3c107complexIfEEEEPKSL_lEENS0_5tupleIJPlS6_EEENSQ_IJSD_SD_EEES6_PiJS6_EEE10hipError_tPvRmT3_T4_T5_T6_T7_T9_mT8_P12ihipStream_tbDpT10_ENKUlT_T0_E_clISt17integral_constantIbLb1EES1D_IbLb0EEEEDaS19_S1A_EUlS19_E_NS1_11comp_targetILNS1_3genE9ELNS1_11target_archE1100ELNS1_3gpuE3ELNS1_3repE0EEENS1_30default_config_static_selectorELNS0_4arch9wavefront6targetE0EEEvT1_
	.p2align	8
	.type	_ZN7rocprim17ROCPRIM_400000_NS6detail17trampoline_kernelINS0_14default_configENS1_25partition_config_selectorILNS1_17partition_subalgoE5ElNS0_10empty_typeEbEEZZNS1_14partition_implILS5_5ELb0ES3_mN6hipcub16HIPCUB_304000_NS21CountingInputIteratorIllEEPS6_NSA_22TransformInputIteratorIbN2at6native12_GLOBAL__N_19NonZeroOpIN3c107complexIfEEEEPKSL_lEENS0_5tupleIJPlS6_EEENSQ_IJSD_SD_EEES6_PiJS6_EEE10hipError_tPvRmT3_T4_T5_T6_T7_T9_mT8_P12ihipStream_tbDpT10_ENKUlT_T0_E_clISt17integral_constantIbLb1EES1D_IbLb0EEEEDaS19_S1A_EUlS19_E_NS1_11comp_targetILNS1_3genE9ELNS1_11target_archE1100ELNS1_3gpuE3ELNS1_3repE0EEENS1_30default_config_static_selectorELNS0_4arch9wavefront6targetE0EEEvT1_,@function
_ZN7rocprim17ROCPRIM_400000_NS6detail17trampoline_kernelINS0_14default_configENS1_25partition_config_selectorILNS1_17partition_subalgoE5ElNS0_10empty_typeEbEEZZNS1_14partition_implILS5_5ELb0ES3_mN6hipcub16HIPCUB_304000_NS21CountingInputIteratorIllEEPS6_NSA_22TransformInputIteratorIbN2at6native12_GLOBAL__N_19NonZeroOpIN3c107complexIfEEEEPKSL_lEENS0_5tupleIJPlS6_EEENSQ_IJSD_SD_EEES6_PiJS6_EEE10hipError_tPvRmT3_T4_T5_T6_T7_T9_mT8_P12ihipStream_tbDpT10_ENKUlT_T0_E_clISt17integral_constantIbLb1EES1D_IbLb0EEEEDaS19_S1A_EUlS19_E_NS1_11comp_targetILNS1_3genE9ELNS1_11target_archE1100ELNS1_3gpuE3ELNS1_3repE0EEENS1_30default_config_static_selectorELNS0_4arch9wavefront6targetE0EEEvT1_: ; @_ZN7rocprim17ROCPRIM_400000_NS6detail17trampoline_kernelINS0_14default_configENS1_25partition_config_selectorILNS1_17partition_subalgoE5ElNS0_10empty_typeEbEEZZNS1_14partition_implILS5_5ELb0ES3_mN6hipcub16HIPCUB_304000_NS21CountingInputIteratorIllEEPS6_NSA_22TransformInputIteratorIbN2at6native12_GLOBAL__N_19NonZeroOpIN3c107complexIfEEEEPKSL_lEENS0_5tupleIJPlS6_EEENSQ_IJSD_SD_EEES6_PiJS6_EEE10hipError_tPvRmT3_T4_T5_T6_T7_T9_mT8_P12ihipStream_tbDpT10_ENKUlT_T0_E_clISt17integral_constantIbLb1EES1D_IbLb0EEEEDaS19_S1A_EUlS19_E_NS1_11comp_targetILNS1_3genE9ELNS1_11target_archE1100ELNS1_3gpuE3ELNS1_3repE0EEENS1_30default_config_static_selectorELNS0_4arch9wavefront6targetE0EEEvT1_
; %bb.0:
	.section	.rodata,"a",@progbits
	.p2align	6, 0x0
	.amdhsa_kernel _ZN7rocprim17ROCPRIM_400000_NS6detail17trampoline_kernelINS0_14default_configENS1_25partition_config_selectorILNS1_17partition_subalgoE5ElNS0_10empty_typeEbEEZZNS1_14partition_implILS5_5ELb0ES3_mN6hipcub16HIPCUB_304000_NS21CountingInputIteratorIllEEPS6_NSA_22TransformInputIteratorIbN2at6native12_GLOBAL__N_19NonZeroOpIN3c107complexIfEEEEPKSL_lEENS0_5tupleIJPlS6_EEENSQ_IJSD_SD_EEES6_PiJS6_EEE10hipError_tPvRmT3_T4_T5_T6_T7_T9_mT8_P12ihipStream_tbDpT10_ENKUlT_T0_E_clISt17integral_constantIbLb1EES1D_IbLb0EEEEDaS19_S1A_EUlS19_E_NS1_11comp_targetILNS1_3genE9ELNS1_11target_archE1100ELNS1_3gpuE3ELNS1_3repE0EEENS1_30default_config_static_selectorELNS0_4arch9wavefront6targetE0EEEvT1_
		.amdhsa_group_segment_fixed_size 0
		.amdhsa_private_segment_fixed_size 0
		.amdhsa_kernarg_size 120
		.amdhsa_user_sgpr_count 2
		.amdhsa_user_sgpr_dispatch_ptr 0
		.amdhsa_user_sgpr_queue_ptr 0
		.amdhsa_user_sgpr_kernarg_segment_ptr 1
		.amdhsa_user_sgpr_dispatch_id 0
		.amdhsa_user_sgpr_private_segment_size 0
		.amdhsa_wavefront_size32 1
		.amdhsa_uses_dynamic_stack 0
		.amdhsa_enable_private_segment 0
		.amdhsa_system_sgpr_workgroup_id_x 1
		.amdhsa_system_sgpr_workgroup_id_y 0
		.amdhsa_system_sgpr_workgroup_id_z 0
		.amdhsa_system_sgpr_workgroup_info 0
		.amdhsa_system_vgpr_workitem_id 0
		.amdhsa_next_free_vgpr 1
		.amdhsa_next_free_sgpr 1
		.amdhsa_reserve_vcc 0
		.amdhsa_float_round_mode_32 0
		.amdhsa_float_round_mode_16_64 0
		.amdhsa_float_denorm_mode_32 3
		.amdhsa_float_denorm_mode_16_64 3
		.amdhsa_fp16_overflow 0
		.amdhsa_workgroup_processor_mode 1
		.amdhsa_memory_ordered 1
		.amdhsa_forward_progress 1
		.amdhsa_inst_pref_size 0
		.amdhsa_round_robin_scheduling 0
		.amdhsa_exception_fp_ieee_invalid_op 0
		.amdhsa_exception_fp_denorm_src 0
		.amdhsa_exception_fp_ieee_div_zero 0
		.amdhsa_exception_fp_ieee_overflow 0
		.amdhsa_exception_fp_ieee_underflow 0
		.amdhsa_exception_fp_ieee_inexact 0
		.amdhsa_exception_int_div_zero 0
	.end_amdhsa_kernel
	.section	.text._ZN7rocprim17ROCPRIM_400000_NS6detail17trampoline_kernelINS0_14default_configENS1_25partition_config_selectorILNS1_17partition_subalgoE5ElNS0_10empty_typeEbEEZZNS1_14partition_implILS5_5ELb0ES3_mN6hipcub16HIPCUB_304000_NS21CountingInputIteratorIllEEPS6_NSA_22TransformInputIteratorIbN2at6native12_GLOBAL__N_19NonZeroOpIN3c107complexIfEEEEPKSL_lEENS0_5tupleIJPlS6_EEENSQ_IJSD_SD_EEES6_PiJS6_EEE10hipError_tPvRmT3_T4_T5_T6_T7_T9_mT8_P12ihipStream_tbDpT10_ENKUlT_T0_E_clISt17integral_constantIbLb1EES1D_IbLb0EEEEDaS19_S1A_EUlS19_E_NS1_11comp_targetILNS1_3genE9ELNS1_11target_archE1100ELNS1_3gpuE3ELNS1_3repE0EEENS1_30default_config_static_selectorELNS0_4arch9wavefront6targetE0EEEvT1_,"axG",@progbits,_ZN7rocprim17ROCPRIM_400000_NS6detail17trampoline_kernelINS0_14default_configENS1_25partition_config_selectorILNS1_17partition_subalgoE5ElNS0_10empty_typeEbEEZZNS1_14partition_implILS5_5ELb0ES3_mN6hipcub16HIPCUB_304000_NS21CountingInputIteratorIllEEPS6_NSA_22TransformInputIteratorIbN2at6native12_GLOBAL__N_19NonZeroOpIN3c107complexIfEEEEPKSL_lEENS0_5tupleIJPlS6_EEENSQ_IJSD_SD_EEES6_PiJS6_EEE10hipError_tPvRmT3_T4_T5_T6_T7_T9_mT8_P12ihipStream_tbDpT10_ENKUlT_T0_E_clISt17integral_constantIbLb1EES1D_IbLb0EEEEDaS19_S1A_EUlS19_E_NS1_11comp_targetILNS1_3genE9ELNS1_11target_archE1100ELNS1_3gpuE3ELNS1_3repE0EEENS1_30default_config_static_selectorELNS0_4arch9wavefront6targetE0EEEvT1_,comdat
.Lfunc_end616:
	.size	_ZN7rocprim17ROCPRIM_400000_NS6detail17trampoline_kernelINS0_14default_configENS1_25partition_config_selectorILNS1_17partition_subalgoE5ElNS0_10empty_typeEbEEZZNS1_14partition_implILS5_5ELb0ES3_mN6hipcub16HIPCUB_304000_NS21CountingInputIteratorIllEEPS6_NSA_22TransformInputIteratorIbN2at6native12_GLOBAL__N_19NonZeroOpIN3c107complexIfEEEEPKSL_lEENS0_5tupleIJPlS6_EEENSQ_IJSD_SD_EEES6_PiJS6_EEE10hipError_tPvRmT3_T4_T5_T6_T7_T9_mT8_P12ihipStream_tbDpT10_ENKUlT_T0_E_clISt17integral_constantIbLb1EES1D_IbLb0EEEEDaS19_S1A_EUlS19_E_NS1_11comp_targetILNS1_3genE9ELNS1_11target_archE1100ELNS1_3gpuE3ELNS1_3repE0EEENS1_30default_config_static_selectorELNS0_4arch9wavefront6targetE0EEEvT1_, .Lfunc_end616-_ZN7rocprim17ROCPRIM_400000_NS6detail17trampoline_kernelINS0_14default_configENS1_25partition_config_selectorILNS1_17partition_subalgoE5ElNS0_10empty_typeEbEEZZNS1_14partition_implILS5_5ELb0ES3_mN6hipcub16HIPCUB_304000_NS21CountingInputIteratorIllEEPS6_NSA_22TransformInputIteratorIbN2at6native12_GLOBAL__N_19NonZeroOpIN3c107complexIfEEEEPKSL_lEENS0_5tupleIJPlS6_EEENSQ_IJSD_SD_EEES6_PiJS6_EEE10hipError_tPvRmT3_T4_T5_T6_T7_T9_mT8_P12ihipStream_tbDpT10_ENKUlT_T0_E_clISt17integral_constantIbLb1EES1D_IbLb0EEEEDaS19_S1A_EUlS19_E_NS1_11comp_targetILNS1_3genE9ELNS1_11target_archE1100ELNS1_3gpuE3ELNS1_3repE0EEENS1_30default_config_static_selectorELNS0_4arch9wavefront6targetE0EEEvT1_
                                        ; -- End function
	.set _ZN7rocprim17ROCPRIM_400000_NS6detail17trampoline_kernelINS0_14default_configENS1_25partition_config_selectorILNS1_17partition_subalgoE5ElNS0_10empty_typeEbEEZZNS1_14partition_implILS5_5ELb0ES3_mN6hipcub16HIPCUB_304000_NS21CountingInputIteratorIllEEPS6_NSA_22TransformInputIteratorIbN2at6native12_GLOBAL__N_19NonZeroOpIN3c107complexIfEEEEPKSL_lEENS0_5tupleIJPlS6_EEENSQ_IJSD_SD_EEES6_PiJS6_EEE10hipError_tPvRmT3_T4_T5_T6_T7_T9_mT8_P12ihipStream_tbDpT10_ENKUlT_T0_E_clISt17integral_constantIbLb1EES1D_IbLb0EEEEDaS19_S1A_EUlS19_E_NS1_11comp_targetILNS1_3genE9ELNS1_11target_archE1100ELNS1_3gpuE3ELNS1_3repE0EEENS1_30default_config_static_selectorELNS0_4arch9wavefront6targetE0EEEvT1_.num_vgpr, 0
	.set _ZN7rocprim17ROCPRIM_400000_NS6detail17trampoline_kernelINS0_14default_configENS1_25partition_config_selectorILNS1_17partition_subalgoE5ElNS0_10empty_typeEbEEZZNS1_14partition_implILS5_5ELb0ES3_mN6hipcub16HIPCUB_304000_NS21CountingInputIteratorIllEEPS6_NSA_22TransformInputIteratorIbN2at6native12_GLOBAL__N_19NonZeroOpIN3c107complexIfEEEEPKSL_lEENS0_5tupleIJPlS6_EEENSQ_IJSD_SD_EEES6_PiJS6_EEE10hipError_tPvRmT3_T4_T5_T6_T7_T9_mT8_P12ihipStream_tbDpT10_ENKUlT_T0_E_clISt17integral_constantIbLb1EES1D_IbLb0EEEEDaS19_S1A_EUlS19_E_NS1_11comp_targetILNS1_3genE9ELNS1_11target_archE1100ELNS1_3gpuE3ELNS1_3repE0EEENS1_30default_config_static_selectorELNS0_4arch9wavefront6targetE0EEEvT1_.num_agpr, 0
	.set _ZN7rocprim17ROCPRIM_400000_NS6detail17trampoline_kernelINS0_14default_configENS1_25partition_config_selectorILNS1_17partition_subalgoE5ElNS0_10empty_typeEbEEZZNS1_14partition_implILS5_5ELb0ES3_mN6hipcub16HIPCUB_304000_NS21CountingInputIteratorIllEEPS6_NSA_22TransformInputIteratorIbN2at6native12_GLOBAL__N_19NonZeroOpIN3c107complexIfEEEEPKSL_lEENS0_5tupleIJPlS6_EEENSQ_IJSD_SD_EEES6_PiJS6_EEE10hipError_tPvRmT3_T4_T5_T6_T7_T9_mT8_P12ihipStream_tbDpT10_ENKUlT_T0_E_clISt17integral_constantIbLb1EES1D_IbLb0EEEEDaS19_S1A_EUlS19_E_NS1_11comp_targetILNS1_3genE9ELNS1_11target_archE1100ELNS1_3gpuE3ELNS1_3repE0EEENS1_30default_config_static_selectorELNS0_4arch9wavefront6targetE0EEEvT1_.numbered_sgpr, 0
	.set _ZN7rocprim17ROCPRIM_400000_NS6detail17trampoline_kernelINS0_14default_configENS1_25partition_config_selectorILNS1_17partition_subalgoE5ElNS0_10empty_typeEbEEZZNS1_14partition_implILS5_5ELb0ES3_mN6hipcub16HIPCUB_304000_NS21CountingInputIteratorIllEEPS6_NSA_22TransformInputIteratorIbN2at6native12_GLOBAL__N_19NonZeroOpIN3c107complexIfEEEEPKSL_lEENS0_5tupleIJPlS6_EEENSQ_IJSD_SD_EEES6_PiJS6_EEE10hipError_tPvRmT3_T4_T5_T6_T7_T9_mT8_P12ihipStream_tbDpT10_ENKUlT_T0_E_clISt17integral_constantIbLb1EES1D_IbLb0EEEEDaS19_S1A_EUlS19_E_NS1_11comp_targetILNS1_3genE9ELNS1_11target_archE1100ELNS1_3gpuE3ELNS1_3repE0EEENS1_30default_config_static_selectorELNS0_4arch9wavefront6targetE0EEEvT1_.num_named_barrier, 0
	.set _ZN7rocprim17ROCPRIM_400000_NS6detail17trampoline_kernelINS0_14default_configENS1_25partition_config_selectorILNS1_17partition_subalgoE5ElNS0_10empty_typeEbEEZZNS1_14partition_implILS5_5ELb0ES3_mN6hipcub16HIPCUB_304000_NS21CountingInputIteratorIllEEPS6_NSA_22TransformInputIteratorIbN2at6native12_GLOBAL__N_19NonZeroOpIN3c107complexIfEEEEPKSL_lEENS0_5tupleIJPlS6_EEENSQ_IJSD_SD_EEES6_PiJS6_EEE10hipError_tPvRmT3_T4_T5_T6_T7_T9_mT8_P12ihipStream_tbDpT10_ENKUlT_T0_E_clISt17integral_constantIbLb1EES1D_IbLb0EEEEDaS19_S1A_EUlS19_E_NS1_11comp_targetILNS1_3genE9ELNS1_11target_archE1100ELNS1_3gpuE3ELNS1_3repE0EEENS1_30default_config_static_selectorELNS0_4arch9wavefront6targetE0EEEvT1_.private_seg_size, 0
	.set _ZN7rocprim17ROCPRIM_400000_NS6detail17trampoline_kernelINS0_14default_configENS1_25partition_config_selectorILNS1_17partition_subalgoE5ElNS0_10empty_typeEbEEZZNS1_14partition_implILS5_5ELb0ES3_mN6hipcub16HIPCUB_304000_NS21CountingInputIteratorIllEEPS6_NSA_22TransformInputIteratorIbN2at6native12_GLOBAL__N_19NonZeroOpIN3c107complexIfEEEEPKSL_lEENS0_5tupleIJPlS6_EEENSQ_IJSD_SD_EEES6_PiJS6_EEE10hipError_tPvRmT3_T4_T5_T6_T7_T9_mT8_P12ihipStream_tbDpT10_ENKUlT_T0_E_clISt17integral_constantIbLb1EES1D_IbLb0EEEEDaS19_S1A_EUlS19_E_NS1_11comp_targetILNS1_3genE9ELNS1_11target_archE1100ELNS1_3gpuE3ELNS1_3repE0EEENS1_30default_config_static_selectorELNS0_4arch9wavefront6targetE0EEEvT1_.uses_vcc, 0
	.set _ZN7rocprim17ROCPRIM_400000_NS6detail17trampoline_kernelINS0_14default_configENS1_25partition_config_selectorILNS1_17partition_subalgoE5ElNS0_10empty_typeEbEEZZNS1_14partition_implILS5_5ELb0ES3_mN6hipcub16HIPCUB_304000_NS21CountingInputIteratorIllEEPS6_NSA_22TransformInputIteratorIbN2at6native12_GLOBAL__N_19NonZeroOpIN3c107complexIfEEEEPKSL_lEENS0_5tupleIJPlS6_EEENSQ_IJSD_SD_EEES6_PiJS6_EEE10hipError_tPvRmT3_T4_T5_T6_T7_T9_mT8_P12ihipStream_tbDpT10_ENKUlT_T0_E_clISt17integral_constantIbLb1EES1D_IbLb0EEEEDaS19_S1A_EUlS19_E_NS1_11comp_targetILNS1_3genE9ELNS1_11target_archE1100ELNS1_3gpuE3ELNS1_3repE0EEENS1_30default_config_static_selectorELNS0_4arch9wavefront6targetE0EEEvT1_.uses_flat_scratch, 0
	.set _ZN7rocprim17ROCPRIM_400000_NS6detail17trampoline_kernelINS0_14default_configENS1_25partition_config_selectorILNS1_17partition_subalgoE5ElNS0_10empty_typeEbEEZZNS1_14partition_implILS5_5ELb0ES3_mN6hipcub16HIPCUB_304000_NS21CountingInputIteratorIllEEPS6_NSA_22TransformInputIteratorIbN2at6native12_GLOBAL__N_19NonZeroOpIN3c107complexIfEEEEPKSL_lEENS0_5tupleIJPlS6_EEENSQ_IJSD_SD_EEES6_PiJS6_EEE10hipError_tPvRmT3_T4_T5_T6_T7_T9_mT8_P12ihipStream_tbDpT10_ENKUlT_T0_E_clISt17integral_constantIbLb1EES1D_IbLb0EEEEDaS19_S1A_EUlS19_E_NS1_11comp_targetILNS1_3genE9ELNS1_11target_archE1100ELNS1_3gpuE3ELNS1_3repE0EEENS1_30default_config_static_selectorELNS0_4arch9wavefront6targetE0EEEvT1_.has_dyn_sized_stack, 0
	.set _ZN7rocprim17ROCPRIM_400000_NS6detail17trampoline_kernelINS0_14default_configENS1_25partition_config_selectorILNS1_17partition_subalgoE5ElNS0_10empty_typeEbEEZZNS1_14partition_implILS5_5ELb0ES3_mN6hipcub16HIPCUB_304000_NS21CountingInputIteratorIllEEPS6_NSA_22TransformInputIteratorIbN2at6native12_GLOBAL__N_19NonZeroOpIN3c107complexIfEEEEPKSL_lEENS0_5tupleIJPlS6_EEENSQ_IJSD_SD_EEES6_PiJS6_EEE10hipError_tPvRmT3_T4_T5_T6_T7_T9_mT8_P12ihipStream_tbDpT10_ENKUlT_T0_E_clISt17integral_constantIbLb1EES1D_IbLb0EEEEDaS19_S1A_EUlS19_E_NS1_11comp_targetILNS1_3genE9ELNS1_11target_archE1100ELNS1_3gpuE3ELNS1_3repE0EEENS1_30default_config_static_selectorELNS0_4arch9wavefront6targetE0EEEvT1_.has_recursion, 0
	.set _ZN7rocprim17ROCPRIM_400000_NS6detail17trampoline_kernelINS0_14default_configENS1_25partition_config_selectorILNS1_17partition_subalgoE5ElNS0_10empty_typeEbEEZZNS1_14partition_implILS5_5ELb0ES3_mN6hipcub16HIPCUB_304000_NS21CountingInputIteratorIllEEPS6_NSA_22TransformInputIteratorIbN2at6native12_GLOBAL__N_19NonZeroOpIN3c107complexIfEEEEPKSL_lEENS0_5tupleIJPlS6_EEENSQ_IJSD_SD_EEES6_PiJS6_EEE10hipError_tPvRmT3_T4_T5_T6_T7_T9_mT8_P12ihipStream_tbDpT10_ENKUlT_T0_E_clISt17integral_constantIbLb1EES1D_IbLb0EEEEDaS19_S1A_EUlS19_E_NS1_11comp_targetILNS1_3genE9ELNS1_11target_archE1100ELNS1_3gpuE3ELNS1_3repE0EEENS1_30default_config_static_selectorELNS0_4arch9wavefront6targetE0EEEvT1_.has_indirect_call, 0
	.section	.AMDGPU.csdata,"",@progbits
; Kernel info:
; codeLenInByte = 0
; TotalNumSgprs: 0
; NumVgprs: 0
; ScratchSize: 0
; MemoryBound: 0
; FloatMode: 240
; IeeeMode: 1
; LDSByteSize: 0 bytes/workgroup (compile time only)
; SGPRBlocks: 0
; VGPRBlocks: 0
; NumSGPRsForWavesPerEU: 1
; NumVGPRsForWavesPerEU: 1
; Occupancy: 16
; WaveLimiterHint : 0
; COMPUTE_PGM_RSRC2:SCRATCH_EN: 0
; COMPUTE_PGM_RSRC2:USER_SGPR: 2
; COMPUTE_PGM_RSRC2:TRAP_HANDLER: 0
; COMPUTE_PGM_RSRC2:TGID_X_EN: 1
; COMPUTE_PGM_RSRC2:TGID_Y_EN: 0
; COMPUTE_PGM_RSRC2:TGID_Z_EN: 0
; COMPUTE_PGM_RSRC2:TIDIG_COMP_CNT: 0
	.section	.text._ZN7rocprim17ROCPRIM_400000_NS6detail17trampoline_kernelINS0_14default_configENS1_25partition_config_selectorILNS1_17partition_subalgoE5ElNS0_10empty_typeEbEEZZNS1_14partition_implILS5_5ELb0ES3_mN6hipcub16HIPCUB_304000_NS21CountingInputIteratorIllEEPS6_NSA_22TransformInputIteratorIbN2at6native12_GLOBAL__N_19NonZeroOpIN3c107complexIfEEEEPKSL_lEENS0_5tupleIJPlS6_EEENSQ_IJSD_SD_EEES6_PiJS6_EEE10hipError_tPvRmT3_T4_T5_T6_T7_T9_mT8_P12ihipStream_tbDpT10_ENKUlT_T0_E_clISt17integral_constantIbLb1EES1D_IbLb0EEEEDaS19_S1A_EUlS19_E_NS1_11comp_targetILNS1_3genE8ELNS1_11target_archE1030ELNS1_3gpuE2ELNS1_3repE0EEENS1_30default_config_static_selectorELNS0_4arch9wavefront6targetE0EEEvT1_,"axG",@progbits,_ZN7rocprim17ROCPRIM_400000_NS6detail17trampoline_kernelINS0_14default_configENS1_25partition_config_selectorILNS1_17partition_subalgoE5ElNS0_10empty_typeEbEEZZNS1_14partition_implILS5_5ELb0ES3_mN6hipcub16HIPCUB_304000_NS21CountingInputIteratorIllEEPS6_NSA_22TransformInputIteratorIbN2at6native12_GLOBAL__N_19NonZeroOpIN3c107complexIfEEEEPKSL_lEENS0_5tupleIJPlS6_EEENSQ_IJSD_SD_EEES6_PiJS6_EEE10hipError_tPvRmT3_T4_T5_T6_T7_T9_mT8_P12ihipStream_tbDpT10_ENKUlT_T0_E_clISt17integral_constantIbLb1EES1D_IbLb0EEEEDaS19_S1A_EUlS19_E_NS1_11comp_targetILNS1_3genE8ELNS1_11target_archE1030ELNS1_3gpuE2ELNS1_3repE0EEENS1_30default_config_static_selectorELNS0_4arch9wavefront6targetE0EEEvT1_,comdat
	.globl	_ZN7rocprim17ROCPRIM_400000_NS6detail17trampoline_kernelINS0_14default_configENS1_25partition_config_selectorILNS1_17partition_subalgoE5ElNS0_10empty_typeEbEEZZNS1_14partition_implILS5_5ELb0ES3_mN6hipcub16HIPCUB_304000_NS21CountingInputIteratorIllEEPS6_NSA_22TransformInputIteratorIbN2at6native12_GLOBAL__N_19NonZeroOpIN3c107complexIfEEEEPKSL_lEENS0_5tupleIJPlS6_EEENSQ_IJSD_SD_EEES6_PiJS6_EEE10hipError_tPvRmT3_T4_T5_T6_T7_T9_mT8_P12ihipStream_tbDpT10_ENKUlT_T0_E_clISt17integral_constantIbLb1EES1D_IbLb0EEEEDaS19_S1A_EUlS19_E_NS1_11comp_targetILNS1_3genE8ELNS1_11target_archE1030ELNS1_3gpuE2ELNS1_3repE0EEENS1_30default_config_static_selectorELNS0_4arch9wavefront6targetE0EEEvT1_ ; -- Begin function _ZN7rocprim17ROCPRIM_400000_NS6detail17trampoline_kernelINS0_14default_configENS1_25partition_config_selectorILNS1_17partition_subalgoE5ElNS0_10empty_typeEbEEZZNS1_14partition_implILS5_5ELb0ES3_mN6hipcub16HIPCUB_304000_NS21CountingInputIteratorIllEEPS6_NSA_22TransformInputIteratorIbN2at6native12_GLOBAL__N_19NonZeroOpIN3c107complexIfEEEEPKSL_lEENS0_5tupleIJPlS6_EEENSQ_IJSD_SD_EEES6_PiJS6_EEE10hipError_tPvRmT3_T4_T5_T6_T7_T9_mT8_P12ihipStream_tbDpT10_ENKUlT_T0_E_clISt17integral_constantIbLb1EES1D_IbLb0EEEEDaS19_S1A_EUlS19_E_NS1_11comp_targetILNS1_3genE8ELNS1_11target_archE1030ELNS1_3gpuE2ELNS1_3repE0EEENS1_30default_config_static_selectorELNS0_4arch9wavefront6targetE0EEEvT1_
	.p2align	8
	.type	_ZN7rocprim17ROCPRIM_400000_NS6detail17trampoline_kernelINS0_14default_configENS1_25partition_config_selectorILNS1_17partition_subalgoE5ElNS0_10empty_typeEbEEZZNS1_14partition_implILS5_5ELb0ES3_mN6hipcub16HIPCUB_304000_NS21CountingInputIteratorIllEEPS6_NSA_22TransformInputIteratorIbN2at6native12_GLOBAL__N_19NonZeroOpIN3c107complexIfEEEEPKSL_lEENS0_5tupleIJPlS6_EEENSQ_IJSD_SD_EEES6_PiJS6_EEE10hipError_tPvRmT3_T4_T5_T6_T7_T9_mT8_P12ihipStream_tbDpT10_ENKUlT_T0_E_clISt17integral_constantIbLb1EES1D_IbLb0EEEEDaS19_S1A_EUlS19_E_NS1_11comp_targetILNS1_3genE8ELNS1_11target_archE1030ELNS1_3gpuE2ELNS1_3repE0EEENS1_30default_config_static_selectorELNS0_4arch9wavefront6targetE0EEEvT1_,@function
_ZN7rocprim17ROCPRIM_400000_NS6detail17trampoline_kernelINS0_14default_configENS1_25partition_config_selectorILNS1_17partition_subalgoE5ElNS0_10empty_typeEbEEZZNS1_14partition_implILS5_5ELb0ES3_mN6hipcub16HIPCUB_304000_NS21CountingInputIteratorIllEEPS6_NSA_22TransformInputIteratorIbN2at6native12_GLOBAL__N_19NonZeroOpIN3c107complexIfEEEEPKSL_lEENS0_5tupleIJPlS6_EEENSQ_IJSD_SD_EEES6_PiJS6_EEE10hipError_tPvRmT3_T4_T5_T6_T7_T9_mT8_P12ihipStream_tbDpT10_ENKUlT_T0_E_clISt17integral_constantIbLb1EES1D_IbLb0EEEEDaS19_S1A_EUlS19_E_NS1_11comp_targetILNS1_3genE8ELNS1_11target_archE1030ELNS1_3gpuE2ELNS1_3repE0EEENS1_30default_config_static_selectorELNS0_4arch9wavefront6targetE0EEEvT1_: ; @_ZN7rocprim17ROCPRIM_400000_NS6detail17trampoline_kernelINS0_14default_configENS1_25partition_config_selectorILNS1_17partition_subalgoE5ElNS0_10empty_typeEbEEZZNS1_14partition_implILS5_5ELb0ES3_mN6hipcub16HIPCUB_304000_NS21CountingInputIteratorIllEEPS6_NSA_22TransformInputIteratorIbN2at6native12_GLOBAL__N_19NonZeroOpIN3c107complexIfEEEEPKSL_lEENS0_5tupleIJPlS6_EEENSQ_IJSD_SD_EEES6_PiJS6_EEE10hipError_tPvRmT3_T4_T5_T6_T7_T9_mT8_P12ihipStream_tbDpT10_ENKUlT_T0_E_clISt17integral_constantIbLb1EES1D_IbLb0EEEEDaS19_S1A_EUlS19_E_NS1_11comp_targetILNS1_3genE8ELNS1_11target_archE1030ELNS1_3gpuE2ELNS1_3repE0EEENS1_30default_config_static_selectorELNS0_4arch9wavefront6targetE0EEEvT1_
; %bb.0:
	.section	.rodata,"a",@progbits
	.p2align	6, 0x0
	.amdhsa_kernel _ZN7rocprim17ROCPRIM_400000_NS6detail17trampoline_kernelINS0_14default_configENS1_25partition_config_selectorILNS1_17partition_subalgoE5ElNS0_10empty_typeEbEEZZNS1_14partition_implILS5_5ELb0ES3_mN6hipcub16HIPCUB_304000_NS21CountingInputIteratorIllEEPS6_NSA_22TransformInputIteratorIbN2at6native12_GLOBAL__N_19NonZeroOpIN3c107complexIfEEEEPKSL_lEENS0_5tupleIJPlS6_EEENSQ_IJSD_SD_EEES6_PiJS6_EEE10hipError_tPvRmT3_T4_T5_T6_T7_T9_mT8_P12ihipStream_tbDpT10_ENKUlT_T0_E_clISt17integral_constantIbLb1EES1D_IbLb0EEEEDaS19_S1A_EUlS19_E_NS1_11comp_targetILNS1_3genE8ELNS1_11target_archE1030ELNS1_3gpuE2ELNS1_3repE0EEENS1_30default_config_static_selectorELNS0_4arch9wavefront6targetE0EEEvT1_
		.amdhsa_group_segment_fixed_size 0
		.amdhsa_private_segment_fixed_size 0
		.amdhsa_kernarg_size 120
		.amdhsa_user_sgpr_count 2
		.amdhsa_user_sgpr_dispatch_ptr 0
		.amdhsa_user_sgpr_queue_ptr 0
		.amdhsa_user_sgpr_kernarg_segment_ptr 1
		.amdhsa_user_sgpr_dispatch_id 0
		.amdhsa_user_sgpr_private_segment_size 0
		.amdhsa_wavefront_size32 1
		.amdhsa_uses_dynamic_stack 0
		.amdhsa_enable_private_segment 0
		.amdhsa_system_sgpr_workgroup_id_x 1
		.amdhsa_system_sgpr_workgroup_id_y 0
		.amdhsa_system_sgpr_workgroup_id_z 0
		.amdhsa_system_sgpr_workgroup_info 0
		.amdhsa_system_vgpr_workitem_id 0
		.amdhsa_next_free_vgpr 1
		.amdhsa_next_free_sgpr 1
		.amdhsa_reserve_vcc 0
		.amdhsa_float_round_mode_32 0
		.amdhsa_float_round_mode_16_64 0
		.amdhsa_float_denorm_mode_32 3
		.amdhsa_float_denorm_mode_16_64 3
		.amdhsa_fp16_overflow 0
		.amdhsa_workgroup_processor_mode 1
		.amdhsa_memory_ordered 1
		.amdhsa_forward_progress 1
		.amdhsa_inst_pref_size 0
		.amdhsa_round_robin_scheduling 0
		.amdhsa_exception_fp_ieee_invalid_op 0
		.amdhsa_exception_fp_denorm_src 0
		.amdhsa_exception_fp_ieee_div_zero 0
		.amdhsa_exception_fp_ieee_overflow 0
		.amdhsa_exception_fp_ieee_underflow 0
		.amdhsa_exception_fp_ieee_inexact 0
		.amdhsa_exception_int_div_zero 0
	.end_amdhsa_kernel
	.section	.text._ZN7rocprim17ROCPRIM_400000_NS6detail17trampoline_kernelINS0_14default_configENS1_25partition_config_selectorILNS1_17partition_subalgoE5ElNS0_10empty_typeEbEEZZNS1_14partition_implILS5_5ELb0ES3_mN6hipcub16HIPCUB_304000_NS21CountingInputIteratorIllEEPS6_NSA_22TransformInputIteratorIbN2at6native12_GLOBAL__N_19NonZeroOpIN3c107complexIfEEEEPKSL_lEENS0_5tupleIJPlS6_EEENSQ_IJSD_SD_EEES6_PiJS6_EEE10hipError_tPvRmT3_T4_T5_T6_T7_T9_mT8_P12ihipStream_tbDpT10_ENKUlT_T0_E_clISt17integral_constantIbLb1EES1D_IbLb0EEEEDaS19_S1A_EUlS19_E_NS1_11comp_targetILNS1_3genE8ELNS1_11target_archE1030ELNS1_3gpuE2ELNS1_3repE0EEENS1_30default_config_static_selectorELNS0_4arch9wavefront6targetE0EEEvT1_,"axG",@progbits,_ZN7rocprim17ROCPRIM_400000_NS6detail17trampoline_kernelINS0_14default_configENS1_25partition_config_selectorILNS1_17partition_subalgoE5ElNS0_10empty_typeEbEEZZNS1_14partition_implILS5_5ELb0ES3_mN6hipcub16HIPCUB_304000_NS21CountingInputIteratorIllEEPS6_NSA_22TransformInputIteratorIbN2at6native12_GLOBAL__N_19NonZeroOpIN3c107complexIfEEEEPKSL_lEENS0_5tupleIJPlS6_EEENSQ_IJSD_SD_EEES6_PiJS6_EEE10hipError_tPvRmT3_T4_T5_T6_T7_T9_mT8_P12ihipStream_tbDpT10_ENKUlT_T0_E_clISt17integral_constantIbLb1EES1D_IbLb0EEEEDaS19_S1A_EUlS19_E_NS1_11comp_targetILNS1_3genE8ELNS1_11target_archE1030ELNS1_3gpuE2ELNS1_3repE0EEENS1_30default_config_static_selectorELNS0_4arch9wavefront6targetE0EEEvT1_,comdat
.Lfunc_end617:
	.size	_ZN7rocprim17ROCPRIM_400000_NS6detail17trampoline_kernelINS0_14default_configENS1_25partition_config_selectorILNS1_17partition_subalgoE5ElNS0_10empty_typeEbEEZZNS1_14partition_implILS5_5ELb0ES3_mN6hipcub16HIPCUB_304000_NS21CountingInputIteratorIllEEPS6_NSA_22TransformInputIteratorIbN2at6native12_GLOBAL__N_19NonZeroOpIN3c107complexIfEEEEPKSL_lEENS0_5tupleIJPlS6_EEENSQ_IJSD_SD_EEES6_PiJS6_EEE10hipError_tPvRmT3_T4_T5_T6_T7_T9_mT8_P12ihipStream_tbDpT10_ENKUlT_T0_E_clISt17integral_constantIbLb1EES1D_IbLb0EEEEDaS19_S1A_EUlS19_E_NS1_11comp_targetILNS1_3genE8ELNS1_11target_archE1030ELNS1_3gpuE2ELNS1_3repE0EEENS1_30default_config_static_selectorELNS0_4arch9wavefront6targetE0EEEvT1_, .Lfunc_end617-_ZN7rocprim17ROCPRIM_400000_NS6detail17trampoline_kernelINS0_14default_configENS1_25partition_config_selectorILNS1_17partition_subalgoE5ElNS0_10empty_typeEbEEZZNS1_14partition_implILS5_5ELb0ES3_mN6hipcub16HIPCUB_304000_NS21CountingInputIteratorIllEEPS6_NSA_22TransformInputIteratorIbN2at6native12_GLOBAL__N_19NonZeroOpIN3c107complexIfEEEEPKSL_lEENS0_5tupleIJPlS6_EEENSQ_IJSD_SD_EEES6_PiJS6_EEE10hipError_tPvRmT3_T4_T5_T6_T7_T9_mT8_P12ihipStream_tbDpT10_ENKUlT_T0_E_clISt17integral_constantIbLb1EES1D_IbLb0EEEEDaS19_S1A_EUlS19_E_NS1_11comp_targetILNS1_3genE8ELNS1_11target_archE1030ELNS1_3gpuE2ELNS1_3repE0EEENS1_30default_config_static_selectorELNS0_4arch9wavefront6targetE0EEEvT1_
                                        ; -- End function
	.set _ZN7rocprim17ROCPRIM_400000_NS6detail17trampoline_kernelINS0_14default_configENS1_25partition_config_selectorILNS1_17partition_subalgoE5ElNS0_10empty_typeEbEEZZNS1_14partition_implILS5_5ELb0ES3_mN6hipcub16HIPCUB_304000_NS21CountingInputIteratorIllEEPS6_NSA_22TransformInputIteratorIbN2at6native12_GLOBAL__N_19NonZeroOpIN3c107complexIfEEEEPKSL_lEENS0_5tupleIJPlS6_EEENSQ_IJSD_SD_EEES6_PiJS6_EEE10hipError_tPvRmT3_T4_T5_T6_T7_T9_mT8_P12ihipStream_tbDpT10_ENKUlT_T0_E_clISt17integral_constantIbLb1EES1D_IbLb0EEEEDaS19_S1A_EUlS19_E_NS1_11comp_targetILNS1_3genE8ELNS1_11target_archE1030ELNS1_3gpuE2ELNS1_3repE0EEENS1_30default_config_static_selectorELNS0_4arch9wavefront6targetE0EEEvT1_.num_vgpr, 0
	.set _ZN7rocprim17ROCPRIM_400000_NS6detail17trampoline_kernelINS0_14default_configENS1_25partition_config_selectorILNS1_17partition_subalgoE5ElNS0_10empty_typeEbEEZZNS1_14partition_implILS5_5ELb0ES3_mN6hipcub16HIPCUB_304000_NS21CountingInputIteratorIllEEPS6_NSA_22TransformInputIteratorIbN2at6native12_GLOBAL__N_19NonZeroOpIN3c107complexIfEEEEPKSL_lEENS0_5tupleIJPlS6_EEENSQ_IJSD_SD_EEES6_PiJS6_EEE10hipError_tPvRmT3_T4_T5_T6_T7_T9_mT8_P12ihipStream_tbDpT10_ENKUlT_T0_E_clISt17integral_constantIbLb1EES1D_IbLb0EEEEDaS19_S1A_EUlS19_E_NS1_11comp_targetILNS1_3genE8ELNS1_11target_archE1030ELNS1_3gpuE2ELNS1_3repE0EEENS1_30default_config_static_selectorELNS0_4arch9wavefront6targetE0EEEvT1_.num_agpr, 0
	.set _ZN7rocprim17ROCPRIM_400000_NS6detail17trampoline_kernelINS0_14default_configENS1_25partition_config_selectorILNS1_17partition_subalgoE5ElNS0_10empty_typeEbEEZZNS1_14partition_implILS5_5ELb0ES3_mN6hipcub16HIPCUB_304000_NS21CountingInputIteratorIllEEPS6_NSA_22TransformInputIteratorIbN2at6native12_GLOBAL__N_19NonZeroOpIN3c107complexIfEEEEPKSL_lEENS0_5tupleIJPlS6_EEENSQ_IJSD_SD_EEES6_PiJS6_EEE10hipError_tPvRmT3_T4_T5_T6_T7_T9_mT8_P12ihipStream_tbDpT10_ENKUlT_T0_E_clISt17integral_constantIbLb1EES1D_IbLb0EEEEDaS19_S1A_EUlS19_E_NS1_11comp_targetILNS1_3genE8ELNS1_11target_archE1030ELNS1_3gpuE2ELNS1_3repE0EEENS1_30default_config_static_selectorELNS0_4arch9wavefront6targetE0EEEvT1_.numbered_sgpr, 0
	.set _ZN7rocprim17ROCPRIM_400000_NS6detail17trampoline_kernelINS0_14default_configENS1_25partition_config_selectorILNS1_17partition_subalgoE5ElNS0_10empty_typeEbEEZZNS1_14partition_implILS5_5ELb0ES3_mN6hipcub16HIPCUB_304000_NS21CountingInputIteratorIllEEPS6_NSA_22TransformInputIteratorIbN2at6native12_GLOBAL__N_19NonZeroOpIN3c107complexIfEEEEPKSL_lEENS0_5tupleIJPlS6_EEENSQ_IJSD_SD_EEES6_PiJS6_EEE10hipError_tPvRmT3_T4_T5_T6_T7_T9_mT8_P12ihipStream_tbDpT10_ENKUlT_T0_E_clISt17integral_constantIbLb1EES1D_IbLb0EEEEDaS19_S1A_EUlS19_E_NS1_11comp_targetILNS1_3genE8ELNS1_11target_archE1030ELNS1_3gpuE2ELNS1_3repE0EEENS1_30default_config_static_selectorELNS0_4arch9wavefront6targetE0EEEvT1_.num_named_barrier, 0
	.set _ZN7rocprim17ROCPRIM_400000_NS6detail17trampoline_kernelINS0_14default_configENS1_25partition_config_selectorILNS1_17partition_subalgoE5ElNS0_10empty_typeEbEEZZNS1_14partition_implILS5_5ELb0ES3_mN6hipcub16HIPCUB_304000_NS21CountingInputIteratorIllEEPS6_NSA_22TransformInputIteratorIbN2at6native12_GLOBAL__N_19NonZeroOpIN3c107complexIfEEEEPKSL_lEENS0_5tupleIJPlS6_EEENSQ_IJSD_SD_EEES6_PiJS6_EEE10hipError_tPvRmT3_T4_T5_T6_T7_T9_mT8_P12ihipStream_tbDpT10_ENKUlT_T0_E_clISt17integral_constantIbLb1EES1D_IbLb0EEEEDaS19_S1A_EUlS19_E_NS1_11comp_targetILNS1_3genE8ELNS1_11target_archE1030ELNS1_3gpuE2ELNS1_3repE0EEENS1_30default_config_static_selectorELNS0_4arch9wavefront6targetE0EEEvT1_.private_seg_size, 0
	.set _ZN7rocprim17ROCPRIM_400000_NS6detail17trampoline_kernelINS0_14default_configENS1_25partition_config_selectorILNS1_17partition_subalgoE5ElNS0_10empty_typeEbEEZZNS1_14partition_implILS5_5ELb0ES3_mN6hipcub16HIPCUB_304000_NS21CountingInputIteratorIllEEPS6_NSA_22TransformInputIteratorIbN2at6native12_GLOBAL__N_19NonZeroOpIN3c107complexIfEEEEPKSL_lEENS0_5tupleIJPlS6_EEENSQ_IJSD_SD_EEES6_PiJS6_EEE10hipError_tPvRmT3_T4_T5_T6_T7_T9_mT8_P12ihipStream_tbDpT10_ENKUlT_T0_E_clISt17integral_constantIbLb1EES1D_IbLb0EEEEDaS19_S1A_EUlS19_E_NS1_11comp_targetILNS1_3genE8ELNS1_11target_archE1030ELNS1_3gpuE2ELNS1_3repE0EEENS1_30default_config_static_selectorELNS0_4arch9wavefront6targetE0EEEvT1_.uses_vcc, 0
	.set _ZN7rocprim17ROCPRIM_400000_NS6detail17trampoline_kernelINS0_14default_configENS1_25partition_config_selectorILNS1_17partition_subalgoE5ElNS0_10empty_typeEbEEZZNS1_14partition_implILS5_5ELb0ES3_mN6hipcub16HIPCUB_304000_NS21CountingInputIteratorIllEEPS6_NSA_22TransformInputIteratorIbN2at6native12_GLOBAL__N_19NonZeroOpIN3c107complexIfEEEEPKSL_lEENS0_5tupleIJPlS6_EEENSQ_IJSD_SD_EEES6_PiJS6_EEE10hipError_tPvRmT3_T4_T5_T6_T7_T9_mT8_P12ihipStream_tbDpT10_ENKUlT_T0_E_clISt17integral_constantIbLb1EES1D_IbLb0EEEEDaS19_S1A_EUlS19_E_NS1_11comp_targetILNS1_3genE8ELNS1_11target_archE1030ELNS1_3gpuE2ELNS1_3repE0EEENS1_30default_config_static_selectorELNS0_4arch9wavefront6targetE0EEEvT1_.uses_flat_scratch, 0
	.set _ZN7rocprim17ROCPRIM_400000_NS6detail17trampoline_kernelINS0_14default_configENS1_25partition_config_selectorILNS1_17partition_subalgoE5ElNS0_10empty_typeEbEEZZNS1_14partition_implILS5_5ELb0ES3_mN6hipcub16HIPCUB_304000_NS21CountingInputIteratorIllEEPS6_NSA_22TransformInputIteratorIbN2at6native12_GLOBAL__N_19NonZeroOpIN3c107complexIfEEEEPKSL_lEENS0_5tupleIJPlS6_EEENSQ_IJSD_SD_EEES6_PiJS6_EEE10hipError_tPvRmT3_T4_T5_T6_T7_T9_mT8_P12ihipStream_tbDpT10_ENKUlT_T0_E_clISt17integral_constantIbLb1EES1D_IbLb0EEEEDaS19_S1A_EUlS19_E_NS1_11comp_targetILNS1_3genE8ELNS1_11target_archE1030ELNS1_3gpuE2ELNS1_3repE0EEENS1_30default_config_static_selectorELNS0_4arch9wavefront6targetE0EEEvT1_.has_dyn_sized_stack, 0
	.set _ZN7rocprim17ROCPRIM_400000_NS6detail17trampoline_kernelINS0_14default_configENS1_25partition_config_selectorILNS1_17partition_subalgoE5ElNS0_10empty_typeEbEEZZNS1_14partition_implILS5_5ELb0ES3_mN6hipcub16HIPCUB_304000_NS21CountingInputIteratorIllEEPS6_NSA_22TransformInputIteratorIbN2at6native12_GLOBAL__N_19NonZeroOpIN3c107complexIfEEEEPKSL_lEENS0_5tupleIJPlS6_EEENSQ_IJSD_SD_EEES6_PiJS6_EEE10hipError_tPvRmT3_T4_T5_T6_T7_T9_mT8_P12ihipStream_tbDpT10_ENKUlT_T0_E_clISt17integral_constantIbLb1EES1D_IbLb0EEEEDaS19_S1A_EUlS19_E_NS1_11comp_targetILNS1_3genE8ELNS1_11target_archE1030ELNS1_3gpuE2ELNS1_3repE0EEENS1_30default_config_static_selectorELNS0_4arch9wavefront6targetE0EEEvT1_.has_recursion, 0
	.set _ZN7rocprim17ROCPRIM_400000_NS6detail17trampoline_kernelINS0_14default_configENS1_25partition_config_selectorILNS1_17partition_subalgoE5ElNS0_10empty_typeEbEEZZNS1_14partition_implILS5_5ELb0ES3_mN6hipcub16HIPCUB_304000_NS21CountingInputIteratorIllEEPS6_NSA_22TransformInputIteratorIbN2at6native12_GLOBAL__N_19NonZeroOpIN3c107complexIfEEEEPKSL_lEENS0_5tupleIJPlS6_EEENSQ_IJSD_SD_EEES6_PiJS6_EEE10hipError_tPvRmT3_T4_T5_T6_T7_T9_mT8_P12ihipStream_tbDpT10_ENKUlT_T0_E_clISt17integral_constantIbLb1EES1D_IbLb0EEEEDaS19_S1A_EUlS19_E_NS1_11comp_targetILNS1_3genE8ELNS1_11target_archE1030ELNS1_3gpuE2ELNS1_3repE0EEENS1_30default_config_static_selectorELNS0_4arch9wavefront6targetE0EEEvT1_.has_indirect_call, 0
	.section	.AMDGPU.csdata,"",@progbits
; Kernel info:
; codeLenInByte = 0
; TotalNumSgprs: 0
; NumVgprs: 0
; ScratchSize: 0
; MemoryBound: 0
; FloatMode: 240
; IeeeMode: 1
; LDSByteSize: 0 bytes/workgroup (compile time only)
; SGPRBlocks: 0
; VGPRBlocks: 0
; NumSGPRsForWavesPerEU: 1
; NumVGPRsForWavesPerEU: 1
; Occupancy: 16
; WaveLimiterHint : 0
; COMPUTE_PGM_RSRC2:SCRATCH_EN: 0
; COMPUTE_PGM_RSRC2:USER_SGPR: 2
; COMPUTE_PGM_RSRC2:TRAP_HANDLER: 0
; COMPUTE_PGM_RSRC2:TGID_X_EN: 1
; COMPUTE_PGM_RSRC2:TGID_Y_EN: 0
; COMPUTE_PGM_RSRC2:TGID_Z_EN: 0
; COMPUTE_PGM_RSRC2:TIDIG_COMP_CNT: 0
	.section	.text._ZN7rocprim17ROCPRIM_400000_NS6detail17trampoline_kernelINS0_14default_configENS1_25partition_config_selectorILNS1_17partition_subalgoE5ElNS0_10empty_typeEbEEZZNS1_14partition_implILS5_5ELb0ES3_mN6hipcub16HIPCUB_304000_NS21CountingInputIteratorIllEEPS6_NSA_22TransformInputIteratorIbN2at6native12_GLOBAL__N_19NonZeroOpIN3c107complexIfEEEEPKSL_lEENS0_5tupleIJPlS6_EEENSQ_IJSD_SD_EEES6_PiJS6_EEE10hipError_tPvRmT3_T4_T5_T6_T7_T9_mT8_P12ihipStream_tbDpT10_ENKUlT_T0_E_clISt17integral_constantIbLb0EES1D_IbLb1EEEEDaS19_S1A_EUlS19_E_NS1_11comp_targetILNS1_3genE0ELNS1_11target_archE4294967295ELNS1_3gpuE0ELNS1_3repE0EEENS1_30default_config_static_selectorELNS0_4arch9wavefront6targetE0EEEvT1_,"axG",@progbits,_ZN7rocprim17ROCPRIM_400000_NS6detail17trampoline_kernelINS0_14default_configENS1_25partition_config_selectorILNS1_17partition_subalgoE5ElNS0_10empty_typeEbEEZZNS1_14partition_implILS5_5ELb0ES3_mN6hipcub16HIPCUB_304000_NS21CountingInputIteratorIllEEPS6_NSA_22TransformInputIteratorIbN2at6native12_GLOBAL__N_19NonZeroOpIN3c107complexIfEEEEPKSL_lEENS0_5tupleIJPlS6_EEENSQ_IJSD_SD_EEES6_PiJS6_EEE10hipError_tPvRmT3_T4_T5_T6_T7_T9_mT8_P12ihipStream_tbDpT10_ENKUlT_T0_E_clISt17integral_constantIbLb0EES1D_IbLb1EEEEDaS19_S1A_EUlS19_E_NS1_11comp_targetILNS1_3genE0ELNS1_11target_archE4294967295ELNS1_3gpuE0ELNS1_3repE0EEENS1_30default_config_static_selectorELNS0_4arch9wavefront6targetE0EEEvT1_,comdat
	.globl	_ZN7rocprim17ROCPRIM_400000_NS6detail17trampoline_kernelINS0_14default_configENS1_25partition_config_selectorILNS1_17partition_subalgoE5ElNS0_10empty_typeEbEEZZNS1_14partition_implILS5_5ELb0ES3_mN6hipcub16HIPCUB_304000_NS21CountingInputIteratorIllEEPS6_NSA_22TransformInputIteratorIbN2at6native12_GLOBAL__N_19NonZeroOpIN3c107complexIfEEEEPKSL_lEENS0_5tupleIJPlS6_EEENSQ_IJSD_SD_EEES6_PiJS6_EEE10hipError_tPvRmT3_T4_T5_T6_T7_T9_mT8_P12ihipStream_tbDpT10_ENKUlT_T0_E_clISt17integral_constantIbLb0EES1D_IbLb1EEEEDaS19_S1A_EUlS19_E_NS1_11comp_targetILNS1_3genE0ELNS1_11target_archE4294967295ELNS1_3gpuE0ELNS1_3repE0EEENS1_30default_config_static_selectorELNS0_4arch9wavefront6targetE0EEEvT1_ ; -- Begin function _ZN7rocprim17ROCPRIM_400000_NS6detail17trampoline_kernelINS0_14default_configENS1_25partition_config_selectorILNS1_17partition_subalgoE5ElNS0_10empty_typeEbEEZZNS1_14partition_implILS5_5ELb0ES3_mN6hipcub16HIPCUB_304000_NS21CountingInputIteratorIllEEPS6_NSA_22TransformInputIteratorIbN2at6native12_GLOBAL__N_19NonZeroOpIN3c107complexIfEEEEPKSL_lEENS0_5tupleIJPlS6_EEENSQ_IJSD_SD_EEES6_PiJS6_EEE10hipError_tPvRmT3_T4_T5_T6_T7_T9_mT8_P12ihipStream_tbDpT10_ENKUlT_T0_E_clISt17integral_constantIbLb0EES1D_IbLb1EEEEDaS19_S1A_EUlS19_E_NS1_11comp_targetILNS1_3genE0ELNS1_11target_archE4294967295ELNS1_3gpuE0ELNS1_3repE0EEENS1_30default_config_static_selectorELNS0_4arch9wavefront6targetE0EEEvT1_
	.p2align	8
	.type	_ZN7rocprim17ROCPRIM_400000_NS6detail17trampoline_kernelINS0_14default_configENS1_25partition_config_selectorILNS1_17partition_subalgoE5ElNS0_10empty_typeEbEEZZNS1_14partition_implILS5_5ELb0ES3_mN6hipcub16HIPCUB_304000_NS21CountingInputIteratorIllEEPS6_NSA_22TransformInputIteratorIbN2at6native12_GLOBAL__N_19NonZeroOpIN3c107complexIfEEEEPKSL_lEENS0_5tupleIJPlS6_EEENSQ_IJSD_SD_EEES6_PiJS6_EEE10hipError_tPvRmT3_T4_T5_T6_T7_T9_mT8_P12ihipStream_tbDpT10_ENKUlT_T0_E_clISt17integral_constantIbLb0EES1D_IbLb1EEEEDaS19_S1A_EUlS19_E_NS1_11comp_targetILNS1_3genE0ELNS1_11target_archE4294967295ELNS1_3gpuE0ELNS1_3repE0EEENS1_30default_config_static_selectorELNS0_4arch9wavefront6targetE0EEEvT1_,@function
_ZN7rocprim17ROCPRIM_400000_NS6detail17trampoline_kernelINS0_14default_configENS1_25partition_config_selectorILNS1_17partition_subalgoE5ElNS0_10empty_typeEbEEZZNS1_14partition_implILS5_5ELb0ES3_mN6hipcub16HIPCUB_304000_NS21CountingInputIteratorIllEEPS6_NSA_22TransformInputIteratorIbN2at6native12_GLOBAL__N_19NonZeroOpIN3c107complexIfEEEEPKSL_lEENS0_5tupleIJPlS6_EEENSQ_IJSD_SD_EEES6_PiJS6_EEE10hipError_tPvRmT3_T4_T5_T6_T7_T9_mT8_P12ihipStream_tbDpT10_ENKUlT_T0_E_clISt17integral_constantIbLb0EES1D_IbLb1EEEEDaS19_S1A_EUlS19_E_NS1_11comp_targetILNS1_3genE0ELNS1_11target_archE4294967295ELNS1_3gpuE0ELNS1_3repE0EEENS1_30default_config_static_selectorELNS0_4arch9wavefront6targetE0EEEvT1_: ; @_ZN7rocprim17ROCPRIM_400000_NS6detail17trampoline_kernelINS0_14default_configENS1_25partition_config_selectorILNS1_17partition_subalgoE5ElNS0_10empty_typeEbEEZZNS1_14partition_implILS5_5ELb0ES3_mN6hipcub16HIPCUB_304000_NS21CountingInputIteratorIllEEPS6_NSA_22TransformInputIteratorIbN2at6native12_GLOBAL__N_19NonZeroOpIN3c107complexIfEEEEPKSL_lEENS0_5tupleIJPlS6_EEENSQ_IJSD_SD_EEES6_PiJS6_EEE10hipError_tPvRmT3_T4_T5_T6_T7_T9_mT8_P12ihipStream_tbDpT10_ENKUlT_T0_E_clISt17integral_constantIbLb0EES1D_IbLb1EEEEDaS19_S1A_EUlS19_E_NS1_11comp_targetILNS1_3genE0ELNS1_11target_archE4294967295ELNS1_3gpuE0ELNS1_3repE0EEENS1_30default_config_static_selectorELNS0_4arch9wavefront6targetE0EEEvT1_
; %bb.0:
	.section	.rodata,"a",@progbits
	.p2align	6, 0x0
	.amdhsa_kernel _ZN7rocprim17ROCPRIM_400000_NS6detail17trampoline_kernelINS0_14default_configENS1_25partition_config_selectorILNS1_17partition_subalgoE5ElNS0_10empty_typeEbEEZZNS1_14partition_implILS5_5ELb0ES3_mN6hipcub16HIPCUB_304000_NS21CountingInputIteratorIllEEPS6_NSA_22TransformInputIteratorIbN2at6native12_GLOBAL__N_19NonZeroOpIN3c107complexIfEEEEPKSL_lEENS0_5tupleIJPlS6_EEENSQ_IJSD_SD_EEES6_PiJS6_EEE10hipError_tPvRmT3_T4_T5_T6_T7_T9_mT8_P12ihipStream_tbDpT10_ENKUlT_T0_E_clISt17integral_constantIbLb0EES1D_IbLb1EEEEDaS19_S1A_EUlS19_E_NS1_11comp_targetILNS1_3genE0ELNS1_11target_archE4294967295ELNS1_3gpuE0ELNS1_3repE0EEENS1_30default_config_static_selectorELNS0_4arch9wavefront6targetE0EEEvT1_
		.amdhsa_group_segment_fixed_size 0
		.amdhsa_private_segment_fixed_size 0
		.amdhsa_kernarg_size 136
		.amdhsa_user_sgpr_count 2
		.amdhsa_user_sgpr_dispatch_ptr 0
		.amdhsa_user_sgpr_queue_ptr 0
		.amdhsa_user_sgpr_kernarg_segment_ptr 1
		.amdhsa_user_sgpr_dispatch_id 0
		.amdhsa_user_sgpr_private_segment_size 0
		.amdhsa_wavefront_size32 1
		.amdhsa_uses_dynamic_stack 0
		.amdhsa_enable_private_segment 0
		.amdhsa_system_sgpr_workgroup_id_x 1
		.amdhsa_system_sgpr_workgroup_id_y 0
		.amdhsa_system_sgpr_workgroup_id_z 0
		.amdhsa_system_sgpr_workgroup_info 0
		.amdhsa_system_vgpr_workitem_id 0
		.amdhsa_next_free_vgpr 1
		.amdhsa_next_free_sgpr 1
		.amdhsa_reserve_vcc 0
		.amdhsa_float_round_mode_32 0
		.amdhsa_float_round_mode_16_64 0
		.amdhsa_float_denorm_mode_32 3
		.amdhsa_float_denorm_mode_16_64 3
		.amdhsa_fp16_overflow 0
		.amdhsa_workgroup_processor_mode 1
		.amdhsa_memory_ordered 1
		.amdhsa_forward_progress 1
		.amdhsa_inst_pref_size 0
		.amdhsa_round_robin_scheduling 0
		.amdhsa_exception_fp_ieee_invalid_op 0
		.amdhsa_exception_fp_denorm_src 0
		.amdhsa_exception_fp_ieee_div_zero 0
		.amdhsa_exception_fp_ieee_overflow 0
		.amdhsa_exception_fp_ieee_underflow 0
		.amdhsa_exception_fp_ieee_inexact 0
		.amdhsa_exception_int_div_zero 0
	.end_amdhsa_kernel
	.section	.text._ZN7rocprim17ROCPRIM_400000_NS6detail17trampoline_kernelINS0_14default_configENS1_25partition_config_selectorILNS1_17partition_subalgoE5ElNS0_10empty_typeEbEEZZNS1_14partition_implILS5_5ELb0ES3_mN6hipcub16HIPCUB_304000_NS21CountingInputIteratorIllEEPS6_NSA_22TransformInputIteratorIbN2at6native12_GLOBAL__N_19NonZeroOpIN3c107complexIfEEEEPKSL_lEENS0_5tupleIJPlS6_EEENSQ_IJSD_SD_EEES6_PiJS6_EEE10hipError_tPvRmT3_T4_T5_T6_T7_T9_mT8_P12ihipStream_tbDpT10_ENKUlT_T0_E_clISt17integral_constantIbLb0EES1D_IbLb1EEEEDaS19_S1A_EUlS19_E_NS1_11comp_targetILNS1_3genE0ELNS1_11target_archE4294967295ELNS1_3gpuE0ELNS1_3repE0EEENS1_30default_config_static_selectorELNS0_4arch9wavefront6targetE0EEEvT1_,"axG",@progbits,_ZN7rocprim17ROCPRIM_400000_NS6detail17trampoline_kernelINS0_14default_configENS1_25partition_config_selectorILNS1_17partition_subalgoE5ElNS0_10empty_typeEbEEZZNS1_14partition_implILS5_5ELb0ES3_mN6hipcub16HIPCUB_304000_NS21CountingInputIteratorIllEEPS6_NSA_22TransformInputIteratorIbN2at6native12_GLOBAL__N_19NonZeroOpIN3c107complexIfEEEEPKSL_lEENS0_5tupleIJPlS6_EEENSQ_IJSD_SD_EEES6_PiJS6_EEE10hipError_tPvRmT3_T4_T5_T6_T7_T9_mT8_P12ihipStream_tbDpT10_ENKUlT_T0_E_clISt17integral_constantIbLb0EES1D_IbLb1EEEEDaS19_S1A_EUlS19_E_NS1_11comp_targetILNS1_3genE0ELNS1_11target_archE4294967295ELNS1_3gpuE0ELNS1_3repE0EEENS1_30default_config_static_selectorELNS0_4arch9wavefront6targetE0EEEvT1_,comdat
.Lfunc_end618:
	.size	_ZN7rocprim17ROCPRIM_400000_NS6detail17trampoline_kernelINS0_14default_configENS1_25partition_config_selectorILNS1_17partition_subalgoE5ElNS0_10empty_typeEbEEZZNS1_14partition_implILS5_5ELb0ES3_mN6hipcub16HIPCUB_304000_NS21CountingInputIteratorIllEEPS6_NSA_22TransformInputIteratorIbN2at6native12_GLOBAL__N_19NonZeroOpIN3c107complexIfEEEEPKSL_lEENS0_5tupleIJPlS6_EEENSQ_IJSD_SD_EEES6_PiJS6_EEE10hipError_tPvRmT3_T4_T5_T6_T7_T9_mT8_P12ihipStream_tbDpT10_ENKUlT_T0_E_clISt17integral_constantIbLb0EES1D_IbLb1EEEEDaS19_S1A_EUlS19_E_NS1_11comp_targetILNS1_3genE0ELNS1_11target_archE4294967295ELNS1_3gpuE0ELNS1_3repE0EEENS1_30default_config_static_selectorELNS0_4arch9wavefront6targetE0EEEvT1_, .Lfunc_end618-_ZN7rocprim17ROCPRIM_400000_NS6detail17trampoline_kernelINS0_14default_configENS1_25partition_config_selectorILNS1_17partition_subalgoE5ElNS0_10empty_typeEbEEZZNS1_14partition_implILS5_5ELb0ES3_mN6hipcub16HIPCUB_304000_NS21CountingInputIteratorIllEEPS6_NSA_22TransformInputIteratorIbN2at6native12_GLOBAL__N_19NonZeroOpIN3c107complexIfEEEEPKSL_lEENS0_5tupleIJPlS6_EEENSQ_IJSD_SD_EEES6_PiJS6_EEE10hipError_tPvRmT3_T4_T5_T6_T7_T9_mT8_P12ihipStream_tbDpT10_ENKUlT_T0_E_clISt17integral_constantIbLb0EES1D_IbLb1EEEEDaS19_S1A_EUlS19_E_NS1_11comp_targetILNS1_3genE0ELNS1_11target_archE4294967295ELNS1_3gpuE0ELNS1_3repE0EEENS1_30default_config_static_selectorELNS0_4arch9wavefront6targetE0EEEvT1_
                                        ; -- End function
	.set _ZN7rocprim17ROCPRIM_400000_NS6detail17trampoline_kernelINS0_14default_configENS1_25partition_config_selectorILNS1_17partition_subalgoE5ElNS0_10empty_typeEbEEZZNS1_14partition_implILS5_5ELb0ES3_mN6hipcub16HIPCUB_304000_NS21CountingInputIteratorIllEEPS6_NSA_22TransformInputIteratorIbN2at6native12_GLOBAL__N_19NonZeroOpIN3c107complexIfEEEEPKSL_lEENS0_5tupleIJPlS6_EEENSQ_IJSD_SD_EEES6_PiJS6_EEE10hipError_tPvRmT3_T4_T5_T6_T7_T9_mT8_P12ihipStream_tbDpT10_ENKUlT_T0_E_clISt17integral_constantIbLb0EES1D_IbLb1EEEEDaS19_S1A_EUlS19_E_NS1_11comp_targetILNS1_3genE0ELNS1_11target_archE4294967295ELNS1_3gpuE0ELNS1_3repE0EEENS1_30default_config_static_selectorELNS0_4arch9wavefront6targetE0EEEvT1_.num_vgpr, 0
	.set _ZN7rocprim17ROCPRIM_400000_NS6detail17trampoline_kernelINS0_14default_configENS1_25partition_config_selectorILNS1_17partition_subalgoE5ElNS0_10empty_typeEbEEZZNS1_14partition_implILS5_5ELb0ES3_mN6hipcub16HIPCUB_304000_NS21CountingInputIteratorIllEEPS6_NSA_22TransformInputIteratorIbN2at6native12_GLOBAL__N_19NonZeroOpIN3c107complexIfEEEEPKSL_lEENS0_5tupleIJPlS6_EEENSQ_IJSD_SD_EEES6_PiJS6_EEE10hipError_tPvRmT3_T4_T5_T6_T7_T9_mT8_P12ihipStream_tbDpT10_ENKUlT_T0_E_clISt17integral_constantIbLb0EES1D_IbLb1EEEEDaS19_S1A_EUlS19_E_NS1_11comp_targetILNS1_3genE0ELNS1_11target_archE4294967295ELNS1_3gpuE0ELNS1_3repE0EEENS1_30default_config_static_selectorELNS0_4arch9wavefront6targetE0EEEvT1_.num_agpr, 0
	.set _ZN7rocprim17ROCPRIM_400000_NS6detail17trampoline_kernelINS0_14default_configENS1_25partition_config_selectorILNS1_17partition_subalgoE5ElNS0_10empty_typeEbEEZZNS1_14partition_implILS5_5ELb0ES3_mN6hipcub16HIPCUB_304000_NS21CountingInputIteratorIllEEPS6_NSA_22TransformInputIteratorIbN2at6native12_GLOBAL__N_19NonZeroOpIN3c107complexIfEEEEPKSL_lEENS0_5tupleIJPlS6_EEENSQ_IJSD_SD_EEES6_PiJS6_EEE10hipError_tPvRmT3_T4_T5_T6_T7_T9_mT8_P12ihipStream_tbDpT10_ENKUlT_T0_E_clISt17integral_constantIbLb0EES1D_IbLb1EEEEDaS19_S1A_EUlS19_E_NS1_11comp_targetILNS1_3genE0ELNS1_11target_archE4294967295ELNS1_3gpuE0ELNS1_3repE0EEENS1_30default_config_static_selectorELNS0_4arch9wavefront6targetE0EEEvT1_.numbered_sgpr, 0
	.set _ZN7rocprim17ROCPRIM_400000_NS6detail17trampoline_kernelINS0_14default_configENS1_25partition_config_selectorILNS1_17partition_subalgoE5ElNS0_10empty_typeEbEEZZNS1_14partition_implILS5_5ELb0ES3_mN6hipcub16HIPCUB_304000_NS21CountingInputIteratorIllEEPS6_NSA_22TransformInputIteratorIbN2at6native12_GLOBAL__N_19NonZeroOpIN3c107complexIfEEEEPKSL_lEENS0_5tupleIJPlS6_EEENSQ_IJSD_SD_EEES6_PiJS6_EEE10hipError_tPvRmT3_T4_T5_T6_T7_T9_mT8_P12ihipStream_tbDpT10_ENKUlT_T0_E_clISt17integral_constantIbLb0EES1D_IbLb1EEEEDaS19_S1A_EUlS19_E_NS1_11comp_targetILNS1_3genE0ELNS1_11target_archE4294967295ELNS1_3gpuE0ELNS1_3repE0EEENS1_30default_config_static_selectorELNS0_4arch9wavefront6targetE0EEEvT1_.num_named_barrier, 0
	.set _ZN7rocprim17ROCPRIM_400000_NS6detail17trampoline_kernelINS0_14default_configENS1_25partition_config_selectorILNS1_17partition_subalgoE5ElNS0_10empty_typeEbEEZZNS1_14partition_implILS5_5ELb0ES3_mN6hipcub16HIPCUB_304000_NS21CountingInputIteratorIllEEPS6_NSA_22TransformInputIteratorIbN2at6native12_GLOBAL__N_19NonZeroOpIN3c107complexIfEEEEPKSL_lEENS0_5tupleIJPlS6_EEENSQ_IJSD_SD_EEES6_PiJS6_EEE10hipError_tPvRmT3_T4_T5_T6_T7_T9_mT8_P12ihipStream_tbDpT10_ENKUlT_T0_E_clISt17integral_constantIbLb0EES1D_IbLb1EEEEDaS19_S1A_EUlS19_E_NS1_11comp_targetILNS1_3genE0ELNS1_11target_archE4294967295ELNS1_3gpuE0ELNS1_3repE0EEENS1_30default_config_static_selectorELNS0_4arch9wavefront6targetE0EEEvT1_.private_seg_size, 0
	.set _ZN7rocprim17ROCPRIM_400000_NS6detail17trampoline_kernelINS0_14default_configENS1_25partition_config_selectorILNS1_17partition_subalgoE5ElNS0_10empty_typeEbEEZZNS1_14partition_implILS5_5ELb0ES3_mN6hipcub16HIPCUB_304000_NS21CountingInputIteratorIllEEPS6_NSA_22TransformInputIteratorIbN2at6native12_GLOBAL__N_19NonZeroOpIN3c107complexIfEEEEPKSL_lEENS0_5tupleIJPlS6_EEENSQ_IJSD_SD_EEES6_PiJS6_EEE10hipError_tPvRmT3_T4_T5_T6_T7_T9_mT8_P12ihipStream_tbDpT10_ENKUlT_T0_E_clISt17integral_constantIbLb0EES1D_IbLb1EEEEDaS19_S1A_EUlS19_E_NS1_11comp_targetILNS1_3genE0ELNS1_11target_archE4294967295ELNS1_3gpuE0ELNS1_3repE0EEENS1_30default_config_static_selectorELNS0_4arch9wavefront6targetE0EEEvT1_.uses_vcc, 0
	.set _ZN7rocprim17ROCPRIM_400000_NS6detail17trampoline_kernelINS0_14default_configENS1_25partition_config_selectorILNS1_17partition_subalgoE5ElNS0_10empty_typeEbEEZZNS1_14partition_implILS5_5ELb0ES3_mN6hipcub16HIPCUB_304000_NS21CountingInputIteratorIllEEPS6_NSA_22TransformInputIteratorIbN2at6native12_GLOBAL__N_19NonZeroOpIN3c107complexIfEEEEPKSL_lEENS0_5tupleIJPlS6_EEENSQ_IJSD_SD_EEES6_PiJS6_EEE10hipError_tPvRmT3_T4_T5_T6_T7_T9_mT8_P12ihipStream_tbDpT10_ENKUlT_T0_E_clISt17integral_constantIbLb0EES1D_IbLb1EEEEDaS19_S1A_EUlS19_E_NS1_11comp_targetILNS1_3genE0ELNS1_11target_archE4294967295ELNS1_3gpuE0ELNS1_3repE0EEENS1_30default_config_static_selectorELNS0_4arch9wavefront6targetE0EEEvT1_.uses_flat_scratch, 0
	.set _ZN7rocprim17ROCPRIM_400000_NS6detail17trampoline_kernelINS0_14default_configENS1_25partition_config_selectorILNS1_17partition_subalgoE5ElNS0_10empty_typeEbEEZZNS1_14partition_implILS5_5ELb0ES3_mN6hipcub16HIPCUB_304000_NS21CountingInputIteratorIllEEPS6_NSA_22TransformInputIteratorIbN2at6native12_GLOBAL__N_19NonZeroOpIN3c107complexIfEEEEPKSL_lEENS0_5tupleIJPlS6_EEENSQ_IJSD_SD_EEES6_PiJS6_EEE10hipError_tPvRmT3_T4_T5_T6_T7_T9_mT8_P12ihipStream_tbDpT10_ENKUlT_T0_E_clISt17integral_constantIbLb0EES1D_IbLb1EEEEDaS19_S1A_EUlS19_E_NS1_11comp_targetILNS1_3genE0ELNS1_11target_archE4294967295ELNS1_3gpuE0ELNS1_3repE0EEENS1_30default_config_static_selectorELNS0_4arch9wavefront6targetE0EEEvT1_.has_dyn_sized_stack, 0
	.set _ZN7rocprim17ROCPRIM_400000_NS6detail17trampoline_kernelINS0_14default_configENS1_25partition_config_selectorILNS1_17partition_subalgoE5ElNS0_10empty_typeEbEEZZNS1_14partition_implILS5_5ELb0ES3_mN6hipcub16HIPCUB_304000_NS21CountingInputIteratorIllEEPS6_NSA_22TransformInputIteratorIbN2at6native12_GLOBAL__N_19NonZeroOpIN3c107complexIfEEEEPKSL_lEENS0_5tupleIJPlS6_EEENSQ_IJSD_SD_EEES6_PiJS6_EEE10hipError_tPvRmT3_T4_T5_T6_T7_T9_mT8_P12ihipStream_tbDpT10_ENKUlT_T0_E_clISt17integral_constantIbLb0EES1D_IbLb1EEEEDaS19_S1A_EUlS19_E_NS1_11comp_targetILNS1_3genE0ELNS1_11target_archE4294967295ELNS1_3gpuE0ELNS1_3repE0EEENS1_30default_config_static_selectorELNS0_4arch9wavefront6targetE0EEEvT1_.has_recursion, 0
	.set _ZN7rocprim17ROCPRIM_400000_NS6detail17trampoline_kernelINS0_14default_configENS1_25partition_config_selectorILNS1_17partition_subalgoE5ElNS0_10empty_typeEbEEZZNS1_14partition_implILS5_5ELb0ES3_mN6hipcub16HIPCUB_304000_NS21CountingInputIteratorIllEEPS6_NSA_22TransformInputIteratorIbN2at6native12_GLOBAL__N_19NonZeroOpIN3c107complexIfEEEEPKSL_lEENS0_5tupleIJPlS6_EEENSQ_IJSD_SD_EEES6_PiJS6_EEE10hipError_tPvRmT3_T4_T5_T6_T7_T9_mT8_P12ihipStream_tbDpT10_ENKUlT_T0_E_clISt17integral_constantIbLb0EES1D_IbLb1EEEEDaS19_S1A_EUlS19_E_NS1_11comp_targetILNS1_3genE0ELNS1_11target_archE4294967295ELNS1_3gpuE0ELNS1_3repE0EEENS1_30default_config_static_selectorELNS0_4arch9wavefront6targetE0EEEvT1_.has_indirect_call, 0
	.section	.AMDGPU.csdata,"",@progbits
; Kernel info:
; codeLenInByte = 0
; TotalNumSgprs: 0
; NumVgprs: 0
; ScratchSize: 0
; MemoryBound: 0
; FloatMode: 240
; IeeeMode: 1
; LDSByteSize: 0 bytes/workgroup (compile time only)
; SGPRBlocks: 0
; VGPRBlocks: 0
; NumSGPRsForWavesPerEU: 1
; NumVGPRsForWavesPerEU: 1
; Occupancy: 16
; WaveLimiterHint : 0
; COMPUTE_PGM_RSRC2:SCRATCH_EN: 0
; COMPUTE_PGM_RSRC2:USER_SGPR: 2
; COMPUTE_PGM_RSRC2:TRAP_HANDLER: 0
; COMPUTE_PGM_RSRC2:TGID_X_EN: 1
; COMPUTE_PGM_RSRC2:TGID_Y_EN: 0
; COMPUTE_PGM_RSRC2:TGID_Z_EN: 0
; COMPUTE_PGM_RSRC2:TIDIG_COMP_CNT: 0
	.section	.text._ZN7rocprim17ROCPRIM_400000_NS6detail17trampoline_kernelINS0_14default_configENS1_25partition_config_selectorILNS1_17partition_subalgoE5ElNS0_10empty_typeEbEEZZNS1_14partition_implILS5_5ELb0ES3_mN6hipcub16HIPCUB_304000_NS21CountingInputIteratorIllEEPS6_NSA_22TransformInputIteratorIbN2at6native12_GLOBAL__N_19NonZeroOpIN3c107complexIfEEEEPKSL_lEENS0_5tupleIJPlS6_EEENSQ_IJSD_SD_EEES6_PiJS6_EEE10hipError_tPvRmT3_T4_T5_T6_T7_T9_mT8_P12ihipStream_tbDpT10_ENKUlT_T0_E_clISt17integral_constantIbLb0EES1D_IbLb1EEEEDaS19_S1A_EUlS19_E_NS1_11comp_targetILNS1_3genE5ELNS1_11target_archE942ELNS1_3gpuE9ELNS1_3repE0EEENS1_30default_config_static_selectorELNS0_4arch9wavefront6targetE0EEEvT1_,"axG",@progbits,_ZN7rocprim17ROCPRIM_400000_NS6detail17trampoline_kernelINS0_14default_configENS1_25partition_config_selectorILNS1_17partition_subalgoE5ElNS0_10empty_typeEbEEZZNS1_14partition_implILS5_5ELb0ES3_mN6hipcub16HIPCUB_304000_NS21CountingInputIteratorIllEEPS6_NSA_22TransformInputIteratorIbN2at6native12_GLOBAL__N_19NonZeroOpIN3c107complexIfEEEEPKSL_lEENS0_5tupleIJPlS6_EEENSQ_IJSD_SD_EEES6_PiJS6_EEE10hipError_tPvRmT3_T4_T5_T6_T7_T9_mT8_P12ihipStream_tbDpT10_ENKUlT_T0_E_clISt17integral_constantIbLb0EES1D_IbLb1EEEEDaS19_S1A_EUlS19_E_NS1_11comp_targetILNS1_3genE5ELNS1_11target_archE942ELNS1_3gpuE9ELNS1_3repE0EEENS1_30default_config_static_selectorELNS0_4arch9wavefront6targetE0EEEvT1_,comdat
	.globl	_ZN7rocprim17ROCPRIM_400000_NS6detail17trampoline_kernelINS0_14default_configENS1_25partition_config_selectorILNS1_17partition_subalgoE5ElNS0_10empty_typeEbEEZZNS1_14partition_implILS5_5ELb0ES3_mN6hipcub16HIPCUB_304000_NS21CountingInputIteratorIllEEPS6_NSA_22TransformInputIteratorIbN2at6native12_GLOBAL__N_19NonZeroOpIN3c107complexIfEEEEPKSL_lEENS0_5tupleIJPlS6_EEENSQ_IJSD_SD_EEES6_PiJS6_EEE10hipError_tPvRmT3_T4_T5_T6_T7_T9_mT8_P12ihipStream_tbDpT10_ENKUlT_T0_E_clISt17integral_constantIbLb0EES1D_IbLb1EEEEDaS19_S1A_EUlS19_E_NS1_11comp_targetILNS1_3genE5ELNS1_11target_archE942ELNS1_3gpuE9ELNS1_3repE0EEENS1_30default_config_static_selectorELNS0_4arch9wavefront6targetE0EEEvT1_ ; -- Begin function _ZN7rocprim17ROCPRIM_400000_NS6detail17trampoline_kernelINS0_14default_configENS1_25partition_config_selectorILNS1_17partition_subalgoE5ElNS0_10empty_typeEbEEZZNS1_14partition_implILS5_5ELb0ES3_mN6hipcub16HIPCUB_304000_NS21CountingInputIteratorIllEEPS6_NSA_22TransformInputIteratorIbN2at6native12_GLOBAL__N_19NonZeroOpIN3c107complexIfEEEEPKSL_lEENS0_5tupleIJPlS6_EEENSQ_IJSD_SD_EEES6_PiJS6_EEE10hipError_tPvRmT3_T4_T5_T6_T7_T9_mT8_P12ihipStream_tbDpT10_ENKUlT_T0_E_clISt17integral_constantIbLb0EES1D_IbLb1EEEEDaS19_S1A_EUlS19_E_NS1_11comp_targetILNS1_3genE5ELNS1_11target_archE942ELNS1_3gpuE9ELNS1_3repE0EEENS1_30default_config_static_selectorELNS0_4arch9wavefront6targetE0EEEvT1_
	.p2align	8
	.type	_ZN7rocprim17ROCPRIM_400000_NS6detail17trampoline_kernelINS0_14default_configENS1_25partition_config_selectorILNS1_17partition_subalgoE5ElNS0_10empty_typeEbEEZZNS1_14partition_implILS5_5ELb0ES3_mN6hipcub16HIPCUB_304000_NS21CountingInputIteratorIllEEPS6_NSA_22TransformInputIteratorIbN2at6native12_GLOBAL__N_19NonZeroOpIN3c107complexIfEEEEPKSL_lEENS0_5tupleIJPlS6_EEENSQ_IJSD_SD_EEES6_PiJS6_EEE10hipError_tPvRmT3_T4_T5_T6_T7_T9_mT8_P12ihipStream_tbDpT10_ENKUlT_T0_E_clISt17integral_constantIbLb0EES1D_IbLb1EEEEDaS19_S1A_EUlS19_E_NS1_11comp_targetILNS1_3genE5ELNS1_11target_archE942ELNS1_3gpuE9ELNS1_3repE0EEENS1_30default_config_static_selectorELNS0_4arch9wavefront6targetE0EEEvT1_,@function
_ZN7rocprim17ROCPRIM_400000_NS6detail17trampoline_kernelINS0_14default_configENS1_25partition_config_selectorILNS1_17partition_subalgoE5ElNS0_10empty_typeEbEEZZNS1_14partition_implILS5_5ELb0ES3_mN6hipcub16HIPCUB_304000_NS21CountingInputIteratorIllEEPS6_NSA_22TransformInputIteratorIbN2at6native12_GLOBAL__N_19NonZeroOpIN3c107complexIfEEEEPKSL_lEENS0_5tupleIJPlS6_EEENSQ_IJSD_SD_EEES6_PiJS6_EEE10hipError_tPvRmT3_T4_T5_T6_T7_T9_mT8_P12ihipStream_tbDpT10_ENKUlT_T0_E_clISt17integral_constantIbLb0EES1D_IbLb1EEEEDaS19_S1A_EUlS19_E_NS1_11comp_targetILNS1_3genE5ELNS1_11target_archE942ELNS1_3gpuE9ELNS1_3repE0EEENS1_30default_config_static_selectorELNS0_4arch9wavefront6targetE0EEEvT1_: ; @_ZN7rocprim17ROCPRIM_400000_NS6detail17trampoline_kernelINS0_14default_configENS1_25partition_config_selectorILNS1_17partition_subalgoE5ElNS0_10empty_typeEbEEZZNS1_14partition_implILS5_5ELb0ES3_mN6hipcub16HIPCUB_304000_NS21CountingInputIteratorIllEEPS6_NSA_22TransformInputIteratorIbN2at6native12_GLOBAL__N_19NonZeroOpIN3c107complexIfEEEEPKSL_lEENS0_5tupleIJPlS6_EEENSQ_IJSD_SD_EEES6_PiJS6_EEE10hipError_tPvRmT3_T4_T5_T6_T7_T9_mT8_P12ihipStream_tbDpT10_ENKUlT_T0_E_clISt17integral_constantIbLb0EES1D_IbLb1EEEEDaS19_S1A_EUlS19_E_NS1_11comp_targetILNS1_3genE5ELNS1_11target_archE942ELNS1_3gpuE9ELNS1_3repE0EEENS1_30default_config_static_selectorELNS0_4arch9wavefront6targetE0EEEvT1_
; %bb.0:
	.section	.rodata,"a",@progbits
	.p2align	6, 0x0
	.amdhsa_kernel _ZN7rocprim17ROCPRIM_400000_NS6detail17trampoline_kernelINS0_14default_configENS1_25partition_config_selectorILNS1_17partition_subalgoE5ElNS0_10empty_typeEbEEZZNS1_14partition_implILS5_5ELb0ES3_mN6hipcub16HIPCUB_304000_NS21CountingInputIteratorIllEEPS6_NSA_22TransformInputIteratorIbN2at6native12_GLOBAL__N_19NonZeroOpIN3c107complexIfEEEEPKSL_lEENS0_5tupleIJPlS6_EEENSQ_IJSD_SD_EEES6_PiJS6_EEE10hipError_tPvRmT3_T4_T5_T6_T7_T9_mT8_P12ihipStream_tbDpT10_ENKUlT_T0_E_clISt17integral_constantIbLb0EES1D_IbLb1EEEEDaS19_S1A_EUlS19_E_NS1_11comp_targetILNS1_3genE5ELNS1_11target_archE942ELNS1_3gpuE9ELNS1_3repE0EEENS1_30default_config_static_selectorELNS0_4arch9wavefront6targetE0EEEvT1_
		.amdhsa_group_segment_fixed_size 0
		.amdhsa_private_segment_fixed_size 0
		.amdhsa_kernarg_size 136
		.amdhsa_user_sgpr_count 2
		.amdhsa_user_sgpr_dispatch_ptr 0
		.amdhsa_user_sgpr_queue_ptr 0
		.amdhsa_user_sgpr_kernarg_segment_ptr 1
		.amdhsa_user_sgpr_dispatch_id 0
		.amdhsa_user_sgpr_private_segment_size 0
		.amdhsa_wavefront_size32 1
		.amdhsa_uses_dynamic_stack 0
		.amdhsa_enable_private_segment 0
		.amdhsa_system_sgpr_workgroup_id_x 1
		.amdhsa_system_sgpr_workgroup_id_y 0
		.amdhsa_system_sgpr_workgroup_id_z 0
		.amdhsa_system_sgpr_workgroup_info 0
		.amdhsa_system_vgpr_workitem_id 0
		.amdhsa_next_free_vgpr 1
		.amdhsa_next_free_sgpr 1
		.amdhsa_reserve_vcc 0
		.amdhsa_float_round_mode_32 0
		.amdhsa_float_round_mode_16_64 0
		.amdhsa_float_denorm_mode_32 3
		.amdhsa_float_denorm_mode_16_64 3
		.amdhsa_fp16_overflow 0
		.amdhsa_workgroup_processor_mode 1
		.amdhsa_memory_ordered 1
		.amdhsa_forward_progress 1
		.amdhsa_inst_pref_size 0
		.amdhsa_round_robin_scheduling 0
		.amdhsa_exception_fp_ieee_invalid_op 0
		.amdhsa_exception_fp_denorm_src 0
		.amdhsa_exception_fp_ieee_div_zero 0
		.amdhsa_exception_fp_ieee_overflow 0
		.amdhsa_exception_fp_ieee_underflow 0
		.amdhsa_exception_fp_ieee_inexact 0
		.amdhsa_exception_int_div_zero 0
	.end_amdhsa_kernel
	.section	.text._ZN7rocprim17ROCPRIM_400000_NS6detail17trampoline_kernelINS0_14default_configENS1_25partition_config_selectorILNS1_17partition_subalgoE5ElNS0_10empty_typeEbEEZZNS1_14partition_implILS5_5ELb0ES3_mN6hipcub16HIPCUB_304000_NS21CountingInputIteratorIllEEPS6_NSA_22TransformInputIteratorIbN2at6native12_GLOBAL__N_19NonZeroOpIN3c107complexIfEEEEPKSL_lEENS0_5tupleIJPlS6_EEENSQ_IJSD_SD_EEES6_PiJS6_EEE10hipError_tPvRmT3_T4_T5_T6_T7_T9_mT8_P12ihipStream_tbDpT10_ENKUlT_T0_E_clISt17integral_constantIbLb0EES1D_IbLb1EEEEDaS19_S1A_EUlS19_E_NS1_11comp_targetILNS1_3genE5ELNS1_11target_archE942ELNS1_3gpuE9ELNS1_3repE0EEENS1_30default_config_static_selectorELNS0_4arch9wavefront6targetE0EEEvT1_,"axG",@progbits,_ZN7rocprim17ROCPRIM_400000_NS6detail17trampoline_kernelINS0_14default_configENS1_25partition_config_selectorILNS1_17partition_subalgoE5ElNS0_10empty_typeEbEEZZNS1_14partition_implILS5_5ELb0ES3_mN6hipcub16HIPCUB_304000_NS21CountingInputIteratorIllEEPS6_NSA_22TransformInputIteratorIbN2at6native12_GLOBAL__N_19NonZeroOpIN3c107complexIfEEEEPKSL_lEENS0_5tupleIJPlS6_EEENSQ_IJSD_SD_EEES6_PiJS6_EEE10hipError_tPvRmT3_T4_T5_T6_T7_T9_mT8_P12ihipStream_tbDpT10_ENKUlT_T0_E_clISt17integral_constantIbLb0EES1D_IbLb1EEEEDaS19_S1A_EUlS19_E_NS1_11comp_targetILNS1_3genE5ELNS1_11target_archE942ELNS1_3gpuE9ELNS1_3repE0EEENS1_30default_config_static_selectorELNS0_4arch9wavefront6targetE0EEEvT1_,comdat
.Lfunc_end619:
	.size	_ZN7rocprim17ROCPRIM_400000_NS6detail17trampoline_kernelINS0_14default_configENS1_25partition_config_selectorILNS1_17partition_subalgoE5ElNS0_10empty_typeEbEEZZNS1_14partition_implILS5_5ELb0ES3_mN6hipcub16HIPCUB_304000_NS21CountingInputIteratorIllEEPS6_NSA_22TransformInputIteratorIbN2at6native12_GLOBAL__N_19NonZeroOpIN3c107complexIfEEEEPKSL_lEENS0_5tupleIJPlS6_EEENSQ_IJSD_SD_EEES6_PiJS6_EEE10hipError_tPvRmT3_T4_T5_T6_T7_T9_mT8_P12ihipStream_tbDpT10_ENKUlT_T0_E_clISt17integral_constantIbLb0EES1D_IbLb1EEEEDaS19_S1A_EUlS19_E_NS1_11comp_targetILNS1_3genE5ELNS1_11target_archE942ELNS1_3gpuE9ELNS1_3repE0EEENS1_30default_config_static_selectorELNS0_4arch9wavefront6targetE0EEEvT1_, .Lfunc_end619-_ZN7rocprim17ROCPRIM_400000_NS6detail17trampoline_kernelINS0_14default_configENS1_25partition_config_selectorILNS1_17partition_subalgoE5ElNS0_10empty_typeEbEEZZNS1_14partition_implILS5_5ELb0ES3_mN6hipcub16HIPCUB_304000_NS21CountingInputIteratorIllEEPS6_NSA_22TransformInputIteratorIbN2at6native12_GLOBAL__N_19NonZeroOpIN3c107complexIfEEEEPKSL_lEENS0_5tupleIJPlS6_EEENSQ_IJSD_SD_EEES6_PiJS6_EEE10hipError_tPvRmT3_T4_T5_T6_T7_T9_mT8_P12ihipStream_tbDpT10_ENKUlT_T0_E_clISt17integral_constantIbLb0EES1D_IbLb1EEEEDaS19_S1A_EUlS19_E_NS1_11comp_targetILNS1_3genE5ELNS1_11target_archE942ELNS1_3gpuE9ELNS1_3repE0EEENS1_30default_config_static_selectorELNS0_4arch9wavefront6targetE0EEEvT1_
                                        ; -- End function
	.set _ZN7rocprim17ROCPRIM_400000_NS6detail17trampoline_kernelINS0_14default_configENS1_25partition_config_selectorILNS1_17partition_subalgoE5ElNS0_10empty_typeEbEEZZNS1_14partition_implILS5_5ELb0ES3_mN6hipcub16HIPCUB_304000_NS21CountingInputIteratorIllEEPS6_NSA_22TransformInputIteratorIbN2at6native12_GLOBAL__N_19NonZeroOpIN3c107complexIfEEEEPKSL_lEENS0_5tupleIJPlS6_EEENSQ_IJSD_SD_EEES6_PiJS6_EEE10hipError_tPvRmT3_T4_T5_T6_T7_T9_mT8_P12ihipStream_tbDpT10_ENKUlT_T0_E_clISt17integral_constantIbLb0EES1D_IbLb1EEEEDaS19_S1A_EUlS19_E_NS1_11comp_targetILNS1_3genE5ELNS1_11target_archE942ELNS1_3gpuE9ELNS1_3repE0EEENS1_30default_config_static_selectorELNS0_4arch9wavefront6targetE0EEEvT1_.num_vgpr, 0
	.set _ZN7rocprim17ROCPRIM_400000_NS6detail17trampoline_kernelINS0_14default_configENS1_25partition_config_selectorILNS1_17partition_subalgoE5ElNS0_10empty_typeEbEEZZNS1_14partition_implILS5_5ELb0ES3_mN6hipcub16HIPCUB_304000_NS21CountingInputIteratorIllEEPS6_NSA_22TransformInputIteratorIbN2at6native12_GLOBAL__N_19NonZeroOpIN3c107complexIfEEEEPKSL_lEENS0_5tupleIJPlS6_EEENSQ_IJSD_SD_EEES6_PiJS6_EEE10hipError_tPvRmT3_T4_T5_T6_T7_T9_mT8_P12ihipStream_tbDpT10_ENKUlT_T0_E_clISt17integral_constantIbLb0EES1D_IbLb1EEEEDaS19_S1A_EUlS19_E_NS1_11comp_targetILNS1_3genE5ELNS1_11target_archE942ELNS1_3gpuE9ELNS1_3repE0EEENS1_30default_config_static_selectorELNS0_4arch9wavefront6targetE0EEEvT1_.num_agpr, 0
	.set _ZN7rocprim17ROCPRIM_400000_NS6detail17trampoline_kernelINS0_14default_configENS1_25partition_config_selectorILNS1_17partition_subalgoE5ElNS0_10empty_typeEbEEZZNS1_14partition_implILS5_5ELb0ES3_mN6hipcub16HIPCUB_304000_NS21CountingInputIteratorIllEEPS6_NSA_22TransformInputIteratorIbN2at6native12_GLOBAL__N_19NonZeroOpIN3c107complexIfEEEEPKSL_lEENS0_5tupleIJPlS6_EEENSQ_IJSD_SD_EEES6_PiJS6_EEE10hipError_tPvRmT3_T4_T5_T6_T7_T9_mT8_P12ihipStream_tbDpT10_ENKUlT_T0_E_clISt17integral_constantIbLb0EES1D_IbLb1EEEEDaS19_S1A_EUlS19_E_NS1_11comp_targetILNS1_3genE5ELNS1_11target_archE942ELNS1_3gpuE9ELNS1_3repE0EEENS1_30default_config_static_selectorELNS0_4arch9wavefront6targetE0EEEvT1_.numbered_sgpr, 0
	.set _ZN7rocprim17ROCPRIM_400000_NS6detail17trampoline_kernelINS0_14default_configENS1_25partition_config_selectorILNS1_17partition_subalgoE5ElNS0_10empty_typeEbEEZZNS1_14partition_implILS5_5ELb0ES3_mN6hipcub16HIPCUB_304000_NS21CountingInputIteratorIllEEPS6_NSA_22TransformInputIteratorIbN2at6native12_GLOBAL__N_19NonZeroOpIN3c107complexIfEEEEPKSL_lEENS0_5tupleIJPlS6_EEENSQ_IJSD_SD_EEES6_PiJS6_EEE10hipError_tPvRmT3_T4_T5_T6_T7_T9_mT8_P12ihipStream_tbDpT10_ENKUlT_T0_E_clISt17integral_constantIbLb0EES1D_IbLb1EEEEDaS19_S1A_EUlS19_E_NS1_11comp_targetILNS1_3genE5ELNS1_11target_archE942ELNS1_3gpuE9ELNS1_3repE0EEENS1_30default_config_static_selectorELNS0_4arch9wavefront6targetE0EEEvT1_.num_named_barrier, 0
	.set _ZN7rocprim17ROCPRIM_400000_NS6detail17trampoline_kernelINS0_14default_configENS1_25partition_config_selectorILNS1_17partition_subalgoE5ElNS0_10empty_typeEbEEZZNS1_14partition_implILS5_5ELb0ES3_mN6hipcub16HIPCUB_304000_NS21CountingInputIteratorIllEEPS6_NSA_22TransformInputIteratorIbN2at6native12_GLOBAL__N_19NonZeroOpIN3c107complexIfEEEEPKSL_lEENS0_5tupleIJPlS6_EEENSQ_IJSD_SD_EEES6_PiJS6_EEE10hipError_tPvRmT3_T4_T5_T6_T7_T9_mT8_P12ihipStream_tbDpT10_ENKUlT_T0_E_clISt17integral_constantIbLb0EES1D_IbLb1EEEEDaS19_S1A_EUlS19_E_NS1_11comp_targetILNS1_3genE5ELNS1_11target_archE942ELNS1_3gpuE9ELNS1_3repE0EEENS1_30default_config_static_selectorELNS0_4arch9wavefront6targetE0EEEvT1_.private_seg_size, 0
	.set _ZN7rocprim17ROCPRIM_400000_NS6detail17trampoline_kernelINS0_14default_configENS1_25partition_config_selectorILNS1_17partition_subalgoE5ElNS0_10empty_typeEbEEZZNS1_14partition_implILS5_5ELb0ES3_mN6hipcub16HIPCUB_304000_NS21CountingInputIteratorIllEEPS6_NSA_22TransformInputIteratorIbN2at6native12_GLOBAL__N_19NonZeroOpIN3c107complexIfEEEEPKSL_lEENS0_5tupleIJPlS6_EEENSQ_IJSD_SD_EEES6_PiJS6_EEE10hipError_tPvRmT3_T4_T5_T6_T7_T9_mT8_P12ihipStream_tbDpT10_ENKUlT_T0_E_clISt17integral_constantIbLb0EES1D_IbLb1EEEEDaS19_S1A_EUlS19_E_NS1_11comp_targetILNS1_3genE5ELNS1_11target_archE942ELNS1_3gpuE9ELNS1_3repE0EEENS1_30default_config_static_selectorELNS0_4arch9wavefront6targetE0EEEvT1_.uses_vcc, 0
	.set _ZN7rocprim17ROCPRIM_400000_NS6detail17trampoline_kernelINS0_14default_configENS1_25partition_config_selectorILNS1_17partition_subalgoE5ElNS0_10empty_typeEbEEZZNS1_14partition_implILS5_5ELb0ES3_mN6hipcub16HIPCUB_304000_NS21CountingInputIteratorIllEEPS6_NSA_22TransformInputIteratorIbN2at6native12_GLOBAL__N_19NonZeroOpIN3c107complexIfEEEEPKSL_lEENS0_5tupleIJPlS6_EEENSQ_IJSD_SD_EEES6_PiJS6_EEE10hipError_tPvRmT3_T4_T5_T6_T7_T9_mT8_P12ihipStream_tbDpT10_ENKUlT_T0_E_clISt17integral_constantIbLb0EES1D_IbLb1EEEEDaS19_S1A_EUlS19_E_NS1_11comp_targetILNS1_3genE5ELNS1_11target_archE942ELNS1_3gpuE9ELNS1_3repE0EEENS1_30default_config_static_selectorELNS0_4arch9wavefront6targetE0EEEvT1_.uses_flat_scratch, 0
	.set _ZN7rocprim17ROCPRIM_400000_NS6detail17trampoline_kernelINS0_14default_configENS1_25partition_config_selectorILNS1_17partition_subalgoE5ElNS0_10empty_typeEbEEZZNS1_14partition_implILS5_5ELb0ES3_mN6hipcub16HIPCUB_304000_NS21CountingInputIteratorIllEEPS6_NSA_22TransformInputIteratorIbN2at6native12_GLOBAL__N_19NonZeroOpIN3c107complexIfEEEEPKSL_lEENS0_5tupleIJPlS6_EEENSQ_IJSD_SD_EEES6_PiJS6_EEE10hipError_tPvRmT3_T4_T5_T6_T7_T9_mT8_P12ihipStream_tbDpT10_ENKUlT_T0_E_clISt17integral_constantIbLb0EES1D_IbLb1EEEEDaS19_S1A_EUlS19_E_NS1_11comp_targetILNS1_3genE5ELNS1_11target_archE942ELNS1_3gpuE9ELNS1_3repE0EEENS1_30default_config_static_selectorELNS0_4arch9wavefront6targetE0EEEvT1_.has_dyn_sized_stack, 0
	.set _ZN7rocprim17ROCPRIM_400000_NS6detail17trampoline_kernelINS0_14default_configENS1_25partition_config_selectorILNS1_17partition_subalgoE5ElNS0_10empty_typeEbEEZZNS1_14partition_implILS5_5ELb0ES3_mN6hipcub16HIPCUB_304000_NS21CountingInputIteratorIllEEPS6_NSA_22TransformInputIteratorIbN2at6native12_GLOBAL__N_19NonZeroOpIN3c107complexIfEEEEPKSL_lEENS0_5tupleIJPlS6_EEENSQ_IJSD_SD_EEES6_PiJS6_EEE10hipError_tPvRmT3_T4_T5_T6_T7_T9_mT8_P12ihipStream_tbDpT10_ENKUlT_T0_E_clISt17integral_constantIbLb0EES1D_IbLb1EEEEDaS19_S1A_EUlS19_E_NS1_11comp_targetILNS1_3genE5ELNS1_11target_archE942ELNS1_3gpuE9ELNS1_3repE0EEENS1_30default_config_static_selectorELNS0_4arch9wavefront6targetE0EEEvT1_.has_recursion, 0
	.set _ZN7rocprim17ROCPRIM_400000_NS6detail17trampoline_kernelINS0_14default_configENS1_25partition_config_selectorILNS1_17partition_subalgoE5ElNS0_10empty_typeEbEEZZNS1_14partition_implILS5_5ELb0ES3_mN6hipcub16HIPCUB_304000_NS21CountingInputIteratorIllEEPS6_NSA_22TransformInputIteratorIbN2at6native12_GLOBAL__N_19NonZeroOpIN3c107complexIfEEEEPKSL_lEENS0_5tupleIJPlS6_EEENSQ_IJSD_SD_EEES6_PiJS6_EEE10hipError_tPvRmT3_T4_T5_T6_T7_T9_mT8_P12ihipStream_tbDpT10_ENKUlT_T0_E_clISt17integral_constantIbLb0EES1D_IbLb1EEEEDaS19_S1A_EUlS19_E_NS1_11comp_targetILNS1_3genE5ELNS1_11target_archE942ELNS1_3gpuE9ELNS1_3repE0EEENS1_30default_config_static_selectorELNS0_4arch9wavefront6targetE0EEEvT1_.has_indirect_call, 0
	.section	.AMDGPU.csdata,"",@progbits
; Kernel info:
; codeLenInByte = 0
; TotalNumSgprs: 0
; NumVgprs: 0
; ScratchSize: 0
; MemoryBound: 0
; FloatMode: 240
; IeeeMode: 1
; LDSByteSize: 0 bytes/workgroup (compile time only)
; SGPRBlocks: 0
; VGPRBlocks: 0
; NumSGPRsForWavesPerEU: 1
; NumVGPRsForWavesPerEU: 1
; Occupancy: 16
; WaveLimiterHint : 0
; COMPUTE_PGM_RSRC2:SCRATCH_EN: 0
; COMPUTE_PGM_RSRC2:USER_SGPR: 2
; COMPUTE_PGM_RSRC2:TRAP_HANDLER: 0
; COMPUTE_PGM_RSRC2:TGID_X_EN: 1
; COMPUTE_PGM_RSRC2:TGID_Y_EN: 0
; COMPUTE_PGM_RSRC2:TGID_Z_EN: 0
; COMPUTE_PGM_RSRC2:TIDIG_COMP_CNT: 0
	.section	.text._ZN7rocprim17ROCPRIM_400000_NS6detail17trampoline_kernelINS0_14default_configENS1_25partition_config_selectorILNS1_17partition_subalgoE5ElNS0_10empty_typeEbEEZZNS1_14partition_implILS5_5ELb0ES3_mN6hipcub16HIPCUB_304000_NS21CountingInputIteratorIllEEPS6_NSA_22TransformInputIteratorIbN2at6native12_GLOBAL__N_19NonZeroOpIN3c107complexIfEEEEPKSL_lEENS0_5tupleIJPlS6_EEENSQ_IJSD_SD_EEES6_PiJS6_EEE10hipError_tPvRmT3_T4_T5_T6_T7_T9_mT8_P12ihipStream_tbDpT10_ENKUlT_T0_E_clISt17integral_constantIbLb0EES1D_IbLb1EEEEDaS19_S1A_EUlS19_E_NS1_11comp_targetILNS1_3genE4ELNS1_11target_archE910ELNS1_3gpuE8ELNS1_3repE0EEENS1_30default_config_static_selectorELNS0_4arch9wavefront6targetE0EEEvT1_,"axG",@progbits,_ZN7rocprim17ROCPRIM_400000_NS6detail17trampoline_kernelINS0_14default_configENS1_25partition_config_selectorILNS1_17partition_subalgoE5ElNS0_10empty_typeEbEEZZNS1_14partition_implILS5_5ELb0ES3_mN6hipcub16HIPCUB_304000_NS21CountingInputIteratorIllEEPS6_NSA_22TransformInputIteratorIbN2at6native12_GLOBAL__N_19NonZeroOpIN3c107complexIfEEEEPKSL_lEENS0_5tupleIJPlS6_EEENSQ_IJSD_SD_EEES6_PiJS6_EEE10hipError_tPvRmT3_T4_T5_T6_T7_T9_mT8_P12ihipStream_tbDpT10_ENKUlT_T0_E_clISt17integral_constantIbLb0EES1D_IbLb1EEEEDaS19_S1A_EUlS19_E_NS1_11comp_targetILNS1_3genE4ELNS1_11target_archE910ELNS1_3gpuE8ELNS1_3repE0EEENS1_30default_config_static_selectorELNS0_4arch9wavefront6targetE0EEEvT1_,comdat
	.globl	_ZN7rocprim17ROCPRIM_400000_NS6detail17trampoline_kernelINS0_14default_configENS1_25partition_config_selectorILNS1_17partition_subalgoE5ElNS0_10empty_typeEbEEZZNS1_14partition_implILS5_5ELb0ES3_mN6hipcub16HIPCUB_304000_NS21CountingInputIteratorIllEEPS6_NSA_22TransformInputIteratorIbN2at6native12_GLOBAL__N_19NonZeroOpIN3c107complexIfEEEEPKSL_lEENS0_5tupleIJPlS6_EEENSQ_IJSD_SD_EEES6_PiJS6_EEE10hipError_tPvRmT3_T4_T5_T6_T7_T9_mT8_P12ihipStream_tbDpT10_ENKUlT_T0_E_clISt17integral_constantIbLb0EES1D_IbLb1EEEEDaS19_S1A_EUlS19_E_NS1_11comp_targetILNS1_3genE4ELNS1_11target_archE910ELNS1_3gpuE8ELNS1_3repE0EEENS1_30default_config_static_selectorELNS0_4arch9wavefront6targetE0EEEvT1_ ; -- Begin function _ZN7rocprim17ROCPRIM_400000_NS6detail17trampoline_kernelINS0_14default_configENS1_25partition_config_selectorILNS1_17partition_subalgoE5ElNS0_10empty_typeEbEEZZNS1_14partition_implILS5_5ELb0ES3_mN6hipcub16HIPCUB_304000_NS21CountingInputIteratorIllEEPS6_NSA_22TransformInputIteratorIbN2at6native12_GLOBAL__N_19NonZeroOpIN3c107complexIfEEEEPKSL_lEENS0_5tupleIJPlS6_EEENSQ_IJSD_SD_EEES6_PiJS6_EEE10hipError_tPvRmT3_T4_T5_T6_T7_T9_mT8_P12ihipStream_tbDpT10_ENKUlT_T0_E_clISt17integral_constantIbLb0EES1D_IbLb1EEEEDaS19_S1A_EUlS19_E_NS1_11comp_targetILNS1_3genE4ELNS1_11target_archE910ELNS1_3gpuE8ELNS1_3repE0EEENS1_30default_config_static_selectorELNS0_4arch9wavefront6targetE0EEEvT1_
	.p2align	8
	.type	_ZN7rocprim17ROCPRIM_400000_NS6detail17trampoline_kernelINS0_14default_configENS1_25partition_config_selectorILNS1_17partition_subalgoE5ElNS0_10empty_typeEbEEZZNS1_14partition_implILS5_5ELb0ES3_mN6hipcub16HIPCUB_304000_NS21CountingInputIteratorIllEEPS6_NSA_22TransformInputIteratorIbN2at6native12_GLOBAL__N_19NonZeroOpIN3c107complexIfEEEEPKSL_lEENS0_5tupleIJPlS6_EEENSQ_IJSD_SD_EEES6_PiJS6_EEE10hipError_tPvRmT3_T4_T5_T6_T7_T9_mT8_P12ihipStream_tbDpT10_ENKUlT_T0_E_clISt17integral_constantIbLb0EES1D_IbLb1EEEEDaS19_S1A_EUlS19_E_NS1_11comp_targetILNS1_3genE4ELNS1_11target_archE910ELNS1_3gpuE8ELNS1_3repE0EEENS1_30default_config_static_selectorELNS0_4arch9wavefront6targetE0EEEvT1_,@function
_ZN7rocprim17ROCPRIM_400000_NS6detail17trampoline_kernelINS0_14default_configENS1_25partition_config_selectorILNS1_17partition_subalgoE5ElNS0_10empty_typeEbEEZZNS1_14partition_implILS5_5ELb0ES3_mN6hipcub16HIPCUB_304000_NS21CountingInputIteratorIllEEPS6_NSA_22TransformInputIteratorIbN2at6native12_GLOBAL__N_19NonZeroOpIN3c107complexIfEEEEPKSL_lEENS0_5tupleIJPlS6_EEENSQ_IJSD_SD_EEES6_PiJS6_EEE10hipError_tPvRmT3_T4_T5_T6_T7_T9_mT8_P12ihipStream_tbDpT10_ENKUlT_T0_E_clISt17integral_constantIbLb0EES1D_IbLb1EEEEDaS19_S1A_EUlS19_E_NS1_11comp_targetILNS1_3genE4ELNS1_11target_archE910ELNS1_3gpuE8ELNS1_3repE0EEENS1_30default_config_static_selectorELNS0_4arch9wavefront6targetE0EEEvT1_: ; @_ZN7rocprim17ROCPRIM_400000_NS6detail17trampoline_kernelINS0_14default_configENS1_25partition_config_selectorILNS1_17partition_subalgoE5ElNS0_10empty_typeEbEEZZNS1_14partition_implILS5_5ELb0ES3_mN6hipcub16HIPCUB_304000_NS21CountingInputIteratorIllEEPS6_NSA_22TransformInputIteratorIbN2at6native12_GLOBAL__N_19NonZeroOpIN3c107complexIfEEEEPKSL_lEENS0_5tupleIJPlS6_EEENSQ_IJSD_SD_EEES6_PiJS6_EEE10hipError_tPvRmT3_T4_T5_T6_T7_T9_mT8_P12ihipStream_tbDpT10_ENKUlT_T0_E_clISt17integral_constantIbLb0EES1D_IbLb1EEEEDaS19_S1A_EUlS19_E_NS1_11comp_targetILNS1_3genE4ELNS1_11target_archE910ELNS1_3gpuE8ELNS1_3repE0EEENS1_30default_config_static_selectorELNS0_4arch9wavefront6targetE0EEEvT1_
; %bb.0:
	.section	.rodata,"a",@progbits
	.p2align	6, 0x0
	.amdhsa_kernel _ZN7rocprim17ROCPRIM_400000_NS6detail17trampoline_kernelINS0_14default_configENS1_25partition_config_selectorILNS1_17partition_subalgoE5ElNS0_10empty_typeEbEEZZNS1_14partition_implILS5_5ELb0ES3_mN6hipcub16HIPCUB_304000_NS21CountingInputIteratorIllEEPS6_NSA_22TransformInputIteratorIbN2at6native12_GLOBAL__N_19NonZeroOpIN3c107complexIfEEEEPKSL_lEENS0_5tupleIJPlS6_EEENSQ_IJSD_SD_EEES6_PiJS6_EEE10hipError_tPvRmT3_T4_T5_T6_T7_T9_mT8_P12ihipStream_tbDpT10_ENKUlT_T0_E_clISt17integral_constantIbLb0EES1D_IbLb1EEEEDaS19_S1A_EUlS19_E_NS1_11comp_targetILNS1_3genE4ELNS1_11target_archE910ELNS1_3gpuE8ELNS1_3repE0EEENS1_30default_config_static_selectorELNS0_4arch9wavefront6targetE0EEEvT1_
		.amdhsa_group_segment_fixed_size 0
		.amdhsa_private_segment_fixed_size 0
		.amdhsa_kernarg_size 136
		.amdhsa_user_sgpr_count 2
		.amdhsa_user_sgpr_dispatch_ptr 0
		.amdhsa_user_sgpr_queue_ptr 0
		.amdhsa_user_sgpr_kernarg_segment_ptr 1
		.amdhsa_user_sgpr_dispatch_id 0
		.amdhsa_user_sgpr_private_segment_size 0
		.amdhsa_wavefront_size32 1
		.amdhsa_uses_dynamic_stack 0
		.amdhsa_enable_private_segment 0
		.amdhsa_system_sgpr_workgroup_id_x 1
		.amdhsa_system_sgpr_workgroup_id_y 0
		.amdhsa_system_sgpr_workgroup_id_z 0
		.amdhsa_system_sgpr_workgroup_info 0
		.amdhsa_system_vgpr_workitem_id 0
		.amdhsa_next_free_vgpr 1
		.amdhsa_next_free_sgpr 1
		.amdhsa_reserve_vcc 0
		.amdhsa_float_round_mode_32 0
		.amdhsa_float_round_mode_16_64 0
		.amdhsa_float_denorm_mode_32 3
		.amdhsa_float_denorm_mode_16_64 3
		.amdhsa_fp16_overflow 0
		.amdhsa_workgroup_processor_mode 1
		.amdhsa_memory_ordered 1
		.amdhsa_forward_progress 1
		.amdhsa_inst_pref_size 0
		.amdhsa_round_robin_scheduling 0
		.amdhsa_exception_fp_ieee_invalid_op 0
		.amdhsa_exception_fp_denorm_src 0
		.amdhsa_exception_fp_ieee_div_zero 0
		.amdhsa_exception_fp_ieee_overflow 0
		.amdhsa_exception_fp_ieee_underflow 0
		.amdhsa_exception_fp_ieee_inexact 0
		.amdhsa_exception_int_div_zero 0
	.end_amdhsa_kernel
	.section	.text._ZN7rocprim17ROCPRIM_400000_NS6detail17trampoline_kernelINS0_14default_configENS1_25partition_config_selectorILNS1_17partition_subalgoE5ElNS0_10empty_typeEbEEZZNS1_14partition_implILS5_5ELb0ES3_mN6hipcub16HIPCUB_304000_NS21CountingInputIteratorIllEEPS6_NSA_22TransformInputIteratorIbN2at6native12_GLOBAL__N_19NonZeroOpIN3c107complexIfEEEEPKSL_lEENS0_5tupleIJPlS6_EEENSQ_IJSD_SD_EEES6_PiJS6_EEE10hipError_tPvRmT3_T4_T5_T6_T7_T9_mT8_P12ihipStream_tbDpT10_ENKUlT_T0_E_clISt17integral_constantIbLb0EES1D_IbLb1EEEEDaS19_S1A_EUlS19_E_NS1_11comp_targetILNS1_3genE4ELNS1_11target_archE910ELNS1_3gpuE8ELNS1_3repE0EEENS1_30default_config_static_selectorELNS0_4arch9wavefront6targetE0EEEvT1_,"axG",@progbits,_ZN7rocprim17ROCPRIM_400000_NS6detail17trampoline_kernelINS0_14default_configENS1_25partition_config_selectorILNS1_17partition_subalgoE5ElNS0_10empty_typeEbEEZZNS1_14partition_implILS5_5ELb0ES3_mN6hipcub16HIPCUB_304000_NS21CountingInputIteratorIllEEPS6_NSA_22TransformInputIteratorIbN2at6native12_GLOBAL__N_19NonZeroOpIN3c107complexIfEEEEPKSL_lEENS0_5tupleIJPlS6_EEENSQ_IJSD_SD_EEES6_PiJS6_EEE10hipError_tPvRmT3_T4_T5_T6_T7_T9_mT8_P12ihipStream_tbDpT10_ENKUlT_T0_E_clISt17integral_constantIbLb0EES1D_IbLb1EEEEDaS19_S1A_EUlS19_E_NS1_11comp_targetILNS1_3genE4ELNS1_11target_archE910ELNS1_3gpuE8ELNS1_3repE0EEENS1_30default_config_static_selectorELNS0_4arch9wavefront6targetE0EEEvT1_,comdat
.Lfunc_end620:
	.size	_ZN7rocprim17ROCPRIM_400000_NS6detail17trampoline_kernelINS0_14default_configENS1_25partition_config_selectorILNS1_17partition_subalgoE5ElNS0_10empty_typeEbEEZZNS1_14partition_implILS5_5ELb0ES3_mN6hipcub16HIPCUB_304000_NS21CountingInputIteratorIllEEPS6_NSA_22TransformInputIteratorIbN2at6native12_GLOBAL__N_19NonZeroOpIN3c107complexIfEEEEPKSL_lEENS0_5tupleIJPlS6_EEENSQ_IJSD_SD_EEES6_PiJS6_EEE10hipError_tPvRmT3_T4_T5_T6_T7_T9_mT8_P12ihipStream_tbDpT10_ENKUlT_T0_E_clISt17integral_constantIbLb0EES1D_IbLb1EEEEDaS19_S1A_EUlS19_E_NS1_11comp_targetILNS1_3genE4ELNS1_11target_archE910ELNS1_3gpuE8ELNS1_3repE0EEENS1_30default_config_static_selectorELNS0_4arch9wavefront6targetE0EEEvT1_, .Lfunc_end620-_ZN7rocprim17ROCPRIM_400000_NS6detail17trampoline_kernelINS0_14default_configENS1_25partition_config_selectorILNS1_17partition_subalgoE5ElNS0_10empty_typeEbEEZZNS1_14partition_implILS5_5ELb0ES3_mN6hipcub16HIPCUB_304000_NS21CountingInputIteratorIllEEPS6_NSA_22TransformInputIteratorIbN2at6native12_GLOBAL__N_19NonZeroOpIN3c107complexIfEEEEPKSL_lEENS0_5tupleIJPlS6_EEENSQ_IJSD_SD_EEES6_PiJS6_EEE10hipError_tPvRmT3_T4_T5_T6_T7_T9_mT8_P12ihipStream_tbDpT10_ENKUlT_T0_E_clISt17integral_constantIbLb0EES1D_IbLb1EEEEDaS19_S1A_EUlS19_E_NS1_11comp_targetILNS1_3genE4ELNS1_11target_archE910ELNS1_3gpuE8ELNS1_3repE0EEENS1_30default_config_static_selectorELNS0_4arch9wavefront6targetE0EEEvT1_
                                        ; -- End function
	.set _ZN7rocprim17ROCPRIM_400000_NS6detail17trampoline_kernelINS0_14default_configENS1_25partition_config_selectorILNS1_17partition_subalgoE5ElNS0_10empty_typeEbEEZZNS1_14partition_implILS5_5ELb0ES3_mN6hipcub16HIPCUB_304000_NS21CountingInputIteratorIllEEPS6_NSA_22TransformInputIteratorIbN2at6native12_GLOBAL__N_19NonZeroOpIN3c107complexIfEEEEPKSL_lEENS0_5tupleIJPlS6_EEENSQ_IJSD_SD_EEES6_PiJS6_EEE10hipError_tPvRmT3_T4_T5_T6_T7_T9_mT8_P12ihipStream_tbDpT10_ENKUlT_T0_E_clISt17integral_constantIbLb0EES1D_IbLb1EEEEDaS19_S1A_EUlS19_E_NS1_11comp_targetILNS1_3genE4ELNS1_11target_archE910ELNS1_3gpuE8ELNS1_3repE0EEENS1_30default_config_static_selectorELNS0_4arch9wavefront6targetE0EEEvT1_.num_vgpr, 0
	.set _ZN7rocprim17ROCPRIM_400000_NS6detail17trampoline_kernelINS0_14default_configENS1_25partition_config_selectorILNS1_17partition_subalgoE5ElNS0_10empty_typeEbEEZZNS1_14partition_implILS5_5ELb0ES3_mN6hipcub16HIPCUB_304000_NS21CountingInputIteratorIllEEPS6_NSA_22TransformInputIteratorIbN2at6native12_GLOBAL__N_19NonZeroOpIN3c107complexIfEEEEPKSL_lEENS0_5tupleIJPlS6_EEENSQ_IJSD_SD_EEES6_PiJS6_EEE10hipError_tPvRmT3_T4_T5_T6_T7_T9_mT8_P12ihipStream_tbDpT10_ENKUlT_T0_E_clISt17integral_constantIbLb0EES1D_IbLb1EEEEDaS19_S1A_EUlS19_E_NS1_11comp_targetILNS1_3genE4ELNS1_11target_archE910ELNS1_3gpuE8ELNS1_3repE0EEENS1_30default_config_static_selectorELNS0_4arch9wavefront6targetE0EEEvT1_.num_agpr, 0
	.set _ZN7rocprim17ROCPRIM_400000_NS6detail17trampoline_kernelINS0_14default_configENS1_25partition_config_selectorILNS1_17partition_subalgoE5ElNS0_10empty_typeEbEEZZNS1_14partition_implILS5_5ELb0ES3_mN6hipcub16HIPCUB_304000_NS21CountingInputIteratorIllEEPS6_NSA_22TransformInputIteratorIbN2at6native12_GLOBAL__N_19NonZeroOpIN3c107complexIfEEEEPKSL_lEENS0_5tupleIJPlS6_EEENSQ_IJSD_SD_EEES6_PiJS6_EEE10hipError_tPvRmT3_T4_T5_T6_T7_T9_mT8_P12ihipStream_tbDpT10_ENKUlT_T0_E_clISt17integral_constantIbLb0EES1D_IbLb1EEEEDaS19_S1A_EUlS19_E_NS1_11comp_targetILNS1_3genE4ELNS1_11target_archE910ELNS1_3gpuE8ELNS1_3repE0EEENS1_30default_config_static_selectorELNS0_4arch9wavefront6targetE0EEEvT1_.numbered_sgpr, 0
	.set _ZN7rocprim17ROCPRIM_400000_NS6detail17trampoline_kernelINS0_14default_configENS1_25partition_config_selectorILNS1_17partition_subalgoE5ElNS0_10empty_typeEbEEZZNS1_14partition_implILS5_5ELb0ES3_mN6hipcub16HIPCUB_304000_NS21CountingInputIteratorIllEEPS6_NSA_22TransformInputIteratorIbN2at6native12_GLOBAL__N_19NonZeroOpIN3c107complexIfEEEEPKSL_lEENS0_5tupleIJPlS6_EEENSQ_IJSD_SD_EEES6_PiJS6_EEE10hipError_tPvRmT3_T4_T5_T6_T7_T9_mT8_P12ihipStream_tbDpT10_ENKUlT_T0_E_clISt17integral_constantIbLb0EES1D_IbLb1EEEEDaS19_S1A_EUlS19_E_NS1_11comp_targetILNS1_3genE4ELNS1_11target_archE910ELNS1_3gpuE8ELNS1_3repE0EEENS1_30default_config_static_selectorELNS0_4arch9wavefront6targetE0EEEvT1_.num_named_barrier, 0
	.set _ZN7rocprim17ROCPRIM_400000_NS6detail17trampoline_kernelINS0_14default_configENS1_25partition_config_selectorILNS1_17partition_subalgoE5ElNS0_10empty_typeEbEEZZNS1_14partition_implILS5_5ELb0ES3_mN6hipcub16HIPCUB_304000_NS21CountingInputIteratorIllEEPS6_NSA_22TransformInputIteratorIbN2at6native12_GLOBAL__N_19NonZeroOpIN3c107complexIfEEEEPKSL_lEENS0_5tupleIJPlS6_EEENSQ_IJSD_SD_EEES6_PiJS6_EEE10hipError_tPvRmT3_T4_T5_T6_T7_T9_mT8_P12ihipStream_tbDpT10_ENKUlT_T0_E_clISt17integral_constantIbLb0EES1D_IbLb1EEEEDaS19_S1A_EUlS19_E_NS1_11comp_targetILNS1_3genE4ELNS1_11target_archE910ELNS1_3gpuE8ELNS1_3repE0EEENS1_30default_config_static_selectorELNS0_4arch9wavefront6targetE0EEEvT1_.private_seg_size, 0
	.set _ZN7rocprim17ROCPRIM_400000_NS6detail17trampoline_kernelINS0_14default_configENS1_25partition_config_selectorILNS1_17partition_subalgoE5ElNS0_10empty_typeEbEEZZNS1_14partition_implILS5_5ELb0ES3_mN6hipcub16HIPCUB_304000_NS21CountingInputIteratorIllEEPS6_NSA_22TransformInputIteratorIbN2at6native12_GLOBAL__N_19NonZeroOpIN3c107complexIfEEEEPKSL_lEENS0_5tupleIJPlS6_EEENSQ_IJSD_SD_EEES6_PiJS6_EEE10hipError_tPvRmT3_T4_T5_T6_T7_T9_mT8_P12ihipStream_tbDpT10_ENKUlT_T0_E_clISt17integral_constantIbLb0EES1D_IbLb1EEEEDaS19_S1A_EUlS19_E_NS1_11comp_targetILNS1_3genE4ELNS1_11target_archE910ELNS1_3gpuE8ELNS1_3repE0EEENS1_30default_config_static_selectorELNS0_4arch9wavefront6targetE0EEEvT1_.uses_vcc, 0
	.set _ZN7rocprim17ROCPRIM_400000_NS6detail17trampoline_kernelINS0_14default_configENS1_25partition_config_selectorILNS1_17partition_subalgoE5ElNS0_10empty_typeEbEEZZNS1_14partition_implILS5_5ELb0ES3_mN6hipcub16HIPCUB_304000_NS21CountingInputIteratorIllEEPS6_NSA_22TransformInputIteratorIbN2at6native12_GLOBAL__N_19NonZeroOpIN3c107complexIfEEEEPKSL_lEENS0_5tupleIJPlS6_EEENSQ_IJSD_SD_EEES6_PiJS6_EEE10hipError_tPvRmT3_T4_T5_T6_T7_T9_mT8_P12ihipStream_tbDpT10_ENKUlT_T0_E_clISt17integral_constantIbLb0EES1D_IbLb1EEEEDaS19_S1A_EUlS19_E_NS1_11comp_targetILNS1_3genE4ELNS1_11target_archE910ELNS1_3gpuE8ELNS1_3repE0EEENS1_30default_config_static_selectorELNS0_4arch9wavefront6targetE0EEEvT1_.uses_flat_scratch, 0
	.set _ZN7rocprim17ROCPRIM_400000_NS6detail17trampoline_kernelINS0_14default_configENS1_25partition_config_selectorILNS1_17partition_subalgoE5ElNS0_10empty_typeEbEEZZNS1_14partition_implILS5_5ELb0ES3_mN6hipcub16HIPCUB_304000_NS21CountingInputIteratorIllEEPS6_NSA_22TransformInputIteratorIbN2at6native12_GLOBAL__N_19NonZeroOpIN3c107complexIfEEEEPKSL_lEENS0_5tupleIJPlS6_EEENSQ_IJSD_SD_EEES6_PiJS6_EEE10hipError_tPvRmT3_T4_T5_T6_T7_T9_mT8_P12ihipStream_tbDpT10_ENKUlT_T0_E_clISt17integral_constantIbLb0EES1D_IbLb1EEEEDaS19_S1A_EUlS19_E_NS1_11comp_targetILNS1_3genE4ELNS1_11target_archE910ELNS1_3gpuE8ELNS1_3repE0EEENS1_30default_config_static_selectorELNS0_4arch9wavefront6targetE0EEEvT1_.has_dyn_sized_stack, 0
	.set _ZN7rocprim17ROCPRIM_400000_NS6detail17trampoline_kernelINS0_14default_configENS1_25partition_config_selectorILNS1_17partition_subalgoE5ElNS0_10empty_typeEbEEZZNS1_14partition_implILS5_5ELb0ES3_mN6hipcub16HIPCUB_304000_NS21CountingInputIteratorIllEEPS6_NSA_22TransformInputIteratorIbN2at6native12_GLOBAL__N_19NonZeroOpIN3c107complexIfEEEEPKSL_lEENS0_5tupleIJPlS6_EEENSQ_IJSD_SD_EEES6_PiJS6_EEE10hipError_tPvRmT3_T4_T5_T6_T7_T9_mT8_P12ihipStream_tbDpT10_ENKUlT_T0_E_clISt17integral_constantIbLb0EES1D_IbLb1EEEEDaS19_S1A_EUlS19_E_NS1_11comp_targetILNS1_3genE4ELNS1_11target_archE910ELNS1_3gpuE8ELNS1_3repE0EEENS1_30default_config_static_selectorELNS0_4arch9wavefront6targetE0EEEvT1_.has_recursion, 0
	.set _ZN7rocprim17ROCPRIM_400000_NS6detail17trampoline_kernelINS0_14default_configENS1_25partition_config_selectorILNS1_17partition_subalgoE5ElNS0_10empty_typeEbEEZZNS1_14partition_implILS5_5ELb0ES3_mN6hipcub16HIPCUB_304000_NS21CountingInputIteratorIllEEPS6_NSA_22TransformInputIteratorIbN2at6native12_GLOBAL__N_19NonZeroOpIN3c107complexIfEEEEPKSL_lEENS0_5tupleIJPlS6_EEENSQ_IJSD_SD_EEES6_PiJS6_EEE10hipError_tPvRmT3_T4_T5_T6_T7_T9_mT8_P12ihipStream_tbDpT10_ENKUlT_T0_E_clISt17integral_constantIbLb0EES1D_IbLb1EEEEDaS19_S1A_EUlS19_E_NS1_11comp_targetILNS1_3genE4ELNS1_11target_archE910ELNS1_3gpuE8ELNS1_3repE0EEENS1_30default_config_static_selectorELNS0_4arch9wavefront6targetE0EEEvT1_.has_indirect_call, 0
	.section	.AMDGPU.csdata,"",@progbits
; Kernel info:
; codeLenInByte = 0
; TotalNumSgprs: 0
; NumVgprs: 0
; ScratchSize: 0
; MemoryBound: 0
; FloatMode: 240
; IeeeMode: 1
; LDSByteSize: 0 bytes/workgroup (compile time only)
; SGPRBlocks: 0
; VGPRBlocks: 0
; NumSGPRsForWavesPerEU: 1
; NumVGPRsForWavesPerEU: 1
; Occupancy: 16
; WaveLimiterHint : 0
; COMPUTE_PGM_RSRC2:SCRATCH_EN: 0
; COMPUTE_PGM_RSRC2:USER_SGPR: 2
; COMPUTE_PGM_RSRC2:TRAP_HANDLER: 0
; COMPUTE_PGM_RSRC2:TGID_X_EN: 1
; COMPUTE_PGM_RSRC2:TGID_Y_EN: 0
; COMPUTE_PGM_RSRC2:TGID_Z_EN: 0
; COMPUTE_PGM_RSRC2:TIDIG_COMP_CNT: 0
	.section	.text._ZN7rocprim17ROCPRIM_400000_NS6detail17trampoline_kernelINS0_14default_configENS1_25partition_config_selectorILNS1_17partition_subalgoE5ElNS0_10empty_typeEbEEZZNS1_14partition_implILS5_5ELb0ES3_mN6hipcub16HIPCUB_304000_NS21CountingInputIteratorIllEEPS6_NSA_22TransformInputIteratorIbN2at6native12_GLOBAL__N_19NonZeroOpIN3c107complexIfEEEEPKSL_lEENS0_5tupleIJPlS6_EEENSQ_IJSD_SD_EEES6_PiJS6_EEE10hipError_tPvRmT3_T4_T5_T6_T7_T9_mT8_P12ihipStream_tbDpT10_ENKUlT_T0_E_clISt17integral_constantIbLb0EES1D_IbLb1EEEEDaS19_S1A_EUlS19_E_NS1_11comp_targetILNS1_3genE3ELNS1_11target_archE908ELNS1_3gpuE7ELNS1_3repE0EEENS1_30default_config_static_selectorELNS0_4arch9wavefront6targetE0EEEvT1_,"axG",@progbits,_ZN7rocprim17ROCPRIM_400000_NS6detail17trampoline_kernelINS0_14default_configENS1_25partition_config_selectorILNS1_17partition_subalgoE5ElNS0_10empty_typeEbEEZZNS1_14partition_implILS5_5ELb0ES3_mN6hipcub16HIPCUB_304000_NS21CountingInputIteratorIllEEPS6_NSA_22TransformInputIteratorIbN2at6native12_GLOBAL__N_19NonZeroOpIN3c107complexIfEEEEPKSL_lEENS0_5tupleIJPlS6_EEENSQ_IJSD_SD_EEES6_PiJS6_EEE10hipError_tPvRmT3_T4_T5_T6_T7_T9_mT8_P12ihipStream_tbDpT10_ENKUlT_T0_E_clISt17integral_constantIbLb0EES1D_IbLb1EEEEDaS19_S1A_EUlS19_E_NS1_11comp_targetILNS1_3genE3ELNS1_11target_archE908ELNS1_3gpuE7ELNS1_3repE0EEENS1_30default_config_static_selectorELNS0_4arch9wavefront6targetE0EEEvT1_,comdat
	.globl	_ZN7rocprim17ROCPRIM_400000_NS6detail17trampoline_kernelINS0_14default_configENS1_25partition_config_selectorILNS1_17partition_subalgoE5ElNS0_10empty_typeEbEEZZNS1_14partition_implILS5_5ELb0ES3_mN6hipcub16HIPCUB_304000_NS21CountingInputIteratorIllEEPS6_NSA_22TransformInputIteratorIbN2at6native12_GLOBAL__N_19NonZeroOpIN3c107complexIfEEEEPKSL_lEENS0_5tupleIJPlS6_EEENSQ_IJSD_SD_EEES6_PiJS6_EEE10hipError_tPvRmT3_T4_T5_T6_T7_T9_mT8_P12ihipStream_tbDpT10_ENKUlT_T0_E_clISt17integral_constantIbLb0EES1D_IbLb1EEEEDaS19_S1A_EUlS19_E_NS1_11comp_targetILNS1_3genE3ELNS1_11target_archE908ELNS1_3gpuE7ELNS1_3repE0EEENS1_30default_config_static_selectorELNS0_4arch9wavefront6targetE0EEEvT1_ ; -- Begin function _ZN7rocprim17ROCPRIM_400000_NS6detail17trampoline_kernelINS0_14default_configENS1_25partition_config_selectorILNS1_17partition_subalgoE5ElNS0_10empty_typeEbEEZZNS1_14partition_implILS5_5ELb0ES3_mN6hipcub16HIPCUB_304000_NS21CountingInputIteratorIllEEPS6_NSA_22TransformInputIteratorIbN2at6native12_GLOBAL__N_19NonZeroOpIN3c107complexIfEEEEPKSL_lEENS0_5tupleIJPlS6_EEENSQ_IJSD_SD_EEES6_PiJS6_EEE10hipError_tPvRmT3_T4_T5_T6_T7_T9_mT8_P12ihipStream_tbDpT10_ENKUlT_T0_E_clISt17integral_constantIbLb0EES1D_IbLb1EEEEDaS19_S1A_EUlS19_E_NS1_11comp_targetILNS1_3genE3ELNS1_11target_archE908ELNS1_3gpuE7ELNS1_3repE0EEENS1_30default_config_static_selectorELNS0_4arch9wavefront6targetE0EEEvT1_
	.p2align	8
	.type	_ZN7rocprim17ROCPRIM_400000_NS6detail17trampoline_kernelINS0_14default_configENS1_25partition_config_selectorILNS1_17partition_subalgoE5ElNS0_10empty_typeEbEEZZNS1_14partition_implILS5_5ELb0ES3_mN6hipcub16HIPCUB_304000_NS21CountingInputIteratorIllEEPS6_NSA_22TransformInputIteratorIbN2at6native12_GLOBAL__N_19NonZeroOpIN3c107complexIfEEEEPKSL_lEENS0_5tupleIJPlS6_EEENSQ_IJSD_SD_EEES6_PiJS6_EEE10hipError_tPvRmT3_T4_T5_T6_T7_T9_mT8_P12ihipStream_tbDpT10_ENKUlT_T0_E_clISt17integral_constantIbLb0EES1D_IbLb1EEEEDaS19_S1A_EUlS19_E_NS1_11comp_targetILNS1_3genE3ELNS1_11target_archE908ELNS1_3gpuE7ELNS1_3repE0EEENS1_30default_config_static_selectorELNS0_4arch9wavefront6targetE0EEEvT1_,@function
_ZN7rocprim17ROCPRIM_400000_NS6detail17trampoline_kernelINS0_14default_configENS1_25partition_config_selectorILNS1_17partition_subalgoE5ElNS0_10empty_typeEbEEZZNS1_14partition_implILS5_5ELb0ES3_mN6hipcub16HIPCUB_304000_NS21CountingInputIteratorIllEEPS6_NSA_22TransformInputIteratorIbN2at6native12_GLOBAL__N_19NonZeroOpIN3c107complexIfEEEEPKSL_lEENS0_5tupleIJPlS6_EEENSQ_IJSD_SD_EEES6_PiJS6_EEE10hipError_tPvRmT3_T4_T5_T6_T7_T9_mT8_P12ihipStream_tbDpT10_ENKUlT_T0_E_clISt17integral_constantIbLb0EES1D_IbLb1EEEEDaS19_S1A_EUlS19_E_NS1_11comp_targetILNS1_3genE3ELNS1_11target_archE908ELNS1_3gpuE7ELNS1_3repE0EEENS1_30default_config_static_selectorELNS0_4arch9wavefront6targetE0EEEvT1_: ; @_ZN7rocprim17ROCPRIM_400000_NS6detail17trampoline_kernelINS0_14default_configENS1_25partition_config_selectorILNS1_17partition_subalgoE5ElNS0_10empty_typeEbEEZZNS1_14partition_implILS5_5ELb0ES3_mN6hipcub16HIPCUB_304000_NS21CountingInputIteratorIllEEPS6_NSA_22TransformInputIteratorIbN2at6native12_GLOBAL__N_19NonZeroOpIN3c107complexIfEEEEPKSL_lEENS0_5tupleIJPlS6_EEENSQ_IJSD_SD_EEES6_PiJS6_EEE10hipError_tPvRmT3_T4_T5_T6_T7_T9_mT8_P12ihipStream_tbDpT10_ENKUlT_T0_E_clISt17integral_constantIbLb0EES1D_IbLb1EEEEDaS19_S1A_EUlS19_E_NS1_11comp_targetILNS1_3genE3ELNS1_11target_archE908ELNS1_3gpuE7ELNS1_3repE0EEENS1_30default_config_static_selectorELNS0_4arch9wavefront6targetE0EEEvT1_
; %bb.0:
	.section	.rodata,"a",@progbits
	.p2align	6, 0x0
	.amdhsa_kernel _ZN7rocprim17ROCPRIM_400000_NS6detail17trampoline_kernelINS0_14default_configENS1_25partition_config_selectorILNS1_17partition_subalgoE5ElNS0_10empty_typeEbEEZZNS1_14partition_implILS5_5ELb0ES3_mN6hipcub16HIPCUB_304000_NS21CountingInputIteratorIllEEPS6_NSA_22TransformInputIteratorIbN2at6native12_GLOBAL__N_19NonZeroOpIN3c107complexIfEEEEPKSL_lEENS0_5tupleIJPlS6_EEENSQ_IJSD_SD_EEES6_PiJS6_EEE10hipError_tPvRmT3_T4_T5_T6_T7_T9_mT8_P12ihipStream_tbDpT10_ENKUlT_T0_E_clISt17integral_constantIbLb0EES1D_IbLb1EEEEDaS19_S1A_EUlS19_E_NS1_11comp_targetILNS1_3genE3ELNS1_11target_archE908ELNS1_3gpuE7ELNS1_3repE0EEENS1_30default_config_static_selectorELNS0_4arch9wavefront6targetE0EEEvT1_
		.amdhsa_group_segment_fixed_size 0
		.amdhsa_private_segment_fixed_size 0
		.amdhsa_kernarg_size 136
		.amdhsa_user_sgpr_count 2
		.amdhsa_user_sgpr_dispatch_ptr 0
		.amdhsa_user_sgpr_queue_ptr 0
		.amdhsa_user_sgpr_kernarg_segment_ptr 1
		.amdhsa_user_sgpr_dispatch_id 0
		.amdhsa_user_sgpr_private_segment_size 0
		.amdhsa_wavefront_size32 1
		.amdhsa_uses_dynamic_stack 0
		.amdhsa_enable_private_segment 0
		.amdhsa_system_sgpr_workgroup_id_x 1
		.amdhsa_system_sgpr_workgroup_id_y 0
		.amdhsa_system_sgpr_workgroup_id_z 0
		.amdhsa_system_sgpr_workgroup_info 0
		.amdhsa_system_vgpr_workitem_id 0
		.amdhsa_next_free_vgpr 1
		.amdhsa_next_free_sgpr 1
		.amdhsa_reserve_vcc 0
		.amdhsa_float_round_mode_32 0
		.amdhsa_float_round_mode_16_64 0
		.amdhsa_float_denorm_mode_32 3
		.amdhsa_float_denorm_mode_16_64 3
		.amdhsa_fp16_overflow 0
		.amdhsa_workgroup_processor_mode 1
		.amdhsa_memory_ordered 1
		.amdhsa_forward_progress 1
		.amdhsa_inst_pref_size 0
		.amdhsa_round_robin_scheduling 0
		.amdhsa_exception_fp_ieee_invalid_op 0
		.amdhsa_exception_fp_denorm_src 0
		.amdhsa_exception_fp_ieee_div_zero 0
		.amdhsa_exception_fp_ieee_overflow 0
		.amdhsa_exception_fp_ieee_underflow 0
		.amdhsa_exception_fp_ieee_inexact 0
		.amdhsa_exception_int_div_zero 0
	.end_amdhsa_kernel
	.section	.text._ZN7rocprim17ROCPRIM_400000_NS6detail17trampoline_kernelINS0_14default_configENS1_25partition_config_selectorILNS1_17partition_subalgoE5ElNS0_10empty_typeEbEEZZNS1_14partition_implILS5_5ELb0ES3_mN6hipcub16HIPCUB_304000_NS21CountingInputIteratorIllEEPS6_NSA_22TransformInputIteratorIbN2at6native12_GLOBAL__N_19NonZeroOpIN3c107complexIfEEEEPKSL_lEENS0_5tupleIJPlS6_EEENSQ_IJSD_SD_EEES6_PiJS6_EEE10hipError_tPvRmT3_T4_T5_T6_T7_T9_mT8_P12ihipStream_tbDpT10_ENKUlT_T0_E_clISt17integral_constantIbLb0EES1D_IbLb1EEEEDaS19_S1A_EUlS19_E_NS1_11comp_targetILNS1_3genE3ELNS1_11target_archE908ELNS1_3gpuE7ELNS1_3repE0EEENS1_30default_config_static_selectorELNS0_4arch9wavefront6targetE0EEEvT1_,"axG",@progbits,_ZN7rocprim17ROCPRIM_400000_NS6detail17trampoline_kernelINS0_14default_configENS1_25partition_config_selectorILNS1_17partition_subalgoE5ElNS0_10empty_typeEbEEZZNS1_14partition_implILS5_5ELb0ES3_mN6hipcub16HIPCUB_304000_NS21CountingInputIteratorIllEEPS6_NSA_22TransformInputIteratorIbN2at6native12_GLOBAL__N_19NonZeroOpIN3c107complexIfEEEEPKSL_lEENS0_5tupleIJPlS6_EEENSQ_IJSD_SD_EEES6_PiJS6_EEE10hipError_tPvRmT3_T4_T5_T6_T7_T9_mT8_P12ihipStream_tbDpT10_ENKUlT_T0_E_clISt17integral_constantIbLb0EES1D_IbLb1EEEEDaS19_S1A_EUlS19_E_NS1_11comp_targetILNS1_3genE3ELNS1_11target_archE908ELNS1_3gpuE7ELNS1_3repE0EEENS1_30default_config_static_selectorELNS0_4arch9wavefront6targetE0EEEvT1_,comdat
.Lfunc_end621:
	.size	_ZN7rocprim17ROCPRIM_400000_NS6detail17trampoline_kernelINS0_14default_configENS1_25partition_config_selectorILNS1_17partition_subalgoE5ElNS0_10empty_typeEbEEZZNS1_14partition_implILS5_5ELb0ES3_mN6hipcub16HIPCUB_304000_NS21CountingInputIteratorIllEEPS6_NSA_22TransformInputIteratorIbN2at6native12_GLOBAL__N_19NonZeroOpIN3c107complexIfEEEEPKSL_lEENS0_5tupleIJPlS6_EEENSQ_IJSD_SD_EEES6_PiJS6_EEE10hipError_tPvRmT3_T4_T5_T6_T7_T9_mT8_P12ihipStream_tbDpT10_ENKUlT_T0_E_clISt17integral_constantIbLb0EES1D_IbLb1EEEEDaS19_S1A_EUlS19_E_NS1_11comp_targetILNS1_3genE3ELNS1_11target_archE908ELNS1_3gpuE7ELNS1_3repE0EEENS1_30default_config_static_selectorELNS0_4arch9wavefront6targetE0EEEvT1_, .Lfunc_end621-_ZN7rocprim17ROCPRIM_400000_NS6detail17trampoline_kernelINS0_14default_configENS1_25partition_config_selectorILNS1_17partition_subalgoE5ElNS0_10empty_typeEbEEZZNS1_14partition_implILS5_5ELb0ES3_mN6hipcub16HIPCUB_304000_NS21CountingInputIteratorIllEEPS6_NSA_22TransformInputIteratorIbN2at6native12_GLOBAL__N_19NonZeroOpIN3c107complexIfEEEEPKSL_lEENS0_5tupleIJPlS6_EEENSQ_IJSD_SD_EEES6_PiJS6_EEE10hipError_tPvRmT3_T4_T5_T6_T7_T9_mT8_P12ihipStream_tbDpT10_ENKUlT_T0_E_clISt17integral_constantIbLb0EES1D_IbLb1EEEEDaS19_S1A_EUlS19_E_NS1_11comp_targetILNS1_3genE3ELNS1_11target_archE908ELNS1_3gpuE7ELNS1_3repE0EEENS1_30default_config_static_selectorELNS0_4arch9wavefront6targetE0EEEvT1_
                                        ; -- End function
	.set _ZN7rocprim17ROCPRIM_400000_NS6detail17trampoline_kernelINS0_14default_configENS1_25partition_config_selectorILNS1_17partition_subalgoE5ElNS0_10empty_typeEbEEZZNS1_14partition_implILS5_5ELb0ES3_mN6hipcub16HIPCUB_304000_NS21CountingInputIteratorIllEEPS6_NSA_22TransformInputIteratorIbN2at6native12_GLOBAL__N_19NonZeroOpIN3c107complexIfEEEEPKSL_lEENS0_5tupleIJPlS6_EEENSQ_IJSD_SD_EEES6_PiJS6_EEE10hipError_tPvRmT3_T4_T5_T6_T7_T9_mT8_P12ihipStream_tbDpT10_ENKUlT_T0_E_clISt17integral_constantIbLb0EES1D_IbLb1EEEEDaS19_S1A_EUlS19_E_NS1_11comp_targetILNS1_3genE3ELNS1_11target_archE908ELNS1_3gpuE7ELNS1_3repE0EEENS1_30default_config_static_selectorELNS0_4arch9wavefront6targetE0EEEvT1_.num_vgpr, 0
	.set _ZN7rocprim17ROCPRIM_400000_NS6detail17trampoline_kernelINS0_14default_configENS1_25partition_config_selectorILNS1_17partition_subalgoE5ElNS0_10empty_typeEbEEZZNS1_14partition_implILS5_5ELb0ES3_mN6hipcub16HIPCUB_304000_NS21CountingInputIteratorIllEEPS6_NSA_22TransformInputIteratorIbN2at6native12_GLOBAL__N_19NonZeroOpIN3c107complexIfEEEEPKSL_lEENS0_5tupleIJPlS6_EEENSQ_IJSD_SD_EEES6_PiJS6_EEE10hipError_tPvRmT3_T4_T5_T6_T7_T9_mT8_P12ihipStream_tbDpT10_ENKUlT_T0_E_clISt17integral_constantIbLb0EES1D_IbLb1EEEEDaS19_S1A_EUlS19_E_NS1_11comp_targetILNS1_3genE3ELNS1_11target_archE908ELNS1_3gpuE7ELNS1_3repE0EEENS1_30default_config_static_selectorELNS0_4arch9wavefront6targetE0EEEvT1_.num_agpr, 0
	.set _ZN7rocprim17ROCPRIM_400000_NS6detail17trampoline_kernelINS0_14default_configENS1_25partition_config_selectorILNS1_17partition_subalgoE5ElNS0_10empty_typeEbEEZZNS1_14partition_implILS5_5ELb0ES3_mN6hipcub16HIPCUB_304000_NS21CountingInputIteratorIllEEPS6_NSA_22TransformInputIteratorIbN2at6native12_GLOBAL__N_19NonZeroOpIN3c107complexIfEEEEPKSL_lEENS0_5tupleIJPlS6_EEENSQ_IJSD_SD_EEES6_PiJS6_EEE10hipError_tPvRmT3_T4_T5_T6_T7_T9_mT8_P12ihipStream_tbDpT10_ENKUlT_T0_E_clISt17integral_constantIbLb0EES1D_IbLb1EEEEDaS19_S1A_EUlS19_E_NS1_11comp_targetILNS1_3genE3ELNS1_11target_archE908ELNS1_3gpuE7ELNS1_3repE0EEENS1_30default_config_static_selectorELNS0_4arch9wavefront6targetE0EEEvT1_.numbered_sgpr, 0
	.set _ZN7rocprim17ROCPRIM_400000_NS6detail17trampoline_kernelINS0_14default_configENS1_25partition_config_selectorILNS1_17partition_subalgoE5ElNS0_10empty_typeEbEEZZNS1_14partition_implILS5_5ELb0ES3_mN6hipcub16HIPCUB_304000_NS21CountingInputIteratorIllEEPS6_NSA_22TransformInputIteratorIbN2at6native12_GLOBAL__N_19NonZeroOpIN3c107complexIfEEEEPKSL_lEENS0_5tupleIJPlS6_EEENSQ_IJSD_SD_EEES6_PiJS6_EEE10hipError_tPvRmT3_T4_T5_T6_T7_T9_mT8_P12ihipStream_tbDpT10_ENKUlT_T0_E_clISt17integral_constantIbLb0EES1D_IbLb1EEEEDaS19_S1A_EUlS19_E_NS1_11comp_targetILNS1_3genE3ELNS1_11target_archE908ELNS1_3gpuE7ELNS1_3repE0EEENS1_30default_config_static_selectorELNS0_4arch9wavefront6targetE0EEEvT1_.num_named_barrier, 0
	.set _ZN7rocprim17ROCPRIM_400000_NS6detail17trampoline_kernelINS0_14default_configENS1_25partition_config_selectorILNS1_17partition_subalgoE5ElNS0_10empty_typeEbEEZZNS1_14partition_implILS5_5ELb0ES3_mN6hipcub16HIPCUB_304000_NS21CountingInputIteratorIllEEPS6_NSA_22TransformInputIteratorIbN2at6native12_GLOBAL__N_19NonZeroOpIN3c107complexIfEEEEPKSL_lEENS0_5tupleIJPlS6_EEENSQ_IJSD_SD_EEES6_PiJS6_EEE10hipError_tPvRmT3_T4_T5_T6_T7_T9_mT8_P12ihipStream_tbDpT10_ENKUlT_T0_E_clISt17integral_constantIbLb0EES1D_IbLb1EEEEDaS19_S1A_EUlS19_E_NS1_11comp_targetILNS1_3genE3ELNS1_11target_archE908ELNS1_3gpuE7ELNS1_3repE0EEENS1_30default_config_static_selectorELNS0_4arch9wavefront6targetE0EEEvT1_.private_seg_size, 0
	.set _ZN7rocprim17ROCPRIM_400000_NS6detail17trampoline_kernelINS0_14default_configENS1_25partition_config_selectorILNS1_17partition_subalgoE5ElNS0_10empty_typeEbEEZZNS1_14partition_implILS5_5ELb0ES3_mN6hipcub16HIPCUB_304000_NS21CountingInputIteratorIllEEPS6_NSA_22TransformInputIteratorIbN2at6native12_GLOBAL__N_19NonZeroOpIN3c107complexIfEEEEPKSL_lEENS0_5tupleIJPlS6_EEENSQ_IJSD_SD_EEES6_PiJS6_EEE10hipError_tPvRmT3_T4_T5_T6_T7_T9_mT8_P12ihipStream_tbDpT10_ENKUlT_T0_E_clISt17integral_constantIbLb0EES1D_IbLb1EEEEDaS19_S1A_EUlS19_E_NS1_11comp_targetILNS1_3genE3ELNS1_11target_archE908ELNS1_3gpuE7ELNS1_3repE0EEENS1_30default_config_static_selectorELNS0_4arch9wavefront6targetE0EEEvT1_.uses_vcc, 0
	.set _ZN7rocprim17ROCPRIM_400000_NS6detail17trampoline_kernelINS0_14default_configENS1_25partition_config_selectorILNS1_17partition_subalgoE5ElNS0_10empty_typeEbEEZZNS1_14partition_implILS5_5ELb0ES3_mN6hipcub16HIPCUB_304000_NS21CountingInputIteratorIllEEPS6_NSA_22TransformInputIteratorIbN2at6native12_GLOBAL__N_19NonZeroOpIN3c107complexIfEEEEPKSL_lEENS0_5tupleIJPlS6_EEENSQ_IJSD_SD_EEES6_PiJS6_EEE10hipError_tPvRmT3_T4_T5_T6_T7_T9_mT8_P12ihipStream_tbDpT10_ENKUlT_T0_E_clISt17integral_constantIbLb0EES1D_IbLb1EEEEDaS19_S1A_EUlS19_E_NS1_11comp_targetILNS1_3genE3ELNS1_11target_archE908ELNS1_3gpuE7ELNS1_3repE0EEENS1_30default_config_static_selectorELNS0_4arch9wavefront6targetE0EEEvT1_.uses_flat_scratch, 0
	.set _ZN7rocprim17ROCPRIM_400000_NS6detail17trampoline_kernelINS0_14default_configENS1_25partition_config_selectorILNS1_17partition_subalgoE5ElNS0_10empty_typeEbEEZZNS1_14partition_implILS5_5ELb0ES3_mN6hipcub16HIPCUB_304000_NS21CountingInputIteratorIllEEPS6_NSA_22TransformInputIteratorIbN2at6native12_GLOBAL__N_19NonZeroOpIN3c107complexIfEEEEPKSL_lEENS0_5tupleIJPlS6_EEENSQ_IJSD_SD_EEES6_PiJS6_EEE10hipError_tPvRmT3_T4_T5_T6_T7_T9_mT8_P12ihipStream_tbDpT10_ENKUlT_T0_E_clISt17integral_constantIbLb0EES1D_IbLb1EEEEDaS19_S1A_EUlS19_E_NS1_11comp_targetILNS1_3genE3ELNS1_11target_archE908ELNS1_3gpuE7ELNS1_3repE0EEENS1_30default_config_static_selectorELNS0_4arch9wavefront6targetE0EEEvT1_.has_dyn_sized_stack, 0
	.set _ZN7rocprim17ROCPRIM_400000_NS6detail17trampoline_kernelINS0_14default_configENS1_25partition_config_selectorILNS1_17partition_subalgoE5ElNS0_10empty_typeEbEEZZNS1_14partition_implILS5_5ELb0ES3_mN6hipcub16HIPCUB_304000_NS21CountingInputIteratorIllEEPS6_NSA_22TransformInputIteratorIbN2at6native12_GLOBAL__N_19NonZeroOpIN3c107complexIfEEEEPKSL_lEENS0_5tupleIJPlS6_EEENSQ_IJSD_SD_EEES6_PiJS6_EEE10hipError_tPvRmT3_T4_T5_T6_T7_T9_mT8_P12ihipStream_tbDpT10_ENKUlT_T0_E_clISt17integral_constantIbLb0EES1D_IbLb1EEEEDaS19_S1A_EUlS19_E_NS1_11comp_targetILNS1_3genE3ELNS1_11target_archE908ELNS1_3gpuE7ELNS1_3repE0EEENS1_30default_config_static_selectorELNS0_4arch9wavefront6targetE0EEEvT1_.has_recursion, 0
	.set _ZN7rocprim17ROCPRIM_400000_NS6detail17trampoline_kernelINS0_14default_configENS1_25partition_config_selectorILNS1_17partition_subalgoE5ElNS0_10empty_typeEbEEZZNS1_14partition_implILS5_5ELb0ES3_mN6hipcub16HIPCUB_304000_NS21CountingInputIteratorIllEEPS6_NSA_22TransformInputIteratorIbN2at6native12_GLOBAL__N_19NonZeroOpIN3c107complexIfEEEEPKSL_lEENS0_5tupleIJPlS6_EEENSQ_IJSD_SD_EEES6_PiJS6_EEE10hipError_tPvRmT3_T4_T5_T6_T7_T9_mT8_P12ihipStream_tbDpT10_ENKUlT_T0_E_clISt17integral_constantIbLb0EES1D_IbLb1EEEEDaS19_S1A_EUlS19_E_NS1_11comp_targetILNS1_3genE3ELNS1_11target_archE908ELNS1_3gpuE7ELNS1_3repE0EEENS1_30default_config_static_selectorELNS0_4arch9wavefront6targetE0EEEvT1_.has_indirect_call, 0
	.section	.AMDGPU.csdata,"",@progbits
; Kernel info:
; codeLenInByte = 0
; TotalNumSgprs: 0
; NumVgprs: 0
; ScratchSize: 0
; MemoryBound: 0
; FloatMode: 240
; IeeeMode: 1
; LDSByteSize: 0 bytes/workgroup (compile time only)
; SGPRBlocks: 0
; VGPRBlocks: 0
; NumSGPRsForWavesPerEU: 1
; NumVGPRsForWavesPerEU: 1
; Occupancy: 16
; WaveLimiterHint : 0
; COMPUTE_PGM_RSRC2:SCRATCH_EN: 0
; COMPUTE_PGM_RSRC2:USER_SGPR: 2
; COMPUTE_PGM_RSRC2:TRAP_HANDLER: 0
; COMPUTE_PGM_RSRC2:TGID_X_EN: 1
; COMPUTE_PGM_RSRC2:TGID_Y_EN: 0
; COMPUTE_PGM_RSRC2:TGID_Z_EN: 0
; COMPUTE_PGM_RSRC2:TIDIG_COMP_CNT: 0
	.section	.text._ZN7rocprim17ROCPRIM_400000_NS6detail17trampoline_kernelINS0_14default_configENS1_25partition_config_selectorILNS1_17partition_subalgoE5ElNS0_10empty_typeEbEEZZNS1_14partition_implILS5_5ELb0ES3_mN6hipcub16HIPCUB_304000_NS21CountingInputIteratorIllEEPS6_NSA_22TransformInputIteratorIbN2at6native12_GLOBAL__N_19NonZeroOpIN3c107complexIfEEEEPKSL_lEENS0_5tupleIJPlS6_EEENSQ_IJSD_SD_EEES6_PiJS6_EEE10hipError_tPvRmT3_T4_T5_T6_T7_T9_mT8_P12ihipStream_tbDpT10_ENKUlT_T0_E_clISt17integral_constantIbLb0EES1D_IbLb1EEEEDaS19_S1A_EUlS19_E_NS1_11comp_targetILNS1_3genE2ELNS1_11target_archE906ELNS1_3gpuE6ELNS1_3repE0EEENS1_30default_config_static_selectorELNS0_4arch9wavefront6targetE0EEEvT1_,"axG",@progbits,_ZN7rocprim17ROCPRIM_400000_NS6detail17trampoline_kernelINS0_14default_configENS1_25partition_config_selectorILNS1_17partition_subalgoE5ElNS0_10empty_typeEbEEZZNS1_14partition_implILS5_5ELb0ES3_mN6hipcub16HIPCUB_304000_NS21CountingInputIteratorIllEEPS6_NSA_22TransformInputIteratorIbN2at6native12_GLOBAL__N_19NonZeroOpIN3c107complexIfEEEEPKSL_lEENS0_5tupleIJPlS6_EEENSQ_IJSD_SD_EEES6_PiJS6_EEE10hipError_tPvRmT3_T4_T5_T6_T7_T9_mT8_P12ihipStream_tbDpT10_ENKUlT_T0_E_clISt17integral_constantIbLb0EES1D_IbLb1EEEEDaS19_S1A_EUlS19_E_NS1_11comp_targetILNS1_3genE2ELNS1_11target_archE906ELNS1_3gpuE6ELNS1_3repE0EEENS1_30default_config_static_selectorELNS0_4arch9wavefront6targetE0EEEvT1_,comdat
	.globl	_ZN7rocprim17ROCPRIM_400000_NS6detail17trampoline_kernelINS0_14default_configENS1_25partition_config_selectorILNS1_17partition_subalgoE5ElNS0_10empty_typeEbEEZZNS1_14partition_implILS5_5ELb0ES3_mN6hipcub16HIPCUB_304000_NS21CountingInputIteratorIllEEPS6_NSA_22TransformInputIteratorIbN2at6native12_GLOBAL__N_19NonZeroOpIN3c107complexIfEEEEPKSL_lEENS0_5tupleIJPlS6_EEENSQ_IJSD_SD_EEES6_PiJS6_EEE10hipError_tPvRmT3_T4_T5_T6_T7_T9_mT8_P12ihipStream_tbDpT10_ENKUlT_T0_E_clISt17integral_constantIbLb0EES1D_IbLb1EEEEDaS19_S1A_EUlS19_E_NS1_11comp_targetILNS1_3genE2ELNS1_11target_archE906ELNS1_3gpuE6ELNS1_3repE0EEENS1_30default_config_static_selectorELNS0_4arch9wavefront6targetE0EEEvT1_ ; -- Begin function _ZN7rocprim17ROCPRIM_400000_NS6detail17trampoline_kernelINS0_14default_configENS1_25partition_config_selectorILNS1_17partition_subalgoE5ElNS0_10empty_typeEbEEZZNS1_14partition_implILS5_5ELb0ES3_mN6hipcub16HIPCUB_304000_NS21CountingInputIteratorIllEEPS6_NSA_22TransformInputIteratorIbN2at6native12_GLOBAL__N_19NonZeroOpIN3c107complexIfEEEEPKSL_lEENS0_5tupleIJPlS6_EEENSQ_IJSD_SD_EEES6_PiJS6_EEE10hipError_tPvRmT3_T4_T5_T6_T7_T9_mT8_P12ihipStream_tbDpT10_ENKUlT_T0_E_clISt17integral_constantIbLb0EES1D_IbLb1EEEEDaS19_S1A_EUlS19_E_NS1_11comp_targetILNS1_3genE2ELNS1_11target_archE906ELNS1_3gpuE6ELNS1_3repE0EEENS1_30default_config_static_selectorELNS0_4arch9wavefront6targetE0EEEvT1_
	.p2align	8
	.type	_ZN7rocprim17ROCPRIM_400000_NS6detail17trampoline_kernelINS0_14default_configENS1_25partition_config_selectorILNS1_17partition_subalgoE5ElNS0_10empty_typeEbEEZZNS1_14partition_implILS5_5ELb0ES3_mN6hipcub16HIPCUB_304000_NS21CountingInputIteratorIllEEPS6_NSA_22TransformInputIteratorIbN2at6native12_GLOBAL__N_19NonZeroOpIN3c107complexIfEEEEPKSL_lEENS0_5tupleIJPlS6_EEENSQ_IJSD_SD_EEES6_PiJS6_EEE10hipError_tPvRmT3_T4_T5_T6_T7_T9_mT8_P12ihipStream_tbDpT10_ENKUlT_T0_E_clISt17integral_constantIbLb0EES1D_IbLb1EEEEDaS19_S1A_EUlS19_E_NS1_11comp_targetILNS1_3genE2ELNS1_11target_archE906ELNS1_3gpuE6ELNS1_3repE0EEENS1_30default_config_static_selectorELNS0_4arch9wavefront6targetE0EEEvT1_,@function
_ZN7rocprim17ROCPRIM_400000_NS6detail17trampoline_kernelINS0_14default_configENS1_25partition_config_selectorILNS1_17partition_subalgoE5ElNS0_10empty_typeEbEEZZNS1_14partition_implILS5_5ELb0ES3_mN6hipcub16HIPCUB_304000_NS21CountingInputIteratorIllEEPS6_NSA_22TransformInputIteratorIbN2at6native12_GLOBAL__N_19NonZeroOpIN3c107complexIfEEEEPKSL_lEENS0_5tupleIJPlS6_EEENSQ_IJSD_SD_EEES6_PiJS6_EEE10hipError_tPvRmT3_T4_T5_T6_T7_T9_mT8_P12ihipStream_tbDpT10_ENKUlT_T0_E_clISt17integral_constantIbLb0EES1D_IbLb1EEEEDaS19_S1A_EUlS19_E_NS1_11comp_targetILNS1_3genE2ELNS1_11target_archE906ELNS1_3gpuE6ELNS1_3repE0EEENS1_30default_config_static_selectorELNS0_4arch9wavefront6targetE0EEEvT1_: ; @_ZN7rocprim17ROCPRIM_400000_NS6detail17trampoline_kernelINS0_14default_configENS1_25partition_config_selectorILNS1_17partition_subalgoE5ElNS0_10empty_typeEbEEZZNS1_14partition_implILS5_5ELb0ES3_mN6hipcub16HIPCUB_304000_NS21CountingInputIteratorIllEEPS6_NSA_22TransformInputIteratorIbN2at6native12_GLOBAL__N_19NonZeroOpIN3c107complexIfEEEEPKSL_lEENS0_5tupleIJPlS6_EEENSQ_IJSD_SD_EEES6_PiJS6_EEE10hipError_tPvRmT3_T4_T5_T6_T7_T9_mT8_P12ihipStream_tbDpT10_ENKUlT_T0_E_clISt17integral_constantIbLb0EES1D_IbLb1EEEEDaS19_S1A_EUlS19_E_NS1_11comp_targetILNS1_3genE2ELNS1_11target_archE906ELNS1_3gpuE6ELNS1_3repE0EEENS1_30default_config_static_selectorELNS0_4arch9wavefront6targetE0EEEvT1_
; %bb.0:
	.section	.rodata,"a",@progbits
	.p2align	6, 0x0
	.amdhsa_kernel _ZN7rocprim17ROCPRIM_400000_NS6detail17trampoline_kernelINS0_14default_configENS1_25partition_config_selectorILNS1_17partition_subalgoE5ElNS0_10empty_typeEbEEZZNS1_14partition_implILS5_5ELb0ES3_mN6hipcub16HIPCUB_304000_NS21CountingInputIteratorIllEEPS6_NSA_22TransformInputIteratorIbN2at6native12_GLOBAL__N_19NonZeroOpIN3c107complexIfEEEEPKSL_lEENS0_5tupleIJPlS6_EEENSQ_IJSD_SD_EEES6_PiJS6_EEE10hipError_tPvRmT3_T4_T5_T6_T7_T9_mT8_P12ihipStream_tbDpT10_ENKUlT_T0_E_clISt17integral_constantIbLb0EES1D_IbLb1EEEEDaS19_S1A_EUlS19_E_NS1_11comp_targetILNS1_3genE2ELNS1_11target_archE906ELNS1_3gpuE6ELNS1_3repE0EEENS1_30default_config_static_selectorELNS0_4arch9wavefront6targetE0EEEvT1_
		.amdhsa_group_segment_fixed_size 0
		.amdhsa_private_segment_fixed_size 0
		.amdhsa_kernarg_size 136
		.amdhsa_user_sgpr_count 2
		.amdhsa_user_sgpr_dispatch_ptr 0
		.amdhsa_user_sgpr_queue_ptr 0
		.amdhsa_user_sgpr_kernarg_segment_ptr 1
		.amdhsa_user_sgpr_dispatch_id 0
		.amdhsa_user_sgpr_private_segment_size 0
		.amdhsa_wavefront_size32 1
		.amdhsa_uses_dynamic_stack 0
		.amdhsa_enable_private_segment 0
		.amdhsa_system_sgpr_workgroup_id_x 1
		.amdhsa_system_sgpr_workgroup_id_y 0
		.amdhsa_system_sgpr_workgroup_id_z 0
		.amdhsa_system_sgpr_workgroup_info 0
		.amdhsa_system_vgpr_workitem_id 0
		.amdhsa_next_free_vgpr 1
		.amdhsa_next_free_sgpr 1
		.amdhsa_reserve_vcc 0
		.amdhsa_float_round_mode_32 0
		.amdhsa_float_round_mode_16_64 0
		.amdhsa_float_denorm_mode_32 3
		.amdhsa_float_denorm_mode_16_64 3
		.amdhsa_fp16_overflow 0
		.amdhsa_workgroup_processor_mode 1
		.amdhsa_memory_ordered 1
		.amdhsa_forward_progress 1
		.amdhsa_inst_pref_size 0
		.amdhsa_round_robin_scheduling 0
		.amdhsa_exception_fp_ieee_invalid_op 0
		.amdhsa_exception_fp_denorm_src 0
		.amdhsa_exception_fp_ieee_div_zero 0
		.amdhsa_exception_fp_ieee_overflow 0
		.amdhsa_exception_fp_ieee_underflow 0
		.amdhsa_exception_fp_ieee_inexact 0
		.amdhsa_exception_int_div_zero 0
	.end_amdhsa_kernel
	.section	.text._ZN7rocprim17ROCPRIM_400000_NS6detail17trampoline_kernelINS0_14default_configENS1_25partition_config_selectorILNS1_17partition_subalgoE5ElNS0_10empty_typeEbEEZZNS1_14partition_implILS5_5ELb0ES3_mN6hipcub16HIPCUB_304000_NS21CountingInputIteratorIllEEPS6_NSA_22TransformInputIteratorIbN2at6native12_GLOBAL__N_19NonZeroOpIN3c107complexIfEEEEPKSL_lEENS0_5tupleIJPlS6_EEENSQ_IJSD_SD_EEES6_PiJS6_EEE10hipError_tPvRmT3_T4_T5_T6_T7_T9_mT8_P12ihipStream_tbDpT10_ENKUlT_T0_E_clISt17integral_constantIbLb0EES1D_IbLb1EEEEDaS19_S1A_EUlS19_E_NS1_11comp_targetILNS1_3genE2ELNS1_11target_archE906ELNS1_3gpuE6ELNS1_3repE0EEENS1_30default_config_static_selectorELNS0_4arch9wavefront6targetE0EEEvT1_,"axG",@progbits,_ZN7rocprim17ROCPRIM_400000_NS6detail17trampoline_kernelINS0_14default_configENS1_25partition_config_selectorILNS1_17partition_subalgoE5ElNS0_10empty_typeEbEEZZNS1_14partition_implILS5_5ELb0ES3_mN6hipcub16HIPCUB_304000_NS21CountingInputIteratorIllEEPS6_NSA_22TransformInputIteratorIbN2at6native12_GLOBAL__N_19NonZeroOpIN3c107complexIfEEEEPKSL_lEENS0_5tupleIJPlS6_EEENSQ_IJSD_SD_EEES6_PiJS6_EEE10hipError_tPvRmT3_T4_T5_T6_T7_T9_mT8_P12ihipStream_tbDpT10_ENKUlT_T0_E_clISt17integral_constantIbLb0EES1D_IbLb1EEEEDaS19_S1A_EUlS19_E_NS1_11comp_targetILNS1_3genE2ELNS1_11target_archE906ELNS1_3gpuE6ELNS1_3repE0EEENS1_30default_config_static_selectorELNS0_4arch9wavefront6targetE0EEEvT1_,comdat
.Lfunc_end622:
	.size	_ZN7rocprim17ROCPRIM_400000_NS6detail17trampoline_kernelINS0_14default_configENS1_25partition_config_selectorILNS1_17partition_subalgoE5ElNS0_10empty_typeEbEEZZNS1_14partition_implILS5_5ELb0ES3_mN6hipcub16HIPCUB_304000_NS21CountingInputIteratorIllEEPS6_NSA_22TransformInputIteratorIbN2at6native12_GLOBAL__N_19NonZeroOpIN3c107complexIfEEEEPKSL_lEENS0_5tupleIJPlS6_EEENSQ_IJSD_SD_EEES6_PiJS6_EEE10hipError_tPvRmT3_T4_T5_T6_T7_T9_mT8_P12ihipStream_tbDpT10_ENKUlT_T0_E_clISt17integral_constantIbLb0EES1D_IbLb1EEEEDaS19_S1A_EUlS19_E_NS1_11comp_targetILNS1_3genE2ELNS1_11target_archE906ELNS1_3gpuE6ELNS1_3repE0EEENS1_30default_config_static_selectorELNS0_4arch9wavefront6targetE0EEEvT1_, .Lfunc_end622-_ZN7rocprim17ROCPRIM_400000_NS6detail17trampoline_kernelINS0_14default_configENS1_25partition_config_selectorILNS1_17partition_subalgoE5ElNS0_10empty_typeEbEEZZNS1_14partition_implILS5_5ELb0ES3_mN6hipcub16HIPCUB_304000_NS21CountingInputIteratorIllEEPS6_NSA_22TransformInputIteratorIbN2at6native12_GLOBAL__N_19NonZeroOpIN3c107complexIfEEEEPKSL_lEENS0_5tupleIJPlS6_EEENSQ_IJSD_SD_EEES6_PiJS6_EEE10hipError_tPvRmT3_T4_T5_T6_T7_T9_mT8_P12ihipStream_tbDpT10_ENKUlT_T0_E_clISt17integral_constantIbLb0EES1D_IbLb1EEEEDaS19_S1A_EUlS19_E_NS1_11comp_targetILNS1_3genE2ELNS1_11target_archE906ELNS1_3gpuE6ELNS1_3repE0EEENS1_30default_config_static_selectorELNS0_4arch9wavefront6targetE0EEEvT1_
                                        ; -- End function
	.set _ZN7rocprim17ROCPRIM_400000_NS6detail17trampoline_kernelINS0_14default_configENS1_25partition_config_selectorILNS1_17partition_subalgoE5ElNS0_10empty_typeEbEEZZNS1_14partition_implILS5_5ELb0ES3_mN6hipcub16HIPCUB_304000_NS21CountingInputIteratorIllEEPS6_NSA_22TransformInputIteratorIbN2at6native12_GLOBAL__N_19NonZeroOpIN3c107complexIfEEEEPKSL_lEENS0_5tupleIJPlS6_EEENSQ_IJSD_SD_EEES6_PiJS6_EEE10hipError_tPvRmT3_T4_T5_T6_T7_T9_mT8_P12ihipStream_tbDpT10_ENKUlT_T0_E_clISt17integral_constantIbLb0EES1D_IbLb1EEEEDaS19_S1A_EUlS19_E_NS1_11comp_targetILNS1_3genE2ELNS1_11target_archE906ELNS1_3gpuE6ELNS1_3repE0EEENS1_30default_config_static_selectorELNS0_4arch9wavefront6targetE0EEEvT1_.num_vgpr, 0
	.set _ZN7rocprim17ROCPRIM_400000_NS6detail17trampoline_kernelINS0_14default_configENS1_25partition_config_selectorILNS1_17partition_subalgoE5ElNS0_10empty_typeEbEEZZNS1_14partition_implILS5_5ELb0ES3_mN6hipcub16HIPCUB_304000_NS21CountingInputIteratorIllEEPS6_NSA_22TransformInputIteratorIbN2at6native12_GLOBAL__N_19NonZeroOpIN3c107complexIfEEEEPKSL_lEENS0_5tupleIJPlS6_EEENSQ_IJSD_SD_EEES6_PiJS6_EEE10hipError_tPvRmT3_T4_T5_T6_T7_T9_mT8_P12ihipStream_tbDpT10_ENKUlT_T0_E_clISt17integral_constantIbLb0EES1D_IbLb1EEEEDaS19_S1A_EUlS19_E_NS1_11comp_targetILNS1_3genE2ELNS1_11target_archE906ELNS1_3gpuE6ELNS1_3repE0EEENS1_30default_config_static_selectorELNS0_4arch9wavefront6targetE0EEEvT1_.num_agpr, 0
	.set _ZN7rocprim17ROCPRIM_400000_NS6detail17trampoline_kernelINS0_14default_configENS1_25partition_config_selectorILNS1_17partition_subalgoE5ElNS0_10empty_typeEbEEZZNS1_14partition_implILS5_5ELb0ES3_mN6hipcub16HIPCUB_304000_NS21CountingInputIteratorIllEEPS6_NSA_22TransformInputIteratorIbN2at6native12_GLOBAL__N_19NonZeroOpIN3c107complexIfEEEEPKSL_lEENS0_5tupleIJPlS6_EEENSQ_IJSD_SD_EEES6_PiJS6_EEE10hipError_tPvRmT3_T4_T5_T6_T7_T9_mT8_P12ihipStream_tbDpT10_ENKUlT_T0_E_clISt17integral_constantIbLb0EES1D_IbLb1EEEEDaS19_S1A_EUlS19_E_NS1_11comp_targetILNS1_3genE2ELNS1_11target_archE906ELNS1_3gpuE6ELNS1_3repE0EEENS1_30default_config_static_selectorELNS0_4arch9wavefront6targetE0EEEvT1_.numbered_sgpr, 0
	.set _ZN7rocprim17ROCPRIM_400000_NS6detail17trampoline_kernelINS0_14default_configENS1_25partition_config_selectorILNS1_17partition_subalgoE5ElNS0_10empty_typeEbEEZZNS1_14partition_implILS5_5ELb0ES3_mN6hipcub16HIPCUB_304000_NS21CountingInputIteratorIllEEPS6_NSA_22TransformInputIteratorIbN2at6native12_GLOBAL__N_19NonZeroOpIN3c107complexIfEEEEPKSL_lEENS0_5tupleIJPlS6_EEENSQ_IJSD_SD_EEES6_PiJS6_EEE10hipError_tPvRmT3_T4_T5_T6_T7_T9_mT8_P12ihipStream_tbDpT10_ENKUlT_T0_E_clISt17integral_constantIbLb0EES1D_IbLb1EEEEDaS19_S1A_EUlS19_E_NS1_11comp_targetILNS1_3genE2ELNS1_11target_archE906ELNS1_3gpuE6ELNS1_3repE0EEENS1_30default_config_static_selectorELNS0_4arch9wavefront6targetE0EEEvT1_.num_named_barrier, 0
	.set _ZN7rocprim17ROCPRIM_400000_NS6detail17trampoline_kernelINS0_14default_configENS1_25partition_config_selectorILNS1_17partition_subalgoE5ElNS0_10empty_typeEbEEZZNS1_14partition_implILS5_5ELb0ES3_mN6hipcub16HIPCUB_304000_NS21CountingInputIteratorIllEEPS6_NSA_22TransformInputIteratorIbN2at6native12_GLOBAL__N_19NonZeroOpIN3c107complexIfEEEEPKSL_lEENS0_5tupleIJPlS6_EEENSQ_IJSD_SD_EEES6_PiJS6_EEE10hipError_tPvRmT3_T4_T5_T6_T7_T9_mT8_P12ihipStream_tbDpT10_ENKUlT_T0_E_clISt17integral_constantIbLb0EES1D_IbLb1EEEEDaS19_S1A_EUlS19_E_NS1_11comp_targetILNS1_3genE2ELNS1_11target_archE906ELNS1_3gpuE6ELNS1_3repE0EEENS1_30default_config_static_selectorELNS0_4arch9wavefront6targetE0EEEvT1_.private_seg_size, 0
	.set _ZN7rocprim17ROCPRIM_400000_NS6detail17trampoline_kernelINS0_14default_configENS1_25partition_config_selectorILNS1_17partition_subalgoE5ElNS0_10empty_typeEbEEZZNS1_14partition_implILS5_5ELb0ES3_mN6hipcub16HIPCUB_304000_NS21CountingInputIteratorIllEEPS6_NSA_22TransformInputIteratorIbN2at6native12_GLOBAL__N_19NonZeroOpIN3c107complexIfEEEEPKSL_lEENS0_5tupleIJPlS6_EEENSQ_IJSD_SD_EEES6_PiJS6_EEE10hipError_tPvRmT3_T4_T5_T6_T7_T9_mT8_P12ihipStream_tbDpT10_ENKUlT_T0_E_clISt17integral_constantIbLb0EES1D_IbLb1EEEEDaS19_S1A_EUlS19_E_NS1_11comp_targetILNS1_3genE2ELNS1_11target_archE906ELNS1_3gpuE6ELNS1_3repE0EEENS1_30default_config_static_selectorELNS0_4arch9wavefront6targetE0EEEvT1_.uses_vcc, 0
	.set _ZN7rocprim17ROCPRIM_400000_NS6detail17trampoline_kernelINS0_14default_configENS1_25partition_config_selectorILNS1_17partition_subalgoE5ElNS0_10empty_typeEbEEZZNS1_14partition_implILS5_5ELb0ES3_mN6hipcub16HIPCUB_304000_NS21CountingInputIteratorIllEEPS6_NSA_22TransformInputIteratorIbN2at6native12_GLOBAL__N_19NonZeroOpIN3c107complexIfEEEEPKSL_lEENS0_5tupleIJPlS6_EEENSQ_IJSD_SD_EEES6_PiJS6_EEE10hipError_tPvRmT3_T4_T5_T6_T7_T9_mT8_P12ihipStream_tbDpT10_ENKUlT_T0_E_clISt17integral_constantIbLb0EES1D_IbLb1EEEEDaS19_S1A_EUlS19_E_NS1_11comp_targetILNS1_3genE2ELNS1_11target_archE906ELNS1_3gpuE6ELNS1_3repE0EEENS1_30default_config_static_selectorELNS0_4arch9wavefront6targetE0EEEvT1_.uses_flat_scratch, 0
	.set _ZN7rocprim17ROCPRIM_400000_NS6detail17trampoline_kernelINS0_14default_configENS1_25partition_config_selectorILNS1_17partition_subalgoE5ElNS0_10empty_typeEbEEZZNS1_14partition_implILS5_5ELb0ES3_mN6hipcub16HIPCUB_304000_NS21CountingInputIteratorIllEEPS6_NSA_22TransformInputIteratorIbN2at6native12_GLOBAL__N_19NonZeroOpIN3c107complexIfEEEEPKSL_lEENS0_5tupleIJPlS6_EEENSQ_IJSD_SD_EEES6_PiJS6_EEE10hipError_tPvRmT3_T4_T5_T6_T7_T9_mT8_P12ihipStream_tbDpT10_ENKUlT_T0_E_clISt17integral_constantIbLb0EES1D_IbLb1EEEEDaS19_S1A_EUlS19_E_NS1_11comp_targetILNS1_3genE2ELNS1_11target_archE906ELNS1_3gpuE6ELNS1_3repE0EEENS1_30default_config_static_selectorELNS0_4arch9wavefront6targetE0EEEvT1_.has_dyn_sized_stack, 0
	.set _ZN7rocprim17ROCPRIM_400000_NS6detail17trampoline_kernelINS0_14default_configENS1_25partition_config_selectorILNS1_17partition_subalgoE5ElNS0_10empty_typeEbEEZZNS1_14partition_implILS5_5ELb0ES3_mN6hipcub16HIPCUB_304000_NS21CountingInputIteratorIllEEPS6_NSA_22TransformInputIteratorIbN2at6native12_GLOBAL__N_19NonZeroOpIN3c107complexIfEEEEPKSL_lEENS0_5tupleIJPlS6_EEENSQ_IJSD_SD_EEES6_PiJS6_EEE10hipError_tPvRmT3_T4_T5_T6_T7_T9_mT8_P12ihipStream_tbDpT10_ENKUlT_T0_E_clISt17integral_constantIbLb0EES1D_IbLb1EEEEDaS19_S1A_EUlS19_E_NS1_11comp_targetILNS1_3genE2ELNS1_11target_archE906ELNS1_3gpuE6ELNS1_3repE0EEENS1_30default_config_static_selectorELNS0_4arch9wavefront6targetE0EEEvT1_.has_recursion, 0
	.set _ZN7rocprim17ROCPRIM_400000_NS6detail17trampoline_kernelINS0_14default_configENS1_25partition_config_selectorILNS1_17partition_subalgoE5ElNS0_10empty_typeEbEEZZNS1_14partition_implILS5_5ELb0ES3_mN6hipcub16HIPCUB_304000_NS21CountingInputIteratorIllEEPS6_NSA_22TransformInputIteratorIbN2at6native12_GLOBAL__N_19NonZeroOpIN3c107complexIfEEEEPKSL_lEENS0_5tupleIJPlS6_EEENSQ_IJSD_SD_EEES6_PiJS6_EEE10hipError_tPvRmT3_T4_T5_T6_T7_T9_mT8_P12ihipStream_tbDpT10_ENKUlT_T0_E_clISt17integral_constantIbLb0EES1D_IbLb1EEEEDaS19_S1A_EUlS19_E_NS1_11comp_targetILNS1_3genE2ELNS1_11target_archE906ELNS1_3gpuE6ELNS1_3repE0EEENS1_30default_config_static_selectorELNS0_4arch9wavefront6targetE0EEEvT1_.has_indirect_call, 0
	.section	.AMDGPU.csdata,"",@progbits
; Kernel info:
; codeLenInByte = 0
; TotalNumSgprs: 0
; NumVgprs: 0
; ScratchSize: 0
; MemoryBound: 0
; FloatMode: 240
; IeeeMode: 1
; LDSByteSize: 0 bytes/workgroup (compile time only)
; SGPRBlocks: 0
; VGPRBlocks: 0
; NumSGPRsForWavesPerEU: 1
; NumVGPRsForWavesPerEU: 1
; Occupancy: 16
; WaveLimiterHint : 0
; COMPUTE_PGM_RSRC2:SCRATCH_EN: 0
; COMPUTE_PGM_RSRC2:USER_SGPR: 2
; COMPUTE_PGM_RSRC2:TRAP_HANDLER: 0
; COMPUTE_PGM_RSRC2:TGID_X_EN: 1
; COMPUTE_PGM_RSRC2:TGID_Y_EN: 0
; COMPUTE_PGM_RSRC2:TGID_Z_EN: 0
; COMPUTE_PGM_RSRC2:TIDIG_COMP_CNT: 0
	.section	.text._ZN7rocprim17ROCPRIM_400000_NS6detail17trampoline_kernelINS0_14default_configENS1_25partition_config_selectorILNS1_17partition_subalgoE5ElNS0_10empty_typeEbEEZZNS1_14partition_implILS5_5ELb0ES3_mN6hipcub16HIPCUB_304000_NS21CountingInputIteratorIllEEPS6_NSA_22TransformInputIteratorIbN2at6native12_GLOBAL__N_19NonZeroOpIN3c107complexIfEEEEPKSL_lEENS0_5tupleIJPlS6_EEENSQ_IJSD_SD_EEES6_PiJS6_EEE10hipError_tPvRmT3_T4_T5_T6_T7_T9_mT8_P12ihipStream_tbDpT10_ENKUlT_T0_E_clISt17integral_constantIbLb0EES1D_IbLb1EEEEDaS19_S1A_EUlS19_E_NS1_11comp_targetILNS1_3genE10ELNS1_11target_archE1200ELNS1_3gpuE4ELNS1_3repE0EEENS1_30default_config_static_selectorELNS0_4arch9wavefront6targetE0EEEvT1_,"axG",@progbits,_ZN7rocprim17ROCPRIM_400000_NS6detail17trampoline_kernelINS0_14default_configENS1_25partition_config_selectorILNS1_17partition_subalgoE5ElNS0_10empty_typeEbEEZZNS1_14partition_implILS5_5ELb0ES3_mN6hipcub16HIPCUB_304000_NS21CountingInputIteratorIllEEPS6_NSA_22TransformInputIteratorIbN2at6native12_GLOBAL__N_19NonZeroOpIN3c107complexIfEEEEPKSL_lEENS0_5tupleIJPlS6_EEENSQ_IJSD_SD_EEES6_PiJS6_EEE10hipError_tPvRmT3_T4_T5_T6_T7_T9_mT8_P12ihipStream_tbDpT10_ENKUlT_T0_E_clISt17integral_constantIbLb0EES1D_IbLb1EEEEDaS19_S1A_EUlS19_E_NS1_11comp_targetILNS1_3genE10ELNS1_11target_archE1200ELNS1_3gpuE4ELNS1_3repE0EEENS1_30default_config_static_selectorELNS0_4arch9wavefront6targetE0EEEvT1_,comdat
	.globl	_ZN7rocprim17ROCPRIM_400000_NS6detail17trampoline_kernelINS0_14default_configENS1_25partition_config_selectorILNS1_17partition_subalgoE5ElNS0_10empty_typeEbEEZZNS1_14partition_implILS5_5ELb0ES3_mN6hipcub16HIPCUB_304000_NS21CountingInputIteratorIllEEPS6_NSA_22TransformInputIteratorIbN2at6native12_GLOBAL__N_19NonZeroOpIN3c107complexIfEEEEPKSL_lEENS0_5tupleIJPlS6_EEENSQ_IJSD_SD_EEES6_PiJS6_EEE10hipError_tPvRmT3_T4_T5_T6_T7_T9_mT8_P12ihipStream_tbDpT10_ENKUlT_T0_E_clISt17integral_constantIbLb0EES1D_IbLb1EEEEDaS19_S1A_EUlS19_E_NS1_11comp_targetILNS1_3genE10ELNS1_11target_archE1200ELNS1_3gpuE4ELNS1_3repE0EEENS1_30default_config_static_selectorELNS0_4arch9wavefront6targetE0EEEvT1_ ; -- Begin function _ZN7rocprim17ROCPRIM_400000_NS6detail17trampoline_kernelINS0_14default_configENS1_25partition_config_selectorILNS1_17partition_subalgoE5ElNS0_10empty_typeEbEEZZNS1_14partition_implILS5_5ELb0ES3_mN6hipcub16HIPCUB_304000_NS21CountingInputIteratorIllEEPS6_NSA_22TransformInputIteratorIbN2at6native12_GLOBAL__N_19NonZeroOpIN3c107complexIfEEEEPKSL_lEENS0_5tupleIJPlS6_EEENSQ_IJSD_SD_EEES6_PiJS6_EEE10hipError_tPvRmT3_T4_T5_T6_T7_T9_mT8_P12ihipStream_tbDpT10_ENKUlT_T0_E_clISt17integral_constantIbLb0EES1D_IbLb1EEEEDaS19_S1A_EUlS19_E_NS1_11comp_targetILNS1_3genE10ELNS1_11target_archE1200ELNS1_3gpuE4ELNS1_3repE0EEENS1_30default_config_static_selectorELNS0_4arch9wavefront6targetE0EEEvT1_
	.p2align	8
	.type	_ZN7rocprim17ROCPRIM_400000_NS6detail17trampoline_kernelINS0_14default_configENS1_25partition_config_selectorILNS1_17partition_subalgoE5ElNS0_10empty_typeEbEEZZNS1_14partition_implILS5_5ELb0ES3_mN6hipcub16HIPCUB_304000_NS21CountingInputIteratorIllEEPS6_NSA_22TransformInputIteratorIbN2at6native12_GLOBAL__N_19NonZeroOpIN3c107complexIfEEEEPKSL_lEENS0_5tupleIJPlS6_EEENSQ_IJSD_SD_EEES6_PiJS6_EEE10hipError_tPvRmT3_T4_T5_T6_T7_T9_mT8_P12ihipStream_tbDpT10_ENKUlT_T0_E_clISt17integral_constantIbLb0EES1D_IbLb1EEEEDaS19_S1A_EUlS19_E_NS1_11comp_targetILNS1_3genE10ELNS1_11target_archE1200ELNS1_3gpuE4ELNS1_3repE0EEENS1_30default_config_static_selectorELNS0_4arch9wavefront6targetE0EEEvT1_,@function
_ZN7rocprim17ROCPRIM_400000_NS6detail17trampoline_kernelINS0_14default_configENS1_25partition_config_selectorILNS1_17partition_subalgoE5ElNS0_10empty_typeEbEEZZNS1_14partition_implILS5_5ELb0ES3_mN6hipcub16HIPCUB_304000_NS21CountingInputIteratorIllEEPS6_NSA_22TransformInputIteratorIbN2at6native12_GLOBAL__N_19NonZeroOpIN3c107complexIfEEEEPKSL_lEENS0_5tupleIJPlS6_EEENSQ_IJSD_SD_EEES6_PiJS6_EEE10hipError_tPvRmT3_T4_T5_T6_T7_T9_mT8_P12ihipStream_tbDpT10_ENKUlT_T0_E_clISt17integral_constantIbLb0EES1D_IbLb1EEEEDaS19_S1A_EUlS19_E_NS1_11comp_targetILNS1_3genE10ELNS1_11target_archE1200ELNS1_3gpuE4ELNS1_3repE0EEENS1_30default_config_static_selectorELNS0_4arch9wavefront6targetE0EEEvT1_: ; @_ZN7rocprim17ROCPRIM_400000_NS6detail17trampoline_kernelINS0_14default_configENS1_25partition_config_selectorILNS1_17partition_subalgoE5ElNS0_10empty_typeEbEEZZNS1_14partition_implILS5_5ELb0ES3_mN6hipcub16HIPCUB_304000_NS21CountingInputIteratorIllEEPS6_NSA_22TransformInputIteratorIbN2at6native12_GLOBAL__N_19NonZeroOpIN3c107complexIfEEEEPKSL_lEENS0_5tupleIJPlS6_EEENSQ_IJSD_SD_EEES6_PiJS6_EEE10hipError_tPvRmT3_T4_T5_T6_T7_T9_mT8_P12ihipStream_tbDpT10_ENKUlT_T0_E_clISt17integral_constantIbLb0EES1D_IbLb1EEEEDaS19_S1A_EUlS19_E_NS1_11comp_targetILNS1_3genE10ELNS1_11target_archE1200ELNS1_3gpuE4ELNS1_3repE0EEENS1_30default_config_static_selectorELNS0_4arch9wavefront6targetE0EEEvT1_
; %bb.0:
	s_clause 0x3
	s_load_b64 s[12:13], s[0:1], 0x30
	s_load_b128 s[8:11], s[0:1], 0x48
	s_load_b64 s[18:19], s[0:1], 0x58
	s_load_b64 s[14:15], s[0:1], 0x68
	v_cmp_eq_u32_e64 s2, 0, v0
	s_and_saveexec_b32 s3, s2
	s_cbranch_execz .LBB623_4
; %bb.1:
	s_mov_b32 s5, exec_lo
	s_mov_b32 s4, exec_lo
	v_mbcnt_lo_u32_b32 v1, s5, 0
                                        ; implicit-def: $vgpr2
	s_delay_alu instid0(VALU_DEP_1)
	v_cmpx_eq_u32_e32 0, v1
	s_cbranch_execz .LBB623_3
; %bb.2:
	s_load_b64 s[6:7], s[0:1], 0x78
	s_bcnt1_i32_b32 s5, s5
	s_wait_alu 0xfffe
	v_dual_mov_b32 v2, 0 :: v_dual_mov_b32 v3, s5
	s_wait_kmcnt 0x0
	global_atomic_add_u32 v2, v2, v3, s[6:7] th:TH_ATOMIC_RETURN scope:SCOPE_DEV
.LBB623_3:
	s_or_b32 exec_lo, exec_lo, s4
	s_wait_loadcnt 0x0
	v_readfirstlane_b32 s4, v2
	s_wait_alu 0xf1ff
	s_delay_alu instid0(VALU_DEP_1)
	v_dual_mov_b32 v2, 0 :: v_dual_add_nc_u32 v1, s4, v1
	ds_store_b32 v2, v1
.LBB623_4:
	s_or_b32 exec_lo, exec_lo, s3
	v_mov_b32_e32 v1, 0
	s_clause 0x2
	s_load_b128 s[4:7], s[0:1], 0x8
	s_load_b64 s[16:17], s[0:1], 0x20
	s_load_b32 s0, s[0:1], 0x70
	s_wait_dscnt 0x0
	s_barrier_signal -1
	s_barrier_wait -1
	global_inv scope:SCOPE_SE
	ds_load_b32 v2, v1
	s_wait_loadcnt_dscnt 0x0
	s_barrier_signal -1
	s_barrier_wait -1
	global_inv scope:SCOPE_SE
	s_wait_kmcnt 0x0
	global_load_b64 v[17:18], v1, s[10:11]
	s_mov_b32 s11, 0
	v_lshrrev_b32_e32 v1, 2, v0
	v_or_b32_e32 v10, 0x200, v0
	v_or_b32_e32 v9, 0x300, v0
	s_add_nc_u64 s[4:5], s[6:7], s[4:5]
	s_lshl_b32 s10, s0, 10
	s_add_co_i32 s20, s0, -1
	s_add_nc_u64 s[0:1], s[6:7], s[10:11]
	s_lshl_b32 s10, s20, 10
	v_cmp_le_u64_e64 s1, s[18:19], s[0:1]
	v_readfirstlane_b32 s21, v2
	s_add_co_i32 s0, s6, s10
	s_lshl_b32 s3, s21, 10
	s_cmp_eq_u32 s21, s20
	s_mov_b32 s10, s3
	s_cselect_b32 s19, -1, 0
	s_wait_alu 0xfffe
	s_and_b32 s1, s1, s19
	s_wait_alu 0xfffe
	s_xor_b32 s20, s1, -1
	s_mov_b32 s1, -1
	s_and_b32 vcc_lo, exec_lo, s20
	s_cbranch_vccz .LBB623_6
; %bb.5:
	v_or_b32_e32 v8, 0x100, v0
	s_add_nc_u64 s[22:23], s[10:11], s[4:5]
	v_lshrrev_b32_e32 v11, 2, v10
	v_add_co_u32 v2, s1, s22, v0
	s_delay_alu instid0(VALU_DEP_3)
	v_lshrrev_b32_e32 v8, 2, v8
	v_lshrrev_b32_e32 v12, 2, v9
	s_wait_alu 0xf1fe
	v_add_co_ci_u32_e64 v3, null, s23, 0, s1
	v_and_b32_e32 v13, 56, v1
	v_lshlrev_b32_e32 v14, 3, v0
	v_and_b32_e32 v8, 0x78, v8
	v_add_co_u32 v4, vcc_lo, 0x100, v2
	v_and_b32_e32 v15, 0xb8, v11
	v_and_b32_e32 v16, 0xf8, v12
	v_add_co_ci_u32_e64 v5, null, 0, v3, vcc_lo
	v_add_co_u32 v6, vcc_lo, 0x200, v2
	v_add_nc_u32_e32 v13, v13, v14
	s_wait_alu 0xfffd
	v_add_co_ci_u32_e64 v7, null, 0, v3, vcc_lo
	v_add_co_u32 v11, vcc_lo, 0x300, v2
	v_add_nc_u32_e32 v8, v8, v14
	v_add_nc_u32_e32 v15, v15, v14
	s_wait_alu 0xfffd
	v_add_co_ci_u32_e64 v12, null, 0, v3, vcc_lo
	v_add_nc_u32_e32 v14, v16, v14
	ds_store_b64 v13, v[2:3]
	ds_store_b64 v8, v[4:5] offset:2048
	ds_store_b64 v15, v[6:7] offset:4096
	ds_store_b64 v14, v[11:12] offset:6144
	s_wait_loadcnt_dscnt 0x0
	s_barrier_signal -1
	s_mov_b32 s1, s11
	s_barrier_wait -1
.LBB623_6:
	s_sub_co_i32 s18, s18, s0
	s_wait_alu 0xfffe
	s_and_not1_b32 vcc_lo, exec_lo, s1
	v_cmp_gt_u32_e64 s0, s18, v0
	s_wait_alu 0xfffe
	s_cbranch_vccnz .LBB623_8
; %bb.7:
	v_or_b32_e32 v8, 0x100, v0
	s_add_nc_u64 s[4:5], s[4:5], s[10:11]
	v_lshrrev_b32_e32 v13, 2, v10
	s_wait_alu 0xfffe
	v_add_co_u32 v2, s1, s4, v0
	s_wait_alu 0xf1ff
	v_add_co_ci_u32_e64 v3, null, s5, 0, s1
	v_add_co_u32 v4, s1, s4, v8
	s_wait_alu 0xf1ff
	v_add_co_ci_u32_e64 v5, null, s5, 0, s1
	v_cmp_gt_u32_e32 vcc_lo, s18, v8
	v_add_co_u32 v11, s1, s4, v9
	s_wait_alu 0xf1ff
	v_add_co_ci_u32_e64 v12, null, s5, 0, s1
	s_wait_alu 0xfffd
	v_dual_cndmask_b32 v5, 0, v5 :: v_dual_cndmask_b32 v4, 0, v4
	v_cmp_gt_u32_e32 vcc_lo, s18, v9
	v_lshrrev_b32_e32 v8, 2, v8
	v_lshrrev_b32_e32 v14, 2, v9
	v_cndmask_b32_e64 v3, 0, v3, s0
	v_cndmask_b32_e64 v2, 0, v2, s0
	v_add_co_u32 v6, s0, s4, v10
	s_wait_alu 0xfffd
	v_dual_cndmask_b32 v12, 0, v12 :: v_dual_and_b32 v1, 56, v1
	v_lshlrev_b32_e32 v15, 3, v0
	v_dual_cndmask_b32 v11, 0, v11 :: v_dual_and_b32 v8, 0x78, v8
	s_wait_alu 0xf1ff
	v_add_co_ci_u32_e64 v7, null, s5, 0, s0
	v_cmp_gt_u32_e64 s0, s18, v10
	v_and_b32_e32 v13, 0xb8, v13
	v_and_b32_e32 v14, 0xf8, v14
	v_add_nc_u32_e32 v1, v1, v15
	v_add_nc_u32_e32 v8, v8, v15
	s_wait_alu 0xf1ff
	v_cndmask_b32_e64 v7, 0, v7, s0
	v_cndmask_b32_e64 v6, 0, v6, s0
	v_add_nc_u32_e32 v13, v13, v15
	v_add_nc_u32_e32 v14, v14, v15
	ds_store_b64 v1, v[2:3]
	ds_store_b64 v8, v[4:5] offset:2048
	ds_store_b64 v13, v[6:7] offset:4096
	ds_store_b64 v14, v[11:12] offset:6144
	s_wait_loadcnt_dscnt 0x0
	s_barrier_signal -1
	s_barrier_wait -1
.LBB623_8:
	v_and_b32_e32 v1, 0xf8, v0
	s_wait_loadcnt 0x0
	global_inv scope:SCOPE_SE
	s_lshl_b64 s[0:1], s[6:7], 3
	v_lshrrev_b32_e32 v28, 5, v0
	s_wait_alu 0xfffe
	s_add_nc_u64 s[0:1], s[16:17], s[0:1]
	v_lshl_add_u32 v1, v0, 5, v1
	s_lshl_b64 s[4:5], s[10:11], 3
	s_and_b32 vcc_lo, exec_lo, s20
	s_wait_alu 0xfffe
	s_add_nc_u64 s[10:11], s[0:1], s[4:5]
	s_mov_b32 s0, -1
	ds_load_2addr_b64 v[5:8], v1 offset1:1
	ds_load_2addr_b64 v[1:4], v1 offset0:2 offset1:3
	s_wait_loadcnt_dscnt 0x0
	s_barrier_signal -1
	s_barrier_wait -1
	global_inv scope:SCOPE_SE
	s_cbranch_vccz .LBB623_10
; %bb.9:
	v_lshlrev_b32_e32 v19, 3, v0
	v_or_b32_e32 v21, 0x100, v0
	v_lshrrev_b32_e32 v22, 5, v10
	v_lshrrev_b32_e32 v23, 5, v9
	v_and_b32_e32 v24, 4, v28
	s_clause 0x3
	global_load_b64 v[11:12], v19, s[10:11]
	global_load_b64 v[13:14], v19, s[10:11] offset:2048
	global_load_b64 v[15:16], v19, s[10:11] offset:4096
	global_load_b64 v[19:20], v19, s[10:11] offset:6144
	v_lshrrev_b32_e32 v21, 5, v21
	v_and_b32_e32 v22, 20, v22
	v_and_b32_e32 v23, 28, v23
	v_add_nc_u32_e32 v24, v24, v0
	s_delay_alu instid0(VALU_DEP_4) | instskip(NEXT) | instid1(VALU_DEP_4)
	v_and_b32_e32 v21, 12, v21
	v_add_nc_u32_e32 v22, v22, v0
	s_delay_alu instid0(VALU_DEP_4) | instskip(NEXT) | instid1(VALU_DEP_3)
	v_add_nc_u32_e32 v23, v23, v0
	v_add_nc_u32_e32 v21, v21, v0
	s_wait_loadcnt 0x3
	v_cmp_neq_f32_e32 vcc_lo, 0, v11
	v_cmp_neq_f32_e64 s0, 0, v12
	s_wait_loadcnt 0x2
	v_cmp_neq_f32_e64 s1, 0, v13
	v_cmp_neq_f32_e64 s3, 0, v14
	s_wait_loadcnt 0x1
	v_cmp_neq_f32_e64 s4, 0, v15
	v_cmp_neq_f32_e64 s5, 0, v16
	s_wait_alu 0xfffe
	s_or_b32 s0, vcc_lo, s0
	s_wait_loadcnt 0x0
	v_cmp_neq_f32_e64 s6, 0, v19
	v_cmp_neq_f32_e64 s7, 0, v20
	s_wait_alu 0xfffe
	v_cndmask_b32_e64 v11, 0, 1, s0
	s_or_b32 s0, s1, s3
	s_wait_alu 0xfffe
	v_cndmask_b32_e64 v12, 0, 1, s0
	s_or_b32 s0, s4, s5
	;; [unrolled: 3-line block ×3, first 2 shown]
	s_wait_alu 0xfffe
	v_cndmask_b32_e64 v14, 0, 1, s0
	s_mov_b32 s0, 0
	ds_store_b8 v24, v11
	ds_store_b8 v21, v12 offset:256
	ds_store_b8 v22, v13 offset:512
	;; [unrolled: 1-line block ×3, first 2 shown]
	s_wait_dscnt 0x0
	s_barrier_signal -1
	s_barrier_wait -1
.LBB623_10:
	v_lshlrev_b32_e32 v11, 2, v0
	v_lshrrev_b32_e32 v12, 3, v0
	s_wait_alu 0xfffe
	s_and_not1_b32 vcc_lo, exec_lo, s0
	s_wait_alu 0xfffe
	s_cbranch_vccnz .LBB623_18
; %bb.11:
	v_dual_mov_b32 v13, 0 :: v_dual_mov_b32 v14, 0
	s_mov_b32 s1, exec_lo
	v_cmpx_gt_u32_e64 s18, v0
	s_cbranch_execz .LBB623_13
; %bb.12:
	v_lshlrev_b32_e32 v13, 3, v0
	global_load_b64 v[13:14], v13, s[10:11]
	s_wait_loadcnt 0x0
	v_cmp_neq_f32_e32 vcc_lo, 0, v13
	v_cmp_neq_f32_e64 s0, 0, v14
	s_or_b32 s0, vcc_lo, s0
	s_wait_alu 0xfffe
	v_cndmask_b32_e64 v13, 0, 1, s0
	v_cndmask_b32_e64 v14, 0, 1, s0
.LBB623_13:
	s_wait_alu 0xfffe
	s_or_b32 exec_lo, exec_lo, s1
	v_or_b32_e32 v15, 0x100, v0
	s_mov_b32 s1, exec_lo
	s_delay_alu instid0(VALU_DEP_1)
	v_cmpx_gt_u32_e64 s18, v15
	s_cbranch_execnz .LBB623_132
; %bb.14:
	s_wait_alu 0xfffe
	s_or_b32 exec_lo, exec_lo, s1
	s_delay_alu instid0(SALU_CYCLE_1)
	s_mov_b32 s1, exec_lo
	v_cmpx_gt_u32_e64 s18, v10
	s_cbranch_execnz .LBB623_133
.LBB623_15:
	s_wait_alu 0xfffe
	s_or_b32 exec_lo, exec_lo, s1
	s_delay_alu instid0(SALU_CYCLE_1)
	s_mov_b32 s1, exec_lo
	v_cmpx_gt_u32_e64 s18, v9
	s_cbranch_execz .LBB623_17
.LBB623_16:
	v_lshlrev_b32_e32 v16, 3, v0
	global_load_b64 v[19:20], v16, s[10:11] offset:6144
	s_wait_loadcnt 0x0
	v_cmp_neq_f32_e32 vcc_lo, 0, v19
	v_cmp_neq_f32_e64 s0, 0, v20
	v_lshrrev_b32_e32 v19, 16, v14
	s_or_b32 s0, vcc_lo, s0
	s_wait_alu 0xfffe
	v_cndmask_b32_e64 v16, 0, 1, s0
	s_delay_alu instid0(VALU_DEP_1) | instskip(NEXT) | instid1(VALU_DEP_1)
	v_lshlrev_b16 v16, 8, v16
	v_or_b32_e32 v16, v19, v16
	s_delay_alu instid0(VALU_DEP_1) | instskip(NEXT) | instid1(VALU_DEP_1)
	v_lshlrev_b32_e32 v16, 16, v16
	v_and_or_b32 v14, 0xffff, v14, v16
.LBB623_17:
	s_wait_alu 0xfffe
	s_or_b32 exec_lo, exec_lo, s1
	v_lshrrev_b32_e32 v15, 5, v15
	v_lshrrev_b32_e32 v10, 5, v10
	;; [unrolled: 1-line block ×3, first 2 shown]
	v_and_b32_e32 v16, 4, v28
	v_lshrrev_b32_e32 v19, 8, v14
	v_and_b32_e32 v15, 12, v15
	v_and_b32_e32 v10, 28, v10
	;; [unrolled: 1-line block ×3, first 2 shown]
	v_add_nc_u32_e32 v16, v16, v0
	v_lshrrev_b32_e32 v20, 24, v14
	v_add_nc_u32_e32 v15, v15, v0
	v_add_nc_u32_e32 v10, v10, v0
	;; [unrolled: 1-line block ×3, first 2 shown]
	ds_store_b8 v16, v13
	ds_store_b8 v15, v19 offset:256
	ds_store_b8_d16_hi v10, v14 offset:512
	ds_store_b8 v9, v20 offset:768
	s_wait_loadcnt_dscnt 0x0
	s_barrier_signal -1
	s_barrier_wait -1
.LBB623_18:
	v_dual_mov_b32 v10, 0 :: v_dual_and_b32 v9, 28, v12
	s_wait_loadcnt 0x0
	global_inv scope:SCOPE_SE
	v_mbcnt_lo_u32_b32 v33, -1, 0
	s_cmp_lg_u32 s21, 0
	v_add_nc_u32_e32 v9, v9, v11
	s_mov_b32 s1, -1
	s_delay_alu instid0(VALU_DEP_2)
	v_and_b32_e32 v34, 15, v33
	ds_load_b32 v29, v9
	s_wait_loadcnt_dscnt 0x0
	s_barrier_signal -1
	s_barrier_wait -1
	global_inv scope:SCOPE_SE
	v_and_b32_e32 v32, 0xff, v29
	v_bfe_u32 v31, v29, 8, 8
	v_bfe_u32 v30, v29, 16, 8
	v_lshrrev_b32_e32 v27, 24, v29
	s_delay_alu instid0(VALU_DEP_2) | instskip(NEXT) | instid1(VALU_DEP_1)
	v_add3_u32 v9, v31, v32, v30
	v_add_co_u32 v19, s0, v9, v27
	s_wait_alu 0xf1ff
	v_add_co_ci_u32_e64 v20, null, 0, 0, s0
	v_cmp_ne_u32_e64 s0, 0, v34
	s_cbranch_scc0 .LBB623_75
; %bb.19:
	v_mov_b32_e32 v11, v19
	v_mov_b32_dpp v9, v19 row_shr:1 row_mask:0xf bank_mask:0xf
	v_mov_b32_dpp v14, v10 row_shr:1 row_mask:0xf bank_mask:0xf
	v_dual_mov_b32 v13, v19 :: v_dual_mov_b32 v12, v20
	s_and_saveexec_b32 s1, s0
; %bb.20:
	s_delay_alu instid0(VALU_DEP_3) | instskip(SKIP_2) | instid1(VALU_DEP_2)
	v_add_co_u32 v13, vcc_lo, v19, v9
	s_wait_alu 0xfffd
	v_add_co_ci_u32_e64 v10, null, 0, v20, vcc_lo
	v_add_co_u32 v9, vcc_lo, 0, v13
	s_wait_alu 0xfffd
	s_delay_alu instid0(VALU_DEP_2) | instskip(NEXT) | instid1(VALU_DEP_1)
	v_add_co_ci_u32_e64 v10, null, v14, v10, vcc_lo
	v_dual_mov_b32 v12, v10 :: v_dual_mov_b32 v11, v9
; %bb.21:
	s_wait_alu 0xfffe
	s_or_b32 exec_lo, exec_lo, s1
	v_mov_b32_dpp v9, v13 row_shr:2 row_mask:0xf bank_mask:0xf
	v_mov_b32_dpp v14, v10 row_shr:2 row_mask:0xf bank_mask:0xf
	s_mov_b32 s1, exec_lo
	v_cmpx_lt_u32_e32 1, v34
; %bb.22:
	s_delay_alu instid0(VALU_DEP_3) | instskip(SKIP_2) | instid1(VALU_DEP_2)
	v_add_co_u32 v13, vcc_lo, v11, v9
	s_wait_alu 0xfffd
	v_add_co_ci_u32_e64 v10, null, 0, v12, vcc_lo
	v_add_co_u32 v9, vcc_lo, 0, v13
	s_wait_alu 0xfffd
	s_delay_alu instid0(VALU_DEP_2) | instskip(NEXT) | instid1(VALU_DEP_1)
	v_add_co_ci_u32_e64 v10, null, v14, v10, vcc_lo
	v_dual_mov_b32 v12, v10 :: v_dual_mov_b32 v11, v9
; %bb.23:
	s_wait_alu 0xfffe
	s_or_b32 exec_lo, exec_lo, s1
	v_mov_b32_dpp v9, v13 row_shr:4 row_mask:0xf bank_mask:0xf
	v_mov_b32_dpp v14, v10 row_shr:4 row_mask:0xf bank_mask:0xf
	s_mov_b32 s1, exec_lo
	v_cmpx_lt_u32_e32 3, v34
	;; [unrolled: 17-line block ×3, first 2 shown]
; %bb.26:
	s_delay_alu instid0(VALU_DEP_3) | instskip(SKIP_2) | instid1(VALU_DEP_2)
	v_add_co_u32 v13, vcc_lo, v11, v14
	s_wait_alu 0xfffd
	v_add_co_ci_u32_e64 v10, null, 0, v12, vcc_lo
	v_add_co_u32 v11, vcc_lo, 0, v13
	s_wait_alu 0xfffd
	s_delay_alu instid0(VALU_DEP_2) | instskip(NEXT) | instid1(VALU_DEP_1)
	v_add_co_ci_u32_e64 v12, null, v9, v10, vcc_lo
	v_mov_b32_e32 v10, v12
; %bb.27:
	s_wait_alu 0xfffe
	s_or_b32 exec_lo, exec_lo, s1
	ds_swizzle_b32 v9, v13 offset:swizzle(BROADCAST,32,15)
	ds_swizzle_b32 v14, v10 offset:swizzle(BROADCAST,32,15)
	v_and_b32_e32 v15, 16, v33
	s_mov_b32 s1, exec_lo
	s_delay_alu instid0(VALU_DEP_1)
	v_cmpx_ne_u32_e32 0, v15
	s_cbranch_execz .LBB623_29
; %bb.28:
	s_wait_dscnt 0x1
	v_add_co_u32 v13, vcc_lo, v11, v9
	s_wait_alu 0xfffd
	v_add_co_ci_u32_e64 v10, null, 0, v12, vcc_lo
	s_delay_alu instid0(VALU_DEP_2) | instskip(SKIP_2) | instid1(VALU_DEP_2)
	v_add_co_u32 v9, vcc_lo, 0, v13
	s_wait_dscnt 0x0
	s_wait_alu 0xfffd
	v_add_co_ci_u32_e64 v10, null, v14, v10, vcc_lo
	s_delay_alu instid0(VALU_DEP_1)
	v_dual_mov_b32 v12, v10 :: v_dual_mov_b32 v11, v9
.LBB623_29:
	s_wait_alu 0xfffe
	s_or_b32 exec_lo, exec_lo, s1
	s_wait_dscnt 0x1
	v_or_b32_e32 v9, 31, v0
	s_mov_b32 s1, exec_lo
	s_delay_alu instid0(VALU_DEP_1)
	v_cmpx_eq_u32_e64 v0, v9
; %bb.30:
	v_lshlrev_b32_e32 v9, 3, v28
	ds_store_b64 v9, v[11:12]
; %bb.31:
	s_wait_alu 0xfffe
	s_or_b32 exec_lo, exec_lo, s1
	s_delay_alu instid0(SALU_CYCLE_1)
	s_mov_b32 s1, exec_lo
	s_wait_loadcnt_dscnt 0x0
	s_barrier_signal -1
	s_barrier_wait -1
	global_inv scope:SCOPE_SE
	v_cmpx_gt_u32_e32 8, v0
	s_cbranch_execz .LBB623_39
; %bb.32:
	v_lshlrev_b32_e32 v9, 3, v0
	s_mov_b32 s3, exec_lo
	ds_load_b64 v[11:12], v9
	s_wait_dscnt 0x0
	v_dual_mov_b32 v15, v11 :: v_dual_and_b32 v14, 7, v33
	v_mov_b32_dpp v21, v11 row_shr:1 row_mask:0xf bank_mask:0xf
	v_mov_b32_dpp v16, v12 row_shr:1 row_mask:0xf bank_mask:0xf
	s_delay_alu instid0(VALU_DEP_3)
	v_cmpx_ne_u32_e32 0, v14
; %bb.33:
	s_delay_alu instid0(VALU_DEP_3) | instskip(SKIP_2) | instid1(VALU_DEP_2)
	v_add_co_u32 v15, vcc_lo, v11, v21
	s_wait_alu 0xfffd
	v_add_co_ci_u32_e64 v12, null, 0, v12, vcc_lo
	v_add_co_u32 v11, vcc_lo, 0, v15
	s_wait_alu 0xfffd
	s_delay_alu instid0(VALU_DEP_2)
	v_add_co_ci_u32_e64 v12, null, v16, v12, vcc_lo
; %bb.34:
	s_or_b32 exec_lo, exec_lo, s3
	v_mov_b32_dpp v21, v15 row_shr:2 row_mask:0xf bank_mask:0xf
	s_delay_alu instid0(VALU_DEP_2)
	v_mov_b32_dpp v16, v12 row_shr:2 row_mask:0xf bank_mask:0xf
	s_mov_b32 s3, exec_lo
	v_cmpx_lt_u32_e32 1, v14
; %bb.35:
	s_delay_alu instid0(VALU_DEP_3) | instskip(SKIP_2) | instid1(VALU_DEP_2)
	v_add_co_u32 v15, vcc_lo, v11, v21
	s_wait_alu 0xfffd
	v_add_co_ci_u32_e64 v12, null, 0, v12, vcc_lo
	v_add_co_u32 v11, vcc_lo, 0, v15
	s_wait_alu 0xfffd
	s_delay_alu instid0(VALU_DEP_2)
	v_add_co_ci_u32_e64 v12, null, v16, v12, vcc_lo
; %bb.36:
	s_or_b32 exec_lo, exec_lo, s3
	v_mov_b32_dpp v16, v15 row_shr:4 row_mask:0xf bank_mask:0xf
	s_delay_alu instid0(VALU_DEP_2)
	v_mov_b32_dpp v15, v12 row_shr:4 row_mask:0xf bank_mask:0xf
	s_mov_b32 s3, exec_lo
	v_cmpx_lt_u32_e32 3, v14
; %bb.37:
	s_delay_alu instid0(VALU_DEP_3) | instskip(SKIP_2) | instid1(VALU_DEP_2)
	v_add_co_u32 v11, vcc_lo, v11, v16
	s_wait_alu 0xfffd
	v_add_co_ci_u32_e64 v12, null, 0, v12, vcc_lo
	v_add_co_u32 v11, vcc_lo, v11, 0
	s_wait_alu 0xfffd
	s_delay_alu instid0(VALU_DEP_2)
	v_add_co_ci_u32_e64 v12, null, v12, v15, vcc_lo
; %bb.38:
	s_or_b32 exec_lo, exec_lo, s3
	ds_store_b64 v9, v[11:12]
.LBB623_39:
	s_wait_alu 0xfffe
	s_or_b32 exec_lo, exec_lo, s1
	s_delay_alu instid0(SALU_CYCLE_1)
	s_mov_b32 s3, exec_lo
	v_cmp_gt_u32_e32 vcc_lo, 32, v0
	s_wait_loadcnt_dscnt 0x0
	s_barrier_signal -1
	s_barrier_wait -1
	global_inv scope:SCOPE_SE
                                        ; implicit-def: $vgpr21_vgpr22
	v_cmpx_lt_u32_e32 31, v0
	s_cbranch_execz .LBB623_41
; %bb.40:
	v_lshl_add_u32 v9, v28, 3, -8
	ds_load_b64 v[21:22], v9
	s_wait_dscnt 0x0
	v_add_co_u32 v13, s1, v13, v21
	s_wait_alu 0xf1ff
	v_add_co_ci_u32_e64 v10, null, v10, v22, s1
.LBB623_41:
	s_or_b32 exec_lo, exec_lo, s3
	v_sub_co_u32 v9, s1, v33, 1
	s_delay_alu instid0(VALU_DEP_1) | instskip(NEXT) | instid1(VALU_DEP_1)
	v_cmp_gt_i32_e64 s3, 0, v9
	v_cndmask_b32_e64 v9, v9, v33, s3
	s_delay_alu instid0(VALU_DEP_1)
	v_lshlrev_b32_e32 v9, 2, v9
	ds_bpermute_b32 v35, v9, v13
	ds_bpermute_b32 v36, v9, v10
	s_and_saveexec_b32 s3, vcc_lo
	s_cbranch_execz .LBB623_80
; %bb.42:
	v_mov_b32_e32 v12, 0
	ds_load_b64 v[9:10], v12 offset:56
	s_and_saveexec_b32 s4, s1
	s_cbranch_execz .LBB623_44
; %bb.43:
	s_add_co_i32 s6, s21, 32
	s_mov_b32 s7, 0
	s_delay_alu instid0(SALU_CYCLE_1) | instskip(NEXT) | instid1(SALU_CYCLE_1)
	s_lshl_b64 s[6:7], s[6:7], 4
	s_add_nc_u64 s[6:7], s[14:15], s[6:7]
	s_delay_alu instid0(SALU_CYCLE_1)
	v_dual_mov_b32 v11, 1 :: v_dual_mov_b32 v14, s7
	v_mov_b32_e32 v13, s6
	s_wait_dscnt 0x0
	;;#ASMSTART
	global_store_b128 v[13:14], v[9:12] off scope:SCOPE_DEV	
s_wait_storecnt 0x0
	;;#ASMEND
.LBB623_44:
	s_wait_alu 0xfffe
	s_or_b32 exec_lo, exec_lo, s4
	v_xad_u32 v23, v33, -1, s21
	s_mov_b32 s5, 0
	s_mov_b32 s4, exec_lo
	s_delay_alu instid0(VALU_DEP_1) | instskip(NEXT) | instid1(VALU_DEP_1)
	v_add_nc_u32_e32 v11, 32, v23
	v_lshlrev_b64_e32 v[11:12], 4, v[11:12]
	s_delay_alu instid0(VALU_DEP_1) | instskip(SKIP_1) | instid1(VALU_DEP_2)
	v_add_co_u32 v11, vcc_lo, s14, v11
	s_wait_alu 0xfffd
	v_add_co_ci_u32_e64 v12, null, s15, v12, vcc_lo
	;;#ASMSTART
	global_load_b128 v[13:16], v[11:12] off scope:SCOPE_DEV	
s_wait_loadcnt 0x0
	;;#ASMEND
	v_and_b32_e32 v16, 0xff, v15
	s_delay_alu instid0(VALU_DEP_1)
	v_cmpx_eq_u16_e32 0, v16
	s_cbranch_execz .LBB623_47
.LBB623_45:                             ; =>This Inner Loop Header: Depth=1
	;;#ASMSTART
	global_load_b128 v[13:16], v[11:12] off scope:SCOPE_DEV	
s_wait_loadcnt 0x0
	;;#ASMEND
	v_and_b32_e32 v16, 0xff, v15
	s_delay_alu instid0(VALU_DEP_1)
	v_cmp_ne_u16_e32 vcc_lo, 0, v16
	s_wait_alu 0xfffe
	s_or_b32 s5, vcc_lo, s5
	s_wait_alu 0xfffe
	s_and_not1_b32 exec_lo, exec_lo, s5
	s_cbranch_execnz .LBB623_45
; %bb.46:
	s_or_b32 exec_lo, exec_lo, s5
.LBB623_47:
	s_wait_alu 0xfffe
	s_or_b32 exec_lo, exec_lo, s4
	v_cmp_ne_u32_e32 vcc_lo, 31, v33
	v_and_b32_e32 v12, 0xff, v15
	v_lshlrev_b32_e64 v38, v33, -1
	s_mov_b32 s4, exec_lo
	s_wait_alu 0xfffd
	v_add_co_ci_u32_e64 v11, null, 0, v33, vcc_lo
	v_cmp_eq_u16_e32 vcc_lo, 2, v12
	s_delay_alu instid0(VALU_DEP_2)
	v_dual_mov_b32 v12, v13 :: v_dual_lshlrev_b32 v37, 2, v11
	s_wait_alu 0xfffd
	v_and_or_b32 v11, vcc_lo, v38, 0x80000000
	ds_bpermute_b32 v24, v37, v13
	ds_bpermute_b32 v16, v37, v14
	v_ctz_i32_b32_e32 v11, v11
	s_delay_alu instid0(VALU_DEP_1)
	v_cmpx_lt_u32_e64 v33, v11
	s_cbranch_execz .LBB623_49
; %bb.48:
	s_wait_dscnt 0x1
	v_add_co_u32 v12, vcc_lo, v13, v24
	s_wait_alu 0xfffd
	v_add_co_ci_u32_e64 v14, null, 0, v14, vcc_lo
	s_delay_alu instid0(VALU_DEP_2) | instskip(SKIP_2) | instid1(VALU_DEP_2)
	v_add_co_u32 v13, vcc_lo, 0, v12
	s_wait_dscnt 0x0
	s_wait_alu 0xfffd
	v_add_co_ci_u32_e64 v14, null, v16, v14, vcc_lo
.LBB623_49:
	s_wait_alu 0xfffe
	s_or_b32 exec_lo, exec_lo, s4
	v_cmp_gt_u32_e32 vcc_lo, 30, v33
	v_add_nc_u32_e32 v40, 2, v33
	s_mov_b32 s4, exec_lo
	s_wait_dscnt 0x0
	s_wait_alu 0xfffd
	v_cndmask_b32_e64 v16, 0, 2, vcc_lo
	s_delay_alu instid0(VALU_DEP_1)
	v_add_lshl_u32 v39, v16, v33, 2
	ds_bpermute_b32 v24, v39, v12
	ds_bpermute_b32 v16, v39, v14
	v_cmpx_le_u32_e64 v40, v11
	s_cbranch_execz .LBB623_51
; %bb.50:
	s_wait_dscnt 0x1
	v_add_co_u32 v12, vcc_lo, v13, v24
	s_wait_alu 0xfffd
	v_add_co_ci_u32_e64 v14, null, 0, v14, vcc_lo
	s_delay_alu instid0(VALU_DEP_2) | instskip(SKIP_2) | instid1(VALU_DEP_2)
	v_add_co_u32 v13, vcc_lo, 0, v12
	s_wait_dscnt 0x0
	s_wait_alu 0xfffd
	v_add_co_ci_u32_e64 v14, null, v16, v14, vcc_lo
.LBB623_51:
	s_wait_alu 0xfffe
	s_or_b32 exec_lo, exec_lo, s4
	v_cmp_gt_u32_e32 vcc_lo, 28, v33
	v_add_nc_u32_e32 v42, 4, v33
	s_mov_b32 s4, exec_lo
	s_wait_dscnt 0x0
	s_wait_alu 0xfffd
	v_cndmask_b32_e64 v16, 0, 4, vcc_lo
	s_delay_alu instid0(VALU_DEP_1)
	v_add_lshl_u32 v41, v16, v33, 2
	ds_bpermute_b32 v24, v41, v12
	ds_bpermute_b32 v16, v41, v14
	v_cmpx_le_u32_e64 v42, v11
	;; [unrolled: 25-line block ×3, first 2 shown]
	s_cbranch_execz .LBB623_55
; %bb.54:
	s_wait_dscnt 0x1
	v_add_co_u32 v12, vcc_lo, v13, v24
	s_wait_alu 0xfffd
	v_add_co_ci_u32_e64 v14, null, 0, v14, vcc_lo
	s_delay_alu instid0(VALU_DEP_2) | instskip(SKIP_2) | instid1(VALU_DEP_2)
	v_add_co_u32 v13, vcc_lo, 0, v12
	s_wait_dscnt 0x0
	s_wait_alu 0xfffd
	v_add_co_ci_u32_e64 v14, null, v16, v14, vcc_lo
.LBB623_55:
	s_wait_alu 0xfffe
	s_or_b32 exec_lo, exec_lo, s4
	v_lshl_or_b32 v45, v33, 2, 64
	v_add_nc_u32_e32 v46, 16, v33
	s_mov_b32 s4, exec_lo
	s_wait_dscnt 0x0
	ds_bpermute_b32 v16, v45, v12
	ds_bpermute_b32 v12, v45, v14
	v_cmpx_le_u32_e64 v46, v11
	s_cbranch_execz .LBB623_57
; %bb.56:
	s_wait_dscnt 0x1
	v_add_co_u32 v11, vcc_lo, v13, v16
	s_wait_alu 0xfffd
	v_add_co_ci_u32_e64 v14, null, 0, v14, vcc_lo
	s_delay_alu instid0(VALU_DEP_2) | instskip(SKIP_2) | instid1(VALU_DEP_2)
	v_add_co_u32 v13, vcc_lo, v11, 0
	s_wait_dscnt 0x0
	s_wait_alu 0xfffd
	v_add_co_ci_u32_e64 v14, null, v14, v12, vcc_lo
.LBB623_57:
	s_wait_alu 0xfffe
	s_or_b32 exec_lo, exec_lo, s4
	v_mov_b32_e32 v24, 0
	s_branch .LBB623_60
.LBB623_58:                             ;   in Loop: Header=BB623_60 Depth=1
	s_wait_alu 0xfffe
	s_or_b32 exec_lo, exec_lo, s4
	v_add_co_u32 v13, vcc_lo, v13, v11
	v_subrev_nc_u32_e32 v23, 32, v23
	s_wait_alu 0xfffd
	v_add_co_ci_u32_e64 v14, null, v14, v12, vcc_lo
	s_mov_b32 s4, 0
.LBB623_59:                             ;   in Loop: Header=BB623_60 Depth=1
	s_wait_alu 0xfffe
	s_and_b32 vcc_lo, exec_lo, s4
	s_wait_alu 0xfffe
	s_cbranch_vccnz .LBB623_76
.LBB623_60:                             ; =>This Loop Header: Depth=1
                                        ;     Child Loop BB623_63 Depth 2
	v_and_b32_e32 v11, 0xff, v15
	s_mov_b32 s4, -1
	s_delay_alu instid0(VALU_DEP_1)
	v_cmp_ne_u16_e32 vcc_lo, 2, v11
	s_wait_dscnt 0x0
	v_dual_mov_b32 v11, v13 :: v_dual_mov_b32 v12, v14
                                        ; implicit-def: $vgpr13_vgpr14
	s_cmp_lg_u32 vcc_lo, exec_lo
	s_cbranch_scc1 .LBB623_59
; %bb.61:                               ;   in Loop: Header=BB623_60 Depth=1
	v_lshlrev_b64_e32 v[13:14], 4, v[23:24]
	s_mov_b32 s4, exec_lo
	s_delay_alu instid0(VALU_DEP_1) | instskip(SKIP_1) | instid1(VALU_DEP_2)
	v_add_co_u32 v25, vcc_lo, s14, v13
	s_wait_alu 0xfffd
	v_add_co_ci_u32_e64 v26, null, s15, v14, vcc_lo
	;;#ASMSTART
	global_load_b128 v[13:16], v[25:26] off scope:SCOPE_DEV	
s_wait_loadcnt 0x0
	;;#ASMEND
	v_and_b32_e32 v16, 0xff, v15
	s_delay_alu instid0(VALU_DEP_1)
	v_cmpx_eq_u16_e32 0, v16
	s_cbranch_execz .LBB623_65
; %bb.62:                               ;   in Loop: Header=BB623_60 Depth=1
	s_mov_b32 s5, 0
.LBB623_63:                             ;   Parent Loop BB623_60 Depth=1
                                        ; =>  This Inner Loop Header: Depth=2
	;;#ASMSTART
	global_load_b128 v[13:16], v[25:26] off scope:SCOPE_DEV	
s_wait_loadcnt 0x0
	;;#ASMEND
	v_and_b32_e32 v16, 0xff, v15
	s_delay_alu instid0(VALU_DEP_1)
	v_cmp_ne_u16_e32 vcc_lo, 0, v16
	s_wait_alu 0xfffe
	s_or_b32 s5, vcc_lo, s5
	s_wait_alu 0xfffe
	s_and_not1_b32 exec_lo, exec_lo, s5
	s_cbranch_execnz .LBB623_63
; %bb.64:                               ;   in Loop: Header=BB623_60 Depth=1
	s_or_b32 exec_lo, exec_lo, s5
.LBB623_65:                             ;   in Loop: Header=BB623_60 Depth=1
	s_wait_alu 0xfffe
	s_or_b32 exec_lo, exec_lo, s4
	v_dual_mov_b32 v25, v13 :: v_dual_and_b32 v16, 0xff, v15
	ds_bpermute_b32 v47, v37, v13
	ds_bpermute_b32 v26, v37, v14
	s_mov_b32 s4, exec_lo
	v_cmp_eq_u16_e32 vcc_lo, 2, v16
	s_wait_alu 0xfffd
	v_and_or_b32 v16, vcc_lo, v38, 0x80000000
	s_delay_alu instid0(VALU_DEP_1) | instskip(NEXT) | instid1(VALU_DEP_1)
	v_ctz_i32_b32_e32 v16, v16
	v_cmpx_lt_u32_e64 v33, v16
	s_cbranch_execz .LBB623_67
; %bb.66:                               ;   in Loop: Header=BB623_60 Depth=1
	s_wait_dscnt 0x1
	v_add_co_u32 v25, vcc_lo, v13, v47
	s_wait_alu 0xfffd
	v_add_co_ci_u32_e64 v14, null, 0, v14, vcc_lo
	s_delay_alu instid0(VALU_DEP_2) | instskip(SKIP_2) | instid1(VALU_DEP_2)
	v_add_co_u32 v13, vcc_lo, 0, v25
	s_wait_dscnt 0x0
	s_wait_alu 0xfffd
	v_add_co_ci_u32_e64 v14, null, v26, v14, vcc_lo
.LBB623_67:                             ;   in Loop: Header=BB623_60 Depth=1
	s_wait_alu 0xfffe
	s_or_b32 exec_lo, exec_lo, s4
	s_wait_dscnt 0x1
	ds_bpermute_b32 v47, v39, v25
	s_wait_dscnt 0x1
	ds_bpermute_b32 v26, v39, v14
	s_mov_b32 s4, exec_lo
	v_cmpx_le_u32_e64 v40, v16
	s_cbranch_execz .LBB623_69
; %bb.68:                               ;   in Loop: Header=BB623_60 Depth=1
	s_wait_dscnt 0x1
	v_add_co_u32 v25, vcc_lo, v13, v47
	s_wait_alu 0xfffd
	v_add_co_ci_u32_e64 v14, null, 0, v14, vcc_lo
	s_delay_alu instid0(VALU_DEP_2) | instskip(SKIP_2) | instid1(VALU_DEP_2)
	v_add_co_u32 v13, vcc_lo, 0, v25
	s_wait_dscnt 0x0
	s_wait_alu 0xfffd
	v_add_co_ci_u32_e64 v14, null, v26, v14, vcc_lo
.LBB623_69:                             ;   in Loop: Header=BB623_60 Depth=1
	s_wait_alu 0xfffe
	s_or_b32 exec_lo, exec_lo, s4
	s_wait_dscnt 0x1
	ds_bpermute_b32 v47, v41, v25
	s_wait_dscnt 0x1
	ds_bpermute_b32 v26, v41, v14
	s_mov_b32 s4, exec_lo
	v_cmpx_le_u32_e64 v42, v16
	;; [unrolled: 20-line block ×3, first 2 shown]
	s_cbranch_execz .LBB623_73
; %bb.72:                               ;   in Loop: Header=BB623_60 Depth=1
	s_wait_dscnt 0x1
	v_add_co_u32 v25, vcc_lo, v13, v47
	s_wait_alu 0xfffd
	v_add_co_ci_u32_e64 v14, null, 0, v14, vcc_lo
	s_delay_alu instid0(VALU_DEP_2) | instskip(SKIP_2) | instid1(VALU_DEP_2)
	v_add_co_u32 v13, vcc_lo, 0, v25
	s_wait_dscnt 0x0
	s_wait_alu 0xfffd
	v_add_co_ci_u32_e64 v14, null, v26, v14, vcc_lo
.LBB623_73:                             ;   in Loop: Header=BB623_60 Depth=1
	s_wait_alu 0xfffe
	s_or_b32 exec_lo, exec_lo, s4
	s_wait_dscnt 0x0
	ds_bpermute_b32 v26, v45, v25
	ds_bpermute_b32 v25, v45, v14
	s_mov_b32 s4, exec_lo
	v_cmpx_le_u32_e64 v46, v16
	s_cbranch_execz .LBB623_58
; %bb.74:                               ;   in Loop: Header=BB623_60 Depth=1
	s_wait_dscnt 0x1
	v_add_co_u32 v13, vcc_lo, v13, v26
	s_wait_alu 0xfffd
	v_add_co_ci_u32_e64 v14, null, 0, v14, vcc_lo
	s_delay_alu instid0(VALU_DEP_2) | instskip(SKIP_2) | instid1(VALU_DEP_2)
	v_add_co_u32 v13, vcc_lo, v13, 0
	s_wait_dscnt 0x0
	s_wait_alu 0xfffd
	v_add_co_ci_u32_e64 v14, null, v14, v25, vcc_lo
	s_branch .LBB623_58
.LBB623_75:
                                        ; implicit-def: $vgpr15_vgpr16
                                        ; implicit-def: $vgpr13_vgpr14
                                        ; implicit-def: $vgpr21_vgpr22
                                        ; implicit-def: $vgpr23_vgpr24
                                        ; implicit-def: $vgpr11_vgpr12
	s_wait_alu 0xfffe
	s_and_b32 vcc_lo, exec_lo, s1
	s_wait_alu 0xfffe
	s_cbranch_vccnz .LBB623_81
	s_branch .LBB623_106
.LBB623_76:
	s_and_saveexec_b32 s4, s1
	s_cbranch_execz .LBB623_78
; %bb.77:
	s_add_co_i32 s6, s21, 32
	s_mov_b32 s7, 0
	v_add_co_u32 v13, vcc_lo, v11, v9
	s_wait_alu 0xfffe
	s_lshl_b64 s[6:7], s[6:7], 4
	v_dual_mov_b32 v15, 2 :: v_dual_mov_b32 v16, 0
	s_wait_alu 0xfffe
	s_add_nc_u64 s[6:7], s[14:15], s[6:7]
	s_wait_alu 0xfffd
	v_add_co_ci_u32_e64 v14, null, v12, v10, vcc_lo
	s_wait_alu 0xfffe
	v_dual_mov_b32 v24, s7 :: v_dual_mov_b32 v23, s6
	;;#ASMSTART
	global_store_b128 v[23:24], v[13:16] off scope:SCOPE_DEV	
s_wait_storecnt 0x0
	;;#ASMEND
	ds_store_b128 v16, v[9:12] offset:8448
.LBB623_78:
	s_wait_alu 0xfffe
	s_or_b32 exec_lo, exec_lo, s4
	s_delay_alu instid0(SALU_CYCLE_1)
	s_and_b32 exec_lo, exec_lo, s2
; %bb.79:
	v_mov_b32_e32 v9, 0
	ds_store_b64 v9, v[11:12] offset:56
.LBB623_80:
	s_wait_alu 0xfffe
	s_or_b32 exec_lo, exec_lo, s3
	v_mov_b32_e32 v9, 0
	s_wait_loadcnt_dscnt 0x0
	s_barrier_signal -1
	s_barrier_wait -1
	global_inv scope:SCOPE_SE
	ds_load_b64 v[13:14], v9 offset:56
	v_cndmask_b32_e64 v11, v35, v21, s1
	v_cndmask_b32_e64 v10, v36, v22, s1
	s_wait_loadcnt_dscnt 0x0
	s_barrier_signal -1
	s_barrier_wait -1
	v_cndmask_b32_e64 v16, v11, 0, s2
	v_cndmask_b32_e64 v15, v10, 0, s2
	global_inv scope:SCOPE_SE
	ds_load_b128 v[9:12], v9 offset:8448
	v_add_co_u32 v23, vcc_lo, v13, v16
	s_wait_alu 0xfffd
	v_add_co_ci_u32_e64 v24, null, v14, v15, vcc_lo
	s_delay_alu instid0(VALU_DEP_2) | instskip(SKIP_1) | instid1(VALU_DEP_2)
	v_add_co_u32 v21, vcc_lo, v23, v32
	s_wait_alu 0xfffd
	v_add_co_ci_u32_e64 v22, null, 0, v24, vcc_lo
	s_delay_alu instid0(VALU_DEP_2) | instskip(SKIP_1) | instid1(VALU_DEP_2)
	;; [unrolled: 4-line block ×3, first 2 shown]
	v_add_co_u32 v15, vcc_lo, v13, v30
	s_wait_alu 0xfffd
	v_add_co_ci_u32_e64 v16, null, 0, v14, vcc_lo
	s_branch .LBB623_106
.LBB623_81:
	s_wait_dscnt 0x0
	v_dual_mov_b32 v10, 0 :: v_dual_mov_b32 v11, v19
	v_mov_b32_dpp v12, v19 row_shr:1 row_mask:0xf bank_mask:0xf
	s_delay_alu instid0(VALU_DEP_2)
	v_mov_b32_dpp v9, v10 row_shr:1 row_mask:0xf bank_mask:0xf
	s_and_saveexec_b32 s1, s0
; %bb.82:
	s_delay_alu instid0(VALU_DEP_2) | instskip(SKIP_2) | instid1(VALU_DEP_2)
	v_add_co_u32 v11, vcc_lo, v19, v12
	s_wait_alu 0xfffd
	v_add_co_ci_u32_e64 v10, null, 0, v20, vcc_lo
	v_add_co_u32 v19, vcc_lo, 0, v11
	s_wait_alu 0xfffd
	s_delay_alu instid0(VALU_DEP_2) | instskip(NEXT) | instid1(VALU_DEP_1)
	v_add_co_ci_u32_e64 v20, null, v9, v10, vcc_lo
	v_mov_b32_e32 v10, v20
; %bb.83:
	s_wait_alu 0xfffe
	s_or_b32 exec_lo, exec_lo, s1
	v_mov_b32_dpp v9, v11 row_shr:2 row_mask:0xf bank_mask:0xf
	s_delay_alu instid0(VALU_DEP_2)
	v_mov_b32_dpp v12, v10 row_shr:2 row_mask:0xf bank_mask:0xf
	s_mov_b32 s0, exec_lo
	v_cmpx_lt_u32_e32 1, v34
; %bb.84:
	s_delay_alu instid0(VALU_DEP_3) | instskip(SKIP_2) | instid1(VALU_DEP_2)
	v_add_co_u32 v11, vcc_lo, v19, v9
	s_wait_alu 0xfffd
	v_add_co_ci_u32_e64 v10, null, 0, v20, vcc_lo
	v_add_co_u32 v9, vcc_lo, 0, v11
	s_wait_alu 0xfffd
	s_delay_alu instid0(VALU_DEP_2) | instskip(NEXT) | instid1(VALU_DEP_1)
	v_add_co_ci_u32_e64 v10, null, v12, v10, vcc_lo
	v_dual_mov_b32 v20, v10 :: v_dual_mov_b32 v19, v9
; %bb.85:
	s_wait_alu 0xfffe
	s_or_b32 exec_lo, exec_lo, s0
	v_mov_b32_dpp v9, v11 row_shr:4 row_mask:0xf bank_mask:0xf
	v_mov_b32_dpp v12, v10 row_shr:4 row_mask:0xf bank_mask:0xf
	s_mov_b32 s0, exec_lo
	v_cmpx_lt_u32_e32 3, v34
; %bb.86:
	s_delay_alu instid0(VALU_DEP_3) | instskip(SKIP_2) | instid1(VALU_DEP_2)
	v_add_co_u32 v11, vcc_lo, v19, v9
	s_wait_alu 0xfffd
	v_add_co_ci_u32_e64 v10, null, 0, v20, vcc_lo
	v_add_co_u32 v9, vcc_lo, 0, v11
	s_wait_alu 0xfffd
	s_delay_alu instid0(VALU_DEP_2) | instskip(NEXT) | instid1(VALU_DEP_1)
	v_add_co_ci_u32_e64 v10, null, v12, v10, vcc_lo
	v_dual_mov_b32 v20, v10 :: v_dual_mov_b32 v19, v9
; %bb.87:
	s_wait_alu 0xfffe
	s_or_b32 exec_lo, exec_lo, s0
	v_mov_b32_dpp v12, v11 row_shr:8 row_mask:0xf bank_mask:0xf
	v_mov_b32_dpp v9, v10 row_shr:8 row_mask:0xf bank_mask:0xf
	s_mov_b32 s0, exec_lo
	v_cmpx_lt_u32_e32 7, v34
; %bb.88:
	s_delay_alu instid0(VALU_DEP_3) | instskip(SKIP_2) | instid1(VALU_DEP_2)
	v_add_co_u32 v11, vcc_lo, v19, v12
	s_wait_alu 0xfffd
	v_add_co_ci_u32_e64 v10, null, 0, v20, vcc_lo
	v_add_co_u32 v19, vcc_lo, 0, v11
	s_wait_alu 0xfffd
	s_delay_alu instid0(VALU_DEP_2) | instskip(NEXT) | instid1(VALU_DEP_1)
	v_add_co_ci_u32_e64 v20, null, v9, v10, vcc_lo
	v_mov_b32_e32 v10, v20
; %bb.89:
	s_wait_alu 0xfffe
	s_or_b32 exec_lo, exec_lo, s0
	ds_swizzle_b32 v11, v11 offset:swizzle(BROADCAST,32,15)
	ds_swizzle_b32 v9, v10 offset:swizzle(BROADCAST,32,15)
	v_and_b32_e32 v10, 16, v33
	s_mov_b32 s0, exec_lo
	s_delay_alu instid0(VALU_DEP_1)
	v_cmpx_ne_u32_e32 0, v10
	s_cbranch_execz .LBB623_91
; %bb.90:
	s_wait_dscnt 0x1
	v_add_co_u32 v10, vcc_lo, v19, v11
	s_wait_alu 0xfffd
	v_add_co_ci_u32_e64 v11, null, 0, v20, vcc_lo
	s_delay_alu instid0(VALU_DEP_2) | instskip(SKIP_2) | instid1(VALU_DEP_2)
	v_add_co_u32 v19, vcc_lo, v10, 0
	s_wait_dscnt 0x0
	s_wait_alu 0xfffd
	v_add_co_ci_u32_e64 v20, null, v11, v9, vcc_lo
.LBB623_91:
	s_wait_alu 0xfffe
	s_or_b32 exec_lo, exec_lo, s0
	s_wait_dscnt 0x0
	v_or_b32_e32 v9, 31, v0
	s_mov_b32 s0, exec_lo
	s_delay_alu instid0(VALU_DEP_1)
	v_cmpx_eq_u32_e64 v0, v9
; %bb.92:
	v_lshlrev_b32_e32 v9, 3, v28
	ds_store_b64 v9, v[19:20]
; %bb.93:
	s_wait_alu 0xfffe
	s_or_b32 exec_lo, exec_lo, s0
	s_delay_alu instid0(SALU_CYCLE_1)
	s_mov_b32 s0, exec_lo
	s_wait_loadcnt_dscnt 0x0
	s_barrier_signal -1
	s_barrier_wait -1
	global_inv scope:SCOPE_SE
	v_cmpx_gt_u32_e32 8, v0
	s_cbranch_execz .LBB623_101
; %bb.94:
	v_lshlrev_b32_e32 v11, 3, v0
	s_mov_b32 s1, exec_lo
	ds_load_b64 v[9:10], v11
	s_wait_dscnt 0x0
	v_dual_mov_b32 v13, v9 :: v_dual_and_b32 v12, 7, v33
	v_mov_b32_dpp v15, v9 row_shr:1 row_mask:0xf bank_mask:0xf
	v_mov_b32_dpp v14, v10 row_shr:1 row_mask:0xf bank_mask:0xf
	s_delay_alu instid0(VALU_DEP_3)
	v_cmpx_ne_u32_e32 0, v12
; %bb.95:
	s_delay_alu instid0(VALU_DEP_3) | instskip(SKIP_2) | instid1(VALU_DEP_2)
	v_add_co_u32 v13, vcc_lo, v9, v15
	s_wait_alu 0xfffd
	v_add_co_ci_u32_e64 v10, null, 0, v10, vcc_lo
	v_add_co_u32 v9, vcc_lo, 0, v13
	s_wait_alu 0xfffd
	s_delay_alu instid0(VALU_DEP_2)
	v_add_co_ci_u32_e64 v10, null, v14, v10, vcc_lo
; %bb.96:
	s_wait_alu 0xfffe
	s_or_b32 exec_lo, exec_lo, s1
	v_mov_b32_dpp v15, v13 row_shr:2 row_mask:0xf bank_mask:0xf
	s_delay_alu instid0(VALU_DEP_2)
	v_mov_b32_dpp v14, v10 row_shr:2 row_mask:0xf bank_mask:0xf
	s_mov_b32 s1, exec_lo
	v_cmpx_lt_u32_e32 1, v12
; %bb.97:
	s_delay_alu instid0(VALU_DEP_3) | instskip(SKIP_2) | instid1(VALU_DEP_2)
	v_add_co_u32 v13, vcc_lo, v9, v15
	s_wait_alu 0xfffd
	v_add_co_ci_u32_e64 v10, null, 0, v10, vcc_lo
	v_add_co_u32 v9, vcc_lo, 0, v13
	s_wait_alu 0xfffd
	s_delay_alu instid0(VALU_DEP_2)
	v_add_co_ci_u32_e64 v10, null, v14, v10, vcc_lo
; %bb.98:
	s_wait_alu 0xfffe
	s_or_b32 exec_lo, exec_lo, s1
	v_mov_b32_dpp v14, v13 row_shr:4 row_mask:0xf bank_mask:0xf
	s_delay_alu instid0(VALU_DEP_2)
	v_mov_b32_dpp v13, v10 row_shr:4 row_mask:0xf bank_mask:0xf
	s_mov_b32 s1, exec_lo
	v_cmpx_lt_u32_e32 3, v12
; %bb.99:
	s_delay_alu instid0(VALU_DEP_3) | instskip(SKIP_2) | instid1(VALU_DEP_2)
	v_add_co_u32 v9, vcc_lo, v9, v14
	s_wait_alu 0xfffd
	v_add_co_ci_u32_e64 v10, null, 0, v10, vcc_lo
	v_add_co_u32 v9, vcc_lo, v9, 0
	s_wait_alu 0xfffd
	s_delay_alu instid0(VALU_DEP_2)
	v_add_co_ci_u32_e64 v10, null, v10, v13, vcc_lo
; %bb.100:
	s_wait_alu 0xfffe
	s_or_b32 exec_lo, exec_lo, s1
	ds_store_b64 v11, v[9:10]
.LBB623_101:
	s_wait_alu 0xfffe
	s_or_b32 exec_lo, exec_lo, s0
	v_mov_b32_e32 v13, 0
	v_mov_b32_e32 v14, 0
	s_mov_b32 s0, exec_lo
	s_wait_loadcnt_dscnt 0x0
	s_barrier_signal -1
	s_barrier_wait -1
	global_inv scope:SCOPE_SE
	v_cmpx_lt_u32_e32 31, v0
; %bb.102:
	v_lshl_add_u32 v9, v28, 3, -8
	ds_load_b64 v[13:14], v9
; %bb.103:
	s_wait_alu 0xfffe
	s_or_b32 exec_lo, exec_lo, s0
	v_sub_co_u32 v9, vcc_lo, v33, 1
	v_mov_b32_e32 v12, 0
	s_delay_alu instid0(VALU_DEP_2) | instskip(SKIP_1) | instid1(VALU_DEP_1)
	v_cmp_gt_i32_e64 s0, 0, v9
	s_wait_alu 0xf1ff
	v_cndmask_b32_e64 v9, v9, v33, s0
	s_wait_dscnt 0x0
	v_add_co_u32 v10, s0, v13, v19
	s_wait_alu 0xf1ff
	v_add_co_ci_u32_e64 v11, null, v14, v20, s0
	v_lshlrev_b32_e32 v9, 2, v9
	ds_bpermute_b32 v15, v9, v10
	ds_bpermute_b32 v16, v9, v11
	ds_load_b64 v[9:10], v12 offset:56
	s_and_saveexec_b32 s0, s2
	s_cbranch_execz .LBB623_105
; %bb.104:
	s_add_nc_u64 s[4:5], s[14:15], 0x200
	s_wait_alu 0xfffe
	v_dual_mov_b32 v11, 2 :: v_dual_mov_b32 v20, s5
	v_mov_b32_e32 v19, s4
	s_wait_dscnt 0x0
	;;#ASMSTART
	global_store_b128 v[19:20], v[9:12] off scope:SCOPE_DEV	
s_wait_storecnt 0x0
	;;#ASMEND
.LBB623_105:
	s_wait_alu 0xfffe
	s_or_b32 exec_lo, exec_lo, s0
	s_wait_dscnt 0x1
	s_wait_alu 0xfffd
	v_dual_cndmask_b32 v11, v15, v13 :: v_dual_cndmask_b32 v12, v16, v14
	s_wait_loadcnt_dscnt 0x0
	s_barrier_signal -1
	s_barrier_wait -1
	s_delay_alu instid0(VALU_DEP_1)
	v_cndmask_b32_e64 v23, v11, 0, s2
	v_cndmask_b32_e64 v24, v12, 0, s2
	v_mov_b32_e32 v11, 0
	v_mov_b32_e32 v12, 0
	global_inv scope:SCOPE_SE
	v_add_co_u32 v21, vcc_lo, v23, v32
	s_wait_alu 0xfffd
	v_add_co_ci_u32_e64 v22, null, 0, v24, vcc_lo
	s_delay_alu instid0(VALU_DEP_2) | instskip(SKIP_1) | instid1(VALU_DEP_2)
	v_add_co_u32 v13, vcc_lo, v21, v31
	s_wait_alu 0xfffd
	v_add_co_ci_u32_e64 v14, null, 0, v22, vcc_lo
	s_delay_alu instid0(VALU_DEP_2) | instskip(SKIP_1) | instid1(VALU_DEP_2)
	v_add_co_u32 v15, vcc_lo, v13, v30
	s_wait_alu 0xfffd
	v_add_co_ci_u32_e64 v16, null, 0, v14, vcc_lo
.LBB623_106:
	v_and_b32_e32 v28, 1, v29
	s_wait_dscnt 0x0
	v_cmp_gt_u64_e32 vcc_lo, 0x101, v[9:10]
	v_lshrrev_b32_e32 v25, 16, v29
	v_lshrrev_b32_e32 v26, 8, v29
	s_mov_b32 s1, -1
	v_cmp_eq_u32_e64 s0, 1, v28
	s_cbranch_vccnz .LBB623_110
; %bb.107:
	s_wait_alu 0xfffe
	s_and_b32 vcc_lo, exec_lo, s1
	s_wait_alu 0xfffe
	s_cbranch_vccnz .LBB623_119
.LBB623_108:
	s_and_b32 s0, s2, s19
	s_wait_alu 0xfffe
	s_and_saveexec_b32 s1, s0
	s_cbranch_execnz .LBB623_131
.LBB623_109:
	s_endpgm
.LBB623_110:
	v_add_co_u32 v19, vcc_lo, v11, v9
	s_wait_alu 0xfffd
	v_add_co_ci_u32_e64 v20, null, v12, v10, vcc_lo
	s_delay_alu instid0(VALU_DEP_1)
	v_cmp_lt_u64_e32 vcc_lo, v[23:24], v[19:20]
	s_or_b32 s1, s20, vcc_lo
	s_wait_alu 0xfffe
	s_and_b32 s1, s1, s0
	s_wait_alu 0xfffe
	s_and_saveexec_b32 s0, s1
	s_cbranch_execz .LBB623_112
; %bb.111:
	v_lshlrev_b64_e32 v[29:30], 3, v[17:18]
	v_lshlrev_b64_e32 v[31:32], 3, v[23:24]
	s_delay_alu instid0(VALU_DEP_2) | instskip(SKIP_1) | instid1(VALU_DEP_3)
	v_add_co_u32 v24, vcc_lo, s12, v29
	s_wait_alu 0xfffd
	v_add_co_ci_u32_e64 v30, null, s13, v30, vcc_lo
	s_delay_alu instid0(VALU_DEP_2) | instskip(SKIP_1) | instid1(VALU_DEP_2)
	v_add_co_u32 v29, vcc_lo, v24, v31
	s_wait_alu 0xfffd
	v_add_co_ci_u32_e64 v30, null, v30, v32, vcc_lo
	global_store_b64 v[29:30], v[5:6], off
.LBB623_112:
	s_wait_alu 0xfffe
	s_or_b32 exec_lo, exec_lo, s0
	v_and_b32_e32 v24, 1, v26
	v_cmp_lt_u64_e32 vcc_lo, v[21:22], v[19:20]
	s_delay_alu instid0(VALU_DEP_2)
	v_cmp_eq_u32_e64 s0, 1, v24
	s_or_b32 s1, s20, vcc_lo
	s_wait_alu 0xfffe
	s_and_b32 s1, s1, s0
	s_wait_alu 0xfffe
	s_and_saveexec_b32 s0, s1
	s_cbranch_execz .LBB623_114
; %bb.113:
	v_lshlrev_b64_e32 v[29:30], 3, v[17:18]
	v_lshlrev_b64_e32 v[31:32], 3, v[21:22]
	s_delay_alu instid0(VALU_DEP_2) | instskip(SKIP_1) | instid1(VALU_DEP_3)
	v_add_co_u32 v22, vcc_lo, s12, v29
	s_wait_alu 0xfffd
	v_add_co_ci_u32_e64 v24, null, s13, v30, vcc_lo
	s_delay_alu instid0(VALU_DEP_2) | instskip(SKIP_1) | instid1(VALU_DEP_2)
	v_add_co_u32 v29, vcc_lo, v22, v31
	s_wait_alu 0xfffd
	v_add_co_ci_u32_e64 v30, null, v24, v32, vcc_lo
	global_store_b64 v[29:30], v[7:8], off
.LBB623_114:
	s_wait_alu 0xfffe
	s_or_b32 exec_lo, exec_lo, s0
	v_and_b32_e32 v22, 1, v25
	v_cmp_lt_u64_e32 vcc_lo, v[13:14], v[19:20]
	s_delay_alu instid0(VALU_DEP_2)
	v_cmp_eq_u32_e64 s0, 1, v22
	;; [unrolled: 25-line block ×3, first 2 shown]
	s_or_b32 s1, s20, vcc_lo
	s_wait_alu 0xfffe
	s_and_b32 s1, s1, s0
	s_wait_alu 0xfffe
	s_and_saveexec_b32 s0, s1
	s_cbranch_execz .LBB623_118
; %bb.117:
	v_lshlrev_b64_e32 v[19:20], 3, v[17:18]
	v_lshlrev_b64_e32 v[29:30], 3, v[15:16]
	s_delay_alu instid0(VALU_DEP_2) | instskip(SKIP_1) | instid1(VALU_DEP_3)
	v_add_co_u32 v14, vcc_lo, s12, v19
	s_wait_alu 0xfffd
	v_add_co_ci_u32_e64 v16, null, s13, v20, vcc_lo
	s_delay_alu instid0(VALU_DEP_2) | instskip(SKIP_1) | instid1(VALU_DEP_2)
	v_add_co_u32 v19, vcc_lo, v14, v29
	s_wait_alu 0xfffd
	v_add_co_ci_u32_e64 v20, null, v16, v30, vcc_lo
	global_store_b64 v[19:20], v[3:4], off
.LBB623_118:
	s_wait_alu 0xfffe
	s_or_b32 exec_lo, exec_lo, s0
	s_branch .LBB623_108
.LBB623_119:
	s_mov_b32 s0, exec_lo
	v_cmpx_eq_u32_e32 1, v28
; %bb.120:
	v_sub_nc_u32_e32 v14, v23, v11
	s_delay_alu instid0(VALU_DEP_1)
	v_lshlrev_b32_e32 v14, 3, v14
	ds_store_b64 v14, v[5:6]
; %bb.121:
	s_wait_alu 0xfffe
	s_or_b32 exec_lo, exec_lo, s0
	v_and_b32_e32 v5, 1, v26
	s_mov_b32 s0, exec_lo
	s_delay_alu instid0(VALU_DEP_1)
	v_cmpx_eq_u32_e32 1, v5
; %bb.122:
	v_sub_nc_u32_e32 v5, v21, v11
	s_delay_alu instid0(VALU_DEP_1)
	v_lshlrev_b32_e32 v5, 3, v5
	ds_store_b64 v5, v[7:8]
; %bb.123:
	s_wait_alu 0xfffe
	s_or_b32 exec_lo, exec_lo, s0
	v_and_b32_e32 v5, 1, v25
	s_mov_b32 s0, exec_lo
	s_delay_alu instid0(VALU_DEP_1)
	;; [unrolled: 12-line block ×3, first 2 shown]
	v_cmpx_eq_u32_e32 1, v1
; %bb.126:
	v_sub_nc_u32_e32 v1, v15, v11
	s_delay_alu instid0(VALU_DEP_1)
	v_lshlrev_b32_e32 v1, 3, v1
	ds_store_b64 v1, v[3:4]
; %bb.127:
	s_wait_alu 0xfffe
	s_or_b32 exec_lo, exec_lo, s0
	v_mov_b32_e32 v1, 0
	s_mov_b32 s1, exec_lo
	s_wait_storecnt 0x0
	s_wait_loadcnt_dscnt 0x0
	s_barrier_signal -1
	s_barrier_wait -1
	global_inv scope:SCOPE_SE
	v_cmpx_gt_u64_e64 v[9:10], v[0:1]
	s_cbranch_execz .LBB623_130
; %bb.128:
	v_lshlrev_b64_e32 v[2:3], 3, v[11:12]
	v_lshlrev_b64_e32 v[4:5], 3, v[17:18]
	s_mov_b32 s3, 0
	s_delay_alu instid0(VALU_DEP_2) | instskip(SKIP_1) | instid1(VALU_DEP_3)
	v_add_co_u32 v6, vcc_lo, s12, v2
	s_wait_alu 0xfffd
	v_add_co_ci_u32_e64 v7, null, s13, v3, vcc_lo
	v_dual_mov_b32 v3, v1 :: v_dual_mov_b32 v2, v0
	s_delay_alu instid0(VALU_DEP_3) | instskip(SKIP_1) | instid1(VALU_DEP_3)
	v_add_co_u32 v4, vcc_lo, v6, v4
	s_wait_alu 0xfffd
	v_add_co_ci_u32_e64 v5, null, v7, v5, vcc_lo
	v_or_b32_e32 v0, 0x100, v0
.LBB623_129:                            ; =>This Inner Loop Header: Depth=1
	v_lshlrev_b32_e32 v6, 3, v2
	v_lshlrev_b64_e32 v[13:14], 3, v[2:3]
	v_mov_b32_e32 v3, v1
	s_delay_alu instid0(VALU_DEP_4)
	v_cmp_le_u64_e32 vcc_lo, v[9:10], v[0:1]
	v_mov_b32_e32 v2, v0
	ds_load_b64 v[6:7], v6
	v_add_nc_u32_e32 v0, 0x100, v0
	v_add_co_u32 v13, s0, v4, v13
	s_wait_alu 0xf1ff
	v_add_co_ci_u32_e64 v14, null, v5, v14, s0
	s_wait_alu 0xfffe
	s_or_b32 s3, vcc_lo, s3
	s_wait_dscnt 0x0
	global_store_b64 v[13:14], v[6:7], off
	s_wait_alu 0xfffe
	s_and_not1_b32 exec_lo, exec_lo, s3
	s_cbranch_execnz .LBB623_129
.LBB623_130:
	s_wait_alu 0xfffe
	s_or_b32 exec_lo, exec_lo, s1
	s_and_b32 s0, s2, s19
	s_wait_alu 0xfffe
	s_and_saveexec_b32 s1, s0
	s_cbranch_execz .LBB623_109
.LBB623_131:
	v_add_co_u32 v0, vcc_lo, v11, v9
	s_wait_alu 0xfffd
	v_add_co_ci_u32_e64 v1, null, v12, v10, vcc_lo
	v_mov_b32_e32 v2, 0
	s_delay_alu instid0(VALU_DEP_3) | instskip(SKIP_1) | instid1(VALU_DEP_3)
	v_add_co_u32 v0, vcc_lo, v0, v17
	s_wait_alu 0xfffd
	v_add_co_ci_u32_e64 v1, null, v1, v18, vcc_lo
	global_store_b64 v2, v[0:1], s[8:9]
	s_endpgm
.LBB623_132:
	v_lshlrev_b32_e32 v16, 3, v0
	global_load_b64 v[19:20], v16, s[10:11] offset:2048
	s_wait_loadcnt 0x0
	v_cmp_neq_f32_e32 vcc_lo, 0, v19
	v_cmp_neq_f32_e64 s0, 0, v20
	s_or_b32 s0, vcc_lo, s0
	s_wait_alu 0xfffe
	v_cndmask_b32_e64 v16, 0, 1, s0
	s_delay_alu instid0(VALU_DEP_1) | instskip(NEXT) | instid1(VALU_DEP_1)
	v_lshlrev_b16 v16, 8, v16
	v_or_b32_e32 v14, v14, v16
	s_delay_alu instid0(VALU_DEP_1) | instskip(SKIP_1) | instid1(SALU_CYCLE_1)
	v_and_b32_e32 v14, 0xffff, v14
	s_or_b32 exec_lo, exec_lo, s1
	s_mov_b32 s1, exec_lo
	v_cmpx_gt_u32_e64 s18, v10
	s_cbranch_execz .LBB623_15
.LBB623_133:
	v_lshlrev_b32_e32 v16, 3, v0
	global_load_b64 v[19:20], v16, s[10:11] offset:4096
	s_wait_loadcnt 0x0
	v_cmp_neq_f32_e32 vcc_lo, 0, v19
	v_cmp_neq_f32_e64 s0, 0, v20
	s_or_b32 s0, vcc_lo, s0
	s_wait_alu 0xfffe
	v_cndmask_b32_e64 v16, 0, 1, s0
	s_delay_alu instid0(VALU_DEP_1) | instskip(SKIP_1) | instid1(SALU_CYCLE_1)
	v_lshl_or_b32 v14, v16, 16, v14
	s_or_b32 exec_lo, exec_lo, s1
	s_mov_b32 s1, exec_lo
	v_cmpx_gt_u32_e64 s18, v9
	s_cbranch_execnz .LBB623_16
	s_branch .LBB623_17
	.section	.rodata,"a",@progbits
	.p2align	6, 0x0
	.amdhsa_kernel _ZN7rocprim17ROCPRIM_400000_NS6detail17trampoline_kernelINS0_14default_configENS1_25partition_config_selectorILNS1_17partition_subalgoE5ElNS0_10empty_typeEbEEZZNS1_14partition_implILS5_5ELb0ES3_mN6hipcub16HIPCUB_304000_NS21CountingInputIteratorIllEEPS6_NSA_22TransformInputIteratorIbN2at6native12_GLOBAL__N_19NonZeroOpIN3c107complexIfEEEEPKSL_lEENS0_5tupleIJPlS6_EEENSQ_IJSD_SD_EEES6_PiJS6_EEE10hipError_tPvRmT3_T4_T5_T6_T7_T9_mT8_P12ihipStream_tbDpT10_ENKUlT_T0_E_clISt17integral_constantIbLb0EES1D_IbLb1EEEEDaS19_S1A_EUlS19_E_NS1_11comp_targetILNS1_3genE10ELNS1_11target_archE1200ELNS1_3gpuE4ELNS1_3repE0EEENS1_30default_config_static_selectorELNS0_4arch9wavefront6targetE0EEEvT1_
		.amdhsa_group_segment_fixed_size 8464
		.amdhsa_private_segment_fixed_size 0
		.amdhsa_kernarg_size 136
		.amdhsa_user_sgpr_count 2
		.amdhsa_user_sgpr_dispatch_ptr 0
		.amdhsa_user_sgpr_queue_ptr 0
		.amdhsa_user_sgpr_kernarg_segment_ptr 1
		.amdhsa_user_sgpr_dispatch_id 0
		.amdhsa_user_sgpr_private_segment_size 0
		.amdhsa_wavefront_size32 1
		.amdhsa_uses_dynamic_stack 0
		.amdhsa_enable_private_segment 0
		.amdhsa_system_sgpr_workgroup_id_x 1
		.amdhsa_system_sgpr_workgroup_id_y 0
		.amdhsa_system_sgpr_workgroup_id_z 0
		.amdhsa_system_sgpr_workgroup_info 0
		.amdhsa_system_vgpr_workitem_id 0
		.amdhsa_next_free_vgpr 48
		.amdhsa_next_free_sgpr 24
		.amdhsa_reserve_vcc 1
		.amdhsa_float_round_mode_32 0
		.amdhsa_float_round_mode_16_64 0
		.amdhsa_float_denorm_mode_32 3
		.amdhsa_float_denorm_mode_16_64 3
		.amdhsa_fp16_overflow 0
		.amdhsa_workgroup_processor_mode 1
		.amdhsa_memory_ordered 1
		.amdhsa_forward_progress 1
		.amdhsa_inst_pref_size 56
		.amdhsa_round_robin_scheduling 0
		.amdhsa_exception_fp_ieee_invalid_op 0
		.amdhsa_exception_fp_denorm_src 0
		.amdhsa_exception_fp_ieee_div_zero 0
		.amdhsa_exception_fp_ieee_overflow 0
		.amdhsa_exception_fp_ieee_underflow 0
		.amdhsa_exception_fp_ieee_inexact 0
		.amdhsa_exception_int_div_zero 0
	.end_amdhsa_kernel
	.section	.text._ZN7rocprim17ROCPRIM_400000_NS6detail17trampoline_kernelINS0_14default_configENS1_25partition_config_selectorILNS1_17partition_subalgoE5ElNS0_10empty_typeEbEEZZNS1_14partition_implILS5_5ELb0ES3_mN6hipcub16HIPCUB_304000_NS21CountingInputIteratorIllEEPS6_NSA_22TransformInputIteratorIbN2at6native12_GLOBAL__N_19NonZeroOpIN3c107complexIfEEEEPKSL_lEENS0_5tupleIJPlS6_EEENSQ_IJSD_SD_EEES6_PiJS6_EEE10hipError_tPvRmT3_T4_T5_T6_T7_T9_mT8_P12ihipStream_tbDpT10_ENKUlT_T0_E_clISt17integral_constantIbLb0EES1D_IbLb1EEEEDaS19_S1A_EUlS19_E_NS1_11comp_targetILNS1_3genE10ELNS1_11target_archE1200ELNS1_3gpuE4ELNS1_3repE0EEENS1_30default_config_static_selectorELNS0_4arch9wavefront6targetE0EEEvT1_,"axG",@progbits,_ZN7rocprim17ROCPRIM_400000_NS6detail17trampoline_kernelINS0_14default_configENS1_25partition_config_selectorILNS1_17partition_subalgoE5ElNS0_10empty_typeEbEEZZNS1_14partition_implILS5_5ELb0ES3_mN6hipcub16HIPCUB_304000_NS21CountingInputIteratorIllEEPS6_NSA_22TransformInputIteratorIbN2at6native12_GLOBAL__N_19NonZeroOpIN3c107complexIfEEEEPKSL_lEENS0_5tupleIJPlS6_EEENSQ_IJSD_SD_EEES6_PiJS6_EEE10hipError_tPvRmT3_T4_T5_T6_T7_T9_mT8_P12ihipStream_tbDpT10_ENKUlT_T0_E_clISt17integral_constantIbLb0EES1D_IbLb1EEEEDaS19_S1A_EUlS19_E_NS1_11comp_targetILNS1_3genE10ELNS1_11target_archE1200ELNS1_3gpuE4ELNS1_3repE0EEENS1_30default_config_static_selectorELNS0_4arch9wavefront6targetE0EEEvT1_,comdat
.Lfunc_end623:
	.size	_ZN7rocprim17ROCPRIM_400000_NS6detail17trampoline_kernelINS0_14default_configENS1_25partition_config_selectorILNS1_17partition_subalgoE5ElNS0_10empty_typeEbEEZZNS1_14partition_implILS5_5ELb0ES3_mN6hipcub16HIPCUB_304000_NS21CountingInputIteratorIllEEPS6_NSA_22TransformInputIteratorIbN2at6native12_GLOBAL__N_19NonZeroOpIN3c107complexIfEEEEPKSL_lEENS0_5tupleIJPlS6_EEENSQ_IJSD_SD_EEES6_PiJS6_EEE10hipError_tPvRmT3_T4_T5_T6_T7_T9_mT8_P12ihipStream_tbDpT10_ENKUlT_T0_E_clISt17integral_constantIbLb0EES1D_IbLb1EEEEDaS19_S1A_EUlS19_E_NS1_11comp_targetILNS1_3genE10ELNS1_11target_archE1200ELNS1_3gpuE4ELNS1_3repE0EEENS1_30default_config_static_selectorELNS0_4arch9wavefront6targetE0EEEvT1_, .Lfunc_end623-_ZN7rocprim17ROCPRIM_400000_NS6detail17trampoline_kernelINS0_14default_configENS1_25partition_config_selectorILNS1_17partition_subalgoE5ElNS0_10empty_typeEbEEZZNS1_14partition_implILS5_5ELb0ES3_mN6hipcub16HIPCUB_304000_NS21CountingInputIteratorIllEEPS6_NSA_22TransformInputIteratorIbN2at6native12_GLOBAL__N_19NonZeroOpIN3c107complexIfEEEEPKSL_lEENS0_5tupleIJPlS6_EEENSQ_IJSD_SD_EEES6_PiJS6_EEE10hipError_tPvRmT3_T4_T5_T6_T7_T9_mT8_P12ihipStream_tbDpT10_ENKUlT_T0_E_clISt17integral_constantIbLb0EES1D_IbLb1EEEEDaS19_S1A_EUlS19_E_NS1_11comp_targetILNS1_3genE10ELNS1_11target_archE1200ELNS1_3gpuE4ELNS1_3repE0EEENS1_30default_config_static_selectorELNS0_4arch9wavefront6targetE0EEEvT1_
                                        ; -- End function
	.set _ZN7rocprim17ROCPRIM_400000_NS6detail17trampoline_kernelINS0_14default_configENS1_25partition_config_selectorILNS1_17partition_subalgoE5ElNS0_10empty_typeEbEEZZNS1_14partition_implILS5_5ELb0ES3_mN6hipcub16HIPCUB_304000_NS21CountingInputIteratorIllEEPS6_NSA_22TransformInputIteratorIbN2at6native12_GLOBAL__N_19NonZeroOpIN3c107complexIfEEEEPKSL_lEENS0_5tupleIJPlS6_EEENSQ_IJSD_SD_EEES6_PiJS6_EEE10hipError_tPvRmT3_T4_T5_T6_T7_T9_mT8_P12ihipStream_tbDpT10_ENKUlT_T0_E_clISt17integral_constantIbLb0EES1D_IbLb1EEEEDaS19_S1A_EUlS19_E_NS1_11comp_targetILNS1_3genE10ELNS1_11target_archE1200ELNS1_3gpuE4ELNS1_3repE0EEENS1_30default_config_static_selectorELNS0_4arch9wavefront6targetE0EEEvT1_.num_vgpr, 48
	.set _ZN7rocprim17ROCPRIM_400000_NS6detail17trampoline_kernelINS0_14default_configENS1_25partition_config_selectorILNS1_17partition_subalgoE5ElNS0_10empty_typeEbEEZZNS1_14partition_implILS5_5ELb0ES3_mN6hipcub16HIPCUB_304000_NS21CountingInputIteratorIllEEPS6_NSA_22TransformInputIteratorIbN2at6native12_GLOBAL__N_19NonZeroOpIN3c107complexIfEEEEPKSL_lEENS0_5tupleIJPlS6_EEENSQ_IJSD_SD_EEES6_PiJS6_EEE10hipError_tPvRmT3_T4_T5_T6_T7_T9_mT8_P12ihipStream_tbDpT10_ENKUlT_T0_E_clISt17integral_constantIbLb0EES1D_IbLb1EEEEDaS19_S1A_EUlS19_E_NS1_11comp_targetILNS1_3genE10ELNS1_11target_archE1200ELNS1_3gpuE4ELNS1_3repE0EEENS1_30default_config_static_selectorELNS0_4arch9wavefront6targetE0EEEvT1_.num_agpr, 0
	.set _ZN7rocprim17ROCPRIM_400000_NS6detail17trampoline_kernelINS0_14default_configENS1_25partition_config_selectorILNS1_17partition_subalgoE5ElNS0_10empty_typeEbEEZZNS1_14partition_implILS5_5ELb0ES3_mN6hipcub16HIPCUB_304000_NS21CountingInputIteratorIllEEPS6_NSA_22TransformInputIteratorIbN2at6native12_GLOBAL__N_19NonZeroOpIN3c107complexIfEEEEPKSL_lEENS0_5tupleIJPlS6_EEENSQ_IJSD_SD_EEES6_PiJS6_EEE10hipError_tPvRmT3_T4_T5_T6_T7_T9_mT8_P12ihipStream_tbDpT10_ENKUlT_T0_E_clISt17integral_constantIbLb0EES1D_IbLb1EEEEDaS19_S1A_EUlS19_E_NS1_11comp_targetILNS1_3genE10ELNS1_11target_archE1200ELNS1_3gpuE4ELNS1_3repE0EEENS1_30default_config_static_selectorELNS0_4arch9wavefront6targetE0EEEvT1_.numbered_sgpr, 24
	.set _ZN7rocprim17ROCPRIM_400000_NS6detail17trampoline_kernelINS0_14default_configENS1_25partition_config_selectorILNS1_17partition_subalgoE5ElNS0_10empty_typeEbEEZZNS1_14partition_implILS5_5ELb0ES3_mN6hipcub16HIPCUB_304000_NS21CountingInputIteratorIllEEPS6_NSA_22TransformInputIteratorIbN2at6native12_GLOBAL__N_19NonZeroOpIN3c107complexIfEEEEPKSL_lEENS0_5tupleIJPlS6_EEENSQ_IJSD_SD_EEES6_PiJS6_EEE10hipError_tPvRmT3_T4_T5_T6_T7_T9_mT8_P12ihipStream_tbDpT10_ENKUlT_T0_E_clISt17integral_constantIbLb0EES1D_IbLb1EEEEDaS19_S1A_EUlS19_E_NS1_11comp_targetILNS1_3genE10ELNS1_11target_archE1200ELNS1_3gpuE4ELNS1_3repE0EEENS1_30default_config_static_selectorELNS0_4arch9wavefront6targetE0EEEvT1_.num_named_barrier, 0
	.set _ZN7rocprim17ROCPRIM_400000_NS6detail17trampoline_kernelINS0_14default_configENS1_25partition_config_selectorILNS1_17partition_subalgoE5ElNS0_10empty_typeEbEEZZNS1_14partition_implILS5_5ELb0ES3_mN6hipcub16HIPCUB_304000_NS21CountingInputIteratorIllEEPS6_NSA_22TransformInputIteratorIbN2at6native12_GLOBAL__N_19NonZeroOpIN3c107complexIfEEEEPKSL_lEENS0_5tupleIJPlS6_EEENSQ_IJSD_SD_EEES6_PiJS6_EEE10hipError_tPvRmT3_T4_T5_T6_T7_T9_mT8_P12ihipStream_tbDpT10_ENKUlT_T0_E_clISt17integral_constantIbLb0EES1D_IbLb1EEEEDaS19_S1A_EUlS19_E_NS1_11comp_targetILNS1_3genE10ELNS1_11target_archE1200ELNS1_3gpuE4ELNS1_3repE0EEENS1_30default_config_static_selectorELNS0_4arch9wavefront6targetE0EEEvT1_.private_seg_size, 0
	.set _ZN7rocprim17ROCPRIM_400000_NS6detail17trampoline_kernelINS0_14default_configENS1_25partition_config_selectorILNS1_17partition_subalgoE5ElNS0_10empty_typeEbEEZZNS1_14partition_implILS5_5ELb0ES3_mN6hipcub16HIPCUB_304000_NS21CountingInputIteratorIllEEPS6_NSA_22TransformInputIteratorIbN2at6native12_GLOBAL__N_19NonZeroOpIN3c107complexIfEEEEPKSL_lEENS0_5tupleIJPlS6_EEENSQ_IJSD_SD_EEES6_PiJS6_EEE10hipError_tPvRmT3_T4_T5_T6_T7_T9_mT8_P12ihipStream_tbDpT10_ENKUlT_T0_E_clISt17integral_constantIbLb0EES1D_IbLb1EEEEDaS19_S1A_EUlS19_E_NS1_11comp_targetILNS1_3genE10ELNS1_11target_archE1200ELNS1_3gpuE4ELNS1_3repE0EEENS1_30default_config_static_selectorELNS0_4arch9wavefront6targetE0EEEvT1_.uses_vcc, 1
	.set _ZN7rocprim17ROCPRIM_400000_NS6detail17trampoline_kernelINS0_14default_configENS1_25partition_config_selectorILNS1_17partition_subalgoE5ElNS0_10empty_typeEbEEZZNS1_14partition_implILS5_5ELb0ES3_mN6hipcub16HIPCUB_304000_NS21CountingInputIteratorIllEEPS6_NSA_22TransformInputIteratorIbN2at6native12_GLOBAL__N_19NonZeroOpIN3c107complexIfEEEEPKSL_lEENS0_5tupleIJPlS6_EEENSQ_IJSD_SD_EEES6_PiJS6_EEE10hipError_tPvRmT3_T4_T5_T6_T7_T9_mT8_P12ihipStream_tbDpT10_ENKUlT_T0_E_clISt17integral_constantIbLb0EES1D_IbLb1EEEEDaS19_S1A_EUlS19_E_NS1_11comp_targetILNS1_3genE10ELNS1_11target_archE1200ELNS1_3gpuE4ELNS1_3repE0EEENS1_30default_config_static_selectorELNS0_4arch9wavefront6targetE0EEEvT1_.uses_flat_scratch, 0
	.set _ZN7rocprim17ROCPRIM_400000_NS6detail17trampoline_kernelINS0_14default_configENS1_25partition_config_selectorILNS1_17partition_subalgoE5ElNS0_10empty_typeEbEEZZNS1_14partition_implILS5_5ELb0ES3_mN6hipcub16HIPCUB_304000_NS21CountingInputIteratorIllEEPS6_NSA_22TransformInputIteratorIbN2at6native12_GLOBAL__N_19NonZeroOpIN3c107complexIfEEEEPKSL_lEENS0_5tupleIJPlS6_EEENSQ_IJSD_SD_EEES6_PiJS6_EEE10hipError_tPvRmT3_T4_T5_T6_T7_T9_mT8_P12ihipStream_tbDpT10_ENKUlT_T0_E_clISt17integral_constantIbLb0EES1D_IbLb1EEEEDaS19_S1A_EUlS19_E_NS1_11comp_targetILNS1_3genE10ELNS1_11target_archE1200ELNS1_3gpuE4ELNS1_3repE0EEENS1_30default_config_static_selectorELNS0_4arch9wavefront6targetE0EEEvT1_.has_dyn_sized_stack, 0
	.set _ZN7rocprim17ROCPRIM_400000_NS6detail17trampoline_kernelINS0_14default_configENS1_25partition_config_selectorILNS1_17partition_subalgoE5ElNS0_10empty_typeEbEEZZNS1_14partition_implILS5_5ELb0ES3_mN6hipcub16HIPCUB_304000_NS21CountingInputIteratorIllEEPS6_NSA_22TransformInputIteratorIbN2at6native12_GLOBAL__N_19NonZeroOpIN3c107complexIfEEEEPKSL_lEENS0_5tupleIJPlS6_EEENSQ_IJSD_SD_EEES6_PiJS6_EEE10hipError_tPvRmT3_T4_T5_T6_T7_T9_mT8_P12ihipStream_tbDpT10_ENKUlT_T0_E_clISt17integral_constantIbLb0EES1D_IbLb1EEEEDaS19_S1A_EUlS19_E_NS1_11comp_targetILNS1_3genE10ELNS1_11target_archE1200ELNS1_3gpuE4ELNS1_3repE0EEENS1_30default_config_static_selectorELNS0_4arch9wavefront6targetE0EEEvT1_.has_recursion, 0
	.set _ZN7rocprim17ROCPRIM_400000_NS6detail17trampoline_kernelINS0_14default_configENS1_25partition_config_selectorILNS1_17partition_subalgoE5ElNS0_10empty_typeEbEEZZNS1_14partition_implILS5_5ELb0ES3_mN6hipcub16HIPCUB_304000_NS21CountingInputIteratorIllEEPS6_NSA_22TransformInputIteratorIbN2at6native12_GLOBAL__N_19NonZeroOpIN3c107complexIfEEEEPKSL_lEENS0_5tupleIJPlS6_EEENSQ_IJSD_SD_EEES6_PiJS6_EEE10hipError_tPvRmT3_T4_T5_T6_T7_T9_mT8_P12ihipStream_tbDpT10_ENKUlT_T0_E_clISt17integral_constantIbLb0EES1D_IbLb1EEEEDaS19_S1A_EUlS19_E_NS1_11comp_targetILNS1_3genE10ELNS1_11target_archE1200ELNS1_3gpuE4ELNS1_3repE0EEENS1_30default_config_static_selectorELNS0_4arch9wavefront6targetE0EEEvT1_.has_indirect_call, 0
	.section	.AMDGPU.csdata,"",@progbits
; Kernel info:
; codeLenInByte = 7116
; TotalNumSgprs: 26
; NumVgprs: 48
; ScratchSize: 0
; MemoryBound: 0
; FloatMode: 240
; IeeeMode: 1
; LDSByteSize: 8464 bytes/workgroup (compile time only)
; SGPRBlocks: 0
; VGPRBlocks: 5
; NumSGPRsForWavesPerEU: 26
; NumVGPRsForWavesPerEU: 48
; Occupancy: 16
; WaveLimiterHint : 1
; COMPUTE_PGM_RSRC2:SCRATCH_EN: 0
; COMPUTE_PGM_RSRC2:USER_SGPR: 2
; COMPUTE_PGM_RSRC2:TRAP_HANDLER: 0
; COMPUTE_PGM_RSRC2:TGID_X_EN: 1
; COMPUTE_PGM_RSRC2:TGID_Y_EN: 0
; COMPUTE_PGM_RSRC2:TGID_Z_EN: 0
; COMPUTE_PGM_RSRC2:TIDIG_COMP_CNT: 0
	.section	.text._ZN7rocprim17ROCPRIM_400000_NS6detail17trampoline_kernelINS0_14default_configENS1_25partition_config_selectorILNS1_17partition_subalgoE5ElNS0_10empty_typeEbEEZZNS1_14partition_implILS5_5ELb0ES3_mN6hipcub16HIPCUB_304000_NS21CountingInputIteratorIllEEPS6_NSA_22TransformInputIteratorIbN2at6native12_GLOBAL__N_19NonZeroOpIN3c107complexIfEEEEPKSL_lEENS0_5tupleIJPlS6_EEENSQ_IJSD_SD_EEES6_PiJS6_EEE10hipError_tPvRmT3_T4_T5_T6_T7_T9_mT8_P12ihipStream_tbDpT10_ENKUlT_T0_E_clISt17integral_constantIbLb0EES1D_IbLb1EEEEDaS19_S1A_EUlS19_E_NS1_11comp_targetILNS1_3genE9ELNS1_11target_archE1100ELNS1_3gpuE3ELNS1_3repE0EEENS1_30default_config_static_selectorELNS0_4arch9wavefront6targetE0EEEvT1_,"axG",@progbits,_ZN7rocprim17ROCPRIM_400000_NS6detail17trampoline_kernelINS0_14default_configENS1_25partition_config_selectorILNS1_17partition_subalgoE5ElNS0_10empty_typeEbEEZZNS1_14partition_implILS5_5ELb0ES3_mN6hipcub16HIPCUB_304000_NS21CountingInputIteratorIllEEPS6_NSA_22TransformInputIteratorIbN2at6native12_GLOBAL__N_19NonZeroOpIN3c107complexIfEEEEPKSL_lEENS0_5tupleIJPlS6_EEENSQ_IJSD_SD_EEES6_PiJS6_EEE10hipError_tPvRmT3_T4_T5_T6_T7_T9_mT8_P12ihipStream_tbDpT10_ENKUlT_T0_E_clISt17integral_constantIbLb0EES1D_IbLb1EEEEDaS19_S1A_EUlS19_E_NS1_11comp_targetILNS1_3genE9ELNS1_11target_archE1100ELNS1_3gpuE3ELNS1_3repE0EEENS1_30default_config_static_selectorELNS0_4arch9wavefront6targetE0EEEvT1_,comdat
	.globl	_ZN7rocprim17ROCPRIM_400000_NS6detail17trampoline_kernelINS0_14default_configENS1_25partition_config_selectorILNS1_17partition_subalgoE5ElNS0_10empty_typeEbEEZZNS1_14partition_implILS5_5ELb0ES3_mN6hipcub16HIPCUB_304000_NS21CountingInputIteratorIllEEPS6_NSA_22TransformInputIteratorIbN2at6native12_GLOBAL__N_19NonZeroOpIN3c107complexIfEEEEPKSL_lEENS0_5tupleIJPlS6_EEENSQ_IJSD_SD_EEES6_PiJS6_EEE10hipError_tPvRmT3_T4_T5_T6_T7_T9_mT8_P12ihipStream_tbDpT10_ENKUlT_T0_E_clISt17integral_constantIbLb0EES1D_IbLb1EEEEDaS19_S1A_EUlS19_E_NS1_11comp_targetILNS1_3genE9ELNS1_11target_archE1100ELNS1_3gpuE3ELNS1_3repE0EEENS1_30default_config_static_selectorELNS0_4arch9wavefront6targetE0EEEvT1_ ; -- Begin function _ZN7rocprim17ROCPRIM_400000_NS6detail17trampoline_kernelINS0_14default_configENS1_25partition_config_selectorILNS1_17partition_subalgoE5ElNS0_10empty_typeEbEEZZNS1_14partition_implILS5_5ELb0ES3_mN6hipcub16HIPCUB_304000_NS21CountingInputIteratorIllEEPS6_NSA_22TransformInputIteratorIbN2at6native12_GLOBAL__N_19NonZeroOpIN3c107complexIfEEEEPKSL_lEENS0_5tupleIJPlS6_EEENSQ_IJSD_SD_EEES6_PiJS6_EEE10hipError_tPvRmT3_T4_T5_T6_T7_T9_mT8_P12ihipStream_tbDpT10_ENKUlT_T0_E_clISt17integral_constantIbLb0EES1D_IbLb1EEEEDaS19_S1A_EUlS19_E_NS1_11comp_targetILNS1_3genE9ELNS1_11target_archE1100ELNS1_3gpuE3ELNS1_3repE0EEENS1_30default_config_static_selectorELNS0_4arch9wavefront6targetE0EEEvT1_
	.p2align	8
	.type	_ZN7rocprim17ROCPRIM_400000_NS6detail17trampoline_kernelINS0_14default_configENS1_25partition_config_selectorILNS1_17partition_subalgoE5ElNS0_10empty_typeEbEEZZNS1_14partition_implILS5_5ELb0ES3_mN6hipcub16HIPCUB_304000_NS21CountingInputIteratorIllEEPS6_NSA_22TransformInputIteratorIbN2at6native12_GLOBAL__N_19NonZeroOpIN3c107complexIfEEEEPKSL_lEENS0_5tupleIJPlS6_EEENSQ_IJSD_SD_EEES6_PiJS6_EEE10hipError_tPvRmT3_T4_T5_T6_T7_T9_mT8_P12ihipStream_tbDpT10_ENKUlT_T0_E_clISt17integral_constantIbLb0EES1D_IbLb1EEEEDaS19_S1A_EUlS19_E_NS1_11comp_targetILNS1_3genE9ELNS1_11target_archE1100ELNS1_3gpuE3ELNS1_3repE0EEENS1_30default_config_static_selectorELNS0_4arch9wavefront6targetE0EEEvT1_,@function
_ZN7rocprim17ROCPRIM_400000_NS6detail17trampoline_kernelINS0_14default_configENS1_25partition_config_selectorILNS1_17partition_subalgoE5ElNS0_10empty_typeEbEEZZNS1_14partition_implILS5_5ELb0ES3_mN6hipcub16HIPCUB_304000_NS21CountingInputIteratorIllEEPS6_NSA_22TransformInputIteratorIbN2at6native12_GLOBAL__N_19NonZeroOpIN3c107complexIfEEEEPKSL_lEENS0_5tupleIJPlS6_EEENSQ_IJSD_SD_EEES6_PiJS6_EEE10hipError_tPvRmT3_T4_T5_T6_T7_T9_mT8_P12ihipStream_tbDpT10_ENKUlT_T0_E_clISt17integral_constantIbLb0EES1D_IbLb1EEEEDaS19_S1A_EUlS19_E_NS1_11comp_targetILNS1_3genE9ELNS1_11target_archE1100ELNS1_3gpuE3ELNS1_3repE0EEENS1_30default_config_static_selectorELNS0_4arch9wavefront6targetE0EEEvT1_: ; @_ZN7rocprim17ROCPRIM_400000_NS6detail17trampoline_kernelINS0_14default_configENS1_25partition_config_selectorILNS1_17partition_subalgoE5ElNS0_10empty_typeEbEEZZNS1_14partition_implILS5_5ELb0ES3_mN6hipcub16HIPCUB_304000_NS21CountingInputIteratorIllEEPS6_NSA_22TransformInputIteratorIbN2at6native12_GLOBAL__N_19NonZeroOpIN3c107complexIfEEEEPKSL_lEENS0_5tupleIJPlS6_EEENSQ_IJSD_SD_EEES6_PiJS6_EEE10hipError_tPvRmT3_T4_T5_T6_T7_T9_mT8_P12ihipStream_tbDpT10_ENKUlT_T0_E_clISt17integral_constantIbLb0EES1D_IbLb1EEEEDaS19_S1A_EUlS19_E_NS1_11comp_targetILNS1_3genE9ELNS1_11target_archE1100ELNS1_3gpuE3ELNS1_3repE0EEENS1_30default_config_static_selectorELNS0_4arch9wavefront6targetE0EEEvT1_
; %bb.0:
	.section	.rodata,"a",@progbits
	.p2align	6, 0x0
	.amdhsa_kernel _ZN7rocprim17ROCPRIM_400000_NS6detail17trampoline_kernelINS0_14default_configENS1_25partition_config_selectorILNS1_17partition_subalgoE5ElNS0_10empty_typeEbEEZZNS1_14partition_implILS5_5ELb0ES3_mN6hipcub16HIPCUB_304000_NS21CountingInputIteratorIllEEPS6_NSA_22TransformInputIteratorIbN2at6native12_GLOBAL__N_19NonZeroOpIN3c107complexIfEEEEPKSL_lEENS0_5tupleIJPlS6_EEENSQ_IJSD_SD_EEES6_PiJS6_EEE10hipError_tPvRmT3_T4_T5_T6_T7_T9_mT8_P12ihipStream_tbDpT10_ENKUlT_T0_E_clISt17integral_constantIbLb0EES1D_IbLb1EEEEDaS19_S1A_EUlS19_E_NS1_11comp_targetILNS1_3genE9ELNS1_11target_archE1100ELNS1_3gpuE3ELNS1_3repE0EEENS1_30default_config_static_selectorELNS0_4arch9wavefront6targetE0EEEvT1_
		.amdhsa_group_segment_fixed_size 0
		.amdhsa_private_segment_fixed_size 0
		.amdhsa_kernarg_size 136
		.amdhsa_user_sgpr_count 2
		.amdhsa_user_sgpr_dispatch_ptr 0
		.amdhsa_user_sgpr_queue_ptr 0
		.amdhsa_user_sgpr_kernarg_segment_ptr 1
		.amdhsa_user_sgpr_dispatch_id 0
		.amdhsa_user_sgpr_private_segment_size 0
		.amdhsa_wavefront_size32 1
		.amdhsa_uses_dynamic_stack 0
		.amdhsa_enable_private_segment 0
		.amdhsa_system_sgpr_workgroup_id_x 1
		.amdhsa_system_sgpr_workgroup_id_y 0
		.amdhsa_system_sgpr_workgroup_id_z 0
		.amdhsa_system_sgpr_workgroup_info 0
		.amdhsa_system_vgpr_workitem_id 0
		.amdhsa_next_free_vgpr 1
		.amdhsa_next_free_sgpr 1
		.amdhsa_reserve_vcc 0
		.amdhsa_float_round_mode_32 0
		.amdhsa_float_round_mode_16_64 0
		.amdhsa_float_denorm_mode_32 3
		.amdhsa_float_denorm_mode_16_64 3
		.amdhsa_fp16_overflow 0
		.amdhsa_workgroup_processor_mode 1
		.amdhsa_memory_ordered 1
		.amdhsa_forward_progress 1
		.amdhsa_inst_pref_size 0
		.amdhsa_round_robin_scheduling 0
		.amdhsa_exception_fp_ieee_invalid_op 0
		.amdhsa_exception_fp_denorm_src 0
		.amdhsa_exception_fp_ieee_div_zero 0
		.amdhsa_exception_fp_ieee_overflow 0
		.amdhsa_exception_fp_ieee_underflow 0
		.amdhsa_exception_fp_ieee_inexact 0
		.amdhsa_exception_int_div_zero 0
	.end_amdhsa_kernel
	.section	.text._ZN7rocprim17ROCPRIM_400000_NS6detail17trampoline_kernelINS0_14default_configENS1_25partition_config_selectorILNS1_17partition_subalgoE5ElNS0_10empty_typeEbEEZZNS1_14partition_implILS5_5ELb0ES3_mN6hipcub16HIPCUB_304000_NS21CountingInputIteratorIllEEPS6_NSA_22TransformInputIteratorIbN2at6native12_GLOBAL__N_19NonZeroOpIN3c107complexIfEEEEPKSL_lEENS0_5tupleIJPlS6_EEENSQ_IJSD_SD_EEES6_PiJS6_EEE10hipError_tPvRmT3_T4_T5_T6_T7_T9_mT8_P12ihipStream_tbDpT10_ENKUlT_T0_E_clISt17integral_constantIbLb0EES1D_IbLb1EEEEDaS19_S1A_EUlS19_E_NS1_11comp_targetILNS1_3genE9ELNS1_11target_archE1100ELNS1_3gpuE3ELNS1_3repE0EEENS1_30default_config_static_selectorELNS0_4arch9wavefront6targetE0EEEvT1_,"axG",@progbits,_ZN7rocprim17ROCPRIM_400000_NS6detail17trampoline_kernelINS0_14default_configENS1_25partition_config_selectorILNS1_17partition_subalgoE5ElNS0_10empty_typeEbEEZZNS1_14partition_implILS5_5ELb0ES3_mN6hipcub16HIPCUB_304000_NS21CountingInputIteratorIllEEPS6_NSA_22TransformInputIteratorIbN2at6native12_GLOBAL__N_19NonZeroOpIN3c107complexIfEEEEPKSL_lEENS0_5tupleIJPlS6_EEENSQ_IJSD_SD_EEES6_PiJS6_EEE10hipError_tPvRmT3_T4_T5_T6_T7_T9_mT8_P12ihipStream_tbDpT10_ENKUlT_T0_E_clISt17integral_constantIbLb0EES1D_IbLb1EEEEDaS19_S1A_EUlS19_E_NS1_11comp_targetILNS1_3genE9ELNS1_11target_archE1100ELNS1_3gpuE3ELNS1_3repE0EEENS1_30default_config_static_selectorELNS0_4arch9wavefront6targetE0EEEvT1_,comdat
.Lfunc_end624:
	.size	_ZN7rocprim17ROCPRIM_400000_NS6detail17trampoline_kernelINS0_14default_configENS1_25partition_config_selectorILNS1_17partition_subalgoE5ElNS0_10empty_typeEbEEZZNS1_14partition_implILS5_5ELb0ES3_mN6hipcub16HIPCUB_304000_NS21CountingInputIteratorIllEEPS6_NSA_22TransformInputIteratorIbN2at6native12_GLOBAL__N_19NonZeroOpIN3c107complexIfEEEEPKSL_lEENS0_5tupleIJPlS6_EEENSQ_IJSD_SD_EEES6_PiJS6_EEE10hipError_tPvRmT3_T4_T5_T6_T7_T9_mT8_P12ihipStream_tbDpT10_ENKUlT_T0_E_clISt17integral_constantIbLb0EES1D_IbLb1EEEEDaS19_S1A_EUlS19_E_NS1_11comp_targetILNS1_3genE9ELNS1_11target_archE1100ELNS1_3gpuE3ELNS1_3repE0EEENS1_30default_config_static_selectorELNS0_4arch9wavefront6targetE0EEEvT1_, .Lfunc_end624-_ZN7rocprim17ROCPRIM_400000_NS6detail17trampoline_kernelINS0_14default_configENS1_25partition_config_selectorILNS1_17partition_subalgoE5ElNS0_10empty_typeEbEEZZNS1_14partition_implILS5_5ELb0ES3_mN6hipcub16HIPCUB_304000_NS21CountingInputIteratorIllEEPS6_NSA_22TransformInputIteratorIbN2at6native12_GLOBAL__N_19NonZeroOpIN3c107complexIfEEEEPKSL_lEENS0_5tupleIJPlS6_EEENSQ_IJSD_SD_EEES6_PiJS6_EEE10hipError_tPvRmT3_T4_T5_T6_T7_T9_mT8_P12ihipStream_tbDpT10_ENKUlT_T0_E_clISt17integral_constantIbLb0EES1D_IbLb1EEEEDaS19_S1A_EUlS19_E_NS1_11comp_targetILNS1_3genE9ELNS1_11target_archE1100ELNS1_3gpuE3ELNS1_3repE0EEENS1_30default_config_static_selectorELNS0_4arch9wavefront6targetE0EEEvT1_
                                        ; -- End function
	.set _ZN7rocprim17ROCPRIM_400000_NS6detail17trampoline_kernelINS0_14default_configENS1_25partition_config_selectorILNS1_17partition_subalgoE5ElNS0_10empty_typeEbEEZZNS1_14partition_implILS5_5ELb0ES3_mN6hipcub16HIPCUB_304000_NS21CountingInputIteratorIllEEPS6_NSA_22TransformInputIteratorIbN2at6native12_GLOBAL__N_19NonZeroOpIN3c107complexIfEEEEPKSL_lEENS0_5tupleIJPlS6_EEENSQ_IJSD_SD_EEES6_PiJS6_EEE10hipError_tPvRmT3_T4_T5_T6_T7_T9_mT8_P12ihipStream_tbDpT10_ENKUlT_T0_E_clISt17integral_constantIbLb0EES1D_IbLb1EEEEDaS19_S1A_EUlS19_E_NS1_11comp_targetILNS1_3genE9ELNS1_11target_archE1100ELNS1_3gpuE3ELNS1_3repE0EEENS1_30default_config_static_selectorELNS0_4arch9wavefront6targetE0EEEvT1_.num_vgpr, 0
	.set _ZN7rocprim17ROCPRIM_400000_NS6detail17trampoline_kernelINS0_14default_configENS1_25partition_config_selectorILNS1_17partition_subalgoE5ElNS0_10empty_typeEbEEZZNS1_14partition_implILS5_5ELb0ES3_mN6hipcub16HIPCUB_304000_NS21CountingInputIteratorIllEEPS6_NSA_22TransformInputIteratorIbN2at6native12_GLOBAL__N_19NonZeroOpIN3c107complexIfEEEEPKSL_lEENS0_5tupleIJPlS6_EEENSQ_IJSD_SD_EEES6_PiJS6_EEE10hipError_tPvRmT3_T4_T5_T6_T7_T9_mT8_P12ihipStream_tbDpT10_ENKUlT_T0_E_clISt17integral_constantIbLb0EES1D_IbLb1EEEEDaS19_S1A_EUlS19_E_NS1_11comp_targetILNS1_3genE9ELNS1_11target_archE1100ELNS1_3gpuE3ELNS1_3repE0EEENS1_30default_config_static_selectorELNS0_4arch9wavefront6targetE0EEEvT1_.num_agpr, 0
	.set _ZN7rocprim17ROCPRIM_400000_NS6detail17trampoline_kernelINS0_14default_configENS1_25partition_config_selectorILNS1_17partition_subalgoE5ElNS0_10empty_typeEbEEZZNS1_14partition_implILS5_5ELb0ES3_mN6hipcub16HIPCUB_304000_NS21CountingInputIteratorIllEEPS6_NSA_22TransformInputIteratorIbN2at6native12_GLOBAL__N_19NonZeroOpIN3c107complexIfEEEEPKSL_lEENS0_5tupleIJPlS6_EEENSQ_IJSD_SD_EEES6_PiJS6_EEE10hipError_tPvRmT3_T4_T5_T6_T7_T9_mT8_P12ihipStream_tbDpT10_ENKUlT_T0_E_clISt17integral_constantIbLb0EES1D_IbLb1EEEEDaS19_S1A_EUlS19_E_NS1_11comp_targetILNS1_3genE9ELNS1_11target_archE1100ELNS1_3gpuE3ELNS1_3repE0EEENS1_30default_config_static_selectorELNS0_4arch9wavefront6targetE0EEEvT1_.numbered_sgpr, 0
	.set _ZN7rocprim17ROCPRIM_400000_NS6detail17trampoline_kernelINS0_14default_configENS1_25partition_config_selectorILNS1_17partition_subalgoE5ElNS0_10empty_typeEbEEZZNS1_14partition_implILS5_5ELb0ES3_mN6hipcub16HIPCUB_304000_NS21CountingInputIteratorIllEEPS6_NSA_22TransformInputIteratorIbN2at6native12_GLOBAL__N_19NonZeroOpIN3c107complexIfEEEEPKSL_lEENS0_5tupleIJPlS6_EEENSQ_IJSD_SD_EEES6_PiJS6_EEE10hipError_tPvRmT3_T4_T5_T6_T7_T9_mT8_P12ihipStream_tbDpT10_ENKUlT_T0_E_clISt17integral_constantIbLb0EES1D_IbLb1EEEEDaS19_S1A_EUlS19_E_NS1_11comp_targetILNS1_3genE9ELNS1_11target_archE1100ELNS1_3gpuE3ELNS1_3repE0EEENS1_30default_config_static_selectorELNS0_4arch9wavefront6targetE0EEEvT1_.num_named_barrier, 0
	.set _ZN7rocprim17ROCPRIM_400000_NS6detail17trampoline_kernelINS0_14default_configENS1_25partition_config_selectorILNS1_17partition_subalgoE5ElNS0_10empty_typeEbEEZZNS1_14partition_implILS5_5ELb0ES3_mN6hipcub16HIPCUB_304000_NS21CountingInputIteratorIllEEPS6_NSA_22TransformInputIteratorIbN2at6native12_GLOBAL__N_19NonZeroOpIN3c107complexIfEEEEPKSL_lEENS0_5tupleIJPlS6_EEENSQ_IJSD_SD_EEES6_PiJS6_EEE10hipError_tPvRmT3_T4_T5_T6_T7_T9_mT8_P12ihipStream_tbDpT10_ENKUlT_T0_E_clISt17integral_constantIbLb0EES1D_IbLb1EEEEDaS19_S1A_EUlS19_E_NS1_11comp_targetILNS1_3genE9ELNS1_11target_archE1100ELNS1_3gpuE3ELNS1_3repE0EEENS1_30default_config_static_selectorELNS0_4arch9wavefront6targetE0EEEvT1_.private_seg_size, 0
	.set _ZN7rocprim17ROCPRIM_400000_NS6detail17trampoline_kernelINS0_14default_configENS1_25partition_config_selectorILNS1_17partition_subalgoE5ElNS0_10empty_typeEbEEZZNS1_14partition_implILS5_5ELb0ES3_mN6hipcub16HIPCUB_304000_NS21CountingInputIteratorIllEEPS6_NSA_22TransformInputIteratorIbN2at6native12_GLOBAL__N_19NonZeroOpIN3c107complexIfEEEEPKSL_lEENS0_5tupleIJPlS6_EEENSQ_IJSD_SD_EEES6_PiJS6_EEE10hipError_tPvRmT3_T4_T5_T6_T7_T9_mT8_P12ihipStream_tbDpT10_ENKUlT_T0_E_clISt17integral_constantIbLb0EES1D_IbLb1EEEEDaS19_S1A_EUlS19_E_NS1_11comp_targetILNS1_3genE9ELNS1_11target_archE1100ELNS1_3gpuE3ELNS1_3repE0EEENS1_30default_config_static_selectorELNS0_4arch9wavefront6targetE0EEEvT1_.uses_vcc, 0
	.set _ZN7rocprim17ROCPRIM_400000_NS6detail17trampoline_kernelINS0_14default_configENS1_25partition_config_selectorILNS1_17partition_subalgoE5ElNS0_10empty_typeEbEEZZNS1_14partition_implILS5_5ELb0ES3_mN6hipcub16HIPCUB_304000_NS21CountingInputIteratorIllEEPS6_NSA_22TransformInputIteratorIbN2at6native12_GLOBAL__N_19NonZeroOpIN3c107complexIfEEEEPKSL_lEENS0_5tupleIJPlS6_EEENSQ_IJSD_SD_EEES6_PiJS6_EEE10hipError_tPvRmT3_T4_T5_T6_T7_T9_mT8_P12ihipStream_tbDpT10_ENKUlT_T0_E_clISt17integral_constantIbLb0EES1D_IbLb1EEEEDaS19_S1A_EUlS19_E_NS1_11comp_targetILNS1_3genE9ELNS1_11target_archE1100ELNS1_3gpuE3ELNS1_3repE0EEENS1_30default_config_static_selectorELNS0_4arch9wavefront6targetE0EEEvT1_.uses_flat_scratch, 0
	.set _ZN7rocprim17ROCPRIM_400000_NS6detail17trampoline_kernelINS0_14default_configENS1_25partition_config_selectorILNS1_17partition_subalgoE5ElNS0_10empty_typeEbEEZZNS1_14partition_implILS5_5ELb0ES3_mN6hipcub16HIPCUB_304000_NS21CountingInputIteratorIllEEPS6_NSA_22TransformInputIteratorIbN2at6native12_GLOBAL__N_19NonZeroOpIN3c107complexIfEEEEPKSL_lEENS0_5tupleIJPlS6_EEENSQ_IJSD_SD_EEES6_PiJS6_EEE10hipError_tPvRmT3_T4_T5_T6_T7_T9_mT8_P12ihipStream_tbDpT10_ENKUlT_T0_E_clISt17integral_constantIbLb0EES1D_IbLb1EEEEDaS19_S1A_EUlS19_E_NS1_11comp_targetILNS1_3genE9ELNS1_11target_archE1100ELNS1_3gpuE3ELNS1_3repE0EEENS1_30default_config_static_selectorELNS0_4arch9wavefront6targetE0EEEvT1_.has_dyn_sized_stack, 0
	.set _ZN7rocprim17ROCPRIM_400000_NS6detail17trampoline_kernelINS0_14default_configENS1_25partition_config_selectorILNS1_17partition_subalgoE5ElNS0_10empty_typeEbEEZZNS1_14partition_implILS5_5ELb0ES3_mN6hipcub16HIPCUB_304000_NS21CountingInputIteratorIllEEPS6_NSA_22TransformInputIteratorIbN2at6native12_GLOBAL__N_19NonZeroOpIN3c107complexIfEEEEPKSL_lEENS0_5tupleIJPlS6_EEENSQ_IJSD_SD_EEES6_PiJS6_EEE10hipError_tPvRmT3_T4_T5_T6_T7_T9_mT8_P12ihipStream_tbDpT10_ENKUlT_T0_E_clISt17integral_constantIbLb0EES1D_IbLb1EEEEDaS19_S1A_EUlS19_E_NS1_11comp_targetILNS1_3genE9ELNS1_11target_archE1100ELNS1_3gpuE3ELNS1_3repE0EEENS1_30default_config_static_selectorELNS0_4arch9wavefront6targetE0EEEvT1_.has_recursion, 0
	.set _ZN7rocprim17ROCPRIM_400000_NS6detail17trampoline_kernelINS0_14default_configENS1_25partition_config_selectorILNS1_17partition_subalgoE5ElNS0_10empty_typeEbEEZZNS1_14partition_implILS5_5ELb0ES3_mN6hipcub16HIPCUB_304000_NS21CountingInputIteratorIllEEPS6_NSA_22TransformInputIteratorIbN2at6native12_GLOBAL__N_19NonZeroOpIN3c107complexIfEEEEPKSL_lEENS0_5tupleIJPlS6_EEENSQ_IJSD_SD_EEES6_PiJS6_EEE10hipError_tPvRmT3_T4_T5_T6_T7_T9_mT8_P12ihipStream_tbDpT10_ENKUlT_T0_E_clISt17integral_constantIbLb0EES1D_IbLb1EEEEDaS19_S1A_EUlS19_E_NS1_11comp_targetILNS1_3genE9ELNS1_11target_archE1100ELNS1_3gpuE3ELNS1_3repE0EEENS1_30default_config_static_selectorELNS0_4arch9wavefront6targetE0EEEvT1_.has_indirect_call, 0
	.section	.AMDGPU.csdata,"",@progbits
; Kernel info:
; codeLenInByte = 0
; TotalNumSgprs: 0
; NumVgprs: 0
; ScratchSize: 0
; MemoryBound: 0
; FloatMode: 240
; IeeeMode: 1
; LDSByteSize: 0 bytes/workgroup (compile time only)
; SGPRBlocks: 0
; VGPRBlocks: 0
; NumSGPRsForWavesPerEU: 1
; NumVGPRsForWavesPerEU: 1
; Occupancy: 16
; WaveLimiterHint : 0
; COMPUTE_PGM_RSRC2:SCRATCH_EN: 0
; COMPUTE_PGM_RSRC2:USER_SGPR: 2
; COMPUTE_PGM_RSRC2:TRAP_HANDLER: 0
; COMPUTE_PGM_RSRC2:TGID_X_EN: 1
; COMPUTE_PGM_RSRC2:TGID_Y_EN: 0
; COMPUTE_PGM_RSRC2:TGID_Z_EN: 0
; COMPUTE_PGM_RSRC2:TIDIG_COMP_CNT: 0
	.section	.text._ZN7rocprim17ROCPRIM_400000_NS6detail17trampoline_kernelINS0_14default_configENS1_25partition_config_selectorILNS1_17partition_subalgoE5ElNS0_10empty_typeEbEEZZNS1_14partition_implILS5_5ELb0ES3_mN6hipcub16HIPCUB_304000_NS21CountingInputIteratorIllEEPS6_NSA_22TransformInputIteratorIbN2at6native12_GLOBAL__N_19NonZeroOpIN3c107complexIfEEEEPKSL_lEENS0_5tupleIJPlS6_EEENSQ_IJSD_SD_EEES6_PiJS6_EEE10hipError_tPvRmT3_T4_T5_T6_T7_T9_mT8_P12ihipStream_tbDpT10_ENKUlT_T0_E_clISt17integral_constantIbLb0EES1D_IbLb1EEEEDaS19_S1A_EUlS19_E_NS1_11comp_targetILNS1_3genE8ELNS1_11target_archE1030ELNS1_3gpuE2ELNS1_3repE0EEENS1_30default_config_static_selectorELNS0_4arch9wavefront6targetE0EEEvT1_,"axG",@progbits,_ZN7rocprim17ROCPRIM_400000_NS6detail17trampoline_kernelINS0_14default_configENS1_25partition_config_selectorILNS1_17partition_subalgoE5ElNS0_10empty_typeEbEEZZNS1_14partition_implILS5_5ELb0ES3_mN6hipcub16HIPCUB_304000_NS21CountingInputIteratorIllEEPS6_NSA_22TransformInputIteratorIbN2at6native12_GLOBAL__N_19NonZeroOpIN3c107complexIfEEEEPKSL_lEENS0_5tupleIJPlS6_EEENSQ_IJSD_SD_EEES6_PiJS6_EEE10hipError_tPvRmT3_T4_T5_T6_T7_T9_mT8_P12ihipStream_tbDpT10_ENKUlT_T0_E_clISt17integral_constantIbLb0EES1D_IbLb1EEEEDaS19_S1A_EUlS19_E_NS1_11comp_targetILNS1_3genE8ELNS1_11target_archE1030ELNS1_3gpuE2ELNS1_3repE0EEENS1_30default_config_static_selectorELNS0_4arch9wavefront6targetE0EEEvT1_,comdat
	.globl	_ZN7rocprim17ROCPRIM_400000_NS6detail17trampoline_kernelINS0_14default_configENS1_25partition_config_selectorILNS1_17partition_subalgoE5ElNS0_10empty_typeEbEEZZNS1_14partition_implILS5_5ELb0ES3_mN6hipcub16HIPCUB_304000_NS21CountingInputIteratorIllEEPS6_NSA_22TransformInputIteratorIbN2at6native12_GLOBAL__N_19NonZeroOpIN3c107complexIfEEEEPKSL_lEENS0_5tupleIJPlS6_EEENSQ_IJSD_SD_EEES6_PiJS6_EEE10hipError_tPvRmT3_T4_T5_T6_T7_T9_mT8_P12ihipStream_tbDpT10_ENKUlT_T0_E_clISt17integral_constantIbLb0EES1D_IbLb1EEEEDaS19_S1A_EUlS19_E_NS1_11comp_targetILNS1_3genE8ELNS1_11target_archE1030ELNS1_3gpuE2ELNS1_3repE0EEENS1_30default_config_static_selectorELNS0_4arch9wavefront6targetE0EEEvT1_ ; -- Begin function _ZN7rocprim17ROCPRIM_400000_NS6detail17trampoline_kernelINS0_14default_configENS1_25partition_config_selectorILNS1_17partition_subalgoE5ElNS0_10empty_typeEbEEZZNS1_14partition_implILS5_5ELb0ES3_mN6hipcub16HIPCUB_304000_NS21CountingInputIteratorIllEEPS6_NSA_22TransformInputIteratorIbN2at6native12_GLOBAL__N_19NonZeroOpIN3c107complexIfEEEEPKSL_lEENS0_5tupleIJPlS6_EEENSQ_IJSD_SD_EEES6_PiJS6_EEE10hipError_tPvRmT3_T4_T5_T6_T7_T9_mT8_P12ihipStream_tbDpT10_ENKUlT_T0_E_clISt17integral_constantIbLb0EES1D_IbLb1EEEEDaS19_S1A_EUlS19_E_NS1_11comp_targetILNS1_3genE8ELNS1_11target_archE1030ELNS1_3gpuE2ELNS1_3repE0EEENS1_30default_config_static_selectorELNS0_4arch9wavefront6targetE0EEEvT1_
	.p2align	8
	.type	_ZN7rocprim17ROCPRIM_400000_NS6detail17trampoline_kernelINS0_14default_configENS1_25partition_config_selectorILNS1_17partition_subalgoE5ElNS0_10empty_typeEbEEZZNS1_14partition_implILS5_5ELb0ES3_mN6hipcub16HIPCUB_304000_NS21CountingInputIteratorIllEEPS6_NSA_22TransformInputIteratorIbN2at6native12_GLOBAL__N_19NonZeroOpIN3c107complexIfEEEEPKSL_lEENS0_5tupleIJPlS6_EEENSQ_IJSD_SD_EEES6_PiJS6_EEE10hipError_tPvRmT3_T4_T5_T6_T7_T9_mT8_P12ihipStream_tbDpT10_ENKUlT_T0_E_clISt17integral_constantIbLb0EES1D_IbLb1EEEEDaS19_S1A_EUlS19_E_NS1_11comp_targetILNS1_3genE8ELNS1_11target_archE1030ELNS1_3gpuE2ELNS1_3repE0EEENS1_30default_config_static_selectorELNS0_4arch9wavefront6targetE0EEEvT1_,@function
_ZN7rocprim17ROCPRIM_400000_NS6detail17trampoline_kernelINS0_14default_configENS1_25partition_config_selectorILNS1_17partition_subalgoE5ElNS0_10empty_typeEbEEZZNS1_14partition_implILS5_5ELb0ES3_mN6hipcub16HIPCUB_304000_NS21CountingInputIteratorIllEEPS6_NSA_22TransformInputIteratorIbN2at6native12_GLOBAL__N_19NonZeroOpIN3c107complexIfEEEEPKSL_lEENS0_5tupleIJPlS6_EEENSQ_IJSD_SD_EEES6_PiJS6_EEE10hipError_tPvRmT3_T4_T5_T6_T7_T9_mT8_P12ihipStream_tbDpT10_ENKUlT_T0_E_clISt17integral_constantIbLb0EES1D_IbLb1EEEEDaS19_S1A_EUlS19_E_NS1_11comp_targetILNS1_3genE8ELNS1_11target_archE1030ELNS1_3gpuE2ELNS1_3repE0EEENS1_30default_config_static_selectorELNS0_4arch9wavefront6targetE0EEEvT1_: ; @_ZN7rocprim17ROCPRIM_400000_NS6detail17trampoline_kernelINS0_14default_configENS1_25partition_config_selectorILNS1_17partition_subalgoE5ElNS0_10empty_typeEbEEZZNS1_14partition_implILS5_5ELb0ES3_mN6hipcub16HIPCUB_304000_NS21CountingInputIteratorIllEEPS6_NSA_22TransformInputIteratorIbN2at6native12_GLOBAL__N_19NonZeroOpIN3c107complexIfEEEEPKSL_lEENS0_5tupleIJPlS6_EEENSQ_IJSD_SD_EEES6_PiJS6_EEE10hipError_tPvRmT3_T4_T5_T6_T7_T9_mT8_P12ihipStream_tbDpT10_ENKUlT_T0_E_clISt17integral_constantIbLb0EES1D_IbLb1EEEEDaS19_S1A_EUlS19_E_NS1_11comp_targetILNS1_3genE8ELNS1_11target_archE1030ELNS1_3gpuE2ELNS1_3repE0EEENS1_30default_config_static_selectorELNS0_4arch9wavefront6targetE0EEEvT1_
; %bb.0:
	.section	.rodata,"a",@progbits
	.p2align	6, 0x0
	.amdhsa_kernel _ZN7rocprim17ROCPRIM_400000_NS6detail17trampoline_kernelINS0_14default_configENS1_25partition_config_selectorILNS1_17partition_subalgoE5ElNS0_10empty_typeEbEEZZNS1_14partition_implILS5_5ELb0ES3_mN6hipcub16HIPCUB_304000_NS21CountingInputIteratorIllEEPS6_NSA_22TransformInputIteratorIbN2at6native12_GLOBAL__N_19NonZeroOpIN3c107complexIfEEEEPKSL_lEENS0_5tupleIJPlS6_EEENSQ_IJSD_SD_EEES6_PiJS6_EEE10hipError_tPvRmT3_T4_T5_T6_T7_T9_mT8_P12ihipStream_tbDpT10_ENKUlT_T0_E_clISt17integral_constantIbLb0EES1D_IbLb1EEEEDaS19_S1A_EUlS19_E_NS1_11comp_targetILNS1_3genE8ELNS1_11target_archE1030ELNS1_3gpuE2ELNS1_3repE0EEENS1_30default_config_static_selectorELNS0_4arch9wavefront6targetE0EEEvT1_
		.amdhsa_group_segment_fixed_size 0
		.amdhsa_private_segment_fixed_size 0
		.amdhsa_kernarg_size 136
		.amdhsa_user_sgpr_count 2
		.amdhsa_user_sgpr_dispatch_ptr 0
		.amdhsa_user_sgpr_queue_ptr 0
		.amdhsa_user_sgpr_kernarg_segment_ptr 1
		.amdhsa_user_sgpr_dispatch_id 0
		.amdhsa_user_sgpr_private_segment_size 0
		.amdhsa_wavefront_size32 1
		.amdhsa_uses_dynamic_stack 0
		.amdhsa_enable_private_segment 0
		.amdhsa_system_sgpr_workgroup_id_x 1
		.amdhsa_system_sgpr_workgroup_id_y 0
		.amdhsa_system_sgpr_workgroup_id_z 0
		.amdhsa_system_sgpr_workgroup_info 0
		.amdhsa_system_vgpr_workitem_id 0
		.amdhsa_next_free_vgpr 1
		.amdhsa_next_free_sgpr 1
		.amdhsa_reserve_vcc 0
		.amdhsa_float_round_mode_32 0
		.amdhsa_float_round_mode_16_64 0
		.amdhsa_float_denorm_mode_32 3
		.amdhsa_float_denorm_mode_16_64 3
		.amdhsa_fp16_overflow 0
		.amdhsa_workgroup_processor_mode 1
		.amdhsa_memory_ordered 1
		.amdhsa_forward_progress 1
		.amdhsa_inst_pref_size 0
		.amdhsa_round_robin_scheduling 0
		.amdhsa_exception_fp_ieee_invalid_op 0
		.amdhsa_exception_fp_denorm_src 0
		.amdhsa_exception_fp_ieee_div_zero 0
		.amdhsa_exception_fp_ieee_overflow 0
		.amdhsa_exception_fp_ieee_underflow 0
		.amdhsa_exception_fp_ieee_inexact 0
		.amdhsa_exception_int_div_zero 0
	.end_amdhsa_kernel
	.section	.text._ZN7rocprim17ROCPRIM_400000_NS6detail17trampoline_kernelINS0_14default_configENS1_25partition_config_selectorILNS1_17partition_subalgoE5ElNS0_10empty_typeEbEEZZNS1_14partition_implILS5_5ELb0ES3_mN6hipcub16HIPCUB_304000_NS21CountingInputIteratorIllEEPS6_NSA_22TransformInputIteratorIbN2at6native12_GLOBAL__N_19NonZeroOpIN3c107complexIfEEEEPKSL_lEENS0_5tupleIJPlS6_EEENSQ_IJSD_SD_EEES6_PiJS6_EEE10hipError_tPvRmT3_T4_T5_T6_T7_T9_mT8_P12ihipStream_tbDpT10_ENKUlT_T0_E_clISt17integral_constantIbLb0EES1D_IbLb1EEEEDaS19_S1A_EUlS19_E_NS1_11comp_targetILNS1_3genE8ELNS1_11target_archE1030ELNS1_3gpuE2ELNS1_3repE0EEENS1_30default_config_static_selectorELNS0_4arch9wavefront6targetE0EEEvT1_,"axG",@progbits,_ZN7rocprim17ROCPRIM_400000_NS6detail17trampoline_kernelINS0_14default_configENS1_25partition_config_selectorILNS1_17partition_subalgoE5ElNS0_10empty_typeEbEEZZNS1_14partition_implILS5_5ELb0ES3_mN6hipcub16HIPCUB_304000_NS21CountingInputIteratorIllEEPS6_NSA_22TransformInputIteratorIbN2at6native12_GLOBAL__N_19NonZeroOpIN3c107complexIfEEEEPKSL_lEENS0_5tupleIJPlS6_EEENSQ_IJSD_SD_EEES6_PiJS6_EEE10hipError_tPvRmT3_T4_T5_T6_T7_T9_mT8_P12ihipStream_tbDpT10_ENKUlT_T0_E_clISt17integral_constantIbLb0EES1D_IbLb1EEEEDaS19_S1A_EUlS19_E_NS1_11comp_targetILNS1_3genE8ELNS1_11target_archE1030ELNS1_3gpuE2ELNS1_3repE0EEENS1_30default_config_static_selectorELNS0_4arch9wavefront6targetE0EEEvT1_,comdat
.Lfunc_end625:
	.size	_ZN7rocprim17ROCPRIM_400000_NS6detail17trampoline_kernelINS0_14default_configENS1_25partition_config_selectorILNS1_17partition_subalgoE5ElNS0_10empty_typeEbEEZZNS1_14partition_implILS5_5ELb0ES3_mN6hipcub16HIPCUB_304000_NS21CountingInputIteratorIllEEPS6_NSA_22TransformInputIteratorIbN2at6native12_GLOBAL__N_19NonZeroOpIN3c107complexIfEEEEPKSL_lEENS0_5tupleIJPlS6_EEENSQ_IJSD_SD_EEES6_PiJS6_EEE10hipError_tPvRmT3_T4_T5_T6_T7_T9_mT8_P12ihipStream_tbDpT10_ENKUlT_T0_E_clISt17integral_constantIbLb0EES1D_IbLb1EEEEDaS19_S1A_EUlS19_E_NS1_11comp_targetILNS1_3genE8ELNS1_11target_archE1030ELNS1_3gpuE2ELNS1_3repE0EEENS1_30default_config_static_selectorELNS0_4arch9wavefront6targetE0EEEvT1_, .Lfunc_end625-_ZN7rocprim17ROCPRIM_400000_NS6detail17trampoline_kernelINS0_14default_configENS1_25partition_config_selectorILNS1_17partition_subalgoE5ElNS0_10empty_typeEbEEZZNS1_14partition_implILS5_5ELb0ES3_mN6hipcub16HIPCUB_304000_NS21CountingInputIteratorIllEEPS6_NSA_22TransformInputIteratorIbN2at6native12_GLOBAL__N_19NonZeroOpIN3c107complexIfEEEEPKSL_lEENS0_5tupleIJPlS6_EEENSQ_IJSD_SD_EEES6_PiJS6_EEE10hipError_tPvRmT3_T4_T5_T6_T7_T9_mT8_P12ihipStream_tbDpT10_ENKUlT_T0_E_clISt17integral_constantIbLb0EES1D_IbLb1EEEEDaS19_S1A_EUlS19_E_NS1_11comp_targetILNS1_3genE8ELNS1_11target_archE1030ELNS1_3gpuE2ELNS1_3repE0EEENS1_30default_config_static_selectorELNS0_4arch9wavefront6targetE0EEEvT1_
                                        ; -- End function
	.set _ZN7rocprim17ROCPRIM_400000_NS6detail17trampoline_kernelINS0_14default_configENS1_25partition_config_selectorILNS1_17partition_subalgoE5ElNS0_10empty_typeEbEEZZNS1_14partition_implILS5_5ELb0ES3_mN6hipcub16HIPCUB_304000_NS21CountingInputIteratorIllEEPS6_NSA_22TransformInputIteratorIbN2at6native12_GLOBAL__N_19NonZeroOpIN3c107complexIfEEEEPKSL_lEENS0_5tupleIJPlS6_EEENSQ_IJSD_SD_EEES6_PiJS6_EEE10hipError_tPvRmT3_T4_T5_T6_T7_T9_mT8_P12ihipStream_tbDpT10_ENKUlT_T0_E_clISt17integral_constantIbLb0EES1D_IbLb1EEEEDaS19_S1A_EUlS19_E_NS1_11comp_targetILNS1_3genE8ELNS1_11target_archE1030ELNS1_3gpuE2ELNS1_3repE0EEENS1_30default_config_static_selectorELNS0_4arch9wavefront6targetE0EEEvT1_.num_vgpr, 0
	.set _ZN7rocprim17ROCPRIM_400000_NS6detail17trampoline_kernelINS0_14default_configENS1_25partition_config_selectorILNS1_17partition_subalgoE5ElNS0_10empty_typeEbEEZZNS1_14partition_implILS5_5ELb0ES3_mN6hipcub16HIPCUB_304000_NS21CountingInputIteratorIllEEPS6_NSA_22TransformInputIteratorIbN2at6native12_GLOBAL__N_19NonZeroOpIN3c107complexIfEEEEPKSL_lEENS0_5tupleIJPlS6_EEENSQ_IJSD_SD_EEES6_PiJS6_EEE10hipError_tPvRmT3_T4_T5_T6_T7_T9_mT8_P12ihipStream_tbDpT10_ENKUlT_T0_E_clISt17integral_constantIbLb0EES1D_IbLb1EEEEDaS19_S1A_EUlS19_E_NS1_11comp_targetILNS1_3genE8ELNS1_11target_archE1030ELNS1_3gpuE2ELNS1_3repE0EEENS1_30default_config_static_selectorELNS0_4arch9wavefront6targetE0EEEvT1_.num_agpr, 0
	.set _ZN7rocprim17ROCPRIM_400000_NS6detail17trampoline_kernelINS0_14default_configENS1_25partition_config_selectorILNS1_17partition_subalgoE5ElNS0_10empty_typeEbEEZZNS1_14partition_implILS5_5ELb0ES3_mN6hipcub16HIPCUB_304000_NS21CountingInputIteratorIllEEPS6_NSA_22TransformInputIteratorIbN2at6native12_GLOBAL__N_19NonZeroOpIN3c107complexIfEEEEPKSL_lEENS0_5tupleIJPlS6_EEENSQ_IJSD_SD_EEES6_PiJS6_EEE10hipError_tPvRmT3_T4_T5_T6_T7_T9_mT8_P12ihipStream_tbDpT10_ENKUlT_T0_E_clISt17integral_constantIbLb0EES1D_IbLb1EEEEDaS19_S1A_EUlS19_E_NS1_11comp_targetILNS1_3genE8ELNS1_11target_archE1030ELNS1_3gpuE2ELNS1_3repE0EEENS1_30default_config_static_selectorELNS0_4arch9wavefront6targetE0EEEvT1_.numbered_sgpr, 0
	.set _ZN7rocprim17ROCPRIM_400000_NS6detail17trampoline_kernelINS0_14default_configENS1_25partition_config_selectorILNS1_17partition_subalgoE5ElNS0_10empty_typeEbEEZZNS1_14partition_implILS5_5ELb0ES3_mN6hipcub16HIPCUB_304000_NS21CountingInputIteratorIllEEPS6_NSA_22TransformInputIteratorIbN2at6native12_GLOBAL__N_19NonZeroOpIN3c107complexIfEEEEPKSL_lEENS0_5tupleIJPlS6_EEENSQ_IJSD_SD_EEES6_PiJS6_EEE10hipError_tPvRmT3_T4_T5_T6_T7_T9_mT8_P12ihipStream_tbDpT10_ENKUlT_T0_E_clISt17integral_constantIbLb0EES1D_IbLb1EEEEDaS19_S1A_EUlS19_E_NS1_11comp_targetILNS1_3genE8ELNS1_11target_archE1030ELNS1_3gpuE2ELNS1_3repE0EEENS1_30default_config_static_selectorELNS0_4arch9wavefront6targetE0EEEvT1_.num_named_barrier, 0
	.set _ZN7rocprim17ROCPRIM_400000_NS6detail17trampoline_kernelINS0_14default_configENS1_25partition_config_selectorILNS1_17partition_subalgoE5ElNS0_10empty_typeEbEEZZNS1_14partition_implILS5_5ELb0ES3_mN6hipcub16HIPCUB_304000_NS21CountingInputIteratorIllEEPS6_NSA_22TransformInputIteratorIbN2at6native12_GLOBAL__N_19NonZeroOpIN3c107complexIfEEEEPKSL_lEENS0_5tupleIJPlS6_EEENSQ_IJSD_SD_EEES6_PiJS6_EEE10hipError_tPvRmT3_T4_T5_T6_T7_T9_mT8_P12ihipStream_tbDpT10_ENKUlT_T0_E_clISt17integral_constantIbLb0EES1D_IbLb1EEEEDaS19_S1A_EUlS19_E_NS1_11comp_targetILNS1_3genE8ELNS1_11target_archE1030ELNS1_3gpuE2ELNS1_3repE0EEENS1_30default_config_static_selectorELNS0_4arch9wavefront6targetE0EEEvT1_.private_seg_size, 0
	.set _ZN7rocprim17ROCPRIM_400000_NS6detail17trampoline_kernelINS0_14default_configENS1_25partition_config_selectorILNS1_17partition_subalgoE5ElNS0_10empty_typeEbEEZZNS1_14partition_implILS5_5ELb0ES3_mN6hipcub16HIPCUB_304000_NS21CountingInputIteratorIllEEPS6_NSA_22TransformInputIteratorIbN2at6native12_GLOBAL__N_19NonZeroOpIN3c107complexIfEEEEPKSL_lEENS0_5tupleIJPlS6_EEENSQ_IJSD_SD_EEES6_PiJS6_EEE10hipError_tPvRmT3_T4_T5_T6_T7_T9_mT8_P12ihipStream_tbDpT10_ENKUlT_T0_E_clISt17integral_constantIbLb0EES1D_IbLb1EEEEDaS19_S1A_EUlS19_E_NS1_11comp_targetILNS1_3genE8ELNS1_11target_archE1030ELNS1_3gpuE2ELNS1_3repE0EEENS1_30default_config_static_selectorELNS0_4arch9wavefront6targetE0EEEvT1_.uses_vcc, 0
	.set _ZN7rocprim17ROCPRIM_400000_NS6detail17trampoline_kernelINS0_14default_configENS1_25partition_config_selectorILNS1_17partition_subalgoE5ElNS0_10empty_typeEbEEZZNS1_14partition_implILS5_5ELb0ES3_mN6hipcub16HIPCUB_304000_NS21CountingInputIteratorIllEEPS6_NSA_22TransformInputIteratorIbN2at6native12_GLOBAL__N_19NonZeroOpIN3c107complexIfEEEEPKSL_lEENS0_5tupleIJPlS6_EEENSQ_IJSD_SD_EEES6_PiJS6_EEE10hipError_tPvRmT3_T4_T5_T6_T7_T9_mT8_P12ihipStream_tbDpT10_ENKUlT_T0_E_clISt17integral_constantIbLb0EES1D_IbLb1EEEEDaS19_S1A_EUlS19_E_NS1_11comp_targetILNS1_3genE8ELNS1_11target_archE1030ELNS1_3gpuE2ELNS1_3repE0EEENS1_30default_config_static_selectorELNS0_4arch9wavefront6targetE0EEEvT1_.uses_flat_scratch, 0
	.set _ZN7rocprim17ROCPRIM_400000_NS6detail17trampoline_kernelINS0_14default_configENS1_25partition_config_selectorILNS1_17partition_subalgoE5ElNS0_10empty_typeEbEEZZNS1_14partition_implILS5_5ELb0ES3_mN6hipcub16HIPCUB_304000_NS21CountingInputIteratorIllEEPS6_NSA_22TransformInputIteratorIbN2at6native12_GLOBAL__N_19NonZeroOpIN3c107complexIfEEEEPKSL_lEENS0_5tupleIJPlS6_EEENSQ_IJSD_SD_EEES6_PiJS6_EEE10hipError_tPvRmT3_T4_T5_T6_T7_T9_mT8_P12ihipStream_tbDpT10_ENKUlT_T0_E_clISt17integral_constantIbLb0EES1D_IbLb1EEEEDaS19_S1A_EUlS19_E_NS1_11comp_targetILNS1_3genE8ELNS1_11target_archE1030ELNS1_3gpuE2ELNS1_3repE0EEENS1_30default_config_static_selectorELNS0_4arch9wavefront6targetE0EEEvT1_.has_dyn_sized_stack, 0
	.set _ZN7rocprim17ROCPRIM_400000_NS6detail17trampoline_kernelINS0_14default_configENS1_25partition_config_selectorILNS1_17partition_subalgoE5ElNS0_10empty_typeEbEEZZNS1_14partition_implILS5_5ELb0ES3_mN6hipcub16HIPCUB_304000_NS21CountingInputIteratorIllEEPS6_NSA_22TransformInputIteratorIbN2at6native12_GLOBAL__N_19NonZeroOpIN3c107complexIfEEEEPKSL_lEENS0_5tupleIJPlS6_EEENSQ_IJSD_SD_EEES6_PiJS6_EEE10hipError_tPvRmT3_T4_T5_T6_T7_T9_mT8_P12ihipStream_tbDpT10_ENKUlT_T0_E_clISt17integral_constantIbLb0EES1D_IbLb1EEEEDaS19_S1A_EUlS19_E_NS1_11comp_targetILNS1_3genE8ELNS1_11target_archE1030ELNS1_3gpuE2ELNS1_3repE0EEENS1_30default_config_static_selectorELNS0_4arch9wavefront6targetE0EEEvT1_.has_recursion, 0
	.set _ZN7rocprim17ROCPRIM_400000_NS6detail17trampoline_kernelINS0_14default_configENS1_25partition_config_selectorILNS1_17partition_subalgoE5ElNS0_10empty_typeEbEEZZNS1_14partition_implILS5_5ELb0ES3_mN6hipcub16HIPCUB_304000_NS21CountingInputIteratorIllEEPS6_NSA_22TransformInputIteratorIbN2at6native12_GLOBAL__N_19NonZeroOpIN3c107complexIfEEEEPKSL_lEENS0_5tupleIJPlS6_EEENSQ_IJSD_SD_EEES6_PiJS6_EEE10hipError_tPvRmT3_T4_T5_T6_T7_T9_mT8_P12ihipStream_tbDpT10_ENKUlT_T0_E_clISt17integral_constantIbLb0EES1D_IbLb1EEEEDaS19_S1A_EUlS19_E_NS1_11comp_targetILNS1_3genE8ELNS1_11target_archE1030ELNS1_3gpuE2ELNS1_3repE0EEENS1_30default_config_static_selectorELNS0_4arch9wavefront6targetE0EEEvT1_.has_indirect_call, 0
	.section	.AMDGPU.csdata,"",@progbits
; Kernel info:
; codeLenInByte = 0
; TotalNumSgprs: 0
; NumVgprs: 0
; ScratchSize: 0
; MemoryBound: 0
; FloatMode: 240
; IeeeMode: 1
; LDSByteSize: 0 bytes/workgroup (compile time only)
; SGPRBlocks: 0
; VGPRBlocks: 0
; NumSGPRsForWavesPerEU: 1
; NumVGPRsForWavesPerEU: 1
; Occupancy: 16
; WaveLimiterHint : 0
; COMPUTE_PGM_RSRC2:SCRATCH_EN: 0
; COMPUTE_PGM_RSRC2:USER_SGPR: 2
; COMPUTE_PGM_RSRC2:TRAP_HANDLER: 0
; COMPUTE_PGM_RSRC2:TGID_X_EN: 1
; COMPUTE_PGM_RSRC2:TGID_Y_EN: 0
; COMPUTE_PGM_RSRC2:TGID_Z_EN: 0
; COMPUTE_PGM_RSRC2:TIDIG_COMP_CNT: 0
	.section	.text._ZN7rocprim17ROCPRIM_400000_NS6detail17trampoline_kernelINS0_14default_configENS1_22reduce_config_selectorIiEEZNS1_11reduce_implILb1ES3_PiS7_iN6hipcub16HIPCUB_304000_NS6detail34convert_binary_result_type_wrapperINS9_3SumENS9_22TransformInputIteratorIbN2at6native12_GLOBAL__N_19NonZeroOpIN3c107complexINSI_4HalfEEEEEPKSL_lEEiEEEE10hipError_tPvRmT1_T2_T3_mT4_P12ihipStream_tbEUlT_E0_NS1_11comp_targetILNS1_3genE0ELNS1_11target_archE4294967295ELNS1_3gpuE0ELNS1_3repE0EEENS1_30default_config_static_selectorELNS0_4arch9wavefront6targetE0EEEvSU_,"axG",@progbits,_ZN7rocprim17ROCPRIM_400000_NS6detail17trampoline_kernelINS0_14default_configENS1_22reduce_config_selectorIiEEZNS1_11reduce_implILb1ES3_PiS7_iN6hipcub16HIPCUB_304000_NS6detail34convert_binary_result_type_wrapperINS9_3SumENS9_22TransformInputIteratorIbN2at6native12_GLOBAL__N_19NonZeroOpIN3c107complexINSI_4HalfEEEEEPKSL_lEEiEEEE10hipError_tPvRmT1_T2_T3_mT4_P12ihipStream_tbEUlT_E0_NS1_11comp_targetILNS1_3genE0ELNS1_11target_archE4294967295ELNS1_3gpuE0ELNS1_3repE0EEENS1_30default_config_static_selectorELNS0_4arch9wavefront6targetE0EEEvSU_,comdat
	.globl	_ZN7rocprim17ROCPRIM_400000_NS6detail17trampoline_kernelINS0_14default_configENS1_22reduce_config_selectorIiEEZNS1_11reduce_implILb1ES3_PiS7_iN6hipcub16HIPCUB_304000_NS6detail34convert_binary_result_type_wrapperINS9_3SumENS9_22TransformInputIteratorIbN2at6native12_GLOBAL__N_19NonZeroOpIN3c107complexINSI_4HalfEEEEEPKSL_lEEiEEEE10hipError_tPvRmT1_T2_T3_mT4_P12ihipStream_tbEUlT_E0_NS1_11comp_targetILNS1_3genE0ELNS1_11target_archE4294967295ELNS1_3gpuE0ELNS1_3repE0EEENS1_30default_config_static_selectorELNS0_4arch9wavefront6targetE0EEEvSU_ ; -- Begin function _ZN7rocprim17ROCPRIM_400000_NS6detail17trampoline_kernelINS0_14default_configENS1_22reduce_config_selectorIiEEZNS1_11reduce_implILb1ES3_PiS7_iN6hipcub16HIPCUB_304000_NS6detail34convert_binary_result_type_wrapperINS9_3SumENS9_22TransformInputIteratorIbN2at6native12_GLOBAL__N_19NonZeroOpIN3c107complexINSI_4HalfEEEEEPKSL_lEEiEEEE10hipError_tPvRmT1_T2_T3_mT4_P12ihipStream_tbEUlT_E0_NS1_11comp_targetILNS1_3genE0ELNS1_11target_archE4294967295ELNS1_3gpuE0ELNS1_3repE0EEENS1_30default_config_static_selectorELNS0_4arch9wavefront6targetE0EEEvSU_
	.p2align	8
	.type	_ZN7rocprim17ROCPRIM_400000_NS6detail17trampoline_kernelINS0_14default_configENS1_22reduce_config_selectorIiEEZNS1_11reduce_implILb1ES3_PiS7_iN6hipcub16HIPCUB_304000_NS6detail34convert_binary_result_type_wrapperINS9_3SumENS9_22TransformInputIteratorIbN2at6native12_GLOBAL__N_19NonZeroOpIN3c107complexINSI_4HalfEEEEEPKSL_lEEiEEEE10hipError_tPvRmT1_T2_T3_mT4_P12ihipStream_tbEUlT_E0_NS1_11comp_targetILNS1_3genE0ELNS1_11target_archE4294967295ELNS1_3gpuE0ELNS1_3repE0EEENS1_30default_config_static_selectorELNS0_4arch9wavefront6targetE0EEEvSU_,@function
_ZN7rocprim17ROCPRIM_400000_NS6detail17trampoline_kernelINS0_14default_configENS1_22reduce_config_selectorIiEEZNS1_11reduce_implILb1ES3_PiS7_iN6hipcub16HIPCUB_304000_NS6detail34convert_binary_result_type_wrapperINS9_3SumENS9_22TransformInputIteratorIbN2at6native12_GLOBAL__N_19NonZeroOpIN3c107complexINSI_4HalfEEEEEPKSL_lEEiEEEE10hipError_tPvRmT1_T2_T3_mT4_P12ihipStream_tbEUlT_E0_NS1_11comp_targetILNS1_3genE0ELNS1_11target_archE4294967295ELNS1_3gpuE0ELNS1_3repE0EEENS1_30default_config_static_selectorELNS0_4arch9wavefront6targetE0EEEvSU_: ; @_ZN7rocprim17ROCPRIM_400000_NS6detail17trampoline_kernelINS0_14default_configENS1_22reduce_config_selectorIiEEZNS1_11reduce_implILb1ES3_PiS7_iN6hipcub16HIPCUB_304000_NS6detail34convert_binary_result_type_wrapperINS9_3SumENS9_22TransformInputIteratorIbN2at6native12_GLOBAL__N_19NonZeroOpIN3c107complexINSI_4HalfEEEEEPKSL_lEEiEEEE10hipError_tPvRmT1_T2_T3_mT4_P12ihipStream_tbEUlT_E0_NS1_11comp_targetILNS1_3genE0ELNS1_11target_archE4294967295ELNS1_3gpuE0ELNS1_3repE0EEENS1_30default_config_static_selectorELNS0_4arch9wavefront6targetE0EEEvSU_
; %bb.0:
	.section	.rodata,"a",@progbits
	.p2align	6, 0x0
	.amdhsa_kernel _ZN7rocprim17ROCPRIM_400000_NS6detail17trampoline_kernelINS0_14default_configENS1_22reduce_config_selectorIiEEZNS1_11reduce_implILb1ES3_PiS7_iN6hipcub16HIPCUB_304000_NS6detail34convert_binary_result_type_wrapperINS9_3SumENS9_22TransformInputIteratorIbN2at6native12_GLOBAL__N_19NonZeroOpIN3c107complexINSI_4HalfEEEEEPKSL_lEEiEEEE10hipError_tPvRmT1_T2_T3_mT4_P12ihipStream_tbEUlT_E0_NS1_11comp_targetILNS1_3genE0ELNS1_11target_archE4294967295ELNS1_3gpuE0ELNS1_3repE0EEENS1_30default_config_static_selectorELNS0_4arch9wavefront6targetE0EEEvSU_
		.amdhsa_group_segment_fixed_size 0
		.amdhsa_private_segment_fixed_size 0
		.amdhsa_kernarg_size 56
		.amdhsa_user_sgpr_count 2
		.amdhsa_user_sgpr_dispatch_ptr 0
		.amdhsa_user_sgpr_queue_ptr 0
		.amdhsa_user_sgpr_kernarg_segment_ptr 1
		.amdhsa_user_sgpr_dispatch_id 0
		.amdhsa_user_sgpr_private_segment_size 0
		.amdhsa_wavefront_size32 1
		.amdhsa_uses_dynamic_stack 0
		.amdhsa_enable_private_segment 0
		.amdhsa_system_sgpr_workgroup_id_x 1
		.amdhsa_system_sgpr_workgroup_id_y 0
		.amdhsa_system_sgpr_workgroup_id_z 0
		.amdhsa_system_sgpr_workgroup_info 0
		.amdhsa_system_vgpr_workitem_id 0
		.amdhsa_next_free_vgpr 1
		.amdhsa_next_free_sgpr 1
		.amdhsa_reserve_vcc 0
		.amdhsa_float_round_mode_32 0
		.amdhsa_float_round_mode_16_64 0
		.amdhsa_float_denorm_mode_32 3
		.amdhsa_float_denorm_mode_16_64 3
		.amdhsa_fp16_overflow 0
		.amdhsa_workgroup_processor_mode 1
		.amdhsa_memory_ordered 1
		.amdhsa_forward_progress 1
		.amdhsa_inst_pref_size 0
		.amdhsa_round_robin_scheduling 0
		.amdhsa_exception_fp_ieee_invalid_op 0
		.amdhsa_exception_fp_denorm_src 0
		.amdhsa_exception_fp_ieee_div_zero 0
		.amdhsa_exception_fp_ieee_overflow 0
		.amdhsa_exception_fp_ieee_underflow 0
		.amdhsa_exception_fp_ieee_inexact 0
		.amdhsa_exception_int_div_zero 0
	.end_amdhsa_kernel
	.section	.text._ZN7rocprim17ROCPRIM_400000_NS6detail17trampoline_kernelINS0_14default_configENS1_22reduce_config_selectorIiEEZNS1_11reduce_implILb1ES3_PiS7_iN6hipcub16HIPCUB_304000_NS6detail34convert_binary_result_type_wrapperINS9_3SumENS9_22TransformInputIteratorIbN2at6native12_GLOBAL__N_19NonZeroOpIN3c107complexINSI_4HalfEEEEEPKSL_lEEiEEEE10hipError_tPvRmT1_T2_T3_mT4_P12ihipStream_tbEUlT_E0_NS1_11comp_targetILNS1_3genE0ELNS1_11target_archE4294967295ELNS1_3gpuE0ELNS1_3repE0EEENS1_30default_config_static_selectorELNS0_4arch9wavefront6targetE0EEEvSU_,"axG",@progbits,_ZN7rocprim17ROCPRIM_400000_NS6detail17trampoline_kernelINS0_14default_configENS1_22reduce_config_selectorIiEEZNS1_11reduce_implILb1ES3_PiS7_iN6hipcub16HIPCUB_304000_NS6detail34convert_binary_result_type_wrapperINS9_3SumENS9_22TransformInputIteratorIbN2at6native12_GLOBAL__N_19NonZeroOpIN3c107complexINSI_4HalfEEEEEPKSL_lEEiEEEE10hipError_tPvRmT1_T2_T3_mT4_P12ihipStream_tbEUlT_E0_NS1_11comp_targetILNS1_3genE0ELNS1_11target_archE4294967295ELNS1_3gpuE0ELNS1_3repE0EEENS1_30default_config_static_selectorELNS0_4arch9wavefront6targetE0EEEvSU_,comdat
.Lfunc_end626:
	.size	_ZN7rocprim17ROCPRIM_400000_NS6detail17trampoline_kernelINS0_14default_configENS1_22reduce_config_selectorIiEEZNS1_11reduce_implILb1ES3_PiS7_iN6hipcub16HIPCUB_304000_NS6detail34convert_binary_result_type_wrapperINS9_3SumENS9_22TransformInputIteratorIbN2at6native12_GLOBAL__N_19NonZeroOpIN3c107complexINSI_4HalfEEEEEPKSL_lEEiEEEE10hipError_tPvRmT1_T2_T3_mT4_P12ihipStream_tbEUlT_E0_NS1_11comp_targetILNS1_3genE0ELNS1_11target_archE4294967295ELNS1_3gpuE0ELNS1_3repE0EEENS1_30default_config_static_selectorELNS0_4arch9wavefront6targetE0EEEvSU_, .Lfunc_end626-_ZN7rocprim17ROCPRIM_400000_NS6detail17trampoline_kernelINS0_14default_configENS1_22reduce_config_selectorIiEEZNS1_11reduce_implILb1ES3_PiS7_iN6hipcub16HIPCUB_304000_NS6detail34convert_binary_result_type_wrapperINS9_3SumENS9_22TransformInputIteratorIbN2at6native12_GLOBAL__N_19NonZeroOpIN3c107complexINSI_4HalfEEEEEPKSL_lEEiEEEE10hipError_tPvRmT1_T2_T3_mT4_P12ihipStream_tbEUlT_E0_NS1_11comp_targetILNS1_3genE0ELNS1_11target_archE4294967295ELNS1_3gpuE0ELNS1_3repE0EEENS1_30default_config_static_selectorELNS0_4arch9wavefront6targetE0EEEvSU_
                                        ; -- End function
	.set _ZN7rocprim17ROCPRIM_400000_NS6detail17trampoline_kernelINS0_14default_configENS1_22reduce_config_selectorIiEEZNS1_11reduce_implILb1ES3_PiS7_iN6hipcub16HIPCUB_304000_NS6detail34convert_binary_result_type_wrapperINS9_3SumENS9_22TransformInputIteratorIbN2at6native12_GLOBAL__N_19NonZeroOpIN3c107complexINSI_4HalfEEEEEPKSL_lEEiEEEE10hipError_tPvRmT1_T2_T3_mT4_P12ihipStream_tbEUlT_E0_NS1_11comp_targetILNS1_3genE0ELNS1_11target_archE4294967295ELNS1_3gpuE0ELNS1_3repE0EEENS1_30default_config_static_selectorELNS0_4arch9wavefront6targetE0EEEvSU_.num_vgpr, 0
	.set _ZN7rocprim17ROCPRIM_400000_NS6detail17trampoline_kernelINS0_14default_configENS1_22reduce_config_selectorIiEEZNS1_11reduce_implILb1ES3_PiS7_iN6hipcub16HIPCUB_304000_NS6detail34convert_binary_result_type_wrapperINS9_3SumENS9_22TransformInputIteratorIbN2at6native12_GLOBAL__N_19NonZeroOpIN3c107complexINSI_4HalfEEEEEPKSL_lEEiEEEE10hipError_tPvRmT1_T2_T3_mT4_P12ihipStream_tbEUlT_E0_NS1_11comp_targetILNS1_3genE0ELNS1_11target_archE4294967295ELNS1_3gpuE0ELNS1_3repE0EEENS1_30default_config_static_selectorELNS0_4arch9wavefront6targetE0EEEvSU_.num_agpr, 0
	.set _ZN7rocprim17ROCPRIM_400000_NS6detail17trampoline_kernelINS0_14default_configENS1_22reduce_config_selectorIiEEZNS1_11reduce_implILb1ES3_PiS7_iN6hipcub16HIPCUB_304000_NS6detail34convert_binary_result_type_wrapperINS9_3SumENS9_22TransformInputIteratorIbN2at6native12_GLOBAL__N_19NonZeroOpIN3c107complexINSI_4HalfEEEEEPKSL_lEEiEEEE10hipError_tPvRmT1_T2_T3_mT4_P12ihipStream_tbEUlT_E0_NS1_11comp_targetILNS1_3genE0ELNS1_11target_archE4294967295ELNS1_3gpuE0ELNS1_3repE0EEENS1_30default_config_static_selectorELNS0_4arch9wavefront6targetE0EEEvSU_.numbered_sgpr, 0
	.set _ZN7rocprim17ROCPRIM_400000_NS6detail17trampoline_kernelINS0_14default_configENS1_22reduce_config_selectorIiEEZNS1_11reduce_implILb1ES3_PiS7_iN6hipcub16HIPCUB_304000_NS6detail34convert_binary_result_type_wrapperINS9_3SumENS9_22TransformInputIteratorIbN2at6native12_GLOBAL__N_19NonZeroOpIN3c107complexINSI_4HalfEEEEEPKSL_lEEiEEEE10hipError_tPvRmT1_T2_T3_mT4_P12ihipStream_tbEUlT_E0_NS1_11comp_targetILNS1_3genE0ELNS1_11target_archE4294967295ELNS1_3gpuE0ELNS1_3repE0EEENS1_30default_config_static_selectorELNS0_4arch9wavefront6targetE0EEEvSU_.num_named_barrier, 0
	.set _ZN7rocprim17ROCPRIM_400000_NS6detail17trampoline_kernelINS0_14default_configENS1_22reduce_config_selectorIiEEZNS1_11reduce_implILb1ES3_PiS7_iN6hipcub16HIPCUB_304000_NS6detail34convert_binary_result_type_wrapperINS9_3SumENS9_22TransformInputIteratorIbN2at6native12_GLOBAL__N_19NonZeroOpIN3c107complexINSI_4HalfEEEEEPKSL_lEEiEEEE10hipError_tPvRmT1_T2_T3_mT4_P12ihipStream_tbEUlT_E0_NS1_11comp_targetILNS1_3genE0ELNS1_11target_archE4294967295ELNS1_3gpuE0ELNS1_3repE0EEENS1_30default_config_static_selectorELNS0_4arch9wavefront6targetE0EEEvSU_.private_seg_size, 0
	.set _ZN7rocprim17ROCPRIM_400000_NS6detail17trampoline_kernelINS0_14default_configENS1_22reduce_config_selectorIiEEZNS1_11reduce_implILb1ES3_PiS7_iN6hipcub16HIPCUB_304000_NS6detail34convert_binary_result_type_wrapperINS9_3SumENS9_22TransformInputIteratorIbN2at6native12_GLOBAL__N_19NonZeroOpIN3c107complexINSI_4HalfEEEEEPKSL_lEEiEEEE10hipError_tPvRmT1_T2_T3_mT4_P12ihipStream_tbEUlT_E0_NS1_11comp_targetILNS1_3genE0ELNS1_11target_archE4294967295ELNS1_3gpuE0ELNS1_3repE0EEENS1_30default_config_static_selectorELNS0_4arch9wavefront6targetE0EEEvSU_.uses_vcc, 0
	.set _ZN7rocprim17ROCPRIM_400000_NS6detail17trampoline_kernelINS0_14default_configENS1_22reduce_config_selectorIiEEZNS1_11reduce_implILb1ES3_PiS7_iN6hipcub16HIPCUB_304000_NS6detail34convert_binary_result_type_wrapperINS9_3SumENS9_22TransformInputIteratorIbN2at6native12_GLOBAL__N_19NonZeroOpIN3c107complexINSI_4HalfEEEEEPKSL_lEEiEEEE10hipError_tPvRmT1_T2_T3_mT4_P12ihipStream_tbEUlT_E0_NS1_11comp_targetILNS1_3genE0ELNS1_11target_archE4294967295ELNS1_3gpuE0ELNS1_3repE0EEENS1_30default_config_static_selectorELNS0_4arch9wavefront6targetE0EEEvSU_.uses_flat_scratch, 0
	.set _ZN7rocprim17ROCPRIM_400000_NS6detail17trampoline_kernelINS0_14default_configENS1_22reduce_config_selectorIiEEZNS1_11reduce_implILb1ES3_PiS7_iN6hipcub16HIPCUB_304000_NS6detail34convert_binary_result_type_wrapperINS9_3SumENS9_22TransformInputIteratorIbN2at6native12_GLOBAL__N_19NonZeroOpIN3c107complexINSI_4HalfEEEEEPKSL_lEEiEEEE10hipError_tPvRmT1_T2_T3_mT4_P12ihipStream_tbEUlT_E0_NS1_11comp_targetILNS1_3genE0ELNS1_11target_archE4294967295ELNS1_3gpuE0ELNS1_3repE0EEENS1_30default_config_static_selectorELNS0_4arch9wavefront6targetE0EEEvSU_.has_dyn_sized_stack, 0
	.set _ZN7rocprim17ROCPRIM_400000_NS6detail17trampoline_kernelINS0_14default_configENS1_22reduce_config_selectorIiEEZNS1_11reduce_implILb1ES3_PiS7_iN6hipcub16HIPCUB_304000_NS6detail34convert_binary_result_type_wrapperINS9_3SumENS9_22TransformInputIteratorIbN2at6native12_GLOBAL__N_19NonZeroOpIN3c107complexINSI_4HalfEEEEEPKSL_lEEiEEEE10hipError_tPvRmT1_T2_T3_mT4_P12ihipStream_tbEUlT_E0_NS1_11comp_targetILNS1_3genE0ELNS1_11target_archE4294967295ELNS1_3gpuE0ELNS1_3repE0EEENS1_30default_config_static_selectorELNS0_4arch9wavefront6targetE0EEEvSU_.has_recursion, 0
	.set _ZN7rocprim17ROCPRIM_400000_NS6detail17trampoline_kernelINS0_14default_configENS1_22reduce_config_selectorIiEEZNS1_11reduce_implILb1ES3_PiS7_iN6hipcub16HIPCUB_304000_NS6detail34convert_binary_result_type_wrapperINS9_3SumENS9_22TransformInputIteratorIbN2at6native12_GLOBAL__N_19NonZeroOpIN3c107complexINSI_4HalfEEEEEPKSL_lEEiEEEE10hipError_tPvRmT1_T2_T3_mT4_P12ihipStream_tbEUlT_E0_NS1_11comp_targetILNS1_3genE0ELNS1_11target_archE4294967295ELNS1_3gpuE0ELNS1_3repE0EEENS1_30default_config_static_selectorELNS0_4arch9wavefront6targetE0EEEvSU_.has_indirect_call, 0
	.section	.AMDGPU.csdata,"",@progbits
; Kernel info:
; codeLenInByte = 0
; TotalNumSgprs: 0
; NumVgprs: 0
; ScratchSize: 0
; MemoryBound: 0
; FloatMode: 240
; IeeeMode: 1
; LDSByteSize: 0 bytes/workgroup (compile time only)
; SGPRBlocks: 0
; VGPRBlocks: 0
; NumSGPRsForWavesPerEU: 1
; NumVGPRsForWavesPerEU: 1
; Occupancy: 16
; WaveLimiterHint : 0
; COMPUTE_PGM_RSRC2:SCRATCH_EN: 0
; COMPUTE_PGM_RSRC2:USER_SGPR: 2
; COMPUTE_PGM_RSRC2:TRAP_HANDLER: 0
; COMPUTE_PGM_RSRC2:TGID_X_EN: 1
; COMPUTE_PGM_RSRC2:TGID_Y_EN: 0
; COMPUTE_PGM_RSRC2:TGID_Z_EN: 0
; COMPUTE_PGM_RSRC2:TIDIG_COMP_CNT: 0
	.section	.text._ZN7rocprim17ROCPRIM_400000_NS6detail17trampoline_kernelINS0_14default_configENS1_22reduce_config_selectorIiEEZNS1_11reduce_implILb1ES3_PiS7_iN6hipcub16HIPCUB_304000_NS6detail34convert_binary_result_type_wrapperINS9_3SumENS9_22TransformInputIteratorIbN2at6native12_GLOBAL__N_19NonZeroOpIN3c107complexINSI_4HalfEEEEEPKSL_lEEiEEEE10hipError_tPvRmT1_T2_T3_mT4_P12ihipStream_tbEUlT_E0_NS1_11comp_targetILNS1_3genE5ELNS1_11target_archE942ELNS1_3gpuE9ELNS1_3repE0EEENS1_30default_config_static_selectorELNS0_4arch9wavefront6targetE0EEEvSU_,"axG",@progbits,_ZN7rocprim17ROCPRIM_400000_NS6detail17trampoline_kernelINS0_14default_configENS1_22reduce_config_selectorIiEEZNS1_11reduce_implILb1ES3_PiS7_iN6hipcub16HIPCUB_304000_NS6detail34convert_binary_result_type_wrapperINS9_3SumENS9_22TransformInputIteratorIbN2at6native12_GLOBAL__N_19NonZeroOpIN3c107complexINSI_4HalfEEEEEPKSL_lEEiEEEE10hipError_tPvRmT1_T2_T3_mT4_P12ihipStream_tbEUlT_E0_NS1_11comp_targetILNS1_3genE5ELNS1_11target_archE942ELNS1_3gpuE9ELNS1_3repE0EEENS1_30default_config_static_selectorELNS0_4arch9wavefront6targetE0EEEvSU_,comdat
	.globl	_ZN7rocprim17ROCPRIM_400000_NS6detail17trampoline_kernelINS0_14default_configENS1_22reduce_config_selectorIiEEZNS1_11reduce_implILb1ES3_PiS7_iN6hipcub16HIPCUB_304000_NS6detail34convert_binary_result_type_wrapperINS9_3SumENS9_22TransformInputIteratorIbN2at6native12_GLOBAL__N_19NonZeroOpIN3c107complexINSI_4HalfEEEEEPKSL_lEEiEEEE10hipError_tPvRmT1_T2_T3_mT4_P12ihipStream_tbEUlT_E0_NS1_11comp_targetILNS1_3genE5ELNS1_11target_archE942ELNS1_3gpuE9ELNS1_3repE0EEENS1_30default_config_static_selectorELNS0_4arch9wavefront6targetE0EEEvSU_ ; -- Begin function _ZN7rocprim17ROCPRIM_400000_NS6detail17trampoline_kernelINS0_14default_configENS1_22reduce_config_selectorIiEEZNS1_11reduce_implILb1ES3_PiS7_iN6hipcub16HIPCUB_304000_NS6detail34convert_binary_result_type_wrapperINS9_3SumENS9_22TransformInputIteratorIbN2at6native12_GLOBAL__N_19NonZeroOpIN3c107complexINSI_4HalfEEEEEPKSL_lEEiEEEE10hipError_tPvRmT1_T2_T3_mT4_P12ihipStream_tbEUlT_E0_NS1_11comp_targetILNS1_3genE5ELNS1_11target_archE942ELNS1_3gpuE9ELNS1_3repE0EEENS1_30default_config_static_selectorELNS0_4arch9wavefront6targetE0EEEvSU_
	.p2align	8
	.type	_ZN7rocprim17ROCPRIM_400000_NS6detail17trampoline_kernelINS0_14default_configENS1_22reduce_config_selectorIiEEZNS1_11reduce_implILb1ES3_PiS7_iN6hipcub16HIPCUB_304000_NS6detail34convert_binary_result_type_wrapperINS9_3SumENS9_22TransformInputIteratorIbN2at6native12_GLOBAL__N_19NonZeroOpIN3c107complexINSI_4HalfEEEEEPKSL_lEEiEEEE10hipError_tPvRmT1_T2_T3_mT4_P12ihipStream_tbEUlT_E0_NS1_11comp_targetILNS1_3genE5ELNS1_11target_archE942ELNS1_3gpuE9ELNS1_3repE0EEENS1_30default_config_static_selectorELNS0_4arch9wavefront6targetE0EEEvSU_,@function
_ZN7rocprim17ROCPRIM_400000_NS6detail17trampoline_kernelINS0_14default_configENS1_22reduce_config_selectorIiEEZNS1_11reduce_implILb1ES3_PiS7_iN6hipcub16HIPCUB_304000_NS6detail34convert_binary_result_type_wrapperINS9_3SumENS9_22TransformInputIteratorIbN2at6native12_GLOBAL__N_19NonZeroOpIN3c107complexINSI_4HalfEEEEEPKSL_lEEiEEEE10hipError_tPvRmT1_T2_T3_mT4_P12ihipStream_tbEUlT_E0_NS1_11comp_targetILNS1_3genE5ELNS1_11target_archE942ELNS1_3gpuE9ELNS1_3repE0EEENS1_30default_config_static_selectorELNS0_4arch9wavefront6targetE0EEEvSU_: ; @_ZN7rocprim17ROCPRIM_400000_NS6detail17trampoline_kernelINS0_14default_configENS1_22reduce_config_selectorIiEEZNS1_11reduce_implILb1ES3_PiS7_iN6hipcub16HIPCUB_304000_NS6detail34convert_binary_result_type_wrapperINS9_3SumENS9_22TransformInputIteratorIbN2at6native12_GLOBAL__N_19NonZeroOpIN3c107complexINSI_4HalfEEEEEPKSL_lEEiEEEE10hipError_tPvRmT1_T2_T3_mT4_P12ihipStream_tbEUlT_E0_NS1_11comp_targetILNS1_3genE5ELNS1_11target_archE942ELNS1_3gpuE9ELNS1_3repE0EEENS1_30default_config_static_selectorELNS0_4arch9wavefront6targetE0EEEvSU_
; %bb.0:
	.section	.rodata,"a",@progbits
	.p2align	6, 0x0
	.amdhsa_kernel _ZN7rocprim17ROCPRIM_400000_NS6detail17trampoline_kernelINS0_14default_configENS1_22reduce_config_selectorIiEEZNS1_11reduce_implILb1ES3_PiS7_iN6hipcub16HIPCUB_304000_NS6detail34convert_binary_result_type_wrapperINS9_3SumENS9_22TransformInputIteratorIbN2at6native12_GLOBAL__N_19NonZeroOpIN3c107complexINSI_4HalfEEEEEPKSL_lEEiEEEE10hipError_tPvRmT1_T2_T3_mT4_P12ihipStream_tbEUlT_E0_NS1_11comp_targetILNS1_3genE5ELNS1_11target_archE942ELNS1_3gpuE9ELNS1_3repE0EEENS1_30default_config_static_selectorELNS0_4arch9wavefront6targetE0EEEvSU_
		.amdhsa_group_segment_fixed_size 0
		.amdhsa_private_segment_fixed_size 0
		.amdhsa_kernarg_size 56
		.amdhsa_user_sgpr_count 2
		.amdhsa_user_sgpr_dispatch_ptr 0
		.amdhsa_user_sgpr_queue_ptr 0
		.amdhsa_user_sgpr_kernarg_segment_ptr 1
		.amdhsa_user_sgpr_dispatch_id 0
		.amdhsa_user_sgpr_private_segment_size 0
		.amdhsa_wavefront_size32 1
		.amdhsa_uses_dynamic_stack 0
		.amdhsa_enable_private_segment 0
		.amdhsa_system_sgpr_workgroup_id_x 1
		.amdhsa_system_sgpr_workgroup_id_y 0
		.amdhsa_system_sgpr_workgroup_id_z 0
		.amdhsa_system_sgpr_workgroup_info 0
		.amdhsa_system_vgpr_workitem_id 0
		.amdhsa_next_free_vgpr 1
		.amdhsa_next_free_sgpr 1
		.amdhsa_reserve_vcc 0
		.amdhsa_float_round_mode_32 0
		.amdhsa_float_round_mode_16_64 0
		.amdhsa_float_denorm_mode_32 3
		.amdhsa_float_denorm_mode_16_64 3
		.amdhsa_fp16_overflow 0
		.amdhsa_workgroup_processor_mode 1
		.amdhsa_memory_ordered 1
		.amdhsa_forward_progress 1
		.amdhsa_inst_pref_size 0
		.amdhsa_round_robin_scheduling 0
		.amdhsa_exception_fp_ieee_invalid_op 0
		.amdhsa_exception_fp_denorm_src 0
		.amdhsa_exception_fp_ieee_div_zero 0
		.amdhsa_exception_fp_ieee_overflow 0
		.amdhsa_exception_fp_ieee_underflow 0
		.amdhsa_exception_fp_ieee_inexact 0
		.amdhsa_exception_int_div_zero 0
	.end_amdhsa_kernel
	.section	.text._ZN7rocprim17ROCPRIM_400000_NS6detail17trampoline_kernelINS0_14default_configENS1_22reduce_config_selectorIiEEZNS1_11reduce_implILb1ES3_PiS7_iN6hipcub16HIPCUB_304000_NS6detail34convert_binary_result_type_wrapperINS9_3SumENS9_22TransformInputIteratorIbN2at6native12_GLOBAL__N_19NonZeroOpIN3c107complexINSI_4HalfEEEEEPKSL_lEEiEEEE10hipError_tPvRmT1_T2_T3_mT4_P12ihipStream_tbEUlT_E0_NS1_11comp_targetILNS1_3genE5ELNS1_11target_archE942ELNS1_3gpuE9ELNS1_3repE0EEENS1_30default_config_static_selectorELNS0_4arch9wavefront6targetE0EEEvSU_,"axG",@progbits,_ZN7rocprim17ROCPRIM_400000_NS6detail17trampoline_kernelINS0_14default_configENS1_22reduce_config_selectorIiEEZNS1_11reduce_implILb1ES3_PiS7_iN6hipcub16HIPCUB_304000_NS6detail34convert_binary_result_type_wrapperINS9_3SumENS9_22TransformInputIteratorIbN2at6native12_GLOBAL__N_19NonZeroOpIN3c107complexINSI_4HalfEEEEEPKSL_lEEiEEEE10hipError_tPvRmT1_T2_T3_mT4_P12ihipStream_tbEUlT_E0_NS1_11comp_targetILNS1_3genE5ELNS1_11target_archE942ELNS1_3gpuE9ELNS1_3repE0EEENS1_30default_config_static_selectorELNS0_4arch9wavefront6targetE0EEEvSU_,comdat
.Lfunc_end627:
	.size	_ZN7rocprim17ROCPRIM_400000_NS6detail17trampoline_kernelINS0_14default_configENS1_22reduce_config_selectorIiEEZNS1_11reduce_implILb1ES3_PiS7_iN6hipcub16HIPCUB_304000_NS6detail34convert_binary_result_type_wrapperINS9_3SumENS9_22TransformInputIteratorIbN2at6native12_GLOBAL__N_19NonZeroOpIN3c107complexINSI_4HalfEEEEEPKSL_lEEiEEEE10hipError_tPvRmT1_T2_T3_mT4_P12ihipStream_tbEUlT_E0_NS1_11comp_targetILNS1_3genE5ELNS1_11target_archE942ELNS1_3gpuE9ELNS1_3repE0EEENS1_30default_config_static_selectorELNS0_4arch9wavefront6targetE0EEEvSU_, .Lfunc_end627-_ZN7rocprim17ROCPRIM_400000_NS6detail17trampoline_kernelINS0_14default_configENS1_22reduce_config_selectorIiEEZNS1_11reduce_implILb1ES3_PiS7_iN6hipcub16HIPCUB_304000_NS6detail34convert_binary_result_type_wrapperINS9_3SumENS9_22TransformInputIteratorIbN2at6native12_GLOBAL__N_19NonZeroOpIN3c107complexINSI_4HalfEEEEEPKSL_lEEiEEEE10hipError_tPvRmT1_T2_T3_mT4_P12ihipStream_tbEUlT_E0_NS1_11comp_targetILNS1_3genE5ELNS1_11target_archE942ELNS1_3gpuE9ELNS1_3repE0EEENS1_30default_config_static_selectorELNS0_4arch9wavefront6targetE0EEEvSU_
                                        ; -- End function
	.set _ZN7rocprim17ROCPRIM_400000_NS6detail17trampoline_kernelINS0_14default_configENS1_22reduce_config_selectorIiEEZNS1_11reduce_implILb1ES3_PiS7_iN6hipcub16HIPCUB_304000_NS6detail34convert_binary_result_type_wrapperINS9_3SumENS9_22TransformInputIteratorIbN2at6native12_GLOBAL__N_19NonZeroOpIN3c107complexINSI_4HalfEEEEEPKSL_lEEiEEEE10hipError_tPvRmT1_T2_T3_mT4_P12ihipStream_tbEUlT_E0_NS1_11comp_targetILNS1_3genE5ELNS1_11target_archE942ELNS1_3gpuE9ELNS1_3repE0EEENS1_30default_config_static_selectorELNS0_4arch9wavefront6targetE0EEEvSU_.num_vgpr, 0
	.set _ZN7rocprim17ROCPRIM_400000_NS6detail17trampoline_kernelINS0_14default_configENS1_22reduce_config_selectorIiEEZNS1_11reduce_implILb1ES3_PiS7_iN6hipcub16HIPCUB_304000_NS6detail34convert_binary_result_type_wrapperINS9_3SumENS9_22TransformInputIteratorIbN2at6native12_GLOBAL__N_19NonZeroOpIN3c107complexINSI_4HalfEEEEEPKSL_lEEiEEEE10hipError_tPvRmT1_T2_T3_mT4_P12ihipStream_tbEUlT_E0_NS1_11comp_targetILNS1_3genE5ELNS1_11target_archE942ELNS1_3gpuE9ELNS1_3repE0EEENS1_30default_config_static_selectorELNS0_4arch9wavefront6targetE0EEEvSU_.num_agpr, 0
	.set _ZN7rocprim17ROCPRIM_400000_NS6detail17trampoline_kernelINS0_14default_configENS1_22reduce_config_selectorIiEEZNS1_11reduce_implILb1ES3_PiS7_iN6hipcub16HIPCUB_304000_NS6detail34convert_binary_result_type_wrapperINS9_3SumENS9_22TransformInputIteratorIbN2at6native12_GLOBAL__N_19NonZeroOpIN3c107complexINSI_4HalfEEEEEPKSL_lEEiEEEE10hipError_tPvRmT1_T2_T3_mT4_P12ihipStream_tbEUlT_E0_NS1_11comp_targetILNS1_3genE5ELNS1_11target_archE942ELNS1_3gpuE9ELNS1_3repE0EEENS1_30default_config_static_selectorELNS0_4arch9wavefront6targetE0EEEvSU_.numbered_sgpr, 0
	.set _ZN7rocprim17ROCPRIM_400000_NS6detail17trampoline_kernelINS0_14default_configENS1_22reduce_config_selectorIiEEZNS1_11reduce_implILb1ES3_PiS7_iN6hipcub16HIPCUB_304000_NS6detail34convert_binary_result_type_wrapperINS9_3SumENS9_22TransformInputIteratorIbN2at6native12_GLOBAL__N_19NonZeroOpIN3c107complexINSI_4HalfEEEEEPKSL_lEEiEEEE10hipError_tPvRmT1_T2_T3_mT4_P12ihipStream_tbEUlT_E0_NS1_11comp_targetILNS1_3genE5ELNS1_11target_archE942ELNS1_3gpuE9ELNS1_3repE0EEENS1_30default_config_static_selectorELNS0_4arch9wavefront6targetE0EEEvSU_.num_named_barrier, 0
	.set _ZN7rocprim17ROCPRIM_400000_NS6detail17trampoline_kernelINS0_14default_configENS1_22reduce_config_selectorIiEEZNS1_11reduce_implILb1ES3_PiS7_iN6hipcub16HIPCUB_304000_NS6detail34convert_binary_result_type_wrapperINS9_3SumENS9_22TransformInputIteratorIbN2at6native12_GLOBAL__N_19NonZeroOpIN3c107complexINSI_4HalfEEEEEPKSL_lEEiEEEE10hipError_tPvRmT1_T2_T3_mT4_P12ihipStream_tbEUlT_E0_NS1_11comp_targetILNS1_3genE5ELNS1_11target_archE942ELNS1_3gpuE9ELNS1_3repE0EEENS1_30default_config_static_selectorELNS0_4arch9wavefront6targetE0EEEvSU_.private_seg_size, 0
	.set _ZN7rocprim17ROCPRIM_400000_NS6detail17trampoline_kernelINS0_14default_configENS1_22reduce_config_selectorIiEEZNS1_11reduce_implILb1ES3_PiS7_iN6hipcub16HIPCUB_304000_NS6detail34convert_binary_result_type_wrapperINS9_3SumENS9_22TransformInputIteratorIbN2at6native12_GLOBAL__N_19NonZeroOpIN3c107complexINSI_4HalfEEEEEPKSL_lEEiEEEE10hipError_tPvRmT1_T2_T3_mT4_P12ihipStream_tbEUlT_E0_NS1_11comp_targetILNS1_3genE5ELNS1_11target_archE942ELNS1_3gpuE9ELNS1_3repE0EEENS1_30default_config_static_selectorELNS0_4arch9wavefront6targetE0EEEvSU_.uses_vcc, 0
	.set _ZN7rocprim17ROCPRIM_400000_NS6detail17trampoline_kernelINS0_14default_configENS1_22reduce_config_selectorIiEEZNS1_11reduce_implILb1ES3_PiS7_iN6hipcub16HIPCUB_304000_NS6detail34convert_binary_result_type_wrapperINS9_3SumENS9_22TransformInputIteratorIbN2at6native12_GLOBAL__N_19NonZeroOpIN3c107complexINSI_4HalfEEEEEPKSL_lEEiEEEE10hipError_tPvRmT1_T2_T3_mT4_P12ihipStream_tbEUlT_E0_NS1_11comp_targetILNS1_3genE5ELNS1_11target_archE942ELNS1_3gpuE9ELNS1_3repE0EEENS1_30default_config_static_selectorELNS0_4arch9wavefront6targetE0EEEvSU_.uses_flat_scratch, 0
	.set _ZN7rocprim17ROCPRIM_400000_NS6detail17trampoline_kernelINS0_14default_configENS1_22reduce_config_selectorIiEEZNS1_11reduce_implILb1ES3_PiS7_iN6hipcub16HIPCUB_304000_NS6detail34convert_binary_result_type_wrapperINS9_3SumENS9_22TransformInputIteratorIbN2at6native12_GLOBAL__N_19NonZeroOpIN3c107complexINSI_4HalfEEEEEPKSL_lEEiEEEE10hipError_tPvRmT1_T2_T3_mT4_P12ihipStream_tbEUlT_E0_NS1_11comp_targetILNS1_3genE5ELNS1_11target_archE942ELNS1_3gpuE9ELNS1_3repE0EEENS1_30default_config_static_selectorELNS0_4arch9wavefront6targetE0EEEvSU_.has_dyn_sized_stack, 0
	.set _ZN7rocprim17ROCPRIM_400000_NS6detail17trampoline_kernelINS0_14default_configENS1_22reduce_config_selectorIiEEZNS1_11reduce_implILb1ES3_PiS7_iN6hipcub16HIPCUB_304000_NS6detail34convert_binary_result_type_wrapperINS9_3SumENS9_22TransformInputIteratorIbN2at6native12_GLOBAL__N_19NonZeroOpIN3c107complexINSI_4HalfEEEEEPKSL_lEEiEEEE10hipError_tPvRmT1_T2_T3_mT4_P12ihipStream_tbEUlT_E0_NS1_11comp_targetILNS1_3genE5ELNS1_11target_archE942ELNS1_3gpuE9ELNS1_3repE0EEENS1_30default_config_static_selectorELNS0_4arch9wavefront6targetE0EEEvSU_.has_recursion, 0
	.set _ZN7rocprim17ROCPRIM_400000_NS6detail17trampoline_kernelINS0_14default_configENS1_22reduce_config_selectorIiEEZNS1_11reduce_implILb1ES3_PiS7_iN6hipcub16HIPCUB_304000_NS6detail34convert_binary_result_type_wrapperINS9_3SumENS9_22TransformInputIteratorIbN2at6native12_GLOBAL__N_19NonZeroOpIN3c107complexINSI_4HalfEEEEEPKSL_lEEiEEEE10hipError_tPvRmT1_T2_T3_mT4_P12ihipStream_tbEUlT_E0_NS1_11comp_targetILNS1_3genE5ELNS1_11target_archE942ELNS1_3gpuE9ELNS1_3repE0EEENS1_30default_config_static_selectorELNS0_4arch9wavefront6targetE0EEEvSU_.has_indirect_call, 0
	.section	.AMDGPU.csdata,"",@progbits
; Kernel info:
; codeLenInByte = 0
; TotalNumSgprs: 0
; NumVgprs: 0
; ScratchSize: 0
; MemoryBound: 0
; FloatMode: 240
; IeeeMode: 1
; LDSByteSize: 0 bytes/workgroup (compile time only)
; SGPRBlocks: 0
; VGPRBlocks: 0
; NumSGPRsForWavesPerEU: 1
; NumVGPRsForWavesPerEU: 1
; Occupancy: 16
; WaveLimiterHint : 0
; COMPUTE_PGM_RSRC2:SCRATCH_EN: 0
; COMPUTE_PGM_RSRC2:USER_SGPR: 2
; COMPUTE_PGM_RSRC2:TRAP_HANDLER: 0
; COMPUTE_PGM_RSRC2:TGID_X_EN: 1
; COMPUTE_PGM_RSRC2:TGID_Y_EN: 0
; COMPUTE_PGM_RSRC2:TGID_Z_EN: 0
; COMPUTE_PGM_RSRC2:TIDIG_COMP_CNT: 0
	.section	.text._ZN7rocprim17ROCPRIM_400000_NS6detail17trampoline_kernelINS0_14default_configENS1_22reduce_config_selectorIiEEZNS1_11reduce_implILb1ES3_PiS7_iN6hipcub16HIPCUB_304000_NS6detail34convert_binary_result_type_wrapperINS9_3SumENS9_22TransformInputIteratorIbN2at6native12_GLOBAL__N_19NonZeroOpIN3c107complexINSI_4HalfEEEEEPKSL_lEEiEEEE10hipError_tPvRmT1_T2_T3_mT4_P12ihipStream_tbEUlT_E0_NS1_11comp_targetILNS1_3genE4ELNS1_11target_archE910ELNS1_3gpuE8ELNS1_3repE0EEENS1_30default_config_static_selectorELNS0_4arch9wavefront6targetE0EEEvSU_,"axG",@progbits,_ZN7rocprim17ROCPRIM_400000_NS6detail17trampoline_kernelINS0_14default_configENS1_22reduce_config_selectorIiEEZNS1_11reduce_implILb1ES3_PiS7_iN6hipcub16HIPCUB_304000_NS6detail34convert_binary_result_type_wrapperINS9_3SumENS9_22TransformInputIteratorIbN2at6native12_GLOBAL__N_19NonZeroOpIN3c107complexINSI_4HalfEEEEEPKSL_lEEiEEEE10hipError_tPvRmT1_T2_T3_mT4_P12ihipStream_tbEUlT_E0_NS1_11comp_targetILNS1_3genE4ELNS1_11target_archE910ELNS1_3gpuE8ELNS1_3repE0EEENS1_30default_config_static_selectorELNS0_4arch9wavefront6targetE0EEEvSU_,comdat
	.globl	_ZN7rocprim17ROCPRIM_400000_NS6detail17trampoline_kernelINS0_14default_configENS1_22reduce_config_selectorIiEEZNS1_11reduce_implILb1ES3_PiS7_iN6hipcub16HIPCUB_304000_NS6detail34convert_binary_result_type_wrapperINS9_3SumENS9_22TransformInputIteratorIbN2at6native12_GLOBAL__N_19NonZeroOpIN3c107complexINSI_4HalfEEEEEPKSL_lEEiEEEE10hipError_tPvRmT1_T2_T3_mT4_P12ihipStream_tbEUlT_E0_NS1_11comp_targetILNS1_3genE4ELNS1_11target_archE910ELNS1_3gpuE8ELNS1_3repE0EEENS1_30default_config_static_selectorELNS0_4arch9wavefront6targetE0EEEvSU_ ; -- Begin function _ZN7rocprim17ROCPRIM_400000_NS6detail17trampoline_kernelINS0_14default_configENS1_22reduce_config_selectorIiEEZNS1_11reduce_implILb1ES3_PiS7_iN6hipcub16HIPCUB_304000_NS6detail34convert_binary_result_type_wrapperINS9_3SumENS9_22TransformInputIteratorIbN2at6native12_GLOBAL__N_19NonZeroOpIN3c107complexINSI_4HalfEEEEEPKSL_lEEiEEEE10hipError_tPvRmT1_T2_T3_mT4_P12ihipStream_tbEUlT_E0_NS1_11comp_targetILNS1_3genE4ELNS1_11target_archE910ELNS1_3gpuE8ELNS1_3repE0EEENS1_30default_config_static_selectorELNS0_4arch9wavefront6targetE0EEEvSU_
	.p2align	8
	.type	_ZN7rocprim17ROCPRIM_400000_NS6detail17trampoline_kernelINS0_14default_configENS1_22reduce_config_selectorIiEEZNS1_11reduce_implILb1ES3_PiS7_iN6hipcub16HIPCUB_304000_NS6detail34convert_binary_result_type_wrapperINS9_3SumENS9_22TransformInputIteratorIbN2at6native12_GLOBAL__N_19NonZeroOpIN3c107complexINSI_4HalfEEEEEPKSL_lEEiEEEE10hipError_tPvRmT1_T2_T3_mT4_P12ihipStream_tbEUlT_E0_NS1_11comp_targetILNS1_3genE4ELNS1_11target_archE910ELNS1_3gpuE8ELNS1_3repE0EEENS1_30default_config_static_selectorELNS0_4arch9wavefront6targetE0EEEvSU_,@function
_ZN7rocprim17ROCPRIM_400000_NS6detail17trampoline_kernelINS0_14default_configENS1_22reduce_config_selectorIiEEZNS1_11reduce_implILb1ES3_PiS7_iN6hipcub16HIPCUB_304000_NS6detail34convert_binary_result_type_wrapperINS9_3SumENS9_22TransformInputIteratorIbN2at6native12_GLOBAL__N_19NonZeroOpIN3c107complexINSI_4HalfEEEEEPKSL_lEEiEEEE10hipError_tPvRmT1_T2_T3_mT4_P12ihipStream_tbEUlT_E0_NS1_11comp_targetILNS1_3genE4ELNS1_11target_archE910ELNS1_3gpuE8ELNS1_3repE0EEENS1_30default_config_static_selectorELNS0_4arch9wavefront6targetE0EEEvSU_: ; @_ZN7rocprim17ROCPRIM_400000_NS6detail17trampoline_kernelINS0_14default_configENS1_22reduce_config_selectorIiEEZNS1_11reduce_implILb1ES3_PiS7_iN6hipcub16HIPCUB_304000_NS6detail34convert_binary_result_type_wrapperINS9_3SumENS9_22TransformInputIteratorIbN2at6native12_GLOBAL__N_19NonZeroOpIN3c107complexINSI_4HalfEEEEEPKSL_lEEiEEEE10hipError_tPvRmT1_T2_T3_mT4_P12ihipStream_tbEUlT_E0_NS1_11comp_targetILNS1_3genE4ELNS1_11target_archE910ELNS1_3gpuE8ELNS1_3repE0EEENS1_30default_config_static_selectorELNS0_4arch9wavefront6targetE0EEEvSU_
; %bb.0:
	.section	.rodata,"a",@progbits
	.p2align	6, 0x0
	.amdhsa_kernel _ZN7rocprim17ROCPRIM_400000_NS6detail17trampoline_kernelINS0_14default_configENS1_22reduce_config_selectorIiEEZNS1_11reduce_implILb1ES3_PiS7_iN6hipcub16HIPCUB_304000_NS6detail34convert_binary_result_type_wrapperINS9_3SumENS9_22TransformInputIteratorIbN2at6native12_GLOBAL__N_19NonZeroOpIN3c107complexINSI_4HalfEEEEEPKSL_lEEiEEEE10hipError_tPvRmT1_T2_T3_mT4_P12ihipStream_tbEUlT_E0_NS1_11comp_targetILNS1_3genE4ELNS1_11target_archE910ELNS1_3gpuE8ELNS1_3repE0EEENS1_30default_config_static_selectorELNS0_4arch9wavefront6targetE0EEEvSU_
		.amdhsa_group_segment_fixed_size 0
		.amdhsa_private_segment_fixed_size 0
		.amdhsa_kernarg_size 56
		.amdhsa_user_sgpr_count 2
		.amdhsa_user_sgpr_dispatch_ptr 0
		.amdhsa_user_sgpr_queue_ptr 0
		.amdhsa_user_sgpr_kernarg_segment_ptr 1
		.amdhsa_user_sgpr_dispatch_id 0
		.amdhsa_user_sgpr_private_segment_size 0
		.amdhsa_wavefront_size32 1
		.amdhsa_uses_dynamic_stack 0
		.amdhsa_enable_private_segment 0
		.amdhsa_system_sgpr_workgroup_id_x 1
		.amdhsa_system_sgpr_workgroup_id_y 0
		.amdhsa_system_sgpr_workgroup_id_z 0
		.amdhsa_system_sgpr_workgroup_info 0
		.amdhsa_system_vgpr_workitem_id 0
		.amdhsa_next_free_vgpr 1
		.amdhsa_next_free_sgpr 1
		.amdhsa_reserve_vcc 0
		.amdhsa_float_round_mode_32 0
		.amdhsa_float_round_mode_16_64 0
		.amdhsa_float_denorm_mode_32 3
		.amdhsa_float_denorm_mode_16_64 3
		.amdhsa_fp16_overflow 0
		.amdhsa_workgroup_processor_mode 1
		.amdhsa_memory_ordered 1
		.amdhsa_forward_progress 1
		.amdhsa_inst_pref_size 0
		.amdhsa_round_robin_scheduling 0
		.amdhsa_exception_fp_ieee_invalid_op 0
		.amdhsa_exception_fp_denorm_src 0
		.amdhsa_exception_fp_ieee_div_zero 0
		.amdhsa_exception_fp_ieee_overflow 0
		.amdhsa_exception_fp_ieee_underflow 0
		.amdhsa_exception_fp_ieee_inexact 0
		.amdhsa_exception_int_div_zero 0
	.end_amdhsa_kernel
	.section	.text._ZN7rocprim17ROCPRIM_400000_NS6detail17trampoline_kernelINS0_14default_configENS1_22reduce_config_selectorIiEEZNS1_11reduce_implILb1ES3_PiS7_iN6hipcub16HIPCUB_304000_NS6detail34convert_binary_result_type_wrapperINS9_3SumENS9_22TransformInputIteratorIbN2at6native12_GLOBAL__N_19NonZeroOpIN3c107complexINSI_4HalfEEEEEPKSL_lEEiEEEE10hipError_tPvRmT1_T2_T3_mT4_P12ihipStream_tbEUlT_E0_NS1_11comp_targetILNS1_3genE4ELNS1_11target_archE910ELNS1_3gpuE8ELNS1_3repE0EEENS1_30default_config_static_selectorELNS0_4arch9wavefront6targetE0EEEvSU_,"axG",@progbits,_ZN7rocprim17ROCPRIM_400000_NS6detail17trampoline_kernelINS0_14default_configENS1_22reduce_config_selectorIiEEZNS1_11reduce_implILb1ES3_PiS7_iN6hipcub16HIPCUB_304000_NS6detail34convert_binary_result_type_wrapperINS9_3SumENS9_22TransformInputIteratorIbN2at6native12_GLOBAL__N_19NonZeroOpIN3c107complexINSI_4HalfEEEEEPKSL_lEEiEEEE10hipError_tPvRmT1_T2_T3_mT4_P12ihipStream_tbEUlT_E0_NS1_11comp_targetILNS1_3genE4ELNS1_11target_archE910ELNS1_3gpuE8ELNS1_3repE0EEENS1_30default_config_static_selectorELNS0_4arch9wavefront6targetE0EEEvSU_,comdat
.Lfunc_end628:
	.size	_ZN7rocprim17ROCPRIM_400000_NS6detail17trampoline_kernelINS0_14default_configENS1_22reduce_config_selectorIiEEZNS1_11reduce_implILb1ES3_PiS7_iN6hipcub16HIPCUB_304000_NS6detail34convert_binary_result_type_wrapperINS9_3SumENS9_22TransformInputIteratorIbN2at6native12_GLOBAL__N_19NonZeroOpIN3c107complexINSI_4HalfEEEEEPKSL_lEEiEEEE10hipError_tPvRmT1_T2_T3_mT4_P12ihipStream_tbEUlT_E0_NS1_11comp_targetILNS1_3genE4ELNS1_11target_archE910ELNS1_3gpuE8ELNS1_3repE0EEENS1_30default_config_static_selectorELNS0_4arch9wavefront6targetE0EEEvSU_, .Lfunc_end628-_ZN7rocprim17ROCPRIM_400000_NS6detail17trampoline_kernelINS0_14default_configENS1_22reduce_config_selectorIiEEZNS1_11reduce_implILb1ES3_PiS7_iN6hipcub16HIPCUB_304000_NS6detail34convert_binary_result_type_wrapperINS9_3SumENS9_22TransformInputIteratorIbN2at6native12_GLOBAL__N_19NonZeroOpIN3c107complexINSI_4HalfEEEEEPKSL_lEEiEEEE10hipError_tPvRmT1_T2_T3_mT4_P12ihipStream_tbEUlT_E0_NS1_11comp_targetILNS1_3genE4ELNS1_11target_archE910ELNS1_3gpuE8ELNS1_3repE0EEENS1_30default_config_static_selectorELNS0_4arch9wavefront6targetE0EEEvSU_
                                        ; -- End function
	.set _ZN7rocprim17ROCPRIM_400000_NS6detail17trampoline_kernelINS0_14default_configENS1_22reduce_config_selectorIiEEZNS1_11reduce_implILb1ES3_PiS7_iN6hipcub16HIPCUB_304000_NS6detail34convert_binary_result_type_wrapperINS9_3SumENS9_22TransformInputIteratorIbN2at6native12_GLOBAL__N_19NonZeroOpIN3c107complexINSI_4HalfEEEEEPKSL_lEEiEEEE10hipError_tPvRmT1_T2_T3_mT4_P12ihipStream_tbEUlT_E0_NS1_11comp_targetILNS1_3genE4ELNS1_11target_archE910ELNS1_3gpuE8ELNS1_3repE0EEENS1_30default_config_static_selectorELNS0_4arch9wavefront6targetE0EEEvSU_.num_vgpr, 0
	.set _ZN7rocprim17ROCPRIM_400000_NS6detail17trampoline_kernelINS0_14default_configENS1_22reduce_config_selectorIiEEZNS1_11reduce_implILb1ES3_PiS7_iN6hipcub16HIPCUB_304000_NS6detail34convert_binary_result_type_wrapperINS9_3SumENS9_22TransformInputIteratorIbN2at6native12_GLOBAL__N_19NonZeroOpIN3c107complexINSI_4HalfEEEEEPKSL_lEEiEEEE10hipError_tPvRmT1_T2_T3_mT4_P12ihipStream_tbEUlT_E0_NS1_11comp_targetILNS1_3genE4ELNS1_11target_archE910ELNS1_3gpuE8ELNS1_3repE0EEENS1_30default_config_static_selectorELNS0_4arch9wavefront6targetE0EEEvSU_.num_agpr, 0
	.set _ZN7rocprim17ROCPRIM_400000_NS6detail17trampoline_kernelINS0_14default_configENS1_22reduce_config_selectorIiEEZNS1_11reduce_implILb1ES3_PiS7_iN6hipcub16HIPCUB_304000_NS6detail34convert_binary_result_type_wrapperINS9_3SumENS9_22TransformInputIteratorIbN2at6native12_GLOBAL__N_19NonZeroOpIN3c107complexINSI_4HalfEEEEEPKSL_lEEiEEEE10hipError_tPvRmT1_T2_T3_mT4_P12ihipStream_tbEUlT_E0_NS1_11comp_targetILNS1_3genE4ELNS1_11target_archE910ELNS1_3gpuE8ELNS1_3repE0EEENS1_30default_config_static_selectorELNS0_4arch9wavefront6targetE0EEEvSU_.numbered_sgpr, 0
	.set _ZN7rocprim17ROCPRIM_400000_NS6detail17trampoline_kernelINS0_14default_configENS1_22reduce_config_selectorIiEEZNS1_11reduce_implILb1ES3_PiS7_iN6hipcub16HIPCUB_304000_NS6detail34convert_binary_result_type_wrapperINS9_3SumENS9_22TransformInputIteratorIbN2at6native12_GLOBAL__N_19NonZeroOpIN3c107complexINSI_4HalfEEEEEPKSL_lEEiEEEE10hipError_tPvRmT1_T2_T3_mT4_P12ihipStream_tbEUlT_E0_NS1_11comp_targetILNS1_3genE4ELNS1_11target_archE910ELNS1_3gpuE8ELNS1_3repE0EEENS1_30default_config_static_selectorELNS0_4arch9wavefront6targetE0EEEvSU_.num_named_barrier, 0
	.set _ZN7rocprim17ROCPRIM_400000_NS6detail17trampoline_kernelINS0_14default_configENS1_22reduce_config_selectorIiEEZNS1_11reduce_implILb1ES3_PiS7_iN6hipcub16HIPCUB_304000_NS6detail34convert_binary_result_type_wrapperINS9_3SumENS9_22TransformInputIteratorIbN2at6native12_GLOBAL__N_19NonZeroOpIN3c107complexINSI_4HalfEEEEEPKSL_lEEiEEEE10hipError_tPvRmT1_T2_T3_mT4_P12ihipStream_tbEUlT_E0_NS1_11comp_targetILNS1_3genE4ELNS1_11target_archE910ELNS1_3gpuE8ELNS1_3repE0EEENS1_30default_config_static_selectorELNS0_4arch9wavefront6targetE0EEEvSU_.private_seg_size, 0
	.set _ZN7rocprim17ROCPRIM_400000_NS6detail17trampoline_kernelINS0_14default_configENS1_22reduce_config_selectorIiEEZNS1_11reduce_implILb1ES3_PiS7_iN6hipcub16HIPCUB_304000_NS6detail34convert_binary_result_type_wrapperINS9_3SumENS9_22TransformInputIteratorIbN2at6native12_GLOBAL__N_19NonZeroOpIN3c107complexINSI_4HalfEEEEEPKSL_lEEiEEEE10hipError_tPvRmT1_T2_T3_mT4_P12ihipStream_tbEUlT_E0_NS1_11comp_targetILNS1_3genE4ELNS1_11target_archE910ELNS1_3gpuE8ELNS1_3repE0EEENS1_30default_config_static_selectorELNS0_4arch9wavefront6targetE0EEEvSU_.uses_vcc, 0
	.set _ZN7rocprim17ROCPRIM_400000_NS6detail17trampoline_kernelINS0_14default_configENS1_22reduce_config_selectorIiEEZNS1_11reduce_implILb1ES3_PiS7_iN6hipcub16HIPCUB_304000_NS6detail34convert_binary_result_type_wrapperINS9_3SumENS9_22TransformInputIteratorIbN2at6native12_GLOBAL__N_19NonZeroOpIN3c107complexINSI_4HalfEEEEEPKSL_lEEiEEEE10hipError_tPvRmT1_T2_T3_mT4_P12ihipStream_tbEUlT_E0_NS1_11comp_targetILNS1_3genE4ELNS1_11target_archE910ELNS1_3gpuE8ELNS1_3repE0EEENS1_30default_config_static_selectorELNS0_4arch9wavefront6targetE0EEEvSU_.uses_flat_scratch, 0
	.set _ZN7rocprim17ROCPRIM_400000_NS6detail17trampoline_kernelINS0_14default_configENS1_22reduce_config_selectorIiEEZNS1_11reduce_implILb1ES3_PiS7_iN6hipcub16HIPCUB_304000_NS6detail34convert_binary_result_type_wrapperINS9_3SumENS9_22TransformInputIteratorIbN2at6native12_GLOBAL__N_19NonZeroOpIN3c107complexINSI_4HalfEEEEEPKSL_lEEiEEEE10hipError_tPvRmT1_T2_T3_mT4_P12ihipStream_tbEUlT_E0_NS1_11comp_targetILNS1_3genE4ELNS1_11target_archE910ELNS1_3gpuE8ELNS1_3repE0EEENS1_30default_config_static_selectorELNS0_4arch9wavefront6targetE0EEEvSU_.has_dyn_sized_stack, 0
	.set _ZN7rocprim17ROCPRIM_400000_NS6detail17trampoline_kernelINS0_14default_configENS1_22reduce_config_selectorIiEEZNS1_11reduce_implILb1ES3_PiS7_iN6hipcub16HIPCUB_304000_NS6detail34convert_binary_result_type_wrapperINS9_3SumENS9_22TransformInputIteratorIbN2at6native12_GLOBAL__N_19NonZeroOpIN3c107complexINSI_4HalfEEEEEPKSL_lEEiEEEE10hipError_tPvRmT1_T2_T3_mT4_P12ihipStream_tbEUlT_E0_NS1_11comp_targetILNS1_3genE4ELNS1_11target_archE910ELNS1_3gpuE8ELNS1_3repE0EEENS1_30default_config_static_selectorELNS0_4arch9wavefront6targetE0EEEvSU_.has_recursion, 0
	.set _ZN7rocprim17ROCPRIM_400000_NS6detail17trampoline_kernelINS0_14default_configENS1_22reduce_config_selectorIiEEZNS1_11reduce_implILb1ES3_PiS7_iN6hipcub16HIPCUB_304000_NS6detail34convert_binary_result_type_wrapperINS9_3SumENS9_22TransformInputIteratorIbN2at6native12_GLOBAL__N_19NonZeroOpIN3c107complexINSI_4HalfEEEEEPKSL_lEEiEEEE10hipError_tPvRmT1_T2_T3_mT4_P12ihipStream_tbEUlT_E0_NS1_11comp_targetILNS1_3genE4ELNS1_11target_archE910ELNS1_3gpuE8ELNS1_3repE0EEENS1_30default_config_static_selectorELNS0_4arch9wavefront6targetE0EEEvSU_.has_indirect_call, 0
	.section	.AMDGPU.csdata,"",@progbits
; Kernel info:
; codeLenInByte = 0
; TotalNumSgprs: 0
; NumVgprs: 0
; ScratchSize: 0
; MemoryBound: 0
; FloatMode: 240
; IeeeMode: 1
; LDSByteSize: 0 bytes/workgroup (compile time only)
; SGPRBlocks: 0
; VGPRBlocks: 0
; NumSGPRsForWavesPerEU: 1
; NumVGPRsForWavesPerEU: 1
; Occupancy: 16
; WaveLimiterHint : 0
; COMPUTE_PGM_RSRC2:SCRATCH_EN: 0
; COMPUTE_PGM_RSRC2:USER_SGPR: 2
; COMPUTE_PGM_RSRC2:TRAP_HANDLER: 0
; COMPUTE_PGM_RSRC2:TGID_X_EN: 1
; COMPUTE_PGM_RSRC2:TGID_Y_EN: 0
; COMPUTE_PGM_RSRC2:TGID_Z_EN: 0
; COMPUTE_PGM_RSRC2:TIDIG_COMP_CNT: 0
	.section	.text._ZN7rocprim17ROCPRIM_400000_NS6detail17trampoline_kernelINS0_14default_configENS1_22reduce_config_selectorIiEEZNS1_11reduce_implILb1ES3_PiS7_iN6hipcub16HIPCUB_304000_NS6detail34convert_binary_result_type_wrapperINS9_3SumENS9_22TransformInputIteratorIbN2at6native12_GLOBAL__N_19NonZeroOpIN3c107complexINSI_4HalfEEEEEPKSL_lEEiEEEE10hipError_tPvRmT1_T2_T3_mT4_P12ihipStream_tbEUlT_E0_NS1_11comp_targetILNS1_3genE3ELNS1_11target_archE908ELNS1_3gpuE7ELNS1_3repE0EEENS1_30default_config_static_selectorELNS0_4arch9wavefront6targetE0EEEvSU_,"axG",@progbits,_ZN7rocprim17ROCPRIM_400000_NS6detail17trampoline_kernelINS0_14default_configENS1_22reduce_config_selectorIiEEZNS1_11reduce_implILb1ES3_PiS7_iN6hipcub16HIPCUB_304000_NS6detail34convert_binary_result_type_wrapperINS9_3SumENS9_22TransformInputIteratorIbN2at6native12_GLOBAL__N_19NonZeroOpIN3c107complexINSI_4HalfEEEEEPKSL_lEEiEEEE10hipError_tPvRmT1_T2_T3_mT4_P12ihipStream_tbEUlT_E0_NS1_11comp_targetILNS1_3genE3ELNS1_11target_archE908ELNS1_3gpuE7ELNS1_3repE0EEENS1_30default_config_static_selectorELNS0_4arch9wavefront6targetE0EEEvSU_,comdat
	.globl	_ZN7rocprim17ROCPRIM_400000_NS6detail17trampoline_kernelINS0_14default_configENS1_22reduce_config_selectorIiEEZNS1_11reduce_implILb1ES3_PiS7_iN6hipcub16HIPCUB_304000_NS6detail34convert_binary_result_type_wrapperINS9_3SumENS9_22TransformInputIteratorIbN2at6native12_GLOBAL__N_19NonZeroOpIN3c107complexINSI_4HalfEEEEEPKSL_lEEiEEEE10hipError_tPvRmT1_T2_T3_mT4_P12ihipStream_tbEUlT_E0_NS1_11comp_targetILNS1_3genE3ELNS1_11target_archE908ELNS1_3gpuE7ELNS1_3repE0EEENS1_30default_config_static_selectorELNS0_4arch9wavefront6targetE0EEEvSU_ ; -- Begin function _ZN7rocprim17ROCPRIM_400000_NS6detail17trampoline_kernelINS0_14default_configENS1_22reduce_config_selectorIiEEZNS1_11reduce_implILb1ES3_PiS7_iN6hipcub16HIPCUB_304000_NS6detail34convert_binary_result_type_wrapperINS9_3SumENS9_22TransformInputIteratorIbN2at6native12_GLOBAL__N_19NonZeroOpIN3c107complexINSI_4HalfEEEEEPKSL_lEEiEEEE10hipError_tPvRmT1_T2_T3_mT4_P12ihipStream_tbEUlT_E0_NS1_11comp_targetILNS1_3genE3ELNS1_11target_archE908ELNS1_3gpuE7ELNS1_3repE0EEENS1_30default_config_static_selectorELNS0_4arch9wavefront6targetE0EEEvSU_
	.p2align	8
	.type	_ZN7rocprim17ROCPRIM_400000_NS6detail17trampoline_kernelINS0_14default_configENS1_22reduce_config_selectorIiEEZNS1_11reduce_implILb1ES3_PiS7_iN6hipcub16HIPCUB_304000_NS6detail34convert_binary_result_type_wrapperINS9_3SumENS9_22TransformInputIteratorIbN2at6native12_GLOBAL__N_19NonZeroOpIN3c107complexINSI_4HalfEEEEEPKSL_lEEiEEEE10hipError_tPvRmT1_T2_T3_mT4_P12ihipStream_tbEUlT_E0_NS1_11comp_targetILNS1_3genE3ELNS1_11target_archE908ELNS1_3gpuE7ELNS1_3repE0EEENS1_30default_config_static_selectorELNS0_4arch9wavefront6targetE0EEEvSU_,@function
_ZN7rocprim17ROCPRIM_400000_NS6detail17trampoline_kernelINS0_14default_configENS1_22reduce_config_selectorIiEEZNS1_11reduce_implILb1ES3_PiS7_iN6hipcub16HIPCUB_304000_NS6detail34convert_binary_result_type_wrapperINS9_3SumENS9_22TransformInputIteratorIbN2at6native12_GLOBAL__N_19NonZeroOpIN3c107complexINSI_4HalfEEEEEPKSL_lEEiEEEE10hipError_tPvRmT1_T2_T3_mT4_P12ihipStream_tbEUlT_E0_NS1_11comp_targetILNS1_3genE3ELNS1_11target_archE908ELNS1_3gpuE7ELNS1_3repE0EEENS1_30default_config_static_selectorELNS0_4arch9wavefront6targetE0EEEvSU_: ; @_ZN7rocprim17ROCPRIM_400000_NS6detail17trampoline_kernelINS0_14default_configENS1_22reduce_config_selectorIiEEZNS1_11reduce_implILb1ES3_PiS7_iN6hipcub16HIPCUB_304000_NS6detail34convert_binary_result_type_wrapperINS9_3SumENS9_22TransformInputIteratorIbN2at6native12_GLOBAL__N_19NonZeroOpIN3c107complexINSI_4HalfEEEEEPKSL_lEEiEEEE10hipError_tPvRmT1_T2_T3_mT4_P12ihipStream_tbEUlT_E0_NS1_11comp_targetILNS1_3genE3ELNS1_11target_archE908ELNS1_3gpuE7ELNS1_3repE0EEENS1_30default_config_static_selectorELNS0_4arch9wavefront6targetE0EEEvSU_
; %bb.0:
	.section	.rodata,"a",@progbits
	.p2align	6, 0x0
	.amdhsa_kernel _ZN7rocprim17ROCPRIM_400000_NS6detail17trampoline_kernelINS0_14default_configENS1_22reduce_config_selectorIiEEZNS1_11reduce_implILb1ES3_PiS7_iN6hipcub16HIPCUB_304000_NS6detail34convert_binary_result_type_wrapperINS9_3SumENS9_22TransformInputIteratorIbN2at6native12_GLOBAL__N_19NonZeroOpIN3c107complexINSI_4HalfEEEEEPKSL_lEEiEEEE10hipError_tPvRmT1_T2_T3_mT4_P12ihipStream_tbEUlT_E0_NS1_11comp_targetILNS1_3genE3ELNS1_11target_archE908ELNS1_3gpuE7ELNS1_3repE0EEENS1_30default_config_static_selectorELNS0_4arch9wavefront6targetE0EEEvSU_
		.amdhsa_group_segment_fixed_size 0
		.amdhsa_private_segment_fixed_size 0
		.amdhsa_kernarg_size 56
		.amdhsa_user_sgpr_count 2
		.amdhsa_user_sgpr_dispatch_ptr 0
		.amdhsa_user_sgpr_queue_ptr 0
		.amdhsa_user_sgpr_kernarg_segment_ptr 1
		.amdhsa_user_sgpr_dispatch_id 0
		.amdhsa_user_sgpr_private_segment_size 0
		.amdhsa_wavefront_size32 1
		.amdhsa_uses_dynamic_stack 0
		.amdhsa_enable_private_segment 0
		.amdhsa_system_sgpr_workgroup_id_x 1
		.amdhsa_system_sgpr_workgroup_id_y 0
		.amdhsa_system_sgpr_workgroup_id_z 0
		.amdhsa_system_sgpr_workgroup_info 0
		.amdhsa_system_vgpr_workitem_id 0
		.amdhsa_next_free_vgpr 1
		.amdhsa_next_free_sgpr 1
		.amdhsa_reserve_vcc 0
		.amdhsa_float_round_mode_32 0
		.amdhsa_float_round_mode_16_64 0
		.amdhsa_float_denorm_mode_32 3
		.amdhsa_float_denorm_mode_16_64 3
		.amdhsa_fp16_overflow 0
		.amdhsa_workgroup_processor_mode 1
		.amdhsa_memory_ordered 1
		.amdhsa_forward_progress 1
		.amdhsa_inst_pref_size 0
		.amdhsa_round_robin_scheduling 0
		.amdhsa_exception_fp_ieee_invalid_op 0
		.amdhsa_exception_fp_denorm_src 0
		.amdhsa_exception_fp_ieee_div_zero 0
		.amdhsa_exception_fp_ieee_overflow 0
		.amdhsa_exception_fp_ieee_underflow 0
		.amdhsa_exception_fp_ieee_inexact 0
		.amdhsa_exception_int_div_zero 0
	.end_amdhsa_kernel
	.section	.text._ZN7rocprim17ROCPRIM_400000_NS6detail17trampoline_kernelINS0_14default_configENS1_22reduce_config_selectorIiEEZNS1_11reduce_implILb1ES3_PiS7_iN6hipcub16HIPCUB_304000_NS6detail34convert_binary_result_type_wrapperINS9_3SumENS9_22TransformInputIteratorIbN2at6native12_GLOBAL__N_19NonZeroOpIN3c107complexINSI_4HalfEEEEEPKSL_lEEiEEEE10hipError_tPvRmT1_T2_T3_mT4_P12ihipStream_tbEUlT_E0_NS1_11comp_targetILNS1_3genE3ELNS1_11target_archE908ELNS1_3gpuE7ELNS1_3repE0EEENS1_30default_config_static_selectorELNS0_4arch9wavefront6targetE0EEEvSU_,"axG",@progbits,_ZN7rocprim17ROCPRIM_400000_NS6detail17trampoline_kernelINS0_14default_configENS1_22reduce_config_selectorIiEEZNS1_11reduce_implILb1ES3_PiS7_iN6hipcub16HIPCUB_304000_NS6detail34convert_binary_result_type_wrapperINS9_3SumENS9_22TransformInputIteratorIbN2at6native12_GLOBAL__N_19NonZeroOpIN3c107complexINSI_4HalfEEEEEPKSL_lEEiEEEE10hipError_tPvRmT1_T2_T3_mT4_P12ihipStream_tbEUlT_E0_NS1_11comp_targetILNS1_3genE3ELNS1_11target_archE908ELNS1_3gpuE7ELNS1_3repE0EEENS1_30default_config_static_selectorELNS0_4arch9wavefront6targetE0EEEvSU_,comdat
.Lfunc_end629:
	.size	_ZN7rocprim17ROCPRIM_400000_NS6detail17trampoline_kernelINS0_14default_configENS1_22reduce_config_selectorIiEEZNS1_11reduce_implILb1ES3_PiS7_iN6hipcub16HIPCUB_304000_NS6detail34convert_binary_result_type_wrapperINS9_3SumENS9_22TransformInputIteratorIbN2at6native12_GLOBAL__N_19NonZeroOpIN3c107complexINSI_4HalfEEEEEPKSL_lEEiEEEE10hipError_tPvRmT1_T2_T3_mT4_P12ihipStream_tbEUlT_E0_NS1_11comp_targetILNS1_3genE3ELNS1_11target_archE908ELNS1_3gpuE7ELNS1_3repE0EEENS1_30default_config_static_selectorELNS0_4arch9wavefront6targetE0EEEvSU_, .Lfunc_end629-_ZN7rocprim17ROCPRIM_400000_NS6detail17trampoline_kernelINS0_14default_configENS1_22reduce_config_selectorIiEEZNS1_11reduce_implILb1ES3_PiS7_iN6hipcub16HIPCUB_304000_NS6detail34convert_binary_result_type_wrapperINS9_3SumENS9_22TransformInputIteratorIbN2at6native12_GLOBAL__N_19NonZeroOpIN3c107complexINSI_4HalfEEEEEPKSL_lEEiEEEE10hipError_tPvRmT1_T2_T3_mT4_P12ihipStream_tbEUlT_E0_NS1_11comp_targetILNS1_3genE3ELNS1_11target_archE908ELNS1_3gpuE7ELNS1_3repE0EEENS1_30default_config_static_selectorELNS0_4arch9wavefront6targetE0EEEvSU_
                                        ; -- End function
	.set _ZN7rocprim17ROCPRIM_400000_NS6detail17trampoline_kernelINS0_14default_configENS1_22reduce_config_selectorIiEEZNS1_11reduce_implILb1ES3_PiS7_iN6hipcub16HIPCUB_304000_NS6detail34convert_binary_result_type_wrapperINS9_3SumENS9_22TransformInputIteratorIbN2at6native12_GLOBAL__N_19NonZeroOpIN3c107complexINSI_4HalfEEEEEPKSL_lEEiEEEE10hipError_tPvRmT1_T2_T3_mT4_P12ihipStream_tbEUlT_E0_NS1_11comp_targetILNS1_3genE3ELNS1_11target_archE908ELNS1_3gpuE7ELNS1_3repE0EEENS1_30default_config_static_selectorELNS0_4arch9wavefront6targetE0EEEvSU_.num_vgpr, 0
	.set _ZN7rocprim17ROCPRIM_400000_NS6detail17trampoline_kernelINS0_14default_configENS1_22reduce_config_selectorIiEEZNS1_11reduce_implILb1ES3_PiS7_iN6hipcub16HIPCUB_304000_NS6detail34convert_binary_result_type_wrapperINS9_3SumENS9_22TransformInputIteratorIbN2at6native12_GLOBAL__N_19NonZeroOpIN3c107complexINSI_4HalfEEEEEPKSL_lEEiEEEE10hipError_tPvRmT1_T2_T3_mT4_P12ihipStream_tbEUlT_E0_NS1_11comp_targetILNS1_3genE3ELNS1_11target_archE908ELNS1_3gpuE7ELNS1_3repE0EEENS1_30default_config_static_selectorELNS0_4arch9wavefront6targetE0EEEvSU_.num_agpr, 0
	.set _ZN7rocprim17ROCPRIM_400000_NS6detail17trampoline_kernelINS0_14default_configENS1_22reduce_config_selectorIiEEZNS1_11reduce_implILb1ES3_PiS7_iN6hipcub16HIPCUB_304000_NS6detail34convert_binary_result_type_wrapperINS9_3SumENS9_22TransformInputIteratorIbN2at6native12_GLOBAL__N_19NonZeroOpIN3c107complexINSI_4HalfEEEEEPKSL_lEEiEEEE10hipError_tPvRmT1_T2_T3_mT4_P12ihipStream_tbEUlT_E0_NS1_11comp_targetILNS1_3genE3ELNS1_11target_archE908ELNS1_3gpuE7ELNS1_3repE0EEENS1_30default_config_static_selectorELNS0_4arch9wavefront6targetE0EEEvSU_.numbered_sgpr, 0
	.set _ZN7rocprim17ROCPRIM_400000_NS6detail17trampoline_kernelINS0_14default_configENS1_22reduce_config_selectorIiEEZNS1_11reduce_implILb1ES3_PiS7_iN6hipcub16HIPCUB_304000_NS6detail34convert_binary_result_type_wrapperINS9_3SumENS9_22TransformInputIteratorIbN2at6native12_GLOBAL__N_19NonZeroOpIN3c107complexINSI_4HalfEEEEEPKSL_lEEiEEEE10hipError_tPvRmT1_T2_T3_mT4_P12ihipStream_tbEUlT_E0_NS1_11comp_targetILNS1_3genE3ELNS1_11target_archE908ELNS1_3gpuE7ELNS1_3repE0EEENS1_30default_config_static_selectorELNS0_4arch9wavefront6targetE0EEEvSU_.num_named_barrier, 0
	.set _ZN7rocprim17ROCPRIM_400000_NS6detail17trampoline_kernelINS0_14default_configENS1_22reduce_config_selectorIiEEZNS1_11reduce_implILb1ES3_PiS7_iN6hipcub16HIPCUB_304000_NS6detail34convert_binary_result_type_wrapperINS9_3SumENS9_22TransformInputIteratorIbN2at6native12_GLOBAL__N_19NonZeroOpIN3c107complexINSI_4HalfEEEEEPKSL_lEEiEEEE10hipError_tPvRmT1_T2_T3_mT4_P12ihipStream_tbEUlT_E0_NS1_11comp_targetILNS1_3genE3ELNS1_11target_archE908ELNS1_3gpuE7ELNS1_3repE0EEENS1_30default_config_static_selectorELNS0_4arch9wavefront6targetE0EEEvSU_.private_seg_size, 0
	.set _ZN7rocprim17ROCPRIM_400000_NS6detail17trampoline_kernelINS0_14default_configENS1_22reduce_config_selectorIiEEZNS1_11reduce_implILb1ES3_PiS7_iN6hipcub16HIPCUB_304000_NS6detail34convert_binary_result_type_wrapperINS9_3SumENS9_22TransformInputIteratorIbN2at6native12_GLOBAL__N_19NonZeroOpIN3c107complexINSI_4HalfEEEEEPKSL_lEEiEEEE10hipError_tPvRmT1_T2_T3_mT4_P12ihipStream_tbEUlT_E0_NS1_11comp_targetILNS1_3genE3ELNS1_11target_archE908ELNS1_3gpuE7ELNS1_3repE0EEENS1_30default_config_static_selectorELNS0_4arch9wavefront6targetE0EEEvSU_.uses_vcc, 0
	.set _ZN7rocprim17ROCPRIM_400000_NS6detail17trampoline_kernelINS0_14default_configENS1_22reduce_config_selectorIiEEZNS1_11reduce_implILb1ES3_PiS7_iN6hipcub16HIPCUB_304000_NS6detail34convert_binary_result_type_wrapperINS9_3SumENS9_22TransformInputIteratorIbN2at6native12_GLOBAL__N_19NonZeroOpIN3c107complexINSI_4HalfEEEEEPKSL_lEEiEEEE10hipError_tPvRmT1_T2_T3_mT4_P12ihipStream_tbEUlT_E0_NS1_11comp_targetILNS1_3genE3ELNS1_11target_archE908ELNS1_3gpuE7ELNS1_3repE0EEENS1_30default_config_static_selectorELNS0_4arch9wavefront6targetE0EEEvSU_.uses_flat_scratch, 0
	.set _ZN7rocprim17ROCPRIM_400000_NS6detail17trampoline_kernelINS0_14default_configENS1_22reduce_config_selectorIiEEZNS1_11reduce_implILb1ES3_PiS7_iN6hipcub16HIPCUB_304000_NS6detail34convert_binary_result_type_wrapperINS9_3SumENS9_22TransformInputIteratorIbN2at6native12_GLOBAL__N_19NonZeroOpIN3c107complexINSI_4HalfEEEEEPKSL_lEEiEEEE10hipError_tPvRmT1_T2_T3_mT4_P12ihipStream_tbEUlT_E0_NS1_11comp_targetILNS1_3genE3ELNS1_11target_archE908ELNS1_3gpuE7ELNS1_3repE0EEENS1_30default_config_static_selectorELNS0_4arch9wavefront6targetE0EEEvSU_.has_dyn_sized_stack, 0
	.set _ZN7rocprim17ROCPRIM_400000_NS6detail17trampoline_kernelINS0_14default_configENS1_22reduce_config_selectorIiEEZNS1_11reduce_implILb1ES3_PiS7_iN6hipcub16HIPCUB_304000_NS6detail34convert_binary_result_type_wrapperINS9_3SumENS9_22TransformInputIteratorIbN2at6native12_GLOBAL__N_19NonZeroOpIN3c107complexINSI_4HalfEEEEEPKSL_lEEiEEEE10hipError_tPvRmT1_T2_T3_mT4_P12ihipStream_tbEUlT_E0_NS1_11comp_targetILNS1_3genE3ELNS1_11target_archE908ELNS1_3gpuE7ELNS1_3repE0EEENS1_30default_config_static_selectorELNS0_4arch9wavefront6targetE0EEEvSU_.has_recursion, 0
	.set _ZN7rocprim17ROCPRIM_400000_NS6detail17trampoline_kernelINS0_14default_configENS1_22reduce_config_selectorIiEEZNS1_11reduce_implILb1ES3_PiS7_iN6hipcub16HIPCUB_304000_NS6detail34convert_binary_result_type_wrapperINS9_3SumENS9_22TransformInputIteratorIbN2at6native12_GLOBAL__N_19NonZeroOpIN3c107complexINSI_4HalfEEEEEPKSL_lEEiEEEE10hipError_tPvRmT1_T2_T3_mT4_P12ihipStream_tbEUlT_E0_NS1_11comp_targetILNS1_3genE3ELNS1_11target_archE908ELNS1_3gpuE7ELNS1_3repE0EEENS1_30default_config_static_selectorELNS0_4arch9wavefront6targetE0EEEvSU_.has_indirect_call, 0
	.section	.AMDGPU.csdata,"",@progbits
; Kernel info:
; codeLenInByte = 0
; TotalNumSgprs: 0
; NumVgprs: 0
; ScratchSize: 0
; MemoryBound: 0
; FloatMode: 240
; IeeeMode: 1
; LDSByteSize: 0 bytes/workgroup (compile time only)
; SGPRBlocks: 0
; VGPRBlocks: 0
; NumSGPRsForWavesPerEU: 1
; NumVGPRsForWavesPerEU: 1
; Occupancy: 16
; WaveLimiterHint : 0
; COMPUTE_PGM_RSRC2:SCRATCH_EN: 0
; COMPUTE_PGM_RSRC2:USER_SGPR: 2
; COMPUTE_PGM_RSRC2:TRAP_HANDLER: 0
; COMPUTE_PGM_RSRC2:TGID_X_EN: 1
; COMPUTE_PGM_RSRC2:TGID_Y_EN: 0
; COMPUTE_PGM_RSRC2:TGID_Z_EN: 0
; COMPUTE_PGM_RSRC2:TIDIG_COMP_CNT: 0
	.section	.text._ZN7rocprim17ROCPRIM_400000_NS6detail17trampoline_kernelINS0_14default_configENS1_22reduce_config_selectorIiEEZNS1_11reduce_implILb1ES3_PiS7_iN6hipcub16HIPCUB_304000_NS6detail34convert_binary_result_type_wrapperINS9_3SumENS9_22TransformInputIteratorIbN2at6native12_GLOBAL__N_19NonZeroOpIN3c107complexINSI_4HalfEEEEEPKSL_lEEiEEEE10hipError_tPvRmT1_T2_T3_mT4_P12ihipStream_tbEUlT_E0_NS1_11comp_targetILNS1_3genE2ELNS1_11target_archE906ELNS1_3gpuE6ELNS1_3repE0EEENS1_30default_config_static_selectorELNS0_4arch9wavefront6targetE0EEEvSU_,"axG",@progbits,_ZN7rocprim17ROCPRIM_400000_NS6detail17trampoline_kernelINS0_14default_configENS1_22reduce_config_selectorIiEEZNS1_11reduce_implILb1ES3_PiS7_iN6hipcub16HIPCUB_304000_NS6detail34convert_binary_result_type_wrapperINS9_3SumENS9_22TransformInputIteratorIbN2at6native12_GLOBAL__N_19NonZeroOpIN3c107complexINSI_4HalfEEEEEPKSL_lEEiEEEE10hipError_tPvRmT1_T2_T3_mT4_P12ihipStream_tbEUlT_E0_NS1_11comp_targetILNS1_3genE2ELNS1_11target_archE906ELNS1_3gpuE6ELNS1_3repE0EEENS1_30default_config_static_selectorELNS0_4arch9wavefront6targetE0EEEvSU_,comdat
	.globl	_ZN7rocprim17ROCPRIM_400000_NS6detail17trampoline_kernelINS0_14default_configENS1_22reduce_config_selectorIiEEZNS1_11reduce_implILb1ES3_PiS7_iN6hipcub16HIPCUB_304000_NS6detail34convert_binary_result_type_wrapperINS9_3SumENS9_22TransformInputIteratorIbN2at6native12_GLOBAL__N_19NonZeroOpIN3c107complexINSI_4HalfEEEEEPKSL_lEEiEEEE10hipError_tPvRmT1_T2_T3_mT4_P12ihipStream_tbEUlT_E0_NS1_11comp_targetILNS1_3genE2ELNS1_11target_archE906ELNS1_3gpuE6ELNS1_3repE0EEENS1_30default_config_static_selectorELNS0_4arch9wavefront6targetE0EEEvSU_ ; -- Begin function _ZN7rocprim17ROCPRIM_400000_NS6detail17trampoline_kernelINS0_14default_configENS1_22reduce_config_selectorIiEEZNS1_11reduce_implILb1ES3_PiS7_iN6hipcub16HIPCUB_304000_NS6detail34convert_binary_result_type_wrapperINS9_3SumENS9_22TransformInputIteratorIbN2at6native12_GLOBAL__N_19NonZeroOpIN3c107complexINSI_4HalfEEEEEPKSL_lEEiEEEE10hipError_tPvRmT1_T2_T3_mT4_P12ihipStream_tbEUlT_E0_NS1_11comp_targetILNS1_3genE2ELNS1_11target_archE906ELNS1_3gpuE6ELNS1_3repE0EEENS1_30default_config_static_selectorELNS0_4arch9wavefront6targetE0EEEvSU_
	.p2align	8
	.type	_ZN7rocprim17ROCPRIM_400000_NS6detail17trampoline_kernelINS0_14default_configENS1_22reduce_config_selectorIiEEZNS1_11reduce_implILb1ES3_PiS7_iN6hipcub16HIPCUB_304000_NS6detail34convert_binary_result_type_wrapperINS9_3SumENS9_22TransformInputIteratorIbN2at6native12_GLOBAL__N_19NonZeroOpIN3c107complexINSI_4HalfEEEEEPKSL_lEEiEEEE10hipError_tPvRmT1_T2_T3_mT4_P12ihipStream_tbEUlT_E0_NS1_11comp_targetILNS1_3genE2ELNS1_11target_archE906ELNS1_3gpuE6ELNS1_3repE0EEENS1_30default_config_static_selectorELNS0_4arch9wavefront6targetE0EEEvSU_,@function
_ZN7rocprim17ROCPRIM_400000_NS6detail17trampoline_kernelINS0_14default_configENS1_22reduce_config_selectorIiEEZNS1_11reduce_implILb1ES3_PiS7_iN6hipcub16HIPCUB_304000_NS6detail34convert_binary_result_type_wrapperINS9_3SumENS9_22TransformInputIteratorIbN2at6native12_GLOBAL__N_19NonZeroOpIN3c107complexINSI_4HalfEEEEEPKSL_lEEiEEEE10hipError_tPvRmT1_T2_T3_mT4_P12ihipStream_tbEUlT_E0_NS1_11comp_targetILNS1_3genE2ELNS1_11target_archE906ELNS1_3gpuE6ELNS1_3repE0EEENS1_30default_config_static_selectorELNS0_4arch9wavefront6targetE0EEEvSU_: ; @_ZN7rocprim17ROCPRIM_400000_NS6detail17trampoline_kernelINS0_14default_configENS1_22reduce_config_selectorIiEEZNS1_11reduce_implILb1ES3_PiS7_iN6hipcub16HIPCUB_304000_NS6detail34convert_binary_result_type_wrapperINS9_3SumENS9_22TransformInputIteratorIbN2at6native12_GLOBAL__N_19NonZeroOpIN3c107complexINSI_4HalfEEEEEPKSL_lEEiEEEE10hipError_tPvRmT1_T2_T3_mT4_P12ihipStream_tbEUlT_E0_NS1_11comp_targetILNS1_3genE2ELNS1_11target_archE906ELNS1_3gpuE6ELNS1_3repE0EEENS1_30default_config_static_selectorELNS0_4arch9wavefront6targetE0EEEvSU_
; %bb.0:
	.section	.rodata,"a",@progbits
	.p2align	6, 0x0
	.amdhsa_kernel _ZN7rocprim17ROCPRIM_400000_NS6detail17trampoline_kernelINS0_14default_configENS1_22reduce_config_selectorIiEEZNS1_11reduce_implILb1ES3_PiS7_iN6hipcub16HIPCUB_304000_NS6detail34convert_binary_result_type_wrapperINS9_3SumENS9_22TransformInputIteratorIbN2at6native12_GLOBAL__N_19NonZeroOpIN3c107complexINSI_4HalfEEEEEPKSL_lEEiEEEE10hipError_tPvRmT1_T2_T3_mT4_P12ihipStream_tbEUlT_E0_NS1_11comp_targetILNS1_3genE2ELNS1_11target_archE906ELNS1_3gpuE6ELNS1_3repE0EEENS1_30default_config_static_selectorELNS0_4arch9wavefront6targetE0EEEvSU_
		.amdhsa_group_segment_fixed_size 0
		.amdhsa_private_segment_fixed_size 0
		.amdhsa_kernarg_size 56
		.amdhsa_user_sgpr_count 2
		.amdhsa_user_sgpr_dispatch_ptr 0
		.amdhsa_user_sgpr_queue_ptr 0
		.amdhsa_user_sgpr_kernarg_segment_ptr 1
		.amdhsa_user_sgpr_dispatch_id 0
		.amdhsa_user_sgpr_private_segment_size 0
		.amdhsa_wavefront_size32 1
		.amdhsa_uses_dynamic_stack 0
		.amdhsa_enable_private_segment 0
		.amdhsa_system_sgpr_workgroup_id_x 1
		.amdhsa_system_sgpr_workgroup_id_y 0
		.amdhsa_system_sgpr_workgroup_id_z 0
		.amdhsa_system_sgpr_workgroup_info 0
		.amdhsa_system_vgpr_workitem_id 0
		.amdhsa_next_free_vgpr 1
		.amdhsa_next_free_sgpr 1
		.amdhsa_reserve_vcc 0
		.amdhsa_float_round_mode_32 0
		.amdhsa_float_round_mode_16_64 0
		.amdhsa_float_denorm_mode_32 3
		.amdhsa_float_denorm_mode_16_64 3
		.amdhsa_fp16_overflow 0
		.amdhsa_workgroup_processor_mode 1
		.amdhsa_memory_ordered 1
		.amdhsa_forward_progress 1
		.amdhsa_inst_pref_size 0
		.amdhsa_round_robin_scheduling 0
		.amdhsa_exception_fp_ieee_invalid_op 0
		.amdhsa_exception_fp_denorm_src 0
		.amdhsa_exception_fp_ieee_div_zero 0
		.amdhsa_exception_fp_ieee_overflow 0
		.amdhsa_exception_fp_ieee_underflow 0
		.amdhsa_exception_fp_ieee_inexact 0
		.amdhsa_exception_int_div_zero 0
	.end_amdhsa_kernel
	.section	.text._ZN7rocprim17ROCPRIM_400000_NS6detail17trampoline_kernelINS0_14default_configENS1_22reduce_config_selectorIiEEZNS1_11reduce_implILb1ES3_PiS7_iN6hipcub16HIPCUB_304000_NS6detail34convert_binary_result_type_wrapperINS9_3SumENS9_22TransformInputIteratorIbN2at6native12_GLOBAL__N_19NonZeroOpIN3c107complexINSI_4HalfEEEEEPKSL_lEEiEEEE10hipError_tPvRmT1_T2_T3_mT4_P12ihipStream_tbEUlT_E0_NS1_11comp_targetILNS1_3genE2ELNS1_11target_archE906ELNS1_3gpuE6ELNS1_3repE0EEENS1_30default_config_static_selectorELNS0_4arch9wavefront6targetE0EEEvSU_,"axG",@progbits,_ZN7rocprim17ROCPRIM_400000_NS6detail17trampoline_kernelINS0_14default_configENS1_22reduce_config_selectorIiEEZNS1_11reduce_implILb1ES3_PiS7_iN6hipcub16HIPCUB_304000_NS6detail34convert_binary_result_type_wrapperINS9_3SumENS9_22TransformInputIteratorIbN2at6native12_GLOBAL__N_19NonZeroOpIN3c107complexINSI_4HalfEEEEEPKSL_lEEiEEEE10hipError_tPvRmT1_T2_T3_mT4_P12ihipStream_tbEUlT_E0_NS1_11comp_targetILNS1_3genE2ELNS1_11target_archE906ELNS1_3gpuE6ELNS1_3repE0EEENS1_30default_config_static_selectorELNS0_4arch9wavefront6targetE0EEEvSU_,comdat
.Lfunc_end630:
	.size	_ZN7rocprim17ROCPRIM_400000_NS6detail17trampoline_kernelINS0_14default_configENS1_22reduce_config_selectorIiEEZNS1_11reduce_implILb1ES3_PiS7_iN6hipcub16HIPCUB_304000_NS6detail34convert_binary_result_type_wrapperINS9_3SumENS9_22TransformInputIteratorIbN2at6native12_GLOBAL__N_19NonZeroOpIN3c107complexINSI_4HalfEEEEEPKSL_lEEiEEEE10hipError_tPvRmT1_T2_T3_mT4_P12ihipStream_tbEUlT_E0_NS1_11comp_targetILNS1_3genE2ELNS1_11target_archE906ELNS1_3gpuE6ELNS1_3repE0EEENS1_30default_config_static_selectorELNS0_4arch9wavefront6targetE0EEEvSU_, .Lfunc_end630-_ZN7rocprim17ROCPRIM_400000_NS6detail17trampoline_kernelINS0_14default_configENS1_22reduce_config_selectorIiEEZNS1_11reduce_implILb1ES3_PiS7_iN6hipcub16HIPCUB_304000_NS6detail34convert_binary_result_type_wrapperINS9_3SumENS9_22TransformInputIteratorIbN2at6native12_GLOBAL__N_19NonZeroOpIN3c107complexINSI_4HalfEEEEEPKSL_lEEiEEEE10hipError_tPvRmT1_T2_T3_mT4_P12ihipStream_tbEUlT_E0_NS1_11comp_targetILNS1_3genE2ELNS1_11target_archE906ELNS1_3gpuE6ELNS1_3repE0EEENS1_30default_config_static_selectorELNS0_4arch9wavefront6targetE0EEEvSU_
                                        ; -- End function
	.set _ZN7rocprim17ROCPRIM_400000_NS6detail17trampoline_kernelINS0_14default_configENS1_22reduce_config_selectorIiEEZNS1_11reduce_implILb1ES3_PiS7_iN6hipcub16HIPCUB_304000_NS6detail34convert_binary_result_type_wrapperINS9_3SumENS9_22TransformInputIteratorIbN2at6native12_GLOBAL__N_19NonZeroOpIN3c107complexINSI_4HalfEEEEEPKSL_lEEiEEEE10hipError_tPvRmT1_T2_T3_mT4_P12ihipStream_tbEUlT_E0_NS1_11comp_targetILNS1_3genE2ELNS1_11target_archE906ELNS1_3gpuE6ELNS1_3repE0EEENS1_30default_config_static_selectorELNS0_4arch9wavefront6targetE0EEEvSU_.num_vgpr, 0
	.set _ZN7rocprim17ROCPRIM_400000_NS6detail17trampoline_kernelINS0_14default_configENS1_22reduce_config_selectorIiEEZNS1_11reduce_implILb1ES3_PiS7_iN6hipcub16HIPCUB_304000_NS6detail34convert_binary_result_type_wrapperINS9_3SumENS9_22TransformInputIteratorIbN2at6native12_GLOBAL__N_19NonZeroOpIN3c107complexINSI_4HalfEEEEEPKSL_lEEiEEEE10hipError_tPvRmT1_T2_T3_mT4_P12ihipStream_tbEUlT_E0_NS1_11comp_targetILNS1_3genE2ELNS1_11target_archE906ELNS1_3gpuE6ELNS1_3repE0EEENS1_30default_config_static_selectorELNS0_4arch9wavefront6targetE0EEEvSU_.num_agpr, 0
	.set _ZN7rocprim17ROCPRIM_400000_NS6detail17trampoline_kernelINS0_14default_configENS1_22reduce_config_selectorIiEEZNS1_11reduce_implILb1ES3_PiS7_iN6hipcub16HIPCUB_304000_NS6detail34convert_binary_result_type_wrapperINS9_3SumENS9_22TransformInputIteratorIbN2at6native12_GLOBAL__N_19NonZeroOpIN3c107complexINSI_4HalfEEEEEPKSL_lEEiEEEE10hipError_tPvRmT1_T2_T3_mT4_P12ihipStream_tbEUlT_E0_NS1_11comp_targetILNS1_3genE2ELNS1_11target_archE906ELNS1_3gpuE6ELNS1_3repE0EEENS1_30default_config_static_selectorELNS0_4arch9wavefront6targetE0EEEvSU_.numbered_sgpr, 0
	.set _ZN7rocprim17ROCPRIM_400000_NS6detail17trampoline_kernelINS0_14default_configENS1_22reduce_config_selectorIiEEZNS1_11reduce_implILb1ES3_PiS7_iN6hipcub16HIPCUB_304000_NS6detail34convert_binary_result_type_wrapperINS9_3SumENS9_22TransformInputIteratorIbN2at6native12_GLOBAL__N_19NonZeroOpIN3c107complexINSI_4HalfEEEEEPKSL_lEEiEEEE10hipError_tPvRmT1_T2_T3_mT4_P12ihipStream_tbEUlT_E0_NS1_11comp_targetILNS1_3genE2ELNS1_11target_archE906ELNS1_3gpuE6ELNS1_3repE0EEENS1_30default_config_static_selectorELNS0_4arch9wavefront6targetE0EEEvSU_.num_named_barrier, 0
	.set _ZN7rocprim17ROCPRIM_400000_NS6detail17trampoline_kernelINS0_14default_configENS1_22reduce_config_selectorIiEEZNS1_11reduce_implILb1ES3_PiS7_iN6hipcub16HIPCUB_304000_NS6detail34convert_binary_result_type_wrapperINS9_3SumENS9_22TransformInputIteratorIbN2at6native12_GLOBAL__N_19NonZeroOpIN3c107complexINSI_4HalfEEEEEPKSL_lEEiEEEE10hipError_tPvRmT1_T2_T3_mT4_P12ihipStream_tbEUlT_E0_NS1_11comp_targetILNS1_3genE2ELNS1_11target_archE906ELNS1_3gpuE6ELNS1_3repE0EEENS1_30default_config_static_selectorELNS0_4arch9wavefront6targetE0EEEvSU_.private_seg_size, 0
	.set _ZN7rocprim17ROCPRIM_400000_NS6detail17trampoline_kernelINS0_14default_configENS1_22reduce_config_selectorIiEEZNS1_11reduce_implILb1ES3_PiS7_iN6hipcub16HIPCUB_304000_NS6detail34convert_binary_result_type_wrapperINS9_3SumENS9_22TransformInputIteratorIbN2at6native12_GLOBAL__N_19NonZeroOpIN3c107complexINSI_4HalfEEEEEPKSL_lEEiEEEE10hipError_tPvRmT1_T2_T3_mT4_P12ihipStream_tbEUlT_E0_NS1_11comp_targetILNS1_3genE2ELNS1_11target_archE906ELNS1_3gpuE6ELNS1_3repE0EEENS1_30default_config_static_selectorELNS0_4arch9wavefront6targetE0EEEvSU_.uses_vcc, 0
	.set _ZN7rocprim17ROCPRIM_400000_NS6detail17trampoline_kernelINS0_14default_configENS1_22reduce_config_selectorIiEEZNS1_11reduce_implILb1ES3_PiS7_iN6hipcub16HIPCUB_304000_NS6detail34convert_binary_result_type_wrapperINS9_3SumENS9_22TransformInputIteratorIbN2at6native12_GLOBAL__N_19NonZeroOpIN3c107complexINSI_4HalfEEEEEPKSL_lEEiEEEE10hipError_tPvRmT1_T2_T3_mT4_P12ihipStream_tbEUlT_E0_NS1_11comp_targetILNS1_3genE2ELNS1_11target_archE906ELNS1_3gpuE6ELNS1_3repE0EEENS1_30default_config_static_selectorELNS0_4arch9wavefront6targetE0EEEvSU_.uses_flat_scratch, 0
	.set _ZN7rocprim17ROCPRIM_400000_NS6detail17trampoline_kernelINS0_14default_configENS1_22reduce_config_selectorIiEEZNS1_11reduce_implILb1ES3_PiS7_iN6hipcub16HIPCUB_304000_NS6detail34convert_binary_result_type_wrapperINS9_3SumENS9_22TransformInputIteratorIbN2at6native12_GLOBAL__N_19NonZeroOpIN3c107complexINSI_4HalfEEEEEPKSL_lEEiEEEE10hipError_tPvRmT1_T2_T3_mT4_P12ihipStream_tbEUlT_E0_NS1_11comp_targetILNS1_3genE2ELNS1_11target_archE906ELNS1_3gpuE6ELNS1_3repE0EEENS1_30default_config_static_selectorELNS0_4arch9wavefront6targetE0EEEvSU_.has_dyn_sized_stack, 0
	.set _ZN7rocprim17ROCPRIM_400000_NS6detail17trampoline_kernelINS0_14default_configENS1_22reduce_config_selectorIiEEZNS1_11reduce_implILb1ES3_PiS7_iN6hipcub16HIPCUB_304000_NS6detail34convert_binary_result_type_wrapperINS9_3SumENS9_22TransformInputIteratorIbN2at6native12_GLOBAL__N_19NonZeroOpIN3c107complexINSI_4HalfEEEEEPKSL_lEEiEEEE10hipError_tPvRmT1_T2_T3_mT4_P12ihipStream_tbEUlT_E0_NS1_11comp_targetILNS1_3genE2ELNS1_11target_archE906ELNS1_3gpuE6ELNS1_3repE0EEENS1_30default_config_static_selectorELNS0_4arch9wavefront6targetE0EEEvSU_.has_recursion, 0
	.set _ZN7rocprim17ROCPRIM_400000_NS6detail17trampoline_kernelINS0_14default_configENS1_22reduce_config_selectorIiEEZNS1_11reduce_implILb1ES3_PiS7_iN6hipcub16HIPCUB_304000_NS6detail34convert_binary_result_type_wrapperINS9_3SumENS9_22TransformInputIteratorIbN2at6native12_GLOBAL__N_19NonZeroOpIN3c107complexINSI_4HalfEEEEEPKSL_lEEiEEEE10hipError_tPvRmT1_T2_T3_mT4_P12ihipStream_tbEUlT_E0_NS1_11comp_targetILNS1_3genE2ELNS1_11target_archE906ELNS1_3gpuE6ELNS1_3repE0EEENS1_30default_config_static_selectorELNS0_4arch9wavefront6targetE0EEEvSU_.has_indirect_call, 0
	.section	.AMDGPU.csdata,"",@progbits
; Kernel info:
; codeLenInByte = 0
; TotalNumSgprs: 0
; NumVgprs: 0
; ScratchSize: 0
; MemoryBound: 0
; FloatMode: 240
; IeeeMode: 1
; LDSByteSize: 0 bytes/workgroup (compile time only)
; SGPRBlocks: 0
; VGPRBlocks: 0
; NumSGPRsForWavesPerEU: 1
; NumVGPRsForWavesPerEU: 1
; Occupancy: 16
; WaveLimiterHint : 0
; COMPUTE_PGM_RSRC2:SCRATCH_EN: 0
; COMPUTE_PGM_RSRC2:USER_SGPR: 2
; COMPUTE_PGM_RSRC2:TRAP_HANDLER: 0
; COMPUTE_PGM_RSRC2:TGID_X_EN: 1
; COMPUTE_PGM_RSRC2:TGID_Y_EN: 0
; COMPUTE_PGM_RSRC2:TGID_Z_EN: 0
; COMPUTE_PGM_RSRC2:TIDIG_COMP_CNT: 0
	.section	.text._ZN7rocprim17ROCPRIM_400000_NS6detail17trampoline_kernelINS0_14default_configENS1_22reduce_config_selectorIiEEZNS1_11reduce_implILb1ES3_PiS7_iN6hipcub16HIPCUB_304000_NS6detail34convert_binary_result_type_wrapperINS9_3SumENS9_22TransformInputIteratorIbN2at6native12_GLOBAL__N_19NonZeroOpIN3c107complexINSI_4HalfEEEEEPKSL_lEEiEEEE10hipError_tPvRmT1_T2_T3_mT4_P12ihipStream_tbEUlT_E0_NS1_11comp_targetILNS1_3genE10ELNS1_11target_archE1201ELNS1_3gpuE5ELNS1_3repE0EEENS1_30default_config_static_selectorELNS0_4arch9wavefront6targetE0EEEvSU_,"axG",@progbits,_ZN7rocprim17ROCPRIM_400000_NS6detail17trampoline_kernelINS0_14default_configENS1_22reduce_config_selectorIiEEZNS1_11reduce_implILb1ES3_PiS7_iN6hipcub16HIPCUB_304000_NS6detail34convert_binary_result_type_wrapperINS9_3SumENS9_22TransformInputIteratorIbN2at6native12_GLOBAL__N_19NonZeroOpIN3c107complexINSI_4HalfEEEEEPKSL_lEEiEEEE10hipError_tPvRmT1_T2_T3_mT4_P12ihipStream_tbEUlT_E0_NS1_11comp_targetILNS1_3genE10ELNS1_11target_archE1201ELNS1_3gpuE5ELNS1_3repE0EEENS1_30default_config_static_selectorELNS0_4arch9wavefront6targetE0EEEvSU_,comdat
	.globl	_ZN7rocprim17ROCPRIM_400000_NS6detail17trampoline_kernelINS0_14default_configENS1_22reduce_config_selectorIiEEZNS1_11reduce_implILb1ES3_PiS7_iN6hipcub16HIPCUB_304000_NS6detail34convert_binary_result_type_wrapperINS9_3SumENS9_22TransformInputIteratorIbN2at6native12_GLOBAL__N_19NonZeroOpIN3c107complexINSI_4HalfEEEEEPKSL_lEEiEEEE10hipError_tPvRmT1_T2_T3_mT4_P12ihipStream_tbEUlT_E0_NS1_11comp_targetILNS1_3genE10ELNS1_11target_archE1201ELNS1_3gpuE5ELNS1_3repE0EEENS1_30default_config_static_selectorELNS0_4arch9wavefront6targetE0EEEvSU_ ; -- Begin function _ZN7rocprim17ROCPRIM_400000_NS6detail17trampoline_kernelINS0_14default_configENS1_22reduce_config_selectorIiEEZNS1_11reduce_implILb1ES3_PiS7_iN6hipcub16HIPCUB_304000_NS6detail34convert_binary_result_type_wrapperINS9_3SumENS9_22TransformInputIteratorIbN2at6native12_GLOBAL__N_19NonZeroOpIN3c107complexINSI_4HalfEEEEEPKSL_lEEiEEEE10hipError_tPvRmT1_T2_T3_mT4_P12ihipStream_tbEUlT_E0_NS1_11comp_targetILNS1_3genE10ELNS1_11target_archE1201ELNS1_3gpuE5ELNS1_3repE0EEENS1_30default_config_static_selectorELNS0_4arch9wavefront6targetE0EEEvSU_
	.p2align	8
	.type	_ZN7rocprim17ROCPRIM_400000_NS6detail17trampoline_kernelINS0_14default_configENS1_22reduce_config_selectorIiEEZNS1_11reduce_implILb1ES3_PiS7_iN6hipcub16HIPCUB_304000_NS6detail34convert_binary_result_type_wrapperINS9_3SumENS9_22TransformInputIteratorIbN2at6native12_GLOBAL__N_19NonZeroOpIN3c107complexINSI_4HalfEEEEEPKSL_lEEiEEEE10hipError_tPvRmT1_T2_T3_mT4_P12ihipStream_tbEUlT_E0_NS1_11comp_targetILNS1_3genE10ELNS1_11target_archE1201ELNS1_3gpuE5ELNS1_3repE0EEENS1_30default_config_static_selectorELNS0_4arch9wavefront6targetE0EEEvSU_,@function
_ZN7rocprim17ROCPRIM_400000_NS6detail17trampoline_kernelINS0_14default_configENS1_22reduce_config_selectorIiEEZNS1_11reduce_implILb1ES3_PiS7_iN6hipcub16HIPCUB_304000_NS6detail34convert_binary_result_type_wrapperINS9_3SumENS9_22TransformInputIteratorIbN2at6native12_GLOBAL__N_19NonZeroOpIN3c107complexINSI_4HalfEEEEEPKSL_lEEiEEEE10hipError_tPvRmT1_T2_T3_mT4_P12ihipStream_tbEUlT_E0_NS1_11comp_targetILNS1_3genE10ELNS1_11target_archE1201ELNS1_3gpuE5ELNS1_3repE0EEENS1_30default_config_static_selectorELNS0_4arch9wavefront6targetE0EEEvSU_: ; @_ZN7rocprim17ROCPRIM_400000_NS6detail17trampoline_kernelINS0_14default_configENS1_22reduce_config_selectorIiEEZNS1_11reduce_implILb1ES3_PiS7_iN6hipcub16HIPCUB_304000_NS6detail34convert_binary_result_type_wrapperINS9_3SumENS9_22TransformInputIteratorIbN2at6native12_GLOBAL__N_19NonZeroOpIN3c107complexINSI_4HalfEEEEEPKSL_lEEiEEEE10hipError_tPvRmT1_T2_T3_mT4_P12ihipStream_tbEUlT_E0_NS1_11comp_targetILNS1_3genE10ELNS1_11target_archE1201ELNS1_3gpuE5ELNS1_3repE0EEENS1_30default_config_static_selectorELNS0_4arch9wavefront6targetE0EEEvSU_
; %bb.0:
	s_clause 0x1
	s_load_b256 s[12:19], s[0:1], 0x0
	s_load_b128 s[20:23], s[0:1], 0x20
	s_lshl_b32 s2, ttmp9, 12
	s_mov_b32 s3, 0
	v_mbcnt_lo_u32_b32 v18, -1, 0
	v_lshlrev_b32_e32 v19, 2, v0
	s_mov_b32 s24, ttmp9
	s_mov_b32 s25, s3
	s_lshl_b64 s[8:9], s[2:3], 2
	s_wait_kmcnt 0x0
	s_lshl_b64 s[4:5], s[14:15], 2
	s_lshr_b64 s[6:7], s[16:17], 12
	s_add_nc_u64 s[4:5], s[12:13], s[4:5]
	s_cmp_lg_u64 s[6:7], s[24:25]
	s_add_nc_u64 s[26:27], s[4:5], s[8:9]
	s_cbranch_scc0 .LBB631_6
; %bb.1:
	s_clause 0xf
	global_load_b32 v1, v19, s[26:27]
	global_load_b32 v2, v19, s[26:27] offset:1024
	global_load_b32 v3, v19, s[26:27] offset:2048
	;; [unrolled: 1-line block ×15, first 2 shown]
	s_mov_b32 s3, exec_lo
	s_wait_loadcnt 0xe
	v_add_nc_u32_e32 v1, v2, v1
	s_wait_loadcnt 0xc
	s_delay_alu instid0(VALU_DEP_1) | instskip(SKIP_1) | instid1(VALU_DEP_1)
	v_add3_u32 v1, v1, v3, v4
	s_wait_loadcnt 0xa
	v_add3_u32 v1, v1, v5, v6
	s_wait_loadcnt 0x8
	s_delay_alu instid0(VALU_DEP_1) | instskip(SKIP_1) | instid1(VALU_DEP_1)
	v_add3_u32 v1, v1, v7, v8
	s_wait_loadcnt 0x6
	v_add3_u32 v1, v1, v9, v10
	;; [unrolled: 5-line block ×3, first 2 shown]
	s_wait_loadcnt 0x0
	s_delay_alu instid0(VALU_DEP_1) | instskip(NEXT) | instid1(VALU_DEP_1)
	v_add3_u32 v1, v1, v15, v16
	v_mov_b32_dpp v2, v1 quad_perm:[1,0,3,2] row_mask:0xf bank_mask:0xf
	s_delay_alu instid0(VALU_DEP_1) | instskip(NEXT) | instid1(VALU_DEP_1)
	v_add_nc_u32_e32 v1, v2, v1
	v_mov_b32_dpp v2, v1 quad_perm:[2,3,0,1] row_mask:0xf bank_mask:0xf
	s_delay_alu instid0(VALU_DEP_1) | instskip(NEXT) | instid1(VALU_DEP_1)
	v_add_nc_u32_e32 v1, v1, v2
	v_mov_b32_dpp v2, v1 row_ror:4 row_mask:0xf bank_mask:0xf
	s_delay_alu instid0(VALU_DEP_1) | instskip(NEXT) | instid1(VALU_DEP_1)
	v_add_nc_u32_e32 v1, v1, v2
	v_mov_b32_dpp v2, v1 row_ror:8 row_mask:0xf bank_mask:0xf
	s_delay_alu instid0(VALU_DEP_1)
	v_add_nc_u32_e32 v1, v1, v2
	ds_swizzle_b32 v2, v1 offset:swizzle(BROADCAST,32,15)
	s_wait_dscnt 0x0
	v_dual_mov_b32 v2, 0 :: v_dual_add_nc_u32 v1, v1, v2
	ds_bpermute_b32 v1, v2, v1 offset:124
	v_cmpx_eq_u32_e32 0, v18
	s_cbranch_execz .LBB631_3
; %bb.2:
	v_lshrrev_b32_e32 v2, 3, v0
	s_delay_alu instid0(VALU_DEP_1)
	v_and_b32_e32 v2, 28, v2
	s_wait_dscnt 0x0
	ds_store_b32 v2, v1
.LBB631_3:
	s_or_b32 exec_lo, exec_lo, s3
	s_delay_alu instid0(SALU_CYCLE_1)
	s_mov_b32 s3, exec_lo
	s_wait_dscnt 0x0
	s_barrier_signal -1
	s_barrier_wait -1
	global_inv scope:SCOPE_SE
	v_cmpx_gt_u32_e32 32, v0
	s_cbranch_execz .LBB631_5
; %bb.4:
	v_and_b32_e32 v1, 7, v18
	s_delay_alu instid0(VALU_DEP_1) | instskip(SKIP_4) | instid1(VALU_DEP_2)
	v_lshlrev_b32_e32 v2, 2, v1
	v_cmp_ne_u32_e32 vcc_lo, 7, v1
	ds_load_b32 v2, v2
	v_add_co_ci_u32_e64 v3, null, 0, v18, vcc_lo
	v_cmp_gt_u32_e32 vcc_lo, 6, v1
	v_lshlrev_b32_e32 v3, 2, v3
	s_wait_alu 0xfffd
	v_cndmask_b32_e64 v1, 0, 2, vcc_lo
	s_delay_alu instid0(VALU_DEP_1)
	v_add_lshl_u32 v1, v1, v18, 2
	s_wait_dscnt 0x0
	ds_bpermute_b32 v3, v3, v2
	s_wait_dscnt 0x0
	v_add_nc_u32_e32 v2, v3, v2
	v_lshlrev_b32_e32 v3, 2, v18
	ds_bpermute_b32 v1, v1, v2
	s_wait_dscnt 0x0
	v_add_nc_u32_e32 v1, v1, v2
	v_or_b32_e32 v2, 16, v3
	ds_bpermute_b32 v2, v2, v1
	s_wait_dscnt 0x0
	v_add_nc_u32_e32 v1, v2, v1
.LBB631_5:
	s_or_b32 exec_lo, exec_lo, s3
	s_branch .LBB631_44
.LBB631_6:
                                        ; implicit-def: $vgpr1
	s_cbranch_execz .LBB631_44
; %bb.7:
	v_mov_b32_e32 v1, 0
	s_sub_co_i32 s28, s16, s2
	s_mov_b32 s2, exec_lo
	s_delay_alu instid0(VALU_DEP_1)
	v_dual_mov_b32 v2, v1 :: v_dual_mov_b32 v3, v1
	v_dual_mov_b32 v4, v1 :: v_dual_mov_b32 v5, v1
	;; [unrolled: 1-line block ×7, first 2 shown]
	v_mov_b32_e32 v16, v1
	v_cmpx_gt_u32_e64 s28, v0
	s_cbranch_execz .LBB631_9
; %bb.8:
	global_load_b32 v2, v19, s[26:27]
	v_mov_b32_e32 v17, v1
	v_dual_mov_b32 v3, v1 :: v_dual_mov_b32 v4, v1
	v_dual_mov_b32 v5, v1 :: v_dual_mov_b32 v6, v1
	;; [unrolled: 1-line block ×7, first 2 shown]
	s_wait_loadcnt 0x0
	v_mov_b32_e32 v1, v2
	v_mov_b32_e32 v2, v3
	;; [unrolled: 1-line block ×16, first 2 shown]
.LBB631_9:
	s_or_b32 exec_lo, exec_lo, s2
	v_or_b32_e32 v17, 0x100, v0
	s_delay_alu instid0(VALU_DEP_1)
	v_cmp_gt_u32_e32 vcc_lo, s28, v17
	s_and_saveexec_b32 s2, vcc_lo
	s_cbranch_execz .LBB631_11
; %bb.10:
	global_load_b32 v2, v19, s[26:27] offset:1024
.LBB631_11:
	s_or_b32 exec_lo, exec_lo, s2
	v_or_b32_e32 v17, 0x200, v0
	s_delay_alu instid0(VALU_DEP_1)
	v_cmp_gt_u32_e64 s2, s28, v17
	s_and_saveexec_b32 s3, s2
	s_cbranch_execz .LBB631_13
; %bb.12:
	global_load_b32 v3, v19, s[26:27] offset:2048
.LBB631_13:
	s_or_b32 exec_lo, exec_lo, s3
	v_or_b32_e32 v17, 0x300, v0
	s_delay_alu instid0(VALU_DEP_1)
	v_cmp_gt_u32_e64 s3, s28, v17
	s_and_saveexec_b32 s4, s3
	;; [unrolled: 9-line block ×14, first 2 shown]
	s_cbranch_execz .LBB631_39
; %bb.38:
	global_load_b32 v16, v19, s[26:27] offset:15360
.LBB631_39:
	s_wait_alu 0xfffe
	s_or_b32 exec_lo, exec_lo, s29
	s_wait_loadcnt 0x0
	v_cndmask_b32_e32 v2, 0, v2, vcc_lo
	v_cndmask_b32_e64 v3, 0, v3, s2
	v_cndmask_b32_e64 v4, 0, v4, s3
	v_cmp_ne_u32_e32 vcc_lo, 31, v18
	s_min_u32 s2, s28, 0x100
	v_add_nc_u32_e32 v1, v2, v1
	v_cndmask_b32_e64 v2, 0, v5, s4
	v_cndmask_b32_e64 v5, 0, v6, s5
	;; [unrolled: 1-line block ×3, first 2 shown]
	s_mov_b32 s3, exec_lo
	v_add3_u32 v1, v1, v3, v4
	v_cndmask_b32_e64 v3, 0, v7, s6
	v_cndmask_b32_e64 v4, 0, v8, s7
	s_delay_alu instid0(VALU_DEP_3) | instskip(SKIP_2) | instid1(VALU_DEP_3)
	v_add3_u32 v1, v1, v2, v5
	v_cndmask_b32_e64 v2, 0, v9, s8
	v_cndmask_b32_e64 v5, 0, v10, s9
	v_add3_u32 v1, v1, v3, v4
	v_cndmask_b32_e64 v3, 0, v11, s10
	v_cndmask_b32_e64 v4, 0, v12, s11
	s_delay_alu instid0(VALU_DEP_3) | instskip(SKIP_2) | instid1(VALU_DEP_3)
	v_add3_u32 v1, v1, v2, v5
	v_cndmask_b32_e64 v2, 0, v13, s12
	v_cndmask_b32_e64 v5, 0, v14, s13
	v_add3_u32 v1, v1, v3, v4
	v_cndmask_b32_e64 v3, 0, v16, s15
	s_wait_alu 0xfffd
	v_add_co_ci_u32_e64 v4, null, 0, v18, vcc_lo
	v_cmp_gt_u32_e32 vcc_lo, 30, v18
	v_add3_u32 v1, v1, v2, v5
	s_delay_alu instid0(VALU_DEP_3)
	v_lshlrev_b32_e32 v2, 2, v4
	v_add_nc_u32_e32 v4, 1, v18
	s_wait_alu 0xfffd
	v_cndmask_b32_e64 v5, 0, 2, vcc_lo
	v_add3_u32 v1, v1, v6, v3
	v_and_b32_e32 v3, 0xe0, v0
	ds_bpermute_b32 v2, v2, v1
	s_wait_alu 0xfffe
	v_sub_nc_u32_e64 v3, s2, v3 clamp
	s_delay_alu instid0(VALU_DEP_1)
	v_cmp_lt_u32_e32 vcc_lo, v4, v3
	v_add_lshl_u32 v4, v5, v18, 2
	s_wait_dscnt 0x0
	s_wait_alu 0xfffd
	v_cndmask_b32_e32 v2, 0, v2, vcc_lo
	v_cmp_gt_u32_e32 vcc_lo, 28, v18
	s_delay_alu instid0(VALU_DEP_2) | instskip(SKIP_4) | instid1(VALU_DEP_1)
	v_add_nc_u32_e32 v1, v1, v2
	s_wait_alu 0xfffd
	v_cndmask_b32_e64 v5, 0, 4, vcc_lo
	ds_bpermute_b32 v2, v4, v1
	v_add_nc_u32_e32 v4, 2, v18
	v_cmp_lt_u32_e32 vcc_lo, v4, v3
	v_add_lshl_u32 v4, v5, v18, 2
	s_wait_dscnt 0x0
	s_wait_alu 0xfffd
	v_cndmask_b32_e32 v2, 0, v2, vcc_lo
	v_cmp_gt_u32_e32 vcc_lo, 24, v18
	s_delay_alu instid0(VALU_DEP_2) | instskip(SKIP_4) | instid1(VALU_DEP_1)
	v_add_nc_u32_e32 v1, v1, v2
	s_wait_alu 0xfffd
	v_cndmask_b32_e64 v5, 0, 8, vcc_lo
	ds_bpermute_b32 v2, v4, v1
	v_add_nc_u32_e32 v4, 4, v18
	v_cmp_lt_u32_e32 vcc_lo, v4, v3
	v_add_lshl_u32 v4, v5, v18, 2
	v_add_nc_u32_e32 v5, 8, v18
	s_wait_dscnt 0x0
	s_wait_alu 0xfffd
	v_cndmask_b32_e32 v2, 0, v2, vcc_lo
	s_delay_alu instid0(VALU_DEP_2) | instskip(NEXT) | instid1(VALU_DEP_2)
	v_cmp_lt_u32_e32 vcc_lo, v5, v3
	v_add_nc_u32_e32 v1, v1, v2
	v_lshlrev_b32_e32 v2, 2, v18
	ds_bpermute_b32 v4, v4, v1
	v_or_b32_e32 v5, 64, v2
	s_wait_dscnt 0x0
	s_wait_alu 0xfffd
	v_cndmask_b32_e32 v4, 0, v4, vcc_lo
	s_delay_alu instid0(VALU_DEP_1) | instskip(SKIP_2) | instid1(VALU_DEP_1)
	v_add_nc_u32_e32 v1, v1, v4
	ds_bpermute_b32 v4, v5, v1
	v_add_nc_u32_e32 v5, 16, v18
	v_cmp_lt_u32_e32 vcc_lo, v5, v3
	s_wait_dscnt 0x0
	s_wait_alu 0xfffd
	v_cndmask_b32_e32 v3, 0, v4, vcc_lo
	s_delay_alu instid0(VALU_DEP_1)
	v_add_nc_u32_e32 v1, v1, v3
	v_cmpx_eq_u32_e32 0, v18
; %bb.40:
	v_lshrrev_b32_e32 v3, 3, v0
	s_delay_alu instid0(VALU_DEP_1)
	v_and_b32_e32 v3, 28, v3
	ds_store_b32 v3, v1 offset:32
; %bb.41:
	s_or_b32 exec_lo, exec_lo, s3
	s_delay_alu instid0(SALU_CYCLE_1)
	s_mov_b32 s3, exec_lo
	s_wait_dscnt 0x0
	s_barrier_signal -1
	s_barrier_wait -1
	global_inv scope:SCOPE_SE
	v_cmpx_gt_u32_e32 8, v0
	s_cbranch_execz .LBB631_43
; %bb.42:
	ds_load_b32 v1, v2 offset:32
	v_and_b32_e32 v3, 7, v18
	s_add_co_i32 s2, s2, 31
	v_or_b32_e32 v2, 16, v2
	s_wait_alu 0xfffe
	s_lshr_b32 s2, s2, 5
	v_cmp_ne_u32_e32 vcc_lo, 7, v3
	v_add_nc_u32_e32 v5, 1, v3
	s_wait_alu 0xfffd
	v_add_co_ci_u32_e64 v4, null, 0, v18, vcc_lo
	v_cmp_gt_u32_e32 vcc_lo, 6, v3
	s_delay_alu instid0(VALU_DEP_2)
	v_lshlrev_b32_e32 v4, 2, v4
	s_wait_alu 0xfffd
	v_cndmask_b32_e64 v6, 0, 2, vcc_lo
	s_wait_alu 0xfffe
	v_cmp_gt_u32_e32 vcc_lo, s2, v5
	s_wait_dscnt 0x0
	ds_bpermute_b32 v4, v4, v1
	v_add_lshl_u32 v5, v6, v18, 2
	s_wait_dscnt 0x0
	s_wait_alu 0xfffd
	v_cndmask_b32_e32 v4, 0, v4, vcc_lo
	s_delay_alu instid0(VALU_DEP_1) | instskip(SKIP_3) | instid1(VALU_DEP_2)
	v_add_nc_u32_e32 v1, v4, v1
	ds_bpermute_b32 v4, v5, v1
	v_add_nc_u32_e32 v5, 2, v3
	v_add_nc_u32_e32 v3, 4, v3
	v_cmp_gt_u32_e32 vcc_lo, s2, v5
	s_wait_dscnt 0x0
	s_wait_alu 0xfffd
	v_cndmask_b32_e32 v4, 0, v4, vcc_lo
	v_cmp_gt_u32_e32 vcc_lo, s2, v3
	s_delay_alu instid0(VALU_DEP_2) | instskip(SKIP_4) | instid1(VALU_DEP_1)
	v_add_nc_u32_e32 v1, v1, v4
	ds_bpermute_b32 v2, v2, v1
	s_wait_dscnt 0x0
	s_wait_alu 0xfffd
	v_cndmask_b32_e32 v2, 0, v2, vcc_lo
	v_add_nc_u32_e32 v1, v1, v2
.LBB631_43:
	s_wait_alu 0xfffe
	s_or_b32 exec_lo, exec_lo, s3
.LBB631_44:
	s_load_b32 s0, s[0:1], 0x30
	s_mov_b32 s1, exec_lo
	v_cmpx_eq_u32_e32 0, v0
	s_cbranch_execz .LBB631_46
; %bb.45:
	s_mul_u64 s[2:3], s[22:23], s[20:21]
	s_wait_alu 0xfffe
	s_lshl_b64 s[2:3], s[2:3], 2
	s_cmp_eq_u64 s[16:17], 0
	s_wait_alu 0xfffe
	s_add_nc_u64 s[2:3], s[18:19], s[2:3]
	s_cselect_b32 s1, -1, 0
	s_wait_kmcnt 0x0
	v_cndmask_b32_e64 v0, v1, s0, s1
	v_mov_b32_e32 v1, 0
	s_lshl_b64 s[0:1], s[24:25], 2
	s_wait_alu 0xfffe
	s_add_nc_u64 s[0:1], s[2:3], s[0:1]
	global_store_b32 v1, v0, s[0:1]
.LBB631_46:
	s_endpgm
	.section	.rodata,"a",@progbits
	.p2align	6, 0x0
	.amdhsa_kernel _ZN7rocprim17ROCPRIM_400000_NS6detail17trampoline_kernelINS0_14default_configENS1_22reduce_config_selectorIiEEZNS1_11reduce_implILb1ES3_PiS7_iN6hipcub16HIPCUB_304000_NS6detail34convert_binary_result_type_wrapperINS9_3SumENS9_22TransformInputIteratorIbN2at6native12_GLOBAL__N_19NonZeroOpIN3c107complexINSI_4HalfEEEEEPKSL_lEEiEEEE10hipError_tPvRmT1_T2_T3_mT4_P12ihipStream_tbEUlT_E0_NS1_11comp_targetILNS1_3genE10ELNS1_11target_archE1201ELNS1_3gpuE5ELNS1_3repE0EEENS1_30default_config_static_selectorELNS0_4arch9wavefront6targetE0EEEvSU_
		.amdhsa_group_segment_fixed_size 64
		.amdhsa_private_segment_fixed_size 0
		.amdhsa_kernarg_size 56
		.amdhsa_user_sgpr_count 2
		.amdhsa_user_sgpr_dispatch_ptr 0
		.amdhsa_user_sgpr_queue_ptr 0
		.amdhsa_user_sgpr_kernarg_segment_ptr 1
		.amdhsa_user_sgpr_dispatch_id 0
		.amdhsa_user_sgpr_private_segment_size 0
		.amdhsa_wavefront_size32 1
		.amdhsa_uses_dynamic_stack 0
		.amdhsa_enable_private_segment 0
		.amdhsa_system_sgpr_workgroup_id_x 1
		.amdhsa_system_sgpr_workgroup_id_y 0
		.amdhsa_system_sgpr_workgroup_id_z 0
		.amdhsa_system_sgpr_workgroup_info 0
		.amdhsa_system_vgpr_workitem_id 0
		.amdhsa_next_free_vgpr 20
		.amdhsa_next_free_sgpr 30
		.amdhsa_reserve_vcc 1
		.amdhsa_float_round_mode_32 0
		.amdhsa_float_round_mode_16_64 0
		.amdhsa_float_denorm_mode_32 3
		.amdhsa_float_denorm_mode_16_64 3
		.amdhsa_fp16_overflow 0
		.amdhsa_workgroup_processor_mode 1
		.amdhsa_memory_ordered 1
		.amdhsa_forward_progress 1
		.amdhsa_inst_pref_size 20
		.amdhsa_round_robin_scheduling 0
		.amdhsa_exception_fp_ieee_invalid_op 0
		.amdhsa_exception_fp_denorm_src 0
		.amdhsa_exception_fp_ieee_div_zero 0
		.amdhsa_exception_fp_ieee_overflow 0
		.amdhsa_exception_fp_ieee_underflow 0
		.amdhsa_exception_fp_ieee_inexact 0
		.amdhsa_exception_int_div_zero 0
	.end_amdhsa_kernel
	.section	.text._ZN7rocprim17ROCPRIM_400000_NS6detail17trampoline_kernelINS0_14default_configENS1_22reduce_config_selectorIiEEZNS1_11reduce_implILb1ES3_PiS7_iN6hipcub16HIPCUB_304000_NS6detail34convert_binary_result_type_wrapperINS9_3SumENS9_22TransformInputIteratorIbN2at6native12_GLOBAL__N_19NonZeroOpIN3c107complexINSI_4HalfEEEEEPKSL_lEEiEEEE10hipError_tPvRmT1_T2_T3_mT4_P12ihipStream_tbEUlT_E0_NS1_11comp_targetILNS1_3genE10ELNS1_11target_archE1201ELNS1_3gpuE5ELNS1_3repE0EEENS1_30default_config_static_selectorELNS0_4arch9wavefront6targetE0EEEvSU_,"axG",@progbits,_ZN7rocprim17ROCPRIM_400000_NS6detail17trampoline_kernelINS0_14default_configENS1_22reduce_config_selectorIiEEZNS1_11reduce_implILb1ES3_PiS7_iN6hipcub16HIPCUB_304000_NS6detail34convert_binary_result_type_wrapperINS9_3SumENS9_22TransformInputIteratorIbN2at6native12_GLOBAL__N_19NonZeroOpIN3c107complexINSI_4HalfEEEEEPKSL_lEEiEEEE10hipError_tPvRmT1_T2_T3_mT4_P12ihipStream_tbEUlT_E0_NS1_11comp_targetILNS1_3genE10ELNS1_11target_archE1201ELNS1_3gpuE5ELNS1_3repE0EEENS1_30default_config_static_selectorELNS0_4arch9wavefront6targetE0EEEvSU_,comdat
.Lfunc_end631:
	.size	_ZN7rocprim17ROCPRIM_400000_NS6detail17trampoline_kernelINS0_14default_configENS1_22reduce_config_selectorIiEEZNS1_11reduce_implILb1ES3_PiS7_iN6hipcub16HIPCUB_304000_NS6detail34convert_binary_result_type_wrapperINS9_3SumENS9_22TransformInputIteratorIbN2at6native12_GLOBAL__N_19NonZeroOpIN3c107complexINSI_4HalfEEEEEPKSL_lEEiEEEE10hipError_tPvRmT1_T2_T3_mT4_P12ihipStream_tbEUlT_E0_NS1_11comp_targetILNS1_3genE10ELNS1_11target_archE1201ELNS1_3gpuE5ELNS1_3repE0EEENS1_30default_config_static_selectorELNS0_4arch9wavefront6targetE0EEEvSU_, .Lfunc_end631-_ZN7rocprim17ROCPRIM_400000_NS6detail17trampoline_kernelINS0_14default_configENS1_22reduce_config_selectorIiEEZNS1_11reduce_implILb1ES3_PiS7_iN6hipcub16HIPCUB_304000_NS6detail34convert_binary_result_type_wrapperINS9_3SumENS9_22TransformInputIteratorIbN2at6native12_GLOBAL__N_19NonZeroOpIN3c107complexINSI_4HalfEEEEEPKSL_lEEiEEEE10hipError_tPvRmT1_T2_T3_mT4_P12ihipStream_tbEUlT_E0_NS1_11comp_targetILNS1_3genE10ELNS1_11target_archE1201ELNS1_3gpuE5ELNS1_3repE0EEENS1_30default_config_static_selectorELNS0_4arch9wavefront6targetE0EEEvSU_
                                        ; -- End function
	.set _ZN7rocprim17ROCPRIM_400000_NS6detail17trampoline_kernelINS0_14default_configENS1_22reduce_config_selectorIiEEZNS1_11reduce_implILb1ES3_PiS7_iN6hipcub16HIPCUB_304000_NS6detail34convert_binary_result_type_wrapperINS9_3SumENS9_22TransformInputIteratorIbN2at6native12_GLOBAL__N_19NonZeroOpIN3c107complexINSI_4HalfEEEEEPKSL_lEEiEEEE10hipError_tPvRmT1_T2_T3_mT4_P12ihipStream_tbEUlT_E0_NS1_11comp_targetILNS1_3genE10ELNS1_11target_archE1201ELNS1_3gpuE5ELNS1_3repE0EEENS1_30default_config_static_selectorELNS0_4arch9wavefront6targetE0EEEvSU_.num_vgpr, 20
	.set _ZN7rocprim17ROCPRIM_400000_NS6detail17trampoline_kernelINS0_14default_configENS1_22reduce_config_selectorIiEEZNS1_11reduce_implILb1ES3_PiS7_iN6hipcub16HIPCUB_304000_NS6detail34convert_binary_result_type_wrapperINS9_3SumENS9_22TransformInputIteratorIbN2at6native12_GLOBAL__N_19NonZeroOpIN3c107complexINSI_4HalfEEEEEPKSL_lEEiEEEE10hipError_tPvRmT1_T2_T3_mT4_P12ihipStream_tbEUlT_E0_NS1_11comp_targetILNS1_3genE10ELNS1_11target_archE1201ELNS1_3gpuE5ELNS1_3repE0EEENS1_30default_config_static_selectorELNS0_4arch9wavefront6targetE0EEEvSU_.num_agpr, 0
	.set _ZN7rocprim17ROCPRIM_400000_NS6detail17trampoline_kernelINS0_14default_configENS1_22reduce_config_selectorIiEEZNS1_11reduce_implILb1ES3_PiS7_iN6hipcub16HIPCUB_304000_NS6detail34convert_binary_result_type_wrapperINS9_3SumENS9_22TransformInputIteratorIbN2at6native12_GLOBAL__N_19NonZeroOpIN3c107complexINSI_4HalfEEEEEPKSL_lEEiEEEE10hipError_tPvRmT1_T2_T3_mT4_P12ihipStream_tbEUlT_E0_NS1_11comp_targetILNS1_3genE10ELNS1_11target_archE1201ELNS1_3gpuE5ELNS1_3repE0EEENS1_30default_config_static_selectorELNS0_4arch9wavefront6targetE0EEEvSU_.numbered_sgpr, 30
	.set _ZN7rocprim17ROCPRIM_400000_NS6detail17trampoline_kernelINS0_14default_configENS1_22reduce_config_selectorIiEEZNS1_11reduce_implILb1ES3_PiS7_iN6hipcub16HIPCUB_304000_NS6detail34convert_binary_result_type_wrapperINS9_3SumENS9_22TransformInputIteratorIbN2at6native12_GLOBAL__N_19NonZeroOpIN3c107complexINSI_4HalfEEEEEPKSL_lEEiEEEE10hipError_tPvRmT1_T2_T3_mT4_P12ihipStream_tbEUlT_E0_NS1_11comp_targetILNS1_3genE10ELNS1_11target_archE1201ELNS1_3gpuE5ELNS1_3repE0EEENS1_30default_config_static_selectorELNS0_4arch9wavefront6targetE0EEEvSU_.num_named_barrier, 0
	.set _ZN7rocprim17ROCPRIM_400000_NS6detail17trampoline_kernelINS0_14default_configENS1_22reduce_config_selectorIiEEZNS1_11reduce_implILb1ES3_PiS7_iN6hipcub16HIPCUB_304000_NS6detail34convert_binary_result_type_wrapperINS9_3SumENS9_22TransformInputIteratorIbN2at6native12_GLOBAL__N_19NonZeroOpIN3c107complexINSI_4HalfEEEEEPKSL_lEEiEEEE10hipError_tPvRmT1_T2_T3_mT4_P12ihipStream_tbEUlT_E0_NS1_11comp_targetILNS1_3genE10ELNS1_11target_archE1201ELNS1_3gpuE5ELNS1_3repE0EEENS1_30default_config_static_selectorELNS0_4arch9wavefront6targetE0EEEvSU_.private_seg_size, 0
	.set _ZN7rocprim17ROCPRIM_400000_NS6detail17trampoline_kernelINS0_14default_configENS1_22reduce_config_selectorIiEEZNS1_11reduce_implILb1ES3_PiS7_iN6hipcub16HIPCUB_304000_NS6detail34convert_binary_result_type_wrapperINS9_3SumENS9_22TransformInputIteratorIbN2at6native12_GLOBAL__N_19NonZeroOpIN3c107complexINSI_4HalfEEEEEPKSL_lEEiEEEE10hipError_tPvRmT1_T2_T3_mT4_P12ihipStream_tbEUlT_E0_NS1_11comp_targetILNS1_3genE10ELNS1_11target_archE1201ELNS1_3gpuE5ELNS1_3repE0EEENS1_30default_config_static_selectorELNS0_4arch9wavefront6targetE0EEEvSU_.uses_vcc, 1
	.set _ZN7rocprim17ROCPRIM_400000_NS6detail17trampoline_kernelINS0_14default_configENS1_22reduce_config_selectorIiEEZNS1_11reduce_implILb1ES3_PiS7_iN6hipcub16HIPCUB_304000_NS6detail34convert_binary_result_type_wrapperINS9_3SumENS9_22TransformInputIteratorIbN2at6native12_GLOBAL__N_19NonZeroOpIN3c107complexINSI_4HalfEEEEEPKSL_lEEiEEEE10hipError_tPvRmT1_T2_T3_mT4_P12ihipStream_tbEUlT_E0_NS1_11comp_targetILNS1_3genE10ELNS1_11target_archE1201ELNS1_3gpuE5ELNS1_3repE0EEENS1_30default_config_static_selectorELNS0_4arch9wavefront6targetE0EEEvSU_.uses_flat_scratch, 0
	.set _ZN7rocprim17ROCPRIM_400000_NS6detail17trampoline_kernelINS0_14default_configENS1_22reduce_config_selectorIiEEZNS1_11reduce_implILb1ES3_PiS7_iN6hipcub16HIPCUB_304000_NS6detail34convert_binary_result_type_wrapperINS9_3SumENS9_22TransformInputIteratorIbN2at6native12_GLOBAL__N_19NonZeroOpIN3c107complexINSI_4HalfEEEEEPKSL_lEEiEEEE10hipError_tPvRmT1_T2_T3_mT4_P12ihipStream_tbEUlT_E0_NS1_11comp_targetILNS1_3genE10ELNS1_11target_archE1201ELNS1_3gpuE5ELNS1_3repE0EEENS1_30default_config_static_selectorELNS0_4arch9wavefront6targetE0EEEvSU_.has_dyn_sized_stack, 0
	.set _ZN7rocprim17ROCPRIM_400000_NS6detail17trampoline_kernelINS0_14default_configENS1_22reduce_config_selectorIiEEZNS1_11reduce_implILb1ES3_PiS7_iN6hipcub16HIPCUB_304000_NS6detail34convert_binary_result_type_wrapperINS9_3SumENS9_22TransformInputIteratorIbN2at6native12_GLOBAL__N_19NonZeroOpIN3c107complexINSI_4HalfEEEEEPKSL_lEEiEEEE10hipError_tPvRmT1_T2_T3_mT4_P12ihipStream_tbEUlT_E0_NS1_11comp_targetILNS1_3genE10ELNS1_11target_archE1201ELNS1_3gpuE5ELNS1_3repE0EEENS1_30default_config_static_selectorELNS0_4arch9wavefront6targetE0EEEvSU_.has_recursion, 0
	.set _ZN7rocprim17ROCPRIM_400000_NS6detail17trampoline_kernelINS0_14default_configENS1_22reduce_config_selectorIiEEZNS1_11reduce_implILb1ES3_PiS7_iN6hipcub16HIPCUB_304000_NS6detail34convert_binary_result_type_wrapperINS9_3SumENS9_22TransformInputIteratorIbN2at6native12_GLOBAL__N_19NonZeroOpIN3c107complexINSI_4HalfEEEEEPKSL_lEEiEEEE10hipError_tPvRmT1_T2_T3_mT4_P12ihipStream_tbEUlT_E0_NS1_11comp_targetILNS1_3genE10ELNS1_11target_archE1201ELNS1_3gpuE5ELNS1_3repE0EEENS1_30default_config_static_selectorELNS0_4arch9wavefront6targetE0EEEvSU_.has_indirect_call, 0
	.section	.AMDGPU.csdata,"",@progbits
; Kernel info:
; codeLenInByte = 2448
; TotalNumSgprs: 32
; NumVgprs: 20
; ScratchSize: 0
; MemoryBound: 0
; FloatMode: 240
; IeeeMode: 1
; LDSByteSize: 64 bytes/workgroup (compile time only)
; SGPRBlocks: 0
; VGPRBlocks: 2
; NumSGPRsForWavesPerEU: 32
; NumVGPRsForWavesPerEU: 20
; Occupancy: 16
; WaveLimiterHint : 1
; COMPUTE_PGM_RSRC2:SCRATCH_EN: 0
; COMPUTE_PGM_RSRC2:USER_SGPR: 2
; COMPUTE_PGM_RSRC2:TRAP_HANDLER: 0
; COMPUTE_PGM_RSRC2:TGID_X_EN: 1
; COMPUTE_PGM_RSRC2:TGID_Y_EN: 0
; COMPUTE_PGM_RSRC2:TGID_Z_EN: 0
; COMPUTE_PGM_RSRC2:TIDIG_COMP_CNT: 0
	.section	.text._ZN7rocprim17ROCPRIM_400000_NS6detail17trampoline_kernelINS0_14default_configENS1_22reduce_config_selectorIiEEZNS1_11reduce_implILb1ES3_PiS7_iN6hipcub16HIPCUB_304000_NS6detail34convert_binary_result_type_wrapperINS9_3SumENS9_22TransformInputIteratorIbN2at6native12_GLOBAL__N_19NonZeroOpIN3c107complexINSI_4HalfEEEEEPKSL_lEEiEEEE10hipError_tPvRmT1_T2_T3_mT4_P12ihipStream_tbEUlT_E0_NS1_11comp_targetILNS1_3genE10ELNS1_11target_archE1200ELNS1_3gpuE4ELNS1_3repE0EEENS1_30default_config_static_selectorELNS0_4arch9wavefront6targetE0EEEvSU_,"axG",@progbits,_ZN7rocprim17ROCPRIM_400000_NS6detail17trampoline_kernelINS0_14default_configENS1_22reduce_config_selectorIiEEZNS1_11reduce_implILb1ES3_PiS7_iN6hipcub16HIPCUB_304000_NS6detail34convert_binary_result_type_wrapperINS9_3SumENS9_22TransformInputIteratorIbN2at6native12_GLOBAL__N_19NonZeroOpIN3c107complexINSI_4HalfEEEEEPKSL_lEEiEEEE10hipError_tPvRmT1_T2_T3_mT4_P12ihipStream_tbEUlT_E0_NS1_11comp_targetILNS1_3genE10ELNS1_11target_archE1200ELNS1_3gpuE4ELNS1_3repE0EEENS1_30default_config_static_selectorELNS0_4arch9wavefront6targetE0EEEvSU_,comdat
	.globl	_ZN7rocprim17ROCPRIM_400000_NS6detail17trampoline_kernelINS0_14default_configENS1_22reduce_config_selectorIiEEZNS1_11reduce_implILb1ES3_PiS7_iN6hipcub16HIPCUB_304000_NS6detail34convert_binary_result_type_wrapperINS9_3SumENS9_22TransformInputIteratorIbN2at6native12_GLOBAL__N_19NonZeroOpIN3c107complexINSI_4HalfEEEEEPKSL_lEEiEEEE10hipError_tPvRmT1_T2_T3_mT4_P12ihipStream_tbEUlT_E0_NS1_11comp_targetILNS1_3genE10ELNS1_11target_archE1200ELNS1_3gpuE4ELNS1_3repE0EEENS1_30default_config_static_selectorELNS0_4arch9wavefront6targetE0EEEvSU_ ; -- Begin function _ZN7rocprim17ROCPRIM_400000_NS6detail17trampoline_kernelINS0_14default_configENS1_22reduce_config_selectorIiEEZNS1_11reduce_implILb1ES3_PiS7_iN6hipcub16HIPCUB_304000_NS6detail34convert_binary_result_type_wrapperINS9_3SumENS9_22TransformInputIteratorIbN2at6native12_GLOBAL__N_19NonZeroOpIN3c107complexINSI_4HalfEEEEEPKSL_lEEiEEEE10hipError_tPvRmT1_T2_T3_mT4_P12ihipStream_tbEUlT_E0_NS1_11comp_targetILNS1_3genE10ELNS1_11target_archE1200ELNS1_3gpuE4ELNS1_3repE0EEENS1_30default_config_static_selectorELNS0_4arch9wavefront6targetE0EEEvSU_
	.p2align	8
	.type	_ZN7rocprim17ROCPRIM_400000_NS6detail17trampoline_kernelINS0_14default_configENS1_22reduce_config_selectorIiEEZNS1_11reduce_implILb1ES3_PiS7_iN6hipcub16HIPCUB_304000_NS6detail34convert_binary_result_type_wrapperINS9_3SumENS9_22TransformInputIteratorIbN2at6native12_GLOBAL__N_19NonZeroOpIN3c107complexINSI_4HalfEEEEEPKSL_lEEiEEEE10hipError_tPvRmT1_T2_T3_mT4_P12ihipStream_tbEUlT_E0_NS1_11comp_targetILNS1_3genE10ELNS1_11target_archE1200ELNS1_3gpuE4ELNS1_3repE0EEENS1_30default_config_static_selectorELNS0_4arch9wavefront6targetE0EEEvSU_,@function
_ZN7rocprim17ROCPRIM_400000_NS6detail17trampoline_kernelINS0_14default_configENS1_22reduce_config_selectorIiEEZNS1_11reduce_implILb1ES3_PiS7_iN6hipcub16HIPCUB_304000_NS6detail34convert_binary_result_type_wrapperINS9_3SumENS9_22TransformInputIteratorIbN2at6native12_GLOBAL__N_19NonZeroOpIN3c107complexINSI_4HalfEEEEEPKSL_lEEiEEEE10hipError_tPvRmT1_T2_T3_mT4_P12ihipStream_tbEUlT_E0_NS1_11comp_targetILNS1_3genE10ELNS1_11target_archE1200ELNS1_3gpuE4ELNS1_3repE0EEENS1_30default_config_static_selectorELNS0_4arch9wavefront6targetE0EEEvSU_: ; @_ZN7rocprim17ROCPRIM_400000_NS6detail17trampoline_kernelINS0_14default_configENS1_22reduce_config_selectorIiEEZNS1_11reduce_implILb1ES3_PiS7_iN6hipcub16HIPCUB_304000_NS6detail34convert_binary_result_type_wrapperINS9_3SumENS9_22TransformInputIteratorIbN2at6native12_GLOBAL__N_19NonZeroOpIN3c107complexINSI_4HalfEEEEEPKSL_lEEiEEEE10hipError_tPvRmT1_T2_T3_mT4_P12ihipStream_tbEUlT_E0_NS1_11comp_targetILNS1_3genE10ELNS1_11target_archE1200ELNS1_3gpuE4ELNS1_3repE0EEENS1_30default_config_static_selectorELNS0_4arch9wavefront6targetE0EEEvSU_
; %bb.0:
	.section	.rodata,"a",@progbits
	.p2align	6, 0x0
	.amdhsa_kernel _ZN7rocprim17ROCPRIM_400000_NS6detail17trampoline_kernelINS0_14default_configENS1_22reduce_config_selectorIiEEZNS1_11reduce_implILb1ES3_PiS7_iN6hipcub16HIPCUB_304000_NS6detail34convert_binary_result_type_wrapperINS9_3SumENS9_22TransformInputIteratorIbN2at6native12_GLOBAL__N_19NonZeroOpIN3c107complexINSI_4HalfEEEEEPKSL_lEEiEEEE10hipError_tPvRmT1_T2_T3_mT4_P12ihipStream_tbEUlT_E0_NS1_11comp_targetILNS1_3genE10ELNS1_11target_archE1200ELNS1_3gpuE4ELNS1_3repE0EEENS1_30default_config_static_selectorELNS0_4arch9wavefront6targetE0EEEvSU_
		.amdhsa_group_segment_fixed_size 0
		.amdhsa_private_segment_fixed_size 0
		.amdhsa_kernarg_size 56
		.amdhsa_user_sgpr_count 2
		.amdhsa_user_sgpr_dispatch_ptr 0
		.amdhsa_user_sgpr_queue_ptr 0
		.amdhsa_user_sgpr_kernarg_segment_ptr 1
		.amdhsa_user_sgpr_dispatch_id 0
		.amdhsa_user_sgpr_private_segment_size 0
		.amdhsa_wavefront_size32 1
		.amdhsa_uses_dynamic_stack 0
		.amdhsa_enable_private_segment 0
		.amdhsa_system_sgpr_workgroup_id_x 1
		.amdhsa_system_sgpr_workgroup_id_y 0
		.amdhsa_system_sgpr_workgroup_id_z 0
		.amdhsa_system_sgpr_workgroup_info 0
		.amdhsa_system_vgpr_workitem_id 0
		.amdhsa_next_free_vgpr 1
		.amdhsa_next_free_sgpr 1
		.amdhsa_reserve_vcc 0
		.amdhsa_float_round_mode_32 0
		.amdhsa_float_round_mode_16_64 0
		.amdhsa_float_denorm_mode_32 3
		.amdhsa_float_denorm_mode_16_64 3
		.amdhsa_fp16_overflow 0
		.amdhsa_workgroup_processor_mode 1
		.amdhsa_memory_ordered 1
		.amdhsa_forward_progress 1
		.amdhsa_inst_pref_size 0
		.amdhsa_round_robin_scheduling 0
		.amdhsa_exception_fp_ieee_invalid_op 0
		.amdhsa_exception_fp_denorm_src 0
		.amdhsa_exception_fp_ieee_div_zero 0
		.amdhsa_exception_fp_ieee_overflow 0
		.amdhsa_exception_fp_ieee_underflow 0
		.amdhsa_exception_fp_ieee_inexact 0
		.amdhsa_exception_int_div_zero 0
	.end_amdhsa_kernel
	.section	.text._ZN7rocprim17ROCPRIM_400000_NS6detail17trampoline_kernelINS0_14default_configENS1_22reduce_config_selectorIiEEZNS1_11reduce_implILb1ES3_PiS7_iN6hipcub16HIPCUB_304000_NS6detail34convert_binary_result_type_wrapperINS9_3SumENS9_22TransformInputIteratorIbN2at6native12_GLOBAL__N_19NonZeroOpIN3c107complexINSI_4HalfEEEEEPKSL_lEEiEEEE10hipError_tPvRmT1_T2_T3_mT4_P12ihipStream_tbEUlT_E0_NS1_11comp_targetILNS1_3genE10ELNS1_11target_archE1200ELNS1_3gpuE4ELNS1_3repE0EEENS1_30default_config_static_selectorELNS0_4arch9wavefront6targetE0EEEvSU_,"axG",@progbits,_ZN7rocprim17ROCPRIM_400000_NS6detail17trampoline_kernelINS0_14default_configENS1_22reduce_config_selectorIiEEZNS1_11reduce_implILb1ES3_PiS7_iN6hipcub16HIPCUB_304000_NS6detail34convert_binary_result_type_wrapperINS9_3SumENS9_22TransformInputIteratorIbN2at6native12_GLOBAL__N_19NonZeroOpIN3c107complexINSI_4HalfEEEEEPKSL_lEEiEEEE10hipError_tPvRmT1_T2_T3_mT4_P12ihipStream_tbEUlT_E0_NS1_11comp_targetILNS1_3genE10ELNS1_11target_archE1200ELNS1_3gpuE4ELNS1_3repE0EEENS1_30default_config_static_selectorELNS0_4arch9wavefront6targetE0EEEvSU_,comdat
.Lfunc_end632:
	.size	_ZN7rocprim17ROCPRIM_400000_NS6detail17trampoline_kernelINS0_14default_configENS1_22reduce_config_selectorIiEEZNS1_11reduce_implILb1ES3_PiS7_iN6hipcub16HIPCUB_304000_NS6detail34convert_binary_result_type_wrapperINS9_3SumENS9_22TransformInputIteratorIbN2at6native12_GLOBAL__N_19NonZeroOpIN3c107complexINSI_4HalfEEEEEPKSL_lEEiEEEE10hipError_tPvRmT1_T2_T3_mT4_P12ihipStream_tbEUlT_E0_NS1_11comp_targetILNS1_3genE10ELNS1_11target_archE1200ELNS1_3gpuE4ELNS1_3repE0EEENS1_30default_config_static_selectorELNS0_4arch9wavefront6targetE0EEEvSU_, .Lfunc_end632-_ZN7rocprim17ROCPRIM_400000_NS6detail17trampoline_kernelINS0_14default_configENS1_22reduce_config_selectorIiEEZNS1_11reduce_implILb1ES3_PiS7_iN6hipcub16HIPCUB_304000_NS6detail34convert_binary_result_type_wrapperINS9_3SumENS9_22TransformInputIteratorIbN2at6native12_GLOBAL__N_19NonZeroOpIN3c107complexINSI_4HalfEEEEEPKSL_lEEiEEEE10hipError_tPvRmT1_T2_T3_mT4_P12ihipStream_tbEUlT_E0_NS1_11comp_targetILNS1_3genE10ELNS1_11target_archE1200ELNS1_3gpuE4ELNS1_3repE0EEENS1_30default_config_static_selectorELNS0_4arch9wavefront6targetE0EEEvSU_
                                        ; -- End function
	.set _ZN7rocprim17ROCPRIM_400000_NS6detail17trampoline_kernelINS0_14default_configENS1_22reduce_config_selectorIiEEZNS1_11reduce_implILb1ES3_PiS7_iN6hipcub16HIPCUB_304000_NS6detail34convert_binary_result_type_wrapperINS9_3SumENS9_22TransformInputIteratorIbN2at6native12_GLOBAL__N_19NonZeroOpIN3c107complexINSI_4HalfEEEEEPKSL_lEEiEEEE10hipError_tPvRmT1_T2_T3_mT4_P12ihipStream_tbEUlT_E0_NS1_11comp_targetILNS1_3genE10ELNS1_11target_archE1200ELNS1_3gpuE4ELNS1_3repE0EEENS1_30default_config_static_selectorELNS0_4arch9wavefront6targetE0EEEvSU_.num_vgpr, 0
	.set _ZN7rocprim17ROCPRIM_400000_NS6detail17trampoline_kernelINS0_14default_configENS1_22reduce_config_selectorIiEEZNS1_11reduce_implILb1ES3_PiS7_iN6hipcub16HIPCUB_304000_NS6detail34convert_binary_result_type_wrapperINS9_3SumENS9_22TransformInputIteratorIbN2at6native12_GLOBAL__N_19NonZeroOpIN3c107complexINSI_4HalfEEEEEPKSL_lEEiEEEE10hipError_tPvRmT1_T2_T3_mT4_P12ihipStream_tbEUlT_E0_NS1_11comp_targetILNS1_3genE10ELNS1_11target_archE1200ELNS1_3gpuE4ELNS1_3repE0EEENS1_30default_config_static_selectorELNS0_4arch9wavefront6targetE0EEEvSU_.num_agpr, 0
	.set _ZN7rocprim17ROCPRIM_400000_NS6detail17trampoline_kernelINS0_14default_configENS1_22reduce_config_selectorIiEEZNS1_11reduce_implILb1ES3_PiS7_iN6hipcub16HIPCUB_304000_NS6detail34convert_binary_result_type_wrapperINS9_3SumENS9_22TransformInputIteratorIbN2at6native12_GLOBAL__N_19NonZeroOpIN3c107complexINSI_4HalfEEEEEPKSL_lEEiEEEE10hipError_tPvRmT1_T2_T3_mT4_P12ihipStream_tbEUlT_E0_NS1_11comp_targetILNS1_3genE10ELNS1_11target_archE1200ELNS1_3gpuE4ELNS1_3repE0EEENS1_30default_config_static_selectorELNS0_4arch9wavefront6targetE0EEEvSU_.numbered_sgpr, 0
	.set _ZN7rocprim17ROCPRIM_400000_NS6detail17trampoline_kernelINS0_14default_configENS1_22reduce_config_selectorIiEEZNS1_11reduce_implILb1ES3_PiS7_iN6hipcub16HIPCUB_304000_NS6detail34convert_binary_result_type_wrapperINS9_3SumENS9_22TransformInputIteratorIbN2at6native12_GLOBAL__N_19NonZeroOpIN3c107complexINSI_4HalfEEEEEPKSL_lEEiEEEE10hipError_tPvRmT1_T2_T3_mT4_P12ihipStream_tbEUlT_E0_NS1_11comp_targetILNS1_3genE10ELNS1_11target_archE1200ELNS1_3gpuE4ELNS1_3repE0EEENS1_30default_config_static_selectorELNS0_4arch9wavefront6targetE0EEEvSU_.num_named_barrier, 0
	.set _ZN7rocprim17ROCPRIM_400000_NS6detail17trampoline_kernelINS0_14default_configENS1_22reduce_config_selectorIiEEZNS1_11reduce_implILb1ES3_PiS7_iN6hipcub16HIPCUB_304000_NS6detail34convert_binary_result_type_wrapperINS9_3SumENS9_22TransformInputIteratorIbN2at6native12_GLOBAL__N_19NonZeroOpIN3c107complexINSI_4HalfEEEEEPKSL_lEEiEEEE10hipError_tPvRmT1_T2_T3_mT4_P12ihipStream_tbEUlT_E0_NS1_11comp_targetILNS1_3genE10ELNS1_11target_archE1200ELNS1_3gpuE4ELNS1_3repE0EEENS1_30default_config_static_selectorELNS0_4arch9wavefront6targetE0EEEvSU_.private_seg_size, 0
	.set _ZN7rocprim17ROCPRIM_400000_NS6detail17trampoline_kernelINS0_14default_configENS1_22reduce_config_selectorIiEEZNS1_11reduce_implILb1ES3_PiS7_iN6hipcub16HIPCUB_304000_NS6detail34convert_binary_result_type_wrapperINS9_3SumENS9_22TransformInputIteratorIbN2at6native12_GLOBAL__N_19NonZeroOpIN3c107complexINSI_4HalfEEEEEPKSL_lEEiEEEE10hipError_tPvRmT1_T2_T3_mT4_P12ihipStream_tbEUlT_E0_NS1_11comp_targetILNS1_3genE10ELNS1_11target_archE1200ELNS1_3gpuE4ELNS1_3repE0EEENS1_30default_config_static_selectorELNS0_4arch9wavefront6targetE0EEEvSU_.uses_vcc, 0
	.set _ZN7rocprim17ROCPRIM_400000_NS6detail17trampoline_kernelINS0_14default_configENS1_22reduce_config_selectorIiEEZNS1_11reduce_implILb1ES3_PiS7_iN6hipcub16HIPCUB_304000_NS6detail34convert_binary_result_type_wrapperINS9_3SumENS9_22TransformInputIteratorIbN2at6native12_GLOBAL__N_19NonZeroOpIN3c107complexINSI_4HalfEEEEEPKSL_lEEiEEEE10hipError_tPvRmT1_T2_T3_mT4_P12ihipStream_tbEUlT_E0_NS1_11comp_targetILNS1_3genE10ELNS1_11target_archE1200ELNS1_3gpuE4ELNS1_3repE0EEENS1_30default_config_static_selectorELNS0_4arch9wavefront6targetE0EEEvSU_.uses_flat_scratch, 0
	.set _ZN7rocprim17ROCPRIM_400000_NS6detail17trampoline_kernelINS0_14default_configENS1_22reduce_config_selectorIiEEZNS1_11reduce_implILb1ES3_PiS7_iN6hipcub16HIPCUB_304000_NS6detail34convert_binary_result_type_wrapperINS9_3SumENS9_22TransformInputIteratorIbN2at6native12_GLOBAL__N_19NonZeroOpIN3c107complexINSI_4HalfEEEEEPKSL_lEEiEEEE10hipError_tPvRmT1_T2_T3_mT4_P12ihipStream_tbEUlT_E0_NS1_11comp_targetILNS1_3genE10ELNS1_11target_archE1200ELNS1_3gpuE4ELNS1_3repE0EEENS1_30default_config_static_selectorELNS0_4arch9wavefront6targetE0EEEvSU_.has_dyn_sized_stack, 0
	.set _ZN7rocprim17ROCPRIM_400000_NS6detail17trampoline_kernelINS0_14default_configENS1_22reduce_config_selectorIiEEZNS1_11reduce_implILb1ES3_PiS7_iN6hipcub16HIPCUB_304000_NS6detail34convert_binary_result_type_wrapperINS9_3SumENS9_22TransformInputIteratorIbN2at6native12_GLOBAL__N_19NonZeroOpIN3c107complexINSI_4HalfEEEEEPKSL_lEEiEEEE10hipError_tPvRmT1_T2_T3_mT4_P12ihipStream_tbEUlT_E0_NS1_11comp_targetILNS1_3genE10ELNS1_11target_archE1200ELNS1_3gpuE4ELNS1_3repE0EEENS1_30default_config_static_selectorELNS0_4arch9wavefront6targetE0EEEvSU_.has_recursion, 0
	.set _ZN7rocprim17ROCPRIM_400000_NS6detail17trampoline_kernelINS0_14default_configENS1_22reduce_config_selectorIiEEZNS1_11reduce_implILb1ES3_PiS7_iN6hipcub16HIPCUB_304000_NS6detail34convert_binary_result_type_wrapperINS9_3SumENS9_22TransformInputIteratorIbN2at6native12_GLOBAL__N_19NonZeroOpIN3c107complexINSI_4HalfEEEEEPKSL_lEEiEEEE10hipError_tPvRmT1_T2_T3_mT4_P12ihipStream_tbEUlT_E0_NS1_11comp_targetILNS1_3genE10ELNS1_11target_archE1200ELNS1_3gpuE4ELNS1_3repE0EEENS1_30default_config_static_selectorELNS0_4arch9wavefront6targetE0EEEvSU_.has_indirect_call, 0
	.section	.AMDGPU.csdata,"",@progbits
; Kernel info:
; codeLenInByte = 0
; TotalNumSgprs: 0
; NumVgprs: 0
; ScratchSize: 0
; MemoryBound: 0
; FloatMode: 240
; IeeeMode: 1
; LDSByteSize: 0 bytes/workgroup (compile time only)
; SGPRBlocks: 0
; VGPRBlocks: 0
; NumSGPRsForWavesPerEU: 1
; NumVGPRsForWavesPerEU: 1
; Occupancy: 16
; WaveLimiterHint : 0
; COMPUTE_PGM_RSRC2:SCRATCH_EN: 0
; COMPUTE_PGM_RSRC2:USER_SGPR: 2
; COMPUTE_PGM_RSRC2:TRAP_HANDLER: 0
; COMPUTE_PGM_RSRC2:TGID_X_EN: 1
; COMPUTE_PGM_RSRC2:TGID_Y_EN: 0
; COMPUTE_PGM_RSRC2:TGID_Z_EN: 0
; COMPUTE_PGM_RSRC2:TIDIG_COMP_CNT: 0
	.section	.text._ZN7rocprim17ROCPRIM_400000_NS6detail17trampoline_kernelINS0_14default_configENS1_22reduce_config_selectorIiEEZNS1_11reduce_implILb1ES3_PiS7_iN6hipcub16HIPCUB_304000_NS6detail34convert_binary_result_type_wrapperINS9_3SumENS9_22TransformInputIteratorIbN2at6native12_GLOBAL__N_19NonZeroOpIN3c107complexINSI_4HalfEEEEEPKSL_lEEiEEEE10hipError_tPvRmT1_T2_T3_mT4_P12ihipStream_tbEUlT_E0_NS1_11comp_targetILNS1_3genE9ELNS1_11target_archE1100ELNS1_3gpuE3ELNS1_3repE0EEENS1_30default_config_static_selectorELNS0_4arch9wavefront6targetE0EEEvSU_,"axG",@progbits,_ZN7rocprim17ROCPRIM_400000_NS6detail17trampoline_kernelINS0_14default_configENS1_22reduce_config_selectorIiEEZNS1_11reduce_implILb1ES3_PiS7_iN6hipcub16HIPCUB_304000_NS6detail34convert_binary_result_type_wrapperINS9_3SumENS9_22TransformInputIteratorIbN2at6native12_GLOBAL__N_19NonZeroOpIN3c107complexINSI_4HalfEEEEEPKSL_lEEiEEEE10hipError_tPvRmT1_T2_T3_mT4_P12ihipStream_tbEUlT_E0_NS1_11comp_targetILNS1_3genE9ELNS1_11target_archE1100ELNS1_3gpuE3ELNS1_3repE0EEENS1_30default_config_static_selectorELNS0_4arch9wavefront6targetE0EEEvSU_,comdat
	.globl	_ZN7rocprim17ROCPRIM_400000_NS6detail17trampoline_kernelINS0_14default_configENS1_22reduce_config_selectorIiEEZNS1_11reduce_implILb1ES3_PiS7_iN6hipcub16HIPCUB_304000_NS6detail34convert_binary_result_type_wrapperINS9_3SumENS9_22TransformInputIteratorIbN2at6native12_GLOBAL__N_19NonZeroOpIN3c107complexINSI_4HalfEEEEEPKSL_lEEiEEEE10hipError_tPvRmT1_T2_T3_mT4_P12ihipStream_tbEUlT_E0_NS1_11comp_targetILNS1_3genE9ELNS1_11target_archE1100ELNS1_3gpuE3ELNS1_3repE0EEENS1_30default_config_static_selectorELNS0_4arch9wavefront6targetE0EEEvSU_ ; -- Begin function _ZN7rocprim17ROCPRIM_400000_NS6detail17trampoline_kernelINS0_14default_configENS1_22reduce_config_selectorIiEEZNS1_11reduce_implILb1ES3_PiS7_iN6hipcub16HIPCUB_304000_NS6detail34convert_binary_result_type_wrapperINS9_3SumENS9_22TransformInputIteratorIbN2at6native12_GLOBAL__N_19NonZeroOpIN3c107complexINSI_4HalfEEEEEPKSL_lEEiEEEE10hipError_tPvRmT1_T2_T3_mT4_P12ihipStream_tbEUlT_E0_NS1_11comp_targetILNS1_3genE9ELNS1_11target_archE1100ELNS1_3gpuE3ELNS1_3repE0EEENS1_30default_config_static_selectorELNS0_4arch9wavefront6targetE0EEEvSU_
	.p2align	8
	.type	_ZN7rocprim17ROCPRIM_400000_NS6detail17trampoline_kernelINS0_14default_configENS1_22reduce_config_selectorIiEEZNS1_11reduce_implILb1ES3_PiS7_iN6hipcub16HIPCUB_304000_NS6detail34convert_binary_result_type_wrapperINS9_3SumENS9_22TransformInputIteratorIbN2at6native12_GLOBAL__N_19NonZeroOpIN3c107complexINSI_4HalfEEEEEPKSL_lEEiEEEE10hipError_tPvRmT1_T2_T3_mT4_P12ihipStream_tbEUlT_E0_NS1_11comp_targetILNS1_3genE9ELNS1_11target_archE1100ELNS1_3gpuE3ELNS1_3repE0EEENS1_30default_config_static_selectorELNS0_4arch9wavefront6targetE0EEEvSU_,@function
_ZN7rocprim17ROCPRIM_400000_NS6detail17trampoline_kernelINS0_14default_configENS1_22reduce_config_selectorIiEEZNS1_11reduce_implILb1ES3_PiS7_iN6hipcub16HIPCUB_304000_NS6detail34convert_binary_result_type_wrapperINS9_3SumENS9_22TransformInputIteratorIbN2at6native12_GLOBAL__N_19NonZeroOpIN3c107complexINSI_4HalfEEEEEPKSL_lEEiEEEE10hipError_tPvRmT1_T2_T3_mT4_P12ihipStream_tbEUlT_E0_NS1_11comp_targetILNS1_3genE9ELNS1_11target_archE1100ELNS1_3gpuE3ELNS1_3repE0EEENS1_30default_config_static_selectorELNS0_4arch9wavefront6targetE0EEEvSU_: ; @_ZN7rocprim17ROCPRIM_400000_NS6detail17trampoline_kernelINS0_14default_configENS1_22reduce_config_selectorIiEEZNS1_11reduce_implILb1ES3_PiS7_iN6hipcub16HIPCUB_304000_NS6detail34convert_binary_result_type_wrapperINS9_3SumENS9_22TransformInputIteratorIbN2at6native12_GLOBAL__N_19NonZeroOpIN3c107complexINSI_4HalfEEEEEPKSL_lEEiEEEE10hipError_tPvRmT1_T2_T3_mT4_P12ihipStream_tbEUlT_E0_NS1_11comp_targetILNS1_3genE9ELNS1_11target_archE1100ELNS1_3gpuE3ELNS1_3repE0EEENS1_30default_config_static_selectorELNS0_4arch9wavefront6targetE0EEEvSU_
; %bb.0:
	.section	.rodata,"a",@progbits
	.p2align	6, 0x0
	.amdhsa_kernel _ZN7rocprim17ROCPRIM_400000_NS6detail17trampoline_kernelINS0_14default_configENS1_22reduce_config_selectorIiEEZNS1_11reduce_implILb1ES3_PiS7_iN6hipcub16HIPCUB_304000_NS6detail34convert_binary_result_type_wrapperINS9_3SumENS9_22TransformInputIteratorIbN2at6native12_GLOBAL__N_19NonZeroOpIN3c107complexINSI_4HalfEEEEEPKSL_lEEiEEEE10hipError_tPvRmT1_T2_T3_mT4_P12ihipStream_tbEUlT_E0_NS1_11comp_targetILNS1_3genE9ELNS1_11target_archE1100ELNS1_3gpuE3ELNS1_3repE0EEENS1_30default_config_static_selectorELNS0_4arch9wavefront6targetE0EEEvSU_
		.amdhsa_group_segment_fixed_size 0
		.amdhsa_private_segment_fixed_size 0
		.amdhsa_kernarg_size 56
		.amdhsa_user_sgpr_count 2
		.amdhsa_user_sgpr_dispatch_ptr 0
		.amdhsa_user_sgpr_queue_ptr 0
		.amdhsa_user_sgpr_kernarg_segment_ptr 1
		.amdhsa_user_sgpr_dispatch_id 0
		.amdhsa_user_sgpr_private_segment_size 0
		.amdhsa_wavefront_size32 1
		.amdhsa_uses_dynamic_stack 0
		.amdhsa_enable_private_segment 0
		.amdhsa_system_sgpr_workgroup_id_x 1
		.amdhsa_system_sgpr_workgroup_id_y 0
		.amdhsa_system_sgpr_workgroup_id_z 0
		.amdhsa_system_sgpr_workgroup_info 0
		.amdhsa_system_vgpr_workitem_id 0
		.amdhsa_next_free_vgpr 1
		.amdhsa_next_free_sgpr 1
		.amdhsa_reserve_vcc 0
		.amdhsa_float_round_mode_32 0
		.amdhsa_float_round_mode_16_64 0
		.amdhsa_float_denorm_mode_32 3
		.amdhsa_float_denorm_mode_16_64 3
		.amdhsa_fp16_overflow 0
		.amdhsa_workgroup_processor_mode 1
		.amdhsa_memory_ordered 1
		.amdhsa_forward_progress 1
		.amdhsa_inst_pref_size 0
		.amdhsa_round_robin_scheduling 0
		.amdhsa_exception_fp_ieee_invalid_op 0
		.amdhsa_exception_fp_denorm_src 0
		.amdhsa_exception_fp_ieee_div_zero 0
		.amdhsa_exception_fp_ieee_overflow 0
		.amdhsa_exception_fp_ieee_underflow 0
		.amdhsa_exception_fp_ieee_inexact 0
		.amdhsa_exception_int_div_zero 0
	.end_amdhsa_kernel
	.section	.text._ZN7rocprim17ROCPRIM_400000_NS6detail17trampoline_kernelINS0_14default_configENS1_22reduce_config_selectorIiEEZNS1_11reduce_implILb1ES3_PiS7_iN6hipcub16HIPCUB_304000_NS6detail34convert_binary_result_type_wrapperINS9_3SumENS9_22TransformInputIteratorIbN2at6native12_GLOBAL__N_19NonZeroOpIN3c107complexINSI_4HalfEEEEEPKSL_lEEiEEEE10hipError_tPvRmT1_T2_T3_mT4_P12ihipStream_tbEUlT_E0_NS1_11comp_targetILNS1_3genE9ELNS1_11target_archE1100ELNS1_3gpuE3ELNS1_3repE0EEENS1_30default_config_static_selectorELNS0_4arch9wavefront6targetE0EEEvSU_,"axG",@progbits,_ZN7rocprim17ROCPRIM_400000_NS6detail17trampoline_kernelINS0_14default_configENS1_22reduce_config_selectorIiEEZNS1_11reduce_implILb1ES3_PiS7_iN6hipcub16HIPCUB_304000_NS6detail34convert_binary_result_type_wrapperINS9_3SumENS9_22TransformInputIteratorIbN2at6native12_GLOBAL__N_19NonZeroOpIN3c107complexINSI_4HalfEEEEEPKSL_lEEiEEEE10hipError_tPvRmT1_T2_T3_mT4_P12ihipStream_tbEUlT_E0_NS1_11comp_targetILNS1_3genE9ELNS1_11target_archE1100ELNS1_3gpuE3ELNS1_3repE0EEENS1_30default_config_static_selectorELNS0_4arch9wavefront6targetE0EEEvSU_,comdat
.Lfunc_end633:
	.size	_ZN7rocprim17ROCPRIM_400000_NS6detail17trampoline_kernelINS0_14default_configENS1_22reduce_config_selectorIiEEZNS1_11reduce_implILb1ES3_PiS7_iN6hipcub16HIPCUB_304000_NS6detail34convert_binary_result_type_wrapperINS9_3SumENS9_22TransformInputIteratorIbN2at6native12_GLOBAL__N_19NonZeroOpIN3c107complexINSI_4HalfEEEEEPKSL_lEEiEEEE10hipError_tPvRmT1_T2_T3_mT4_P12ihipStream_tbEUlT_E0_NS1_11comp_targetILNS1_3genE9ELNS1_11target_archE1100ELNS1_3gpuE3ELNS1_3repE0EEENS1_30default_config_static_selectorELNS0_4arch9wavefront6targetE0EEEvSU_, .Lfunc_end633-_ZN7rocprim17ROCPRIM_400000_NS6detail17trampoline_kernelINS0_14default_configENS1_22reduce_config_selectorIiEEZNS1_11reduce_implILb1ES3_PiS7_iN6hipcub16HIPCUB_304000_NS6detail34convert_binary_result_type_wrapperINS9_3SumENS9_22TransformInputIteratorIbN2at6native12_GLOBAL__N_19NonZeroOpIN3c107complexINSI_4HalfEEEEEPKSL_lEEiEEEE10hipError_tPvRmT1_T2_T3_mT4_P12ihipStream_tbEUlT_E0_NS1_11comp_targetILNS1_3genE9ELNS1_11target_archE1100ELNS1_3gpuE3ELNS1_3repE0EEENS1_30default_config_static_selectorELNS0_4arch9wavefront6targetE0EEEvSU_
                                        ; -- End function
	.set _ZN7rocprim17ROCPRIM_400000_NS6detail17trampoline_kernelINS0_14default_configENS1_22reduce_config_selectorIiEEZNS1_11reduce_implILb1ES3_PiS7_iN6hipcub16HIPCUB_304000_NS6detail34convert_binary_result_type_wrapperINS9_3SumENS9_22TransformInputIteratorIbN2at6native12_GLOBAL__N_19NonZeroOpIN3c107complexINSI_4HalfEEEEEPKSL_lEEiEEEE10hipError_tPvRmT1_T2_T3_mT4_P12ihipStream_tbEUlT_E0_NS1_11comp_targetILNS1_3genE9ELNS1_11target_archE1100ELNS1_3gpuE3ELNS1_3repE0EEENS1_30default_config_static_selectorELNS0_4arch9wavefront6targetE0EEEvSU_.num_vgpr, 0
	.set _ZN7rocprim17ROCPRIM_400000_NS6detail17trampoline_kernelINS0_14default_configENS1_22reduce_config_selectorIiEEZNS1_11reduce_implILb1ES3_PiS7_iN6hipcub16HIPCUB_304000_NS6detail34convert_binary_result_type_wrapperINS9_3SumENS9_22TransformInputIteratorIbN2at6native12_GLOBAL__N_19NonZeroOpIN3c107complexINSI_4HalfEEEEEPKSL_lEEiEEEE10hipError_tPvRmT1_T2_T3_mT4_P12ihipStream_tbEUlT_E0_NS1_11comp_targetILNS1_3genE9ELNS1_11target_archE1100ELNS1_3gpuE3ELNS1_3repE0EEENS1_30default_config_static_selectorELNS0_4arch9wavefront6targetE0EEEvSU_.num_agpr, 0
	.set _ZN7rocprim17ROCPRIM_400000_NS6detail17trampoline_kernelINS0_14default_configENS1_22reduce_config_selectorIiEEZNS1_11reduce_implILb1ES3_PiS7_iN6hipcub16HIPCUB_304000_NS6detail34convert_binary_result_type_wrapperINS9_3SumENS9_22TransformInputIteratorIbN2at6native12_GLOBAL__N_19NonZeroOpIN3c107complexINSI_4HalfEEEEEPKSL_lEEiEEEE10hipError_tPvRmT1_T2_T3_mT4_P12ihipStream_tbEUlT_E0_NS1_11comp_targetILNS1_3genE9ELNS1_11target_archE1100ELNS1_3gpuE3ELNS1_3repE0EEENS1_30default_config_static_selectorELNS0_4arch9wavefront6targetE0EEEvSU_.numbered_sgpr, 0
	.set _ZN7rocprim17ROCPRIM_400000_NS6detail17trampoline_kernelINS0_14default_configENS1_22reduce_config_selectorIiEEZNS1_11reduce_implILb1ES3_PiS7_iN6hipcub16HIPCUB_304000_NS6detail34convert_binary_result_type_wrapperINS9_3SumENS9_22TransformInputIteratorIbN2at6native12_GLOBAL__N_19NonZeroOpIN3c107complexINSI_4HalfEEEEEPKSL_lEEiEEEE10hipError_tPvRmT1_T2_T3_mT4_P12ihipStream_tbEUlT_E0_NS1_11comp_targetILNS1_3genE9ELNS1_11target_archE1100ELNS1_3gpuE3ELNS1_3repE0EEENS1_30default_config_static_selectorELNS0_4arch9wavefront6targetE0EEEvSU_.num_named_barrier, 0
	.set _ZN7rocprim17ROCPRIM_400000_NS6detail17trampoline_kernelINS0_14default_configENS1_22reduce_config_selectorIiEEZNS1_11reduce_implILb1ES3_PiS7_iN6hipcub16HIPCUB_304000_NS6detail34convert_binary_result_type_wrapperINS9_3SumENS9_22TransformInputIteratorIbN2at6native12_GLOBAL__N_19NonZeroOpIN3c107complexINSI_4HalfEEEEEPKSL_lEEiEEEE10hipError_tPvRmT1_T2_T3_mT4_P12ihipStream_tbEUlT_E0_NS1_11comp_targetILNS1_3genE9ELNS1_11target_archE1100ELNS1_3gpuE3ELNS1_3repE0EEENS1_30default_config_static_selectorELNS0_4arch9wavefront6targetE0EEEvSU_.private_seg_size, 0
	.set _ZN7rocprim17ROCPRIM_400000_NS6detail17trampoline_kernelINS0_14default_configENS1_22reduce_config_selectorIiEEZNS1_11reduce_implILb1ES3_PiS7_iN6hipcub16HIPCUB_304000_NS6detail34convert_binary_result_type_wrapperINS9_3SumENS9_22TransformInputIteratorIbN2at6native12_GLOBAL__N_19NonZeroOpIN3c107complexINSI_4HalfEEEEEPKSL_lEEiEEEE10hipError_tPvRmT1_T2_T3_mT4_P12ihipStream_tbEUlT_E0_NS1_11comp_targetILNS1_3genE9ELNS1_11target_archE1100ELNS1_3gpuE3ELNS1_3repE0EEENS1_30default_config_static_selectorELNS0_4arch9wavefront6targetE0EEEvSU_.uses_vcc, 0
	.set _ZN7rocprim17ROCPRIM_400000_NS6detail17trampoline_kernelINS0_14default_configENS1_22reduce_config_selectorIiEEZNS1_11reduce_implILb1ES3_PiS7_iN6hipcub16HIPCUB_304000_NS6detail34convert_binary_result_type_wrapperINS9_3SumENS9_22TransformInputIteratorIbN2at6native12_GLOBAL__N_19NonZeroOpIN3c107complexINSI_4HalfEEEEEPKSL_lEEiEEEE10hipError_tPvRmT1_T2_T3_mT4_P12ihipStream_tbEUlT_E0_NS1_11comp_targetILNS1_3genE9ELNS1_11target_archE1100ELNS1_3gpuE3ELNS1_3repE0EEENS1_30default_config_static_selectorELNS0_4arch9wavefront6targetE0EEEvSU_.uses_flat_scratch, 0
	.set _ZN7rocprim17ROCPRIM_400000_NS6detail17trampoline_kernelINS0_14default_configENS1_22reduce_config_selectorIiEEZNS1_11reduce_implILb1ES3_PiS7_iN6hipcub16HIPCUB_304000_NS6detail34convert_binary_result_type_wrapperINS9_3SumENS9_22TransformInputIteratorIbN2at6native12_GLOBAL__N_19NonZeroOpIN3c107complexINSI_4HalfEEEEEPKSL_lEEiEEEE10hipError_tPvRmT1_T2_T3_mT4_P12ihipStream_tbEUlT_E0_NS1_11comp_targetILNS1_3genE9ELNS1_11target_archE1100ELNS1_3gpuE3ELNS1_3repE0EEENS1_30default_config_static_selectorELNS0_4arch9wavefront6targetE0EEEvSU_.has_dyn_sized_stack, 0
	.set _ZN7rocprim17ROCPRIM_400000_NS6detail17trampoline_kernelINS0_14default_configENS1_22reduce_config_selectorIiEEZNS1_11reduce_implILb1ES3_PiS7_iN6hipcub16HIPCUB_304000_NS6detail34convert_binary_result_type_wrapperINS9_3SumENS9_22TransformInputIteratorIbN2at6native12_GLOBAL__N_19NonZeroOpIN3c107complexINSI_4HalfEEEEEPKSL_lEEiEEEE10hipError_tPvRmT1_T2_T3_mT4_P12ihipStream_tbEUlT_E0_NS1_11comp_targetILNS1_3genE9ELNS1_11target_archE1100ELNS1_3gpuE3ELNS1_3repE0EEENS1_30default_config_static_selectorELNS0_4arch9wavefront6targetE0EEEvSU_.has_recursion, 0
	.set _ZN7rocprim17ROCPRIM_400000_NS6detail17trampoline_kernelINS0_14default_configENS1_22reduce_config_selectorIiEEZNS1_11reduce_implILb1ES3_PiS7_iN6hipcub16HIPCUB_304000_NS6detail34convert_binary_result_type_wrapperINS9_3SumENS9_22TransformInputIteratorIbN2at6native12_GLOBAL__N_19NonZeroOpIN3c107complexINSI_4HalfEEEEEPKSL_lEEiEEEE10hipError_tPvRmT1_T2_T3_mT4_P12ihipStream_tbEUlT_E0_NS1_11comp_targetILNS1_3genE9ELNS1_11target_archE1100ELNS1_3gpuE3ELNS1_3repE0EEENS1_30default_config_static_selectorELNS0_4arch9wavefront6targetE0EEEvSU_.has_indirect_call, 0
	.section	.AMDGPU.csdata,"",@progbits
; Kernel info:
; codeLenInByte = 0
; TotalNumSgprs: 0
; NumVgprs: 0
; ScratchSize: 0
; MemoryBound: 0
; FloatMode: 240
; IeeeMode: 1
; LDSByteSize: 0 bytes/workgroup (compile time only)
; SGPRBlocks: 0
; VGPRBlocks: 0
; NumSGPRsForWavesPerEU: 1
; NumVGPRsForWavesPerEU: 1
; Occupancy: 16
; WaveLimiterHint : 0
; COMPUTE_PGM_RSRC2:SCRATCH_EN: 0
; COMPUTE_PGM_RSRC2:USER_SGPR: 2
; COMPUTE_PGM_RSRC2:TRAP_HANDLER: 0
; COMPUTE_PGM_RSRC2:TGID_X_EN: 1
; COMPUTE_PGM_RSRC2:TGID_Y_EN: 0
; COMPUTE_PGM_RSRC2:TGID_Z_EN: 0
; COMPUTE_PGM_RSRC2:TIDIG_COMP_CNT: 0
	.section	.text._ZN7rocprim17ROCPRIM_400000_NS6detail17trampoline_kernelINS0_14default_configENS1_22reduce_config_selectorIiEEZNS1_11reduce_implILb1ES3_PiS7_iN6hipcub16HIPCUB_304000_NS6detail34convert_binary_result_type_wrapperINS9_3SumENS9_22TransformInputIteratorIbN2at6native12_GLOBAL__N_19NonZeroOpIN3c107complexINSI_4HalfEEEEEPKSL_lEEiEEEE10hipError_tPvRmT1_T2_T3_mT4_P12ihipStream_tbEUlT_E0_NS1_11comp_targetILNS1_3genE8ELNS1_11target_archE1030ELNS1_3gpuE2ELNS1_3repE0EEENS1_30default_config_static_selectorELNS0_4arch9wavefront6targetE0EEEvSU_,"axG",@progbits,_ZN7rocprim17ROCPRIM_400000_NS6detail17trampoline_kernelINS0_14default_configENS1_22reduce_config_selectorIiEEZNS1_11reduce_implILb1ES3_PiS7_iN6hipcub16HIPCUB_304000_NS6detail34convert_binary_result_type_wrapperINS9_3SumENS9_22TransformInputIteratorIbN2at6native12_GLOBAL__N_19NonZeroOpIN3c107complexINSI_4HalfEEEEEPKSL_lEEiEEEE10hipError_tPvRmT1_T2_T3_mT4_P12ihipStream_tbEUlT_E0_NS1_11comp_targetILNS1_3genE8ELNS1_11target_archE1030ELNS1_3gpuE2ELNS1_3repE0EEENS1_30default_config_static_selectorELNS0_4arch9wavefront6targetE0EEEvSU_,comdat
	.globl	_ZN7rocprim17ROCPRIM_400000_NS6detail17trampoline_kernelINS0_14default_configENS1_22reduce_config_selectorIiEEZNS1_11reduce_implILb1ES3_PiS7_iN6hipcub16HIPCUB_304000_NS6detail34convert_binary_result_type_wrapperINS9_3SumENS9_22TransformInputIteratorIbN2at6native12_GLOBAL__N_19NonZeroOpIN3c107complexINSI_4HalfEEEEEPKSL_lEEiEEEE10hipError_tPvRmT1_T2_T3_mT4_P12ihipStream_tbEUlT_E0_NS1_11comp_targetILNS1_3genE8ELNS1_11target_archE1030ELNS1_3gpuE2ELNS1_3repE0EEENS1_30default_config_static_selectorELNS0_4arch9wavefront6targetE0EEEvSU_ ; -- Begin function _ZN7rocprim17ROCPRIM_400000_NS6detail17trampoline_kernelINS0_14default_configENS1_22reduce_config_selectorIiEEZNS1_11reduce_implILb1ES3_PiS7_iN6hipcub16HIPCUB_304000_NS6detail34convert_binary_result_type_wrapperINS9_3SumENS9_22TransformInputIteratorIbN2at6native12_GLOBAL__N_19NonZeroOpIN3c107complexINSI_4HalfEEEEEPKSL_lEEiEEEE10hipError_tPvRmT1_T2_T3_mT4_P12ihipStream_tbEUlT_E0_NS1_11comp_targetILNS1_3genE8ELNS1_11target_archE1030ELNS1_3gpuE2ELNS1_3repE0EEENS1_30default_config_static_selectorELNS0_4arch9wavefront6targetE0EEEvSU_
	.p2align	8
	.type	_ZN7rocprim17ROCPRIM_400000_NS6detail17trampoline_kernelINS0_14default_configENS1_22reduce_config_selectorIiEEZNS1_11reduce_implILb1ES3_PiS7_iN6hipcub16HIPCUB_304000_NS6detail34convert_binary_result_type_wrapperINS9_3SumENS9_22TransformInputIteratorIbN2at6native12_GLOBAL__N_19NonZeroOpIN3c107complexINSI_4HalfEEEEEPKSL_lEEiEEEE10hipError_tPvRmT1_T2_T3_mT4_P12ihipStream_tbEUlT_E0_NS1_11comp_targetILNS1_3genE8ELNS1_11target_archE1030ELNS1_3gpuE2ELNS1_3repE0EEENS1_30default_config_static_selectorELNS0_4arch9wavefront6targetE0EEEvSU_,@function
_ZN7rocprim17ROCPRIM_400000_NS6detail17trampoline_kernelINS0_14default_configENS1_22reduce_config_selectorIiEEZNS1_11reduce_implILb1ES3_PiS7_iN6hipcub16HIPCUB_304000_NS6detail34convert_binary_result_type_wrapperINS9_3SumENS9_22TransformInputIteratorIbN2at6native12_GLOBAL__N_19NonZeroOpIN3c107complexINSI_4HalfEEEEEPKSL_lEEiEEEE10hipError_tPvRmT1_T2_T3_mT4_P12ihipStream_tbEUlT_E0_NS1_11comp_targetILNS1_3genE8ELNS1_11target_archE1030ELNS1_3gpuE2ELNS1_3repE0EEENS1_30default_config_static_selectorELNS0_4arch9wavefront6targetE0EEEvSU_: ; @_ZN7rocprim17ROCPRIM_400000_NS6detail17trampoline_kernelINS0_14default_configENS1_22reduce_config_selectorIiEEZNS1_11reduce_implILb1ES3_PiS7_iN6hipcub16HIPCUB_304000_NS6detail34convert_binary_result_type_wrapperINS9_3SumENS9_22TransformInputIteratorIbN2at6native12_GLOBAL__N_19NonZeroOpIN3c107complexINSI_4HalfEEEEEPKSL_lEEiEEEE10hipError_tPvRmT1_T2_T3_mT4_P12ihipStream_tbEUlT_E0_NS1_11comp_targetILNS1_3genE8ELNS1_11target_archE1030ELNS1_3gpuE2ELNS1_3repE0EEENS1_30default_config_static_selectorELNS0_4arch9wavefront6targetE0EEEvSU_
; %bb.0:
	.section	.rodata,"a",@progbits
	.p2align	6, 0x0
	.amdhsa_kernel _ZN7rocprim17ROCPRIM_400000_NS6detail17trampoline_kernelINS0_14default_configENS1_22reduce_config_selectorIiEEZNS1_11reduce_implILb1ES3_PiS7_iN6hipcub16HIPCUB_304000_NS6detail34convert_binary_result_type_wrapperINS9_3SumENS9_22TransformInputIteratorIbN2at6native12_GLOBAL__N_19NonZeroOpIN3c107complexINSI_4HalfEEEEEPKSL_lEEiEEEE10hipError_tPvRmT1_T2_T3_mT4_P12ihipStream_tbEUlT_E0_NS1_11comp_targetILNS1_3genE8ELNS1_11target_archE1030ELNS1_3gpuE2ELNS1_3repE0EEENS1_30default_config_static_selectorELNS0_4arch9wavefront6targetE0EEEvSU_
		.amdhsa_group_segment_fixed_size 0
		.amdhsa_private_segment_fixed_size 0
		.amdhsa_kernarg_size 56
		.amdhsa_user_sgpr_count 2
		.amdhsa_user_sgpr_dispatch_ptr 0
		.amdhsa_user_sgpr_queue_ptr 0
		.amdhsa_user_sgpr_kernarg_segment_ptr 1
		.amdhsa_user_sgpr_dispatch_id 0
		.amdhsa_user_sgpr_private_segment_size 0
		.amdhsa_wavefront_size32 1
		.amdhsa_uses_dynamic_stack 0
		.amdhsa_enable_private_segment 0
		.amdhsa_system_sgpr_workgroup_id_x 1
		.amdhsa_system_sgpr_workgroup_id_y 0
		.amdhsa_system_sgpr_workgroup_id_z 0
		.amdhsa_system_sgpr_workgroup_info 0
		.amdhsa_system_vgpr_workitem_id 0
		.amdhsa_next_free_vgpr 1
		.amdhsa_next_free_sgpr 1
		.amdhsa_reserve_vcc 0
		.amdhsa_float_round_mode_32 0
		.amdhsa_float_round_mode_16_64 0
		.amdhsa_float_denorm_mode_32 3
		.amdhsa_float_denorm_mode_16_64 3
		.amdhsa_fp16_overflow 0
		.amdhsa_workgroup_processor_mode 1
		.amdhsa_memory_ordered 1
		.amdhsa_forward_progress 1
		.amdhsa_inst_pref_size 0
		.amdhsa_round_robin_scheduling 0
		.amdhsa_exception_fp_ieee_invalid_op 0
		.amdhsa_exception_fp_denorm_src 0
		.amdhsa_exception_fp_ieee_div_zero 0
		.amdhsa_exception_fp_ieee_overflow 0
		.amdhsa_exception_fp_ieee_underflow 0
		.amdhsa_exception_fp_ieee_inexact 0
		.amdhsa_exception_int_div_zero 0
	.end_amdhsa_kernel
	.section	.text._ZN7rocprim17ROCPRIM_400000_NS6detail17trampoline_kernelINS0_14default_configENS1_22reduce_config_selectorIiEEZNS1_11reduce_implILb1ES3_PiS7_iN6hipcub16HIPCUB_304000_NS6detail34convert_binary_result_type_wrapperINS9_3SumENS9_22TransformInputIteratorIbN2at6native12_GLOBAL__N_19NonZeroOpIN3c107complexINSI_4HalfEEEEEPKSL_lEEiEEEE10hipError_tPvRmT1_T2_T3_mT4_P12ihipStream_tbEUlT_E0_NS1_11comp_targetILNS1_3genE8ELNS1_11target_archE1030ELNS1_3gpuE2ELNS1_3repE0EEENS1_30default_config_static_selectorELNS0_4arch9wavefront6targetE0EEEvSU_,"axG",@progbits,_ZN7rocprim17ROCPRIM_400000_NS6detail17trampoline_kernelINS0_14default_configENS1_22reduce_config_selectorIiEEZNS1_11reduce_implILb1ES3_PiS7_iN6hipcub16HIPCUB_304000_NS6detail34convert_binary_result_type_wrapperINS9_3SumENS9_22TransformInputIteratorIbN2at6native12_GLOBAL__N_19NonZeroOpIN3c107complexINSI_4HalfEEEEEPKSL_lEEiEEEE10hipError_tPvRmT1_T2_T3_mT4_P12ihipStream_tbEUlT_E0_NS1_11comp_targetILNS1_3genE8ELNS1_11target_archE1030ELNS1_3gpuE2ELNS1_3repE0EEENS1_30default_config_static_selectorELNS0_4arch9wavefront6targetE0EEEvSU_,comdat
.Lfunc_end634:
	.size	_ZN7rocprim17ROCPRIM_400000_NS6detail17trampoline_kernelINS0_14default_configENS1_22reduce_config_selectorIiEEZNS1_11reduce_implILb1ES3_PiS7_iN6hipcub16HIPCUB_304000_NS6detail34convert_binary_result_type_wrapperINS9_3SumENS9_22TransformInputIteratorIbN2at6native12_GLOBAL__N_19NonZeroOpIN3c107complexINSI_4HalfEEEEEPKSL_lEEiEEEE10hipError_tPvRmT1_T2_T3_mT4_P12ihipStream_tbEUlT_E0_NS1_11comp_targetILNS1_3genE8ELNS1_11target_archE1030ELNS1_3gpuE2ELNS1_3repE0EEENS1_30default_config_static_selectorELNS0_4arch9wavefront6targetE0EEEvSU_, .Lfunc_end634-_ZN7rocprim17ROCPRIM_400000_NS6detail17trampoline_kernelINS0_14default_configENS1_22reduce_config_selectorIiEEZNS1_11reduce_implILb1ES3_PiS7_iN6hipcub16HIPCUB_304000_NS6detail34convert_binary_result_type_wrapperINS9_3SumENS9_22TransformInputIteratorIbN2at6native12_GLOBAL__N_19NonZeroOpIN3c107complexINSI_4HalfEEEEEPKSL_lEEiEEEE10hipError_tPvRmT1_T2_T3_mT4_P12ihipStream_tbEUlT_E0_NS1_11comp_targetILNS1_3genE8ELNS1_11target_archE1030ELNS1_3gpuE2ELNS1_3repE0EEENS1_30default_config_static_selectorELNS0_4arch9wavefront6targetE0EEEvSU_
                                        ; -- End function
	.set _ZN7rocprim17ROCPRIM_400000_NS6detail17trampoline_kernelINS0_14default_configENS1_22reduce_config_selectorIiEEZNS1_11reduce_implILb1ES3_PiS7_iN6hipcub16HIPCUB_304000_NS6detail34convert_binary_result_type_wrapperINS9_3SumENS9_22TransformInputIteratorIbN2at6native12_GLOBAL__N_19NonZeroOpIN3c107complexINSI_4HalfEEEEEPKSL_lEEiEEEE10hipError_tPvRmT1_T2_T3_mT4_P12ihipStream_tbEUlT_E0_NS1_11comp_targetILNS1_3genE8ELNS1_11target_archE1030ELNS1_3gpuE2ELNS1_3repE0EEENS1_30default_config_static_selectorELNS0_4arch9wavefront6targetE0EEEvSU_.num_vgpr, 0
	.set _ZN7rocprim17ROCPRIM_400000_NS6detail17trampoline_kernelINS0_14default_configENS1_22reduce_config_selectorIiEEZNS1_11reduce_implILb1ES3_PiS7_iN6hipcub16HIPCUB_304000_NS6detail34convert_binary_result_type_wrapperINS9_3SumENS9_22TransformInputIteratorIbN2at6native12_GLOBAL__N_19NonZeroOpIN3c107complexINSI_4HalfEEEEEPKSL_lEEiEEEE10hipError_tPvRmT1_T2_T3_mT4_P12ihipStream_tbEUlT_E0_NS1_11comp_targetILNS1_3genE8ELNS1_11target_archE1030ELNS1_3gpuE2ELNS1_3repE0EEENS1_30default_config_static_selectorELNS0_4arch9wavefront6targetE0EEEvSU_.num_agpr, 0
	.set _ZN7rocprim17ROCPRIM_400000_NS6detail17trampoline_kernelINS0_14default_configENS1_22reduce_config_selectorIiEEZNS1_11reduce_implILb1ES3_PiS7_iN6hipcub16HIPCUB_304000_NS6detail34convert_binary_result_type_wrapperINS9_3SumENS9_22TransformInputIteratorIbN2at6native12_GLOBAL__N_19NonZeroOpIN3c107complexINSI_4HalfEEEEEPKSL_lEEiEEEE10hipError_tPvRmT1_T2_T3_mT4_P12ihipStream_tbEUlT_E0_NS1_11comp_targetILNS1_3genE8ELNS1_11target_archE1030ELNS1_3gpuE2ELNS1_3repE0EEENS1_30default_config_static_selectorELNS0_4arch9wavefront6targetE0EEEvSU_.numbered_sgpr, 0
	.set _ZN7rocprim17ROCPRIM_400000_NS6detail17trampoline_kernelINS0_14default_configENS1_22reduce_config_selectorIiEEZNS1_11reduce_implILb1ES3_PiS7_iN6hipcub16HIPCUB_304000_NS6detail34convert_binary_result_type_wrapperINS9_3SumENS9_22TransformInputIteratorIbN2at6native12_GLOBAL__N_19NonZeroOpIN3c107complexINSI_4HalfEEEEEPKSL_lEEiEEEE10hipError_tPvRmT1_T2_T3_mT4_P12ihipStream_tbEUlT_E0_NS1_11comp_targetILNS1_3genE8ELNS1_11target_archE1030ELNS1_3gpuE2ELNS1_3repE0EEENS1_30default_config_static_selectorELNS0_4arch9wavefront6targetE0EEEvSU_.num_named_barrier, 0
	.set _ZN7rocprim17ROCPRIM_400000_NS6detail17trampoline_kernelINS0_14default_configENS1_22reduce_config_selectorIiEEZNS1_11reduce_implILb1ES3_PiS7_iN6hipcub16HIPCUB_304000_NS6detail34convert_binary_result_type_wrapperINS9_3SumENS9_22TransformInputIteratorIbN2at6native12_GLOBAL__N_19NonZeroOpIN3c107complexINSI_4HalfEEEEEPKSL_lEEiEEEE10hipError_tPvRmT1_T2_T3_mT4_P12ihipStream_tbEUlT_E0_NS1_11comp_targetILNS1_3genE8ELNS1_11target_archE1030ELNS1_3gpuE2ELNS1_3repE0EEENS1_30default_config_static_selectorELNS0_4arch9wavefront6targetE0EEEvSU_.private_seg_size, 0
	.set _ZN7rocprim17ROCPRIM_400000_NS6detail17trampoline_kernelINS0_14default_configENS1_22reduce_config_selectorIiEEZNS1_11reduce_implILb1ES3_PiS7_iN6hipcub16HIPCUB_304000_NS6detail34convert_binary_result_type_wrapperINS9_3SumENS9_22TransformInputIteratorIbN2at6native12_GLOBAL__N_19NonZeroOpIN3c107complexINSI_4HalfEEEEEPKSL_lEEiEEEE10hipError_tPvRmT1_T2_T3_mT4_P12ihipStream_tbEUlT_E0_NS1_11comp_targetILNS1_3genE8ELNS1_11target_archE1030ELNS1_3gpuE2ELNS1_3repE0EEENS1_30default_config_static_selectorELNS0_4arch9wavefront6targetE0EEEvSU_.uses_vcc, 0
	.set _ZN7rocprim17ROCPRIM_400000_NS6detail17trampoline_kernelINS0_14default_configENS1_22reduce_config_selectorIiEEZNS1_11reduce_implILb1ES3_PiS7_iN6hipcub16HIPCUB_304000_NS6detail34convert_binary_result_type_wrapperINS9_3SumENS9_22TransformInputIteratorIbN2at6native12_GLOBAL__N_19NonZeroOpIN3c107complexINSI_4HalfEEEEEPKSL_lEEiEEEE10hipError_tPvRmT1_T2_T3_mT4_P12ihipStream_tbEUlT_E0_NS1_11comp_targetILNS1_3genE8ELNS1_11target_archE1030ELNS1_3gpuE2ELNS1_3repE0EEENS1_30default_config_static_selectorELNS0_4arch9wavefront6targetE0EEEvSU_.uses_flat_scratch, 0
	.set _ZN7rocprim17ROCPRIM_400000_NS6detail17trampoline_kernelINS0_14default_configENS1_22reduce_config_selectorIiEEZNS1_11reduce_implILb1ES3_PiS7_iN6hipcub16HIPCUB_304000_NS6detail34convert_binary_result_type_wrapperINS9_3SumENS9_22TransformInputIteratorIbN2at6native12_GLOBAL__N_19NonZeroOpIN3c107complexINSI_4HalfEEEEEPKSL_lEEiEEEE10hipError_tPvRmT1_T2_T3_mT4_P12ihipStream_tbEUlT_E0_NS1_11comp_targetILNS1_3genE8ELNS1_11target_archE1030ELNS1_3gpuE2ELNS1_3repE0EEENS1_30default_config_static_selectorELNS0_4arch9wavefront6targetE0EEEvSU_.has_dyn_sized_stack, 0
	.set _ZN7rocprim17ROCPRIM_400000_NS6detail17trampoline_kernelINS0_14default_configENS1_22reduce_config_selectorIiEEZNS1_11reduce_implILb1ES3_PiS7_iN6hipcub16HIPCUB_304000_NS6detail34convert_binary_result_type_wrapperINS9_3SumENS9_22TransformInputIteratorIbN2at6native12_GLOBAL__N_19NonZeroOpIN3c107complexINSI_4HalfEEEEEPKSL_lEEiEEEE10hipError_tPvRmT1_T2_T3_mT4_P12ihipStream_tbEUlT_E0_NS1_11comp_targetILNS1_3genE8ELNS1_11target_archE1030ELNS1_3gpuE2ELNS1_3repE0EEENS1_30default_config_static_selectorELNS0_4arch9wavefront6targetE0EEEvSU_.has_recursion, 0
	.set _ZN7rocprim17ROCPRIM_400000_NS6detail17trampoline_kernelINS0_14default_configENS1_22reduce_config_selectorIiEEZNS1_11reduce_implILb1ES3_PiS7_iN6hipcub16HIPCUB_304000_NS6detail34convert_binary_result_type_wrapperINS9_3SumENS9_22TransformInputIteratorIbN2at6native12_GLOBAL__N_19NonZeroOpIN3c107complexINSI_4HalfEEEEEPKSL_lEEiEEEE10hipError_tPvRmT1_T2_T3_mT4_P12ihipStream_tbEUlT_E0_NS1_11comp_targetILNS1_3genE8ELNS1_11target_archE1030ELNS1_3gpuE2ELNS1_3repE0EEENS1_30default_config_static_selectorELNS0_4arch9wavefront6targetE0EEEvSU_.has_indirect_call, 0
	.section	.AMDGPU.csdata,"",@progbits
; Kernel info:
; codeLenInByte = 0
; TotalNumSgprs: 0
; NumVgprs: 0
; ScratchSize: 0
; MemoryBound: 0
; FloatMode: 240
; IeeeMode: 1
; LDSByteSize: 0 bytes/workgroup (compile time only)
; SGPRBlocks: 0
; VGPRBlocks: 0
; NumSGPRsForWavesPerEU: 1
; NumVGPRsForWavesPerEU: 1
; Occupancy: 16
; WaveLimiterHint : 0
; COMPUTE_PGM_RSRC2:SCRATCH_EN: 0
; COMPUTE_PGM_RSRC2:USER_SGPR: 2
; COMPUTE_PGM_RSRC2:TRAP_HANDLER: 0
; COMPUTE_PGM_RSRC2:TGID_X_EN: 1
; COMPUTE_PGM_RSRC2:TGID_Y_EN: 0
; COMPUTE_PGM_RSRC2:TGID_Z_EN: 0
; COMPUTE_PGM_RSRC2:TIDIG_COMP_CNT: 0
	.section	.text._ZN7rocprim17ROCPRIM_400000_NS6detail17trampoline_kernelINS0_14default_configENS1_22reduce_config_selectorIiEEZNS1_11reduce_implILb1ES3_PiS7_iN6hipcub16HIPCUB_304000_NS6detail34convert_binary_result_type_wrapperINS9_3SumENS9_22TransformInputIteratorIbN2at6native12_GLOBAL__N_19NonZeroOpIN3c107complexINSI_4HalfEEEEEPKSL_lEEiEEEE10hipError_tPvRmT1_T2_T3_mT4_P12ihipStream_tbEUlT_E1_NS1_11comp_targetILNS1_3genE0ELNS1_11target_archE4294967295ELNS1_3gpuE0ELNS1_3repE0EEENS1_30default_config_static_selectorELNS0_4arch9wavefront6targetE0EEEvSU_,"axG",@progbits,_ZN7rocprim17ROCPRIM_400000_NS6detail17trampoline_kernelINS0_14default_configENS1_22reduce_config_selectorIiEEZNS1_11reduce_implILb1ES3_PiS7_iN6hipcub16HIPCUB_304000_NS6detail34convert_binary_result_type_wrapperINS9_3SumENS9_22TransformInputIteratorIbN2at6native12_GLOBAL__N_19NonZeroOpIN3c107complexINSI_4HalfEEEEEPKSL_lEEiEEEE10hipError_tPvRmT1_T2_T3_mT4_P12ihipStream_tbEUlT_E1_NS1_11comp_targetILNS1_3genE0ELNS1_11target_archE4294967295ELNS1_3gpuE0ELNS1_3repE0EEENS1_30default_config_static_selectorELNS0_4arch9wavefront6targetE0EEEvSU_,comdat
	.globl	_ZN7rocprim17ROCPRIM_400000_NS6detail17trampoline_kernelINS0_14default_configENS1_22reduce_config_selectorIiEEZNS1_11reduce_implILb1ES3_PiS7_iN6hipcub16HIPCUB_304000_NS6detail34convert_binary_result_type_wrapperINS9_3SumENS9_22TransformInputIteratorIbN2at6native12_GLOBAL__N_19NonZeroOpIN3c107complexINSI_4HalfEEEEEPKSL_lEEiEEEE10hipError_tPvRmT1_T2_T3_mT4_P12ihipStream_tbEUlT_E1_NS1_11comp_targetILNS1_3genE0ELNS1_11target_archE4294967295ELNS1_3gpuE0ELNS1_3repE0EEENS1_30default_config_static_selectorELNS0_4arch9wavefront6targetE0EEEvSU_ ; -- Begin function _ZN7rocprim17ROCPRIM_400000_NS6detail17trampoline_kernelINS0_14default_configENS1_22reduce_config_selectorIiEEZNS1_11reduce_implILb1ES3_PiS7_iN6hipcub16HIPCUB_304000_NS6detail34convert_binary_result_type_wrapperINS9_3SumENS9_22TransformInputIteratorIbN2at6native12_GLOBAL__N_19NonZeroOpIN3c107complexINSI_4HalfEEEEEPKSL_lEEiEEEE10hipError_tPvRmT1_T2_T3_mT4_P12ihipStream_tbEUlT_E1_NS1_11comp_targetILNS1_3genE0ELNS1_11target_archE4294967295ELNS1_3gpuE0ELNS1_3repE0EEENS1_30default_config_static_selectorELNS0_4arch9wavefront6targetE0EEEvSU_
	.p2align	8
	.type	_ZN7rocprim17ROCPRIM_400000_NS6detail17trampoline_kernelINS0_14default_configENS1_22reduce_config_selectorIiEEZNS1_11reduce_implILb1ES3_PiS7_iN6hipcub16HIPCUB_304000_NS6detail34convert_binary_result_type_wrapperINS9_3SumENS9_22TransformInputIteratorIbN2at6native12_GLOBAL__N_19NonZeroOpIN3c107complexINSI_4HalfEEEEEPKSL_lEEiEEEE10hipError_tPvRmT1_T2_T3_mT4_P12ihipStream_tbEUlT_E1_NS1_11comp_targetILNS1_3genE0ELNS1_11target_archE4294967295ELNS1_3gpuE0ELNS1_3repE0EEENS1_30default_config_static_selectorELNS0_4arch9wavefront6targetE0EEEvSU_,@function
_ZN7rocprim17ROCPRIM_400000_NS6detail17trampoline_kernelINS0_14default_configENS1_22reduce_config_selectorIiEEZNS1_11reduce_implILb1ES3_PiS7_iN6hipcub16HIPCUB_304000_NS6detail34convert_binary_result_type_wrapperINS9_3SumENS9_22TransformInputIteratorIbN2at6native12_GLOBAL__N_19NonZeroOpIN3c107complexINSI_4HalfEEEEEPKSL_lEEiEEEE10hipError_tPvRmT1_T2_T3_mT4_P12ihipStream_tbEUlT_E1_NS1_11comp_targetILNS1_3genE0ELNS1_11target_archE4294967295ELNS1_3gpuE0ELNS1_3repE0EEENS1_30default_config_static_selectorELNS0_4arch9wavefront6targetE0EEEvSU_: ; @_ZN7rocprim17ROCPRIM_400000_NS6detail17trampoline_kernelINS0_14default_configENS1_22reduce_config_selectorIiEEZNS1_11reduce_implILb1ES3_PiS7_iN6hipcub16HIPCUB_304000_NS6detail34convert_binary_result_type_wrapperINS9_3SumENS9_22TransformInputIteratorIbN2at6native12_GLOBAL__N_19NonZeroOpIN3c107complexINSI_4HalfEEEEEPKSL_lEEiEEEE10hipError_tPvRmT1_T2_T3_mT4_P12ihipStream_tbEUlT_E1_NS1_11comp_targetILNS1_3genE0ELNS1_11target_archE4294967295ELNS1_3gpuE0ELNS1_3repE0EEENS1_30default_config_static_selectorELNS0_4arch9wavefront6targetE0EEEvSU_
; %bb.0:
	.section	.rodata,"a",@progbits
	.p2align	6, 0x0
	.amdhsa_kernel _ZN7rocprim17ROCPRIM_400000_NS6detail17trampoline_kernelINS0_14default_configENS1_22reduce_config_selectorIiEEZNS1_11reduce_implILb1ES3_PiS7_iN6hipcub16HIPCUB_304000_NS6detail34convert_binary_result_type_wrapperINS9_3SumENS9_22TransformInputIteratorIbN2at6native12_GLOBAL__N_19NonZeroOpIN3c107complexINSI_4HalfEEEEEPKSL_lEEiEEEE10hipError_tPvRmT1_T2_T3_mT4_P12ihipStream_tbEUlT_E1_NS1_11comp_targetILNS1_3genE0ELNS1_11target_archE4294967295ELNS1_3gpuE0ELNS1_3repE0EEENS1_30default_config_static_selectorELNS0_4arch9wavefront6targetE0EEEvSU_
		.amdhsa_group_segment_fixed_size 0
		.amdhsa_private_segment_fixed_size 0
		.amdhsa_kernarg_size 40
		.amdhsa_user_sgpr_count 2
		.amdhsa_user_sgpr_dispatch_ptr 0
		.amdhsa_user_sgpr_queue_ptr 0
		.amdhsa_user_sgpr_kernarg_segment_ptr 1
		.amdhsa_user_sgpr_dispatch_id 0
		.amdhsa_user_sgpr_private_segment_size 0
		.amdhsa_wavefront_size32 1
		.amdhsa_uses_dynamic_stack 0
		.amdhsa_enable_private_segment 0
		.amdhsa_system_sgpr_workgroup_id_x 1
		.amdhsa_system_sgpr_workgroup_id_y 0
		.amdhsa_system_sgpr_workgroup_id_z 0
		.amdhsa_system_sgpr_workgroup_info 0
		.amdhsa_system_vgpr_workitem_id 0
		.amdhsa_next_free_vgpr 1
		.amdhsa_next_free_sgpr 1
		.amdhsa_reserve_vcc 0
		.amdhsa_float_round_mode_32 0
		.amdhsa_float_round_mode_16_64 0
		.amdhsa_float_denorm_mode_32 3
		.amdhsa_float_denorm_mode_16_64 3
		.amdhsa_fp16_overflow 0
		.amdhsa_workgroup_processor_mode 1
		.amdhsa_memory_ordered 1
		.amdhsa_forward_progress 1
		.amdhsa_inst_pref_size 0
		.amdhsa_round_robin_scheduling 0
		.amdhsa_exception_fp_ieee_invalid_op 0
		.amdhsa_exception_fp_denorm_src 0
		.amdhsa_exception_fp_ieee_div_zero 0
		.amdhsa_exception_fp_ieee_overflow 0
		.amdhsa_exception_fp_ieee_underflow 0
		.amdhsa_exception_fp_ieee_inexact 0
		.amdhsa_exception_int_div_zero 0
	.end_amdhsa_kernel
	.section	.text._ZN7rocprim17ROCPRIM_400000_NS6detail17trampoline_kernelINS0_14default_configENS1_22reduce_config_selectorIiEEZNS1_11reduce_implILb1ES3_PiS7_iN6hipcub16HIPCUB_304000_NS6detail34convert_binary_result_type_wrapperINS9_3SumENS9_22TransformInputIteratorIbN2at6native12_GLOBAL__N_19NonZeroOpIN3c107complexINSI_4HalfEEEEEPKSL_lEEiEEEE10hipError_tPvRmT1_T2_T3_mT4_P12ihipStream_tbEUlT_E1_NS1_11comp_targetILNS1_3genE0ELNS1_11target_archE4294967295ELNS1_3gpuE0ELNS1_3repE0EEENS1_30default_config_static_selectorELNS0_4arch9wavefront6targetE0EEEvSU_,"axG",@progbits,_ZN7rocprim17ROCPRIM_400000_NS6detail17trampoline_kernelINS0_14default_configENS1_22reduce_config_selectorIiEEZNS1_11reduce_implILb1ES3_PiS7_iN6hipcub16HIPCUB_304000_NS6detail34convert_binary_result_type_wrapperINS9_3SumENS9_22TransformInputIteratorIbN2at6native12_GLOBAL__N_19NonZeroOpIN3c107complexINSI_4HalfEEEEEPKSL_lEEiEEEE10hipError_tPvRmT1_T2_T3_mT4_P12ihipStream_tbEUlT_E1_NS1_11comp_targetILNS1_3genE0ELNS1_11target_archE4294967295ELNS1_3gpuE0ELNS1_3repE0EEENS1_30default_config_static_selectorELNS0_4arch9wavefront6targetE0EEEvSU_,comdat
.Lfunc_end635:
	.size	_ZN7rocprim17ROCPRIM_400000_NS6detail17trampoline_kernelINS0_14default_configENS1_22reduce_config_selectorIiEEZNS1_11reduce_implILb1ES3_PiS7_iN6hipcub16HIPCUB_304000_NS6detail34convert_binary_result_type_wrapperINS9_3SumENS9_22TransformInputIteratorIbN2at6native12_GLOBAL__N_19NonZeroOpIN3c107complexINSI_4HalfEEEEEPKSL_lEEiEEEE10hipError_tPvRmT1_T2_T3_mT4_P12ihipStream_tbEUlT_E1_NS1_11comp_targetILNS1_3genE0ELNS1_11target_archE4294967295ELNS1_3gpuE0ELNS1_3repE0EEENS1_30default_config_static_selectorELNS0_4arch9wavefront6targetE0EEEvSU_, .Lfunc_end635-_ZN7rocprim17ROCPRIM_400000_NS6detail17trampoline_kernelINS0_14default_configENS1_22reduce_config_selectorIiEEZNS1_11reduce_implILb1ES3_PiS7_iN6hipcub16HIPCUB_304000_NS6detail34convert_binary_result_type_wrapperINS9_3SumENS9_22TransformInputIteratorIbN2at6native12_GLOBAL__N_19NonZeroOpIN3c107complexINSI_4HalfEEEEEPKSL_lEEiEEEE10hipError_tPvRmT1_T2_T3_mT4_P12ihipStream_tbEUlT_E1_NS1_11comp_targetILNS1_3genE0ELNS1_11target_archE4294967295ELNS1_3gpuE0ELNS1_3repE0EEENS1_30default_config_static_selectorELNS0_4arch9wavefront6targetE0EEEvSU_
                                        ; -- End function
	.set _ZN7rocprim17ROCPRIM_400000_NS6detail17trampoline_kernelINS0_14default_configENS1_22reduce_config_selectorIiEEZNS1_11reduce_implILb1ES3_PiS7_iN6hipcub16HIPCUB_304000_NS6detail34convert_binary_result_type_wrapperINS9_3SumENS9_22TransformInputIteratorIbN2at6native12_GLOBAL__N_19NonZeroOpIN3c107complexINSI_4HalfEEEEEPKSL_lEEiEEEE10hipError_tPvRmT1_T2_T3_mT4_P12ihipStream_tbEUlT_E1_NS1_11comp_targetILNS1_3genE0ELNS1_11target_archE4294967295ELNS1_3gpuE0ELNS1_3repE0EEENS1_30default_config_static_selectorELNS0_4arch9wavefront6targetE0EEEvSU_.num_vgpr, 0
	.set _ZN7rocprim17ROCPRIM_400000_NS6detail17trampoline_kernelINS0_14default_configENS1_22reduce_config_selectorIiEEZNS1_11reduce_implILb1ES3_PiS7_iN6hipcub16HIPCUB_304000_NS6detail34convert_binary_result_type_wrapperINS9_3SumENS9_22TransformInputIteratorIbN2at6native12_GLOBAL__N_19NonZeroOpIN3c107complexINSI_4HalfEEEEEPKSL_lEEiEEEE10hipError_tPvRmT1_T2_T3_mT4_P12ihipStream_tbEUlT_E1_NS1_11comp_targetILNS1_3genE0ELNS1_11target_archE4294967295ELNS1_3gpuE0ELNS1_3repE0EEENS1_30default_config_static_selectorELNS0_4arch9wavefront6targetE0EEEvSU_.num_agpr, 0
	.set _ZN7rocprim17ROCPRIM_400000_NS6detail17trampoline_kernelINS0_14default_configENS1_22reduce_config_selectorIiEEZNS1_11reduce_implILb1ES3_PiS7_iN6hipcub16HIPCUB_304000_NS6detail34convert_binary_result_type_wrapperINS9_3SumENS9_22TransformInputIteratorIbN2at6native12_GLOBAL__N_19NonZeroOpIN3c107complexINSI_4HalfEEEEEPKSL_lEEiEEEE10hipError_tPvRmT1_T2_T3_mT4_P12ihipStream_tbEUlT_E1_NS1_11comp_targetILNS1_3genE0ELNS1_11target_archE4294967295ELNS1_3gpuE0ELNS1_3repE0EEENS1_30default_config_static_selectorELNS0_4arch9wavefront6targetE0EEEvSU_.numbered_sgpr, 0
	.set _ZN7rocprim17ROCPRIM_400000_NS6detail17trampoline_kernelINS0_14default_configENS1_22reduce_config_selectorIiEEZNS1_11reduce_implILb1ES3_PiS7_iN6hipcub16HIPCUB_304000_NS6detail34convert_binary_result_type_wrapperINS9_3SumENS9_22TransformInputIteratorIbN2at6native12_GLOBAL__N_19NonZeroOpIN3c107complexINSI_4HalfEEEEEPKSL_lEEiEEEE10hipError_tPvRmT1_T2_T3_mT4_P12ihipStream_tbEUlT_E1_NS1_11comp_targetILNS1_3genE0ELNS1_11target_archE4294967295ELNS1_3gpuE0ELNS1_3repE0EEENS1_30default_config_static_selectorELNS0_4arch9wavefront6targetE0EEEvSU_.num_named_barrier, 0
	.set _ZN7rocprim17ROCPRIM_400000_NS6detail17trampoline_kernelINS0_14default_configENS1_22reduce_config_selectorIiEEZNS1_11reduce_implILb1ES3_PiS7_iN6hipcub16HIPCUB_304000_NS6detail34convert_binary_result_type_wrapperINS9_3SumENS9_22TransformInputIteratorIbN2at6native12_GLOBAL__N_19NonZeroOpIN3c107complexINSI_4HalfEEEEEPKSL_lEEiEEEE10hipError_tPvRmT1_T2_T3_mT4_P12ihipStream_tbEUlT_E1_NS1_11comp_targetILNS1_3genE0ELNS1_11target_archE4294967295ELNS1_3gpuE0ELNS1_3repE0EEENS1_30default_config_static_selectorELNS0_4arch9wavefront6targetE0EEEvSU_.private_seg_size, 0
	.set _ZN7rocprim17ROCPRIM_400000_NS6detail17trampoline_kernelINS0_14default_configENS1_22reduce_config_selectorIiEEZNS1_11reduce_implILb1ES3_PiS7_iN6hipcub16HIPCUB_304000_NS6detail34convert_binary_result_type_wrapperINS9_3SumENS9_22TransformInputIteratorIbN2at6native12_GLOBAL__N_19NonZeroOpIN3c107complexINSI_4HalfEEEEEPKSL_lEEiEEEE10hipError_tPvRmT1_T2_T3_mT4_P12ihipStream_tbEUlT_E1_NS1_11comp_targetILNS1_3genE0ELNS1_11target_archE4294967295ELNS1_3gpuE0ELNS1_3repE0EEENS1_30default_config_static_selectorELNS0_4arch9wavefront6targetE0EEEvSU_.uses_vcc, 0
	.set _ZN7rocprim17ROCPRIM_400000_NS6detail17trampoline_kernelINS0_14default_configENS1_22reduce_config_selectorIiEEZNS1_11reduce_implILb1ES3_PiS7_iN6hipcub16HIPCUB_304000_NS6detail34convert_binary_result_type_wrapperINS9_3SumENS9_22TransformInputIteratorIbN2at6native12_GLOBAL__N_19NonZeroOpIN3c107complexINSI_4HalfEEEEEPKSL_lEEiEEEE10hipError_tPvRmT1_T2_T3_mT4_P12ihipStream_tbEUlT_E1_NS1_11comp_targetILNS1_3genE0ELNS1_11target_archE4294967295ELNS1_3gpuE0ELNS1_3repE0EEENS1_30default_config_static_selectorELNS0_4arch9wavefront6targetE0EEEvSU_.uses_flat_scratch, 0
	.set _ZN7rocprim17ROCPRIM_400000_NS6detail17trampoline_kernelINS0_14default_configENS1_22reduce_config_selectorIiEEZNS1_11reduce_implILb1ES3_PiS7_iN6hipcub16HIPCUB_304000_NS6detail34convert_binary_result_type_wrapperINS9_3SumENS9_22TransformInputIteratorIbN2at6native12_GLOBAL__N_19NonZeroOpIN3c107complexINSI_4HalfEEEEEPKSL_lEEiEEEE10hipError_tPvRmT1_T2_T3_mT4_P12ihipStream_tbEUlT_E1_NS1_11comp_targetILNS1_3genE0ELNS1_11target_archE4294967295ELNS1_3gpuE0ELNS1_3repE0EEENS1_30default_config_static_selectorELNS0_4arch9wavefront6targetE0EEEvSU_.has_dyn_sized_stack, 0
	.set _ZN7rocprim17ROCPRIM_400000_NS6detail17trampoline_kernelINS0_14default_configENS1_22reduce_config_selectorIiEEZNS1_11reduce_implILb1ES3_PiS7_iN6hipcub16HIPCUB_304000_NS6detail34convert_binary_result_type_wrapperINS9_3SumENS9_22TransformInputIteratorIbN2at6native12_GLOBAL__N_19NonZeroOpIN3c107complexINSI_4HalfEEEEEPKSL_lEEiEEEE10hipError_tPvRmT1_T2_T3_mT4_P12ihipStream_tbEUlT_E1_NS1_11comp_targetILNS1_3genE0ELNS1_11target_archE4294967295ELNS1_3gpuE0ELNS1_3repE0EEENS1_30default_config_static_selectorELNS0_4arch9wavefront6targetE0EEEvSU_.has_recursion, 0
	.set _ZN7rocprim17ROCPRIM_400000_NS6detail17trampoline_kernelINS0_14default_configENS1_22reduce_config_selectorIiEEZNS1_11reduce_implILb1ES3_PiS7_iN6hipcub16HIPCUB_304000_NS6detail34convert_binary_result_type_wrapperINS9_3SumENS9_22TransformInputIteratorIbN2at6native12_GLOBAL__N_19NonZeroOpIN3c107complexINSI_4HalfEEEEEPKSL_lEEiEEEE10hipError_tPvRmT1_T2_T3_mT4_P12ihipStream_tbEUlT_E1_NS1_11comp_targetILNS1_3genE0ELNS1_11target_archE4294967295ELNS1_3gpuE0ELNS1_3repE0EEENS1_30default_config_static_selectorELNS0_4arch9wavefront6targetE0EEEvSU_.has_indirect_call, 0
	.section	.AMDGPU.csdata,"",@progbits
; Kernel info:
; codeLenInByte = 0
; TotalNumSgprs: 0
; NumVgprs: 0
; ScratchSize: 0
; MemoryBound: 0
; FloatMode: 240
; IeeeMode: 1
; LDSByteSize: 0 bytes/workgroup (compile time only)
; SGPRBlocks: 0
; VGPRBlocks: 0
; NumSGPRsForWavesPerEU: 1
; NumVGPRsForWavesPerEU: 1
; Occupancy: 16
; WaveLimiterHint : 0
; COMPUTE_PGM_RSRC2:SCRATCH_EN: 0
; COMPUTE_PGM_RSRC2:USER_SGPR: 2
; COMPUTE_PGM_RSRC2:TRAP_HANDLER: 0
; COMPUTE_PGM_RSRC2:TGID_X_EN: 1
; COMPUTE_PGM_RSRC2:TGID_Y_EN: 0
; COMPUTE_PGM_RSRC2:TGID_Z_EN: 0
; COMPUTE_PGM_RSRC2:TIDIG_COMP_CNT: 0
	.section	.text._ZN7rocprim17ROCPRIM_400000_NS6detail17trampoline_kernelINS0_14default_configENS1_22reduce_config_selectorIiEEZNS1_11reduce_implILb1ES3_PiS7_iN6hipcub16HIPCUB_304000_NS6detail34convert_binary_result_type_wrapperINS9_3SumENS9_22TransformInputIteratorIbN2at6native12_GLOBAL__N_19NonZeroOpIN3c107complexINSI_4HalfEEEEEPKSL_lEEiEEEE10hipError_tPvRmT1_T2_T3_mT4_P12ihipStream_tbEUlT_E1_NS1_11comp_targetILNS1_3genE5ELNS1_11target_archE942ELNS1_3gpuE9ELNS1_3repE0EEENS1_30default_config_static_selectorELNS0_4arch9wavefront6targetE0EEEvSU_,"axG",@progbits,_ZN7rocprim17ROCPRIM_400000_NS6detail17trampoline_kernelINS0_14default_configENS1_22reduce_config_selectorIiEEZNS1_11reduce_implILb1ES3_PiS7_iN6hipcub16HIPCUB_304000_NS6detail34convert_binary_result_type_wrapperINS9_3SumENS9_22TransformInputIteratorIbN2at6native12_GLOBAL__N_19NonZeroOpIN3c107complexINSI_4HalfEEEEEPKSL_lEEiEEEE10hipError_tPvRmT1_T2_T3_mT4_P12ihipStream_tbEUlT_E1_NS1_11comp_targetILNS1_3genE5ELNS1_11target_archE942ELNS1_3gpuE9ELNS1_3repE0EEENS1_30default_config_static_selectorELNS0_4arch9wavefront6targetE0EEEvSU_,comdat
	.globl	_ZN7rocprim17ROCPRIM_400000_NS6detail17trampoline_kernelINS0_14default_configENS1_22reduce_config_selectorIiEEZNS1_11reduce_implILb1ES3_PiS7_iN6hipcub16HIPCUB_304000_NS6detail34convert_binary_result_type_wrapperINS9_3SumENS9_22TransformInputIteratorIbN2at6native12_GLOBAL__N_19NonZeroOpIN3c107complexINSI_4HalfEEEEEPKSL_lEEiEEEE10hipError_tPvRmT1_T2_T3_mT4_P12ihipStream_tbEUlT_E1_NS1_11comp_targetILNS1_3genE5ELNS1_11target_archE942ELNS1_3gpuE9ELNS1_3repE0EEENS1_30default_config_static_selectorELNS0_4arch9wavefront6targetE0EEEvSU_ ; -- Begin function _ZN7rocprim17ROCPRIM_400000_NS6detail17trampoline_kernelINS0_14default_configENS1_22reduce_config_selectorIiEEZNS1_11reduce_implILb1ES3_PiS7_iN6hipcub16HIPCUB_304000_NS6detail34convert_binary_result_type_wrapperINS9_3SumENS9_22TransformInputIteratorIbN2at6native12_GLOBAL__N_19NonZeroOpIN3c107complexINSI_4HalfEEEEEPKSL_lEEiEEEE10hipError_tPvRmT1_T2_T3_mT4_P12ihipStream_tbEUlT_E1_NS1_11comp_targetILNS1_3genE5ELNS1_11target_archE942ELNS1_3gpuE9ELNS1_3repE0EEENS1_30default_config_static_selectorELNS0_4arch9wavefront6targetE0EEEvSU_
	.p2align	8
	.type	_ZN7rocprim17ROCPRIM_400000_NS6detail17trampoline_kernelINS0_14default_configENS1_22reduce_config_selectorIiEEZNS1_11reduce_implILb1ES3_PiS7_iN6hipcub16HIPCUB_304000_NS6detail34convert_binary_result_type_wrapperINS9_3SumENS9_22TransformInputIteratorIbN2at6native12_GLOBAL__N_19NonZeroOpIN3c107complexINSI_4HalfEEEEEPKSL_lEEiEEEE10hipError_tPvRmT1_T2_T3_mT4_P12ihipStream_tbEUlT_E1_NS1_11comp_targetILNS1_3genE5ELNS1_11target_archE942ELNS1_3gpuE9ELNS1_3repE0EEENS1_30default_config_static_selectorELNS0_4arch9wavefront6targetE0EEEvSU_,@function
_ZN7rocprim17ROCPRIM_400000_NS6detail17trampoline_kernelINS0_14default_configENS1_22reduce_config_selectorIiEEZNS1_11reduce_implILb1ES3_PiS7_iN6hipcub16HIPCUB_304000_NS6detail34convert_binary_result_type_wrapperINS9_3SumENS9_22TransformInputIteratorIbN2at6native12_GLOBAL__N_19NonZeroOpIN3c107complexINSI_4HalfEEEEEPKSL_lEEiEEEE10hipError_tPvRmT1_T2_T3_mT4_P12ihipStream_tbEUlT_E1_NS1_11comp_targetILNS1_3genE5ELNS1_11target_archE942ELNS1_3gpuE9ELNS1_3repE0EEENS1_30default_config_static_selectorELNS0_4arch9wavefront6targetE0EEEvSU_: ; @_ZN7rocprim17ROCPRIM_400000_NS6detail17trampoline_kernelINS0_14default_configENS1_22reduce_config_selectorIiEEZNS1_11reduce_implILb1ES3_PiS7_iN6hipcub16HIPCUB_304000_NS6detail34convert_binary_result_type_wrapperINS9_3SumENS9_22TransformInputIteratorIbN2at6native12_GLOBAL__N_19NonZeroOpIN3c107complexINSI_4HalfEEEEEPKSL_lEEiEEEE10hipError_tPvRmT1_T2_T3_mT4_P12ihipStream_tbEUlT_E1_NS1_11comp_targetILNS1_3genE5ELNS1_11target_archE942ELNS1_3gpuE9ELNS1_3repE0EEENS1_30default_config_static_selectorELNS0_4arch9wavefront6targetE0EEEvSU_
; %bb.0:
	.section	.rodata,"a",@progbits
	.p2align	6, 0x0
	.amdhsa_kernel _ZN7rocprim17ROCPRIM_400000_NS6detail17trampoline_kernelINS0_14default_configENS1_22reduce_config_selectorIiEEZNS1_11reduce_implILb1ES3_PiS7_iN6hipcub16HIPCUB_304000_NS6detail34convert_binary_result_type_wrapperINS9_3SumENS9_22TransformInputIteratorIbN2at6native12_GLOBAL__N_19NonZeroOpIN3c107complexINSI_4HalfEEEEEPKSL_lEEiEEEE10hipError_tPvRmT1_T2_T3_mT4_P12ihipStream_tbEUlT_E1_NS1_11comp_targetILNS1_3genE5ELNS1_11target_archE942ELNS1_3gpuE9ELNS1_3repE0EEENS1_30default_config_static_selectorELNS0_4arch9wavefront6targetE0EEEvSU_
		.amdhsa_group_segment_fixed_size 0
		.amdhsa_private_segment_fixed_size 0
		.amdhsa_kernarg_size 40
		.amdhsa_user_sgpr_count 2
		.amdhsa_user_sgpr_dispatch_ptr 0
		.amdhsa_user_sgpr_queue_ptr 0
		.amdhsa_user_sgpr_kernarg_segment_ptr 1
		.amdhsa_user_sgpr_dispatch_id 0
		.amdhsa_user_sgpr_private_segment_size 0
		.amdhsa_wavefront_size32 1
		.amdhsa_uses_dynamic_stack 0
		.amdhsa_enable_private_segment 0
		.amdhsa_system_sgpr_workgroup_id_x 1
		.amdhsa_system_sgpr_workgroup_id_y 0
		.amdhsa_system_sgpr_workgroup_id_z 0
		.amdhsa_system_sgpr_workgroup_info 0
		.amdhsa_system_vgpr_workitem_id 0
		.amdhsa_next_free_vgpr 1
		.amdhsa_next_free_sgpr 1
		.amdhsa_reserve_vcc 0
		.amdhsa_float_round_mode_32 0
		.amdhsa_float_round_mode_16_64 0
		.amdhsa_float_denorm_mode_32 3
		.amdhsa_float_denorm_mode_16_64 3
		.amdhsa_fp16_overflow 0
		.amdhsa_workgroup_processor_mode 1
		.amdhsa_memory_ordered 1
		.amdhsa_forward_progress 1
		.amdhsa_inst_pref_size 0
		.amdhsa_round_robin_scheduling 0
		.amdhsa_exception_fp_ieee_invalid_op 0
		.amdhsa_exception_fp_denorm_src 0
		.amdhsa_exception_fp_ieee_div_zero 0
		.amdhsa_exception_fp_ieee_overflow 0
		.amdhsa_exception_fp_ieee_underflow 0
		.amdhsa_exception_fp_ieee_inexact 0
		.amdhsa_exception_int_div_zero 0
	.end_amdhsa_kernel
	.section	.text._ZN7rocprim17ROCPRIM_400000_NS6detail17trampoline_kernelINS0_14default_configENS1_22reduce_config_selectorIiEEZNS1_11reduce_implILb1ES3_PiS7_iN6hipcub16HIPCUB_304000_NS6detail34convert_binary_result_type_wrapperINS9_3SumENS9_22TransformInputIteratorIbN2at6native12_GLOBAL__N_19NonZeroOpIN3c107complexINSI_4HalfEEEEEPKSL_lEEiEEEE10hipError_tPvRmT1_T2_T3_mT4_P12ihipStream_tbEUlT_E1_NS1_11comp_targetILNS1_3genE5ELNS1_11target_archE942ELNS1_3gpuE9ELNS1_3repE0EEENS1_30default_config_static_selectorELNS0_4arch9wavefront6targetE0EEEvSU_,"axG",@progbits,_ZN7rocprim17ROCPRIM_400000_NS6detail17trampoline_kernelINS0_14default_configENS1_22reduce_config_selectorIiEEZNS1_11reduce_implILb1ES3_PiS7_iN6hipcub16HIPCUB_304000_NS6detail34convert_binary_result_type_wrapperINS9_3SumENS9_22TransformInputIteratorIbN2at6native12_GLOBAL__N_19NonZeroOpIN3c107complexINSI_4HalfEEEEEPKSL_lEEiEEEE10hipError_tPvRmT1_T2_T3_mT4_P12ihipStream_tbEUlT_E1_NS1_11comp_targetILNS1_3genE5ELNS1_11target_archE942ELNS1_3gpuE9ELNS1_3repE0EEENS1_30default_config_static_selectorELNS0_4arch9wavefront6targetE0EEEvSU_,comdat
.Lfunc_end636:
	.size	_ZN7rocprim17ROCPRIM_400000_NS6detail17trampoline_kernelINS0_14default_configENS1_22reduce_config_selectorIiEEZNS1_11reduce_implILb1ES3_PiS7_iN6hipcub16HIPCUB_304000_NS6detail34convert_binary_result_type_wrapperINS9_3SumENS9_22TransformInputIteratorIbN2at6native12_GLOBAL__N_19NonZeroOpIN3c107complexINSI_4HalfEEEEEPKSL_lEEiEEEE10hipError_tPvRmT1_T2_T3_mT4_P12ihipStream_tbEUlT_E1_NS1_11comp_targetILNS1_3genE5ELNS1_11target_archE942ELNS1_3gpuE9ELNS1_3repE0EEENS1_30default_config_static_selectorELNS0_4arch9wavefront6targetE0EEEvSU_, .Lfunc_end636-_ZN7rocprim17ROCPRIM_400000_NS6detail17trampoline_kernelINS0_14default_configENS1_22reduce_config_selectorIiEEZNS1_11reduce_implILb1ES3_PiS7_iN6hipcub16HIPCUB_304000_NS6detail34convert_binary_result_type_wrapperINS9_3SumENS9_22TransformInputIteratorIbN2at6native12_GLOBAL__N_19NonZeroOpIN3c107complexINSI_4HalfEEEEEPKSL_lEEiEEEE10hipError_tPvRmT1_T2_T3_mT4_P12ihipStream_tbEUlT_E1_NS1_11comp_targetILNS1_3genE5ELNS1_11target_archE942ELNS1_3gpuE9ELNS1_3repE0EEENS1_30default_config_static_selectorELNS0_4arch9wavefront6targetE0EEEvSU_
                                        ; -- End function
	.set _ZN7rocprim17ROCPRIM_400000_NS6detail17trampoline_kernelINS0_14default_configENS1_22reduce_config_selectorIiEEZNS1_11reduce_implILb1ES3_PiS7_iN6hipcub16HIPCUB_304000_NS6detail34convert_binary_result_type_wrapperINS9_3SumENS9_22TransformInputIteratorIbN2at6native12_GLOBAL__N_19NonZeroOpIN3c107complexINSI_4HalfEEEEEPKSL_lEEiEEEE10hipError_tPvRmT1_T2_T3_mT4_P12ihipStream_tbEUlT_E1_NS1_11comp_targetILNS1_3genE5ELNS1_11target_archE942ELNS1_3gpuE9ELNS1_3repE0EEENS1_30default_config_static_selectorELNS0_4arch9wavefront6targetE0EEEvSU_.num_vgpr, 0
	.set _ZN7rocprim17ROCPRIM_400000_NS6detail17trampoline_kernelINS0_14default_configENS1_22reduce_config_selectorIiEEZNS1_11reduce_implILb1ES3_PiS7_iN6hipcub16HIPCUB_304000_NS6detail34convert_binary_result_type_wrapperINS9_3SumENS9_22TransformInputIteratorIbN2at6native12_GLOBAL__N_19NonZeroOpIN3c107complexINSI_4HalfEEEEEPKSL_lEEiEEEE10hipError_tPvRmT1_T2_T3_mT4_P12ihipStream_tbEUlT_E1_NS1_11comp_targetILNS1_3genE5ELNS1_11target_archE942ELNS1_3gpuE9ELNS1_3repE0EEENS1_30default_config_static_selectorELNS0_4arch9wavefront6targetE0EEEvSU_.num_agpr, 0
	.set _ZN7rocprim17ROCPRIM_400000_NS6detail17trampoline_kernelINS0_14default_configENS1_22reduce_config_selectorIiEEZNS1_11reduce_implILb1ES3_PiS7_iN6hipcub16HIPCUB_304000_NS6detail34convert_binary_result_type_wrapperINS9_3SumENS9_22TransformInputIteratorIbN2at6native12_GLOBAL__N_19NonZeroOpIN3c107complexINSI_4HalfEEEEEPKSL_lEEiEEEE10hipError_tPvRmT1_T2_T3_mT4_P12ihipStream_tbEUlT_E1_NS1_11comp_targetILNS1_3genE5ELNS1_11target_archE942ELNS1_3gpuE9ELNS1_3repE0EEENS1_30default_config_static_selectorELNS0_4arch9wavefront6targetE0EEEvSU_.numbered_sgpr, 0
	.set _ZN7rocprim17ROCPRIM_400000_NS6detail17trampoline_kernelINS0_14default_configENS1_22reduce_config_selectorIiEEZNS1_11reduce_implILb1ES3_PiS7_iN6hipcub16HIPCUB_304000_NS6detail34convert_binary_result_type_wrapperINS9_3SumENS9_22TransformInputIteratorIbN2at6native12_GLOBAL__N_19NonZeroOpIN3c107complexINSI_4HalfEEEEEPKSL_lEEiEEEE10hipError_tPvRmT1_T2_T3_mT4_P12ihipStream_tbEUlT_E1_NS1_11comp_targetILNS1_3genE5ELNS1_11target_archE942ELNS1_3gpuE9ELNS1_3repE0EEENS1_30default_config_static_selectorELNS0_4arch9wavefront6targetE0EEEvSU_.num_named_barrier, 0
	.set _ZN7rocprim17ROCPRIM_400000_NS6detail17trampoline_kernelINS0_14default_configENS1_22reduce_config_selectorIiEEZNS1_11reduce_implILb1ES3_PiS7_iN6hipcub16HIPCUB_304000_NS6detail34convert_binary_result_type_wrapperINS9_3SumENS9_22TransformInputIteratorIbN2at6native12_GLOBAL__N_19NonZeroOpIN3c107complexINSI_4HalfEEEEEPKSL_lEEiEEEE10hipError_tPvRmT1_T2_T3_mT4_P12ihipStream_tbEUlT_E1_NS1_11comp_targetILNS1_3genE5ELNS1_11target_archE942ELNS1_3gpuE9ELNS1_3repE0EEENS1_30default_config_static_selectorELNS0_4arch9wavefront6targetE0EEEvSU_.private_seg_size, 0
	.set _ZN7rocprim17ROCPRIM_400000_NS6detail17trampoline_kernelINS0_14default_configENS1_22reduce_config_selectorIiEEZNS1_11reduce_implILb1ES3_PiS7_iN6hipcub16HIPCUB_304000_NS6detail34convert_binary_result_type_wrapperINS9_3SumENS9_22TransformInputIteratorIbN2at6native12_GLOBAL__N_19NonZeroOpIN3c107complexINSI_4HalfEEEEEPKSL_lEEiEEEE10hipError_tPvRmT1_T2_T3_mT4_P12ihipStream_tbEUlT_E1_NS1_11comp_targetILNS1_3genE5ELNS1_11target_archE942ELNS1_3gpuE9ELNS1_3repE0EEENS1_30default_config_static_selectorELNS0_4arch9wavefront6targetE0EEEvSU_.uses_vcc, 0
	.set _ZN7rocprim17ROCPRIM_400000_NS6detail17trampoline_kernelINS0_14default_configENS1_22reduce_config_selectorIiEEZNS1_11reduce_implILb1ES3_PiS7_iN6hipcub16HIPCUB_304000_NS6detail34convert_binary_result_type_wrapperINS9_3SumENS9_22TransformInputIteratorIbN2at6native12_GLOBAL__N_19NonZeroOpIN3c107complexINSI_4HalfEEEEEPKSL_lEEiEEEE10hipError_tPvRmT1_T2_T3_mT4_P12ihipStream_tbEUlT_E1_NS1_11comp_targetILNS1_3genE5ELNS1_11target_archE942ELNS1_3gpuE9ELNS1_3repE0EEENS1_30default_config_static_selectorELNS0_4arch9wavefront6targetE0EEEvSU_.uses_flat_scratch, 0
	.set _ZN7rocprim17ROCPRIM_400000_NS6detail17trampoline_kernelINS0_14default_configENS1_22reduce_config_selectorIiEEZNS1_11reduce_implILb1ES3_PiS7_iN6hipcub16HIPCUB_304000_NS6detail34convert_binary_result_type_wrapperINS9_3SumENS9_22TransformInputIteratorIbN2at6native12_GLOBAL__N_19NonZeroOpIN3c107complexINSI_4HalfEEEEEPKSL_lEEiEEEE10hipError_tPvRmT1_T2_T3_mT4_P12ihipStream_tbEUlT_E1_NS1_11comp_targetILNS1_3genE5ELNS1_11target_archE942ELNS1_3gpuE9ELNS1_3repE0EEENS1_30default_config_static_selectorELNS0_4arch9wavefront6targetE0EEEvSU_.has_dyn_sized_stack, 0
	.set _ZN7rocprim17ROCPRIM_400000_NS6detail17trampoline_kernelINS0_14default_configENS1_22reduce_config_selectorIiEEZNS1_11reduce_implILb1ES3_PiS7_iN6hipcub16HIPCUB_304000_NS6detail34convert_binary_result_type_wrapperINS9_3SumENS9_22TransformInputIteratorIbN2at6native12_GLOBAL__N_19NonZeroOpIN3c107complexINSI_4HalfEEEEEPKSL_lEEiEEEE10hipError_tPvRmT1_T2_T3_mT4_P12ihipStream_tbEUlT_E1_NS1_11comp_targetILNS1_3genE5ELNS1_11target_archE942ELNS1_3gpuE9ELNS1_3repE0EEENS1_30default_config_static_selectorELNS0_4arch9wavefront6targetE0EEEvSU_.has_recursion, 0
	.set _ZN7rocprim17ROCPRIM_400000_NS6detail17trampoline_kernelINS0_14default_configENS1_22reduce_config_selectorIiEEZNS1_11reduce_implILb1ES3_PiS7_iN6hipcub16HIPCUB_304000_NS6detail34convert_binary_result_type_wrapperINS9_3SumENS9_22TransformInputIteratorIbN2at6native12_GLOBAL__N_19NonZeroOpIN3c107complexINSI_4HalfEEEEEPKSL_lEEiEEEE10hipError_tPvRmT1_T2_T3_mT4_P12ihipStream_tbEUlT_E1_NS1_11comp_targetILNS1_3genE5ELNS1_11target_archE942ELNS1_3gpuE9ELNS1_3repE0EEENS1_30default_config_static_selectorELNS0_4arch9wavefront6targetE0EEEvSU_.has_indirect_call, 0
	.section	.AMDGPU.csdata,"",@progbits
; Kernel info:
; codeLenInByte = 0
; TotalNumSgprs: 0
; NumVgprs: 0
; ScratchSize: 0
; MemoryBound: 0
; FloatMode: 240
; IeeeMode: 1
; LDSByteSize: 0 bytes/workgroup (compile time only)
; SGPRBlocks: 0
; VGPRBlocks: 0
; NumSGPRsForWavesPerEU: 1
; NumVGPRsForWavesPerEU: 1
; Occupancy: 16
; WaveLimiterHint : 0
; COMPUTE_PGM_RSRC2:SCRATCH_EN: 0
; COMPUTE_PGM_RSRC2:USER_SGPR: 2
; COMPUTE_PGM_RSRC2:TRAP_HANDLER: 0
; COMPUTE_PGM_RSRC2:TGID_X_EN: 1
; COMPUTE_PGM_RSRC2:TGID_Y_EN: 0
; COMPUTE_PGM_RSRC2:TGID_Z_EN: 0
; COMPUTE_PGM_RSRC2:TIDIG_COMP_CNT: 0
	.section	.text._ZN7rocprim17ROCPRIM_400000_NS6detail17trampoline_kernelINS0_14default_configENS1_22reduce_config_selectorIiEEZNS1_11reduce_implILb1ES3_PiS7_iN6hipcub16HIPCUB_304000_NS6detail34convert_binary_result_type_wrapperINS9_3SumENS9_22TransformInputIteratorIbN2at6native12_GLOBAL__N_19NonZeroOpIN3c107complexINSI_4HalfEEEEEPKSL_lEEiEEEE10hipError_tPvRmT1_T2_T3_mT4_P12ihipStream_tbEUlT_E1_NS1_11comp_targetILNS1_3genE4ELNS1_11target_archE910ELNS1_3gpuE8ELNS1_3repE0EEENS1_30default_config_static_selectorELNS0_4arch9wavefront6targetE0EEEvSU_,"axG",@progbits,_ZN7rocprim17ROCPRIM_400000_NS6detail17trampoline_kernelINS0_14default_configENS1_22reduce_config_selectorIiEEZNS1_11reduce_implILb1ES3_PiS7_iN6hipcub16HIPCUB_304000_NS6detail34convert_binary_result_type_wrapperINS9_3SumENS9_22TransformInputIteratorIbN2at6native12_GLOBAL__N_19NonZeroOpIN3c107complexINSI_4HalfEEEEEPKSL_lEEiEEEE10hipError_tPvRmT1_T2_T3_mT4_P12ihipStream_tbEUlT_E1_NS1_11comp_targetILNS1_3genE4ELNS1_11target_archE910ELNS1_3gpuE8ELNS1_3repE0EEENS1_30default_config_static_selectorELNS0_4arch9wavefront6targetE0EEEvSU_,comdat
	.globl	_ZN7rocprim17ROCPRIM_400000_NS6detail17trampoline_kernelINS0_14default_configENS1_22reduce_config_selectorIiEEZNS1_11reduce_implILb1ES3_PiS7_iN6hipcub16HIPCUB_304000_NS6detail34convert_binary_result_type_wrapperINS9_3SumENS9_22TransformInputIteratorIbN2at6native12_GLOBAL__N_19NonZeroOpIN3c107complexINSI_4HalfEEEEEPKSL_lEEiEEEE10hipError_tPvRmT1_T2_T3_mT4_P12ihipStream_tbEUlT_E1_NS1_11comp_targetILNS1_3genE4ELNS1_11target_archE910ELNS1_3gpuE8ELNS1_3repE0EEENS1_30default_config_static_selectorELNS0_4arch9wavefront6targetE0EEEvSU_ ; -- Begin function _ZN7rocprim17ROCPRIM_400000_NS6detail17trampoline_kernelINS0_14default_configENS1_22reduce_config_selectorIiEEZNS1_11reduce_implILb1ES3_PiS7_iN6hipcub16HIPCUB_304000_NS6detail34convert_binary_result_type_wrapperINS9_3SumENS9_22TransformInputIteratorIbN2at6native12_GLOBAL__N_19NonZeroOpIN3c107complexINSI_4HalfEEEEEPKSL_lEEiEEEE10hipError_tPvRmT1_T2_T3_mT4_P12ihipStream_tbEUlT_E1_NS1_11comp_targetILNS1_3genE4ELNS1_11target_archE910ELNS1_3gpuE8ELNS1_3repE0EEENS1_30default_config_static_selectorELNS0_4arch9wavefront6targetE0EEEvSU_
	.p2align	8
	.type	_ZN7rocprim17ROCPRIM_400000_NS6detail17trampoline_kernelINS0_14default_configENS1_22reduce_config_selectorIiEEZNS1_11reduce_implILb1ES3_PiS7_iN6hipcub16HIPCUB_304000_NS6detail34convert_binary_result_type_wrapperINS9_3SumENS9_22TransformInputIteratorIbN2at6native12_GLOBAL__N_19NonZeroOpIN3c107complexINSI_4HalfEEEEEPKSL_lEEiEEEE10hipError_tPvRmT1_T2_T3_mT4_P12ihipStream_tbEUlT_E1_NS1_11comp_targetILNS1_3genE4ELNS1_11target_archE910ELNS1_3gpuE8ELNS1_3repE0EEENS1_30default_config_static_selectorELNS0_4arch9wavefront6targetE0EEEvSU_,@function
_ZN7rocprim17ROCPRIM_400000_NS6detail17trampoline_kernelINS0_14default_configENS1_22reduce_config_selectorIiEEZNS1_11reduce_implILb1ES3_PiS7_iN6hipcub16HIPCUB_304000_NS6detail34convert_binary_result_type_wrapperINS9_3SumENS9_22TransformInputIteratorIbN2at6native12_GLOBAL__N_19NonZeroOpIN3c107complexINSI_4HalfEEEEEPKSL_lEEiEEEE10hipError_tPvRmT1_T2_T3_mT4_P12ihipStream_tbEUlT_E1_NS1_11comp_targetILNS1_3genE4ELNS1_11target_archE910ELNS1_3gpuE8ELNS1_3repE0EEENS1_30default_config_static_selectorELNS0_4arch9wavefront6targetE0EEEvSU_: ; @_ZN7rocprim17ROCPRIM_400000_NS6detail17trampoline_kernelINS0_14default_configENS1_22reduce_config_selectorIiEEZNS1_11reduce_implILb1ES3_PiS7_iN6hipcub16HIPCUB_304000_NS6detail34convert_binary_result_type_wrapperINS9_3SumENS9_22TransformInputIteratorIbN2at6native12_GLOBAL__N_19NonZeroOpIN3c107complexINSI_4HalfEEEEEPKSL_lEEiEEEE10hipError_tPvRmT1_T2_T3_mT4_P12ihipStream_tbEUlT_E1_NS1_11comp_targetILNS1_3genE4ELNS1_11target_archE910ELNS1_3gpuE8ELNS1_3repE0EEENS1_30default_config_static_selectorELNS0_4arch9wavefront6targetE0EEEvSU_
; %bb.0:
	.section	.rodata,"a",@progbits
	.p2align	6, 0x0
	.amdhsa_kernel _ZN7rocprim17ROCPRIM_400000_NS6detail17trampoline_kernelINS0_14default_configENS1_22reduce_config_selectorIiEEZNS1_11reduce_implILb1ES3_PiS7_iN6hipcub16HIPCUB_304000_NS6detail34convert_binary_result_type_wrapperINS9_3SumENS9_22TransformInputIteratorIbN2at6native12_GLOBAL__N_19NonZeroOpIN3c107complexINSI_4HalfEEEEEPKSL_lEEiEEEE10hipError_tPvRmT1_T2_T3_mT4_P12ihipStream_tbEUlT_E1_NS1_11comp_targetILNS1_3genE4ELNS1_11target_archE910ELNS1_3gpuE8ELNS1_3repE0EEENS1_30default_config_static_selectorELNS0_4arch9wavefront6targetE0EEEvSU_
		.amdhsa_group_segment_fixed_size 0
		.amdhsa_private_segment_fixed_size 0
		.amdhsa_kernarg_size 40
		.amdhsa_user_sgpr_count 2
		.amdhsa_user_sgpr_dispatch_ptr 0
		.amdhsa_user_sgpr_queue_ptr 0
		.amdhsa_user_sgpr_kernarg_segment_ptr 1
		.amdhsa_user_sgpr_dispatch_id 0
		.amdhsa_user_sgpr_private_segment_size 0
		.amdhsa_wavefront_size32 1
		.amdhsa_uses_dynamic_stack 0
		.amdhsa_enable_private_segment 0
		.amdhsa_system_sgpr_workgroup_id_x 1
		.amdhsa_system_sgpr_workgroup_id_y 0
		.amdhsa_system_sgpr_workgroup_id_z 0
		.amdhsa_system_sgpr_workgroup_info 0
		.amdhsa_system_vgpr_workitem_id 0
		.amdhsa_next_free_vgpr 1
		.amdhsa_next_free_sgpr 1
		.amdhsa_reserve_vcc 0
		.amdhsa_float_round_mode_32 0
		.amdhsa_float_round_mode_16_64 0
		.amdhsa_float_denorm_mode_32 3
		.amdhsa_float_denorm_mode_16_64 3
		.amdhsa_fp16_overflow 0
		.amdhsa_workgroup_processor_mode 1
		.amdhsa_memory_ordered 1
		.amdhsa_forward_progress 1
		.amdhsa_inst_pref_size 0
		.amdhsa_round_robin_scheduling 0
		.amdhsa_exception_fp_ieee_invalid_op 0
		.amdhsa_exception_fp_denorm_src 0
		.amdhsa_exception_fp_ieee_div_zero 0
		.amdhsa_exception_fp_ieee_overflow 0
		.amdhsa_exception_fp_ieee_underflow 0
		.amdhsa_exception_fp_ieee_inexact 0
		.amdhsa_exception_int_div_zero 0
	.end_amdhsa_kernel
	.section	.text._ZN7rocprim17ROCPRIM_400000_NS6detail17trampoline_kernelINS0_14default_configENS1_22reduce_config_selectorIiEEZNS1_11reduce_implILb1ES3_PiS7_iN6hipcub16HIPCUB_304000_NS6detail34convert_binary_result_type_wrapperINS9_3SumENS9_22TransformInputIteratorIbN2at6native12_GLOBAL__N_19NonZeroOpIN3c107complexINSI_4HalfEEEEEPKSL_lEEiEEEE10hipError_tPvRmT1_T2_T3_mT4_P12ihipStream_tbEUlT_E1_NS1_11comp_targetILNS1_3genE4ELNS1_11target_archE910ELNS1_3gpuE8ELNS1_3repE0EEENS1_30default_config_static_selectorELNS0_4arch9wavefront6targetE0EEEvSU_,"axG",@progbits,_ZN7rocprim17ROCPRIM_400000_NS6detail17trampoline_kernelINS0_14default_configENS1_22reduce_config_selectorIiEEZNS1_11reduce_implILb1ES3_PiS7_iN6hipcub16HIPCUB_304000_NS6detail34convert_binary_result_type_wrapperINS9_3SumENS9_22TransformInputIteratorIbN2at6native12_GLOBAL__N_19NonZeroOpIN3c107complexINSI_4HalfEEEEEPKSL_lEEiEEEE10hipError_tPvRmT1_T2_T3_mT4_P12ihipStream_tbEUlT_E1_NS1_11comp_targetILNS1_3genE4ELNS1_11target_archE910ELNS1_3gpuE8ELNS1_3repE0EEENS1_30default_config_static_selectorELNS0_4arch9wavefront6targetE0EEEvSU_,comdat
.Lfunc_end637:
	.size	_ZN7rocprim17ROCPRIM_400000_NS6detail17trampoline_kernelINS0_14default_configENS1_22reduce_config_selectorIiEEZNS1_11reduce_implILb1ES3_PiS7_iN6hipcub16HIPCUB_304000_NS6detail34convert_binary_result_type_wrapperINS9_3SumENS9_22TransformInputIteratorIbN2at6native12_GLOBAL__N_19NonZeroOpIN3c107complexINSI_4HalfEEEEEPKSL_lEEiEEEE10hipError_tPvRmT1_T2_T3_mT4_P12ihipStream_tbEUlT_E1_NS1_11comp_targetILNS1_3genE4ELNS1_11target_archE910ELNS1_3gpuE8ELNS1_3repE0EEENS1_30default_config_static_selectorELNS0_4arch9wavefront6targetE0EEEvSU_, .Lfunc_end637-_ZN7rocprim17ROCPRIM_400000_NS6detail17trampoline_kernelINS0_14default_configENS1_22reduce_config_selectorIiEEZNS1_11reduce_implILb1ES3_PiS7_iN6hipcub16HIPCUB_304000_NS6detail34convert_binary_result_type_wrapperINS9_3SumENS9_22TransformInputIteratorIbN2at6native12_GLOBAL__N_19NonZeroOpIN3c107complexINSI_4HalfEEEEEPKSL_lEEiEEEE10hipError_tPvRmT1_T2_T3_mT4_P12ihipStream_tbEUlT_E1_NS1_11comp_targetILNS1_3genE4ELNS1_11target_archE910ELNS1_3gpuE8ELNS1_3repE0EEENS1_30default_config_static_selectorELNS0_4arch9wavefront6targetE0EEEvSU_
                                        ; -- End function
	.set _ZN7rocprim17ROCPRIM_400000_NS6detail17trampoline_kernelINS0_14default_configENS1_22reduce_config_selectorIiEEZNS1_11reduce_implILb1ES3_PiS7_iN6hipcub16HIPCUB_304000_NS6detail34convert_binary_result_type_wrapperINS9_3SumENS9_22TransformInputIteratorIbN2at6native12_GLOBAL__N_19NonZeroOpIN3c107complexINSI_4HalfEEEEEPKSL_lEEiEEEE10hipError_tPvRmT1_T2_T3_mT4_P12ihipStream_tbEUlT_E1_NS1_11comp_targetILNS1_3genE4ELNS1_11target_archE910ELNS1_3gpuE8ELNS1_3repE0EEENS1_30default_config_static_selectorELNS0_4arch9wavefront6targetE0EEEvSU_.num_vgpr, 0
	.set _ZN7rocprim17ROCPRIM_400000_NS6detail17trampoline_kernelINS0_14default_configENS1_22reduce_config_selectorIiEEZNS1_11reduce_implILb1ES3_PiS7_iN6hipcub16HIPCUB_304000_NS6detail34convert_binary_result_type_wrapperINS9_3SumENS9_22TransformInputIteratorIbN2at6native12_GLOBAL__N_19NonZeroOpIN3c107complexINSI_4HalfEEEEEPKSL_lEEiEEEE10hipError_tPvRmT1_T2_T3_mT4_P12ihipStream_tbEUlT_E1_NS1_11comp_targetILNS1_3genE4ELNS1_11target_archE910ELNS1_3gpuE8ELNS1_3repE0EEENS1_30default_config_static_selectorELNS0_4arch9wavefront6targetE0EEEvSU_.num_agpr, 0
	.set _ZN7rocprim17ROCPRIM_400000_NS6detail17trampoline_kernelINS0_14default_configENS1_22reduce_config_selectorIiEEZNS1_11reduce_implILb1ES3_PiS7_iN6hipcub16HIPCUB_304000_NS6detail34convert_binary_result_type_wrapperINS9_3SumENS9_22TransformInputIteratorIbN2at6native12_GLOBAL__N_19NonZeroOpIN3c107complexINSI_4HalfEEEEEPKSL_lEEiEEEE10hipError_tPvRmT1_T2_T3_mT4_P12ihipStream_tbEUlT_E1_NS1_11comp_targetILNS1_3genE4ELNS1_11target_archE910ELNS1_3gpuE8ELNS1_3repE0EEENS1_30default_config_static_selectorELNS0_4arch9wavefront6targetE0EEEvSU_.numbered_sgpr, 0
	.set _ZN7rocprim17ROCPRIM_400000_NS6detail17trampoline_kernelINS0_14default_configENS1_22reduce_config_selectorIiEEZNS1_11reduce_implILb1ES3_PiS7_iN6hipcub16HIPCUB_304000_NS6detail34convert_binary_result_type_wrapperINS9_3SumENS9_22TransformInputIteratorIbN2at6native12_GLOBAL__N_19NonZeroOpIN3c107complexINSI_4HalfEEEEEPKSL_lEEiEEEE10hipError_tPvRmT1_T2_T3_mT4_P12ihipStream_tbEUlT_E1_NS1_11comp_targetILNS1_3genE4ELNS1_11target_archE910ELNS1_3gpuE8ELNS1_3repE0EEENS1_30default_config_static_selectorELNS0_4arch9wavefront6targetE0EEEvSU_.num_named_barrier, 0
	.set _ZN7rocprim17ROCPRIM_400000_NS6detail17trampoline_kernelINS0_14default_configENS1_22reduce_config_selectorIiEEZNS1_11reduce_implILb1ES3_PiS7_iN6hipcub16HIPCUB_304000_NS6detail34convert_binary_result_type_wrapperINS9_3SumENS9_22TransformInputIteratorIbN2at6native12_GLOBAL__N_19NonZeroOpIN3c107complexINSI_4HalfEEEEEPKSL_lEEiEEEE10hipError_tPvRmT1_T2_T3_mT4_P12ihipStream_tbEUlT_E1_NS1_11comp_targetILNS1_3genE4ELNS1_11target_archE910ELNS1_3gpuE8ELNS1_3repE0EEENS1_30default_config_static_selectorELNS0_4arch9wavefront6targetE0EEEvSU_.private_seg_size, 0
	.set _ZN7rocprim17ROCPRIM_400000_NS6detail17trampoline_kernelINS0_14default_configENS1_22reduce_config_selectorIiEEZNS1_11reduce_implILb1ES3_PiS7_iN6hipcub16HIPCUB_304000_NS6detail34convert_binary_result_type_wrapperINS9_3SumENS9_22TransformInputIteratorIbN2at6native12_GLOBAL__N_19NonZeroOpIN3c107complexINSI_4HalfEEEEEPKSL_lEEiEEEE10hipError_tPvRmT1_T2_T3_mT4_P12ihipStream_tbEUlT_E1_NS1_11comp_targetILNS1_3genE4ELNS1_11target_archE910ELNS1_3gpuE8ELNS1_3repE0EEENS1_30default_config_static_selectorELNS0_4arch9wavefront6targetE0EEEvSU_.uses_vcc, 0
	.set _ZN7rocprim17ROCPRIM_400000_NS6detail17trampoline_kernelINS0_14default_configENS1_22reduce_config_selectorIiEEZNS1_11reduce_implILb1ES3_PiS7_iN6hipcub16HIPCUB_304000_NS6detail34convert_binary_result_type_wrapperINS9_3SumENS9_22TransformInputIteratorIbN2at6native12_GLOBAL__N_19NonZeroOpIN3c107complexINSI_4HalfEEEEEPKSL_lEEiEEEE10hipError_tPvRmT1_T2_T3_mT4_P12ihipStream_tbEUlT_E1_NS1_11comp_targetILNS1_3genE4ELNS1_11target_archE910ELNS1_3gpuE8ELNS1_3repE0EEENS1_30default_config_static_selectorELNS0_4arch9wavefront6targetE0EEEvSU_.uses_flat_scratch, 0
	.set _ZN7rocprim17ROCPRIM_400000_NS6detail17trampoline_kernelINS0_14default_configENS1_22reduce_config_selectorIiEEZNS1_11reduce_implILb1ES3_PiS7_iN6hipcub16HIPCUB_304000_NS6detail34convert_binary_result_type_wrapperINS9_3SumENS9_22TransformInputIteratorIbN2at6native12_GLOBAL__N_19NonZeroOpIN3c107complexINSI_4HalfEEEEEPKSL_lEEiEEEE10hipError_tPvRmT1_T2_T3_mT4_P12ihipStream_tbEUlT_E1_NS1_11comp_targetILNS1_3genE4ELNS1_11target_archE910ELNS1_3gpuE8ELNS1_3repE0EEENS1_30default_config_static_selectorELNS0_4arch9wavefront6targetE0EEEvSU_.has_dyn_sized_stack, 0
	.set _ZN7rocprim17ROCPRIM_400000_NS6detail17trampoline_kernelINS0_14default_configENS1_22reduce_config_selectorIiEEZNS1_11reduce_implILb1ES3_PiS7_iN6hipcub16HIPCUB_304000_NS6detail34convert_binary_result_type_wrapperINS9_3SumENS9_22TransformInputIteratorIbN2at6native12_GLOBAL__N_19NonZeroOpIN3c107complexINSI_4HalfEEEEEPKSL_lEEiEEEE10hipError_tPvRmT1_T2_T3_mT4_P12ihipStream_tbEUlT_E1_NS1_11comp_targetILNS1_3genE4ELNS1_11target_archE910ELNS1_3gpuE8ELNS1_3repE0EEENS1_30default_config_static_selectorELNS0_4arch9wavefront6targetE0EEEvSU_.has_recursion, 0
	.set _ZN7rocprim17ROCPRIM_400000_NS6detail17trampoline_kernelINS0_14default_configENS1_22reduce_config_selectorIiEEZNS1_11reduce_implILb1ES3_PiS7_iN6hipcub16HIPCUB_304000_NS6detail34convert_binary_result_type_wrapperINS9_3SumENS9_22TransformInputIteratorIbN2at6native12_GLOBAL__N_19NonZeroOpIN3c107complexINSI_4HalfEEEEEPKSL_lEEiEEEE10hipError_tPvRmT1_T2_T3_mT4_P12ihipStream_tbEUlT_E1_NS1_11comp_targetILNS1_3genE4ELNS1_11target_archE910ELNS1_3gpuE8ELNS1_3repE0EEENS1_30default_config_static_selectorELNS0_4arch9wavefront6targetE0EEEvSU_.has_indirect_call, 0
	.section	.AMDGPU.csdata,"",@progbits
; Kernel info:
; codeLenInByte = 0
; TotalNumSgprs: 0
; NumVgprs: 0
; ScratchSize: 0
; MemoryBound: 0
; FloatMode: 240
; IeeeMode: 1
; LDSByteSize: 0 bytes/workgroup (compile time only)
; SGPRBlocks: 0
; VGPRBlocks: 0
; NumSGPRsForWavesPerEU: 1
; NumVGPRsForWavesPerEU: 1
; Occupancy: 16
; WaveLimiterHint : 0
; COMPUTE_PGM_RSRC2:SCRATCH_EN: 0
; COMPUTE_PGM_RSRC2:USER_SGPR: 2
; COMPUTE_PGM_RSRC2:TRAP_HANDLER: 0
; COMPUTE_PGM_RSRC2:TGID_X_EN: 1
; COMPUTE_PGM_RSRC2:TGID_Y_EN: 0
; COMPUTE_PGM_RSRC2:TGID_Z_EN: 0
; COMPUTE_PGM_RSRC2:TIDIG_COMP_CNT: 0
	.section	.text._ZN7rocprim17ROCPRIM_400000_NS6detail17trampoline_kernelINS0_14default_configENS1_22reduce_config_selectorIiEEZNS1_11reduce_implILb1ES3_PiS7_iN6hipcub16HIPCUB_304000_NS6detail34convert_binary_result_type_wrapperINS9_3SumENS9_22TransformInputIteratorIbN2at6native12_GLOBAL__N_19NonZeroOpIN3c107complexINSI_4HalfEEEEEPKSL_lEEiEEEE10hipError_tPvRmT1_T2_T3_mT4_P12ihipStream_tbEUlT_E1_NS1_11comp_targetILNS1_3genE3ELNS1_11target_archE908ELNS1_3gpuE7ELNS1_3repE0EEENS1_30default_config_static_selectorELNS0_4arch9wavefront6targetE0EEEvSU_,"axG",@progbits,_ZN7rocprim17ROCPRIM_400000_NS6detail17trampoline_kernelINS0_14default_configENS1_22reduce_config_selectorIiEEZNS1_11reduce_implILb1ES3_PiS7_iN6hipcub16HIPCUB_304000_NS6detail34convert_binary_result_type_wrapperINS9_3SumENS9_22TransformInputIteratorIbN2at6native12_GLOBAL__N_19NonZeroOpIN3c107complexINSI_4HalfEEEEEPKSL_lEEiEEEE10hipError_tPvRmT1_T2_T3_mT4_P12ihipStream_tbEUlT_E1_NS1_11comp_targetILNS1_3genE3ELNS1_11target_archE908ELNS1_3gpuE7ELNS1_3repE0EEENS1_30default_config_static_selectorELNS0_4arch9wavefront6targetE0EEEvSU_,comdat
	.globl	_ZN7rocprim17ROCPRIM_400000_NS6detail17trampoline_kernelINS0_14default_configENS1_22reduce_config_selectorIiEEZNS1_11reduce_implILb1ES3_PiS7_iN6hipcub16HIPCUB_304000_NS6detail34convert_binary_result_type_wrapperINS9_3SumENS9_22TransformInputIteratorIbN2at6native12_GLOBAL__N_19NonZeroOpIN3c107complexINSI_4HalfEEEEEPKSL_lEEiEEEE10hipError_tPvRmT1_T2_T3_mT4_P12ihipStream_tbEUlT_E1_NS1_11comp_targetILNS1_3genE3ELNS1_11target_archE908ELNS1_3gpuE7ELNS1_3repE0EEENS1_30default_config_static_selectorELNS0_4arch9wavefront6targetE0EEEvSU_ ; -- Begin function _ZN7rocprim17ROCPRIM_400000_NS6detail17trampoline_kernelINS0_14default_configENS1_22reduce_config_selectorIiEEZNS1_11reduce_implILb1ES3_PiS7_iN6hipcub16HIPCUB_304000_NS6detail34convert_binary_result_type_wrapperINS9_3SumENS9_22TransformInputIteratorIbN2at6native12_GLOBAL__N_19NonZeroOpIN3c107complexINSI_4HalfEEEEEPKSL_lEEiEEEE10hipError_tPvRmT1_T2_T3_mT4_P12ihipStream_tbEUlT_E1_NS1_11comp_targetILNS1_3genE3ELNS1_11target_archE908ELNS1_3gpuE7ELNS1_3repE0EEENS1_30default_config_static_selectorELNS0_4arch9wavefront6targetE0EEEvSU_
	.p2align	8
	.type	_ZN7rocprim17ROCPRIM_400000_NS6detail17trampoline_kernelINS0_14default_configENS1_22reduce_config_selectorIiEEZNS1_11reduce_implILb1ES3_PiS7_iN6hipcub16HIPCUB_304000_NS6detail34convert_binary_result_type_wrapperINS9_3SumENS9_22TransformInputIteratorIbN2at6native12_GLOBAL__N_19NonZeroOpIN3c107complexINSI_4HalfEEEEEPKSL_lEEiEEEE10hipError_tPvRmT1_T2_T3_mT4_P12ihipStream_tbEUlT_E1_NS1_11comp_targetILNS1_3genE3ELNS1_11target_archE908ELNS1_3gpuE7ELNS1_3repE0EEENS1_30default_config_static_selectorELNS0_4arch9wavefront6targetE0EEEvSU_,@function
_ZN7rocprim17ROCPRIM_400000_NS6detail17trampoline_kernelINS0_14default_configENS1_22reduce_config_selectorIiEEZNS1_11reduce_implILb1ES3_PiS7_iN6hipcub16HIPCUB_304000_NS6detail34convert_binary_result_type_wrapperINS9_3SumENS9_22TransformInputIteratorIbN2at6native12_GLOBAL__N_19NonZeroOpIN3c107complexINSI_4HalfEEEEEPKSL_lEEiEEEE10hipError_tPvRmT1_T2_T3_mT4_P12ihipStream_tbEUlT_E1_NS1_11comp_targetILNS1_3genE3ELNS1_11target_archE908ELNS1_3gpuE7ELNS1_3repE0EEENS1_30default_config_static_selectorELNS0_4arch9wavefront6targetE0EEEvSU_: ; @_ZN7rocprim17ROCPRIM_400000_NS6detail17trampoline_kernelINS0_14default_configENS1_22reduce_config_selectorIiEEZNS1_11reduce_implILb1ES3_PiS7_iN6hipcub16HIPCUB_304000_NS6detail34convert_binary_result_type_wrapperINS9_3SumENS9_22TransformInputIteratorIbN2at6native12_GLOBAL__N_19NonZeroOpIN3c107complexINSI_4HalfEEEEEPKSL_lEEiEEEE10hipError_tPvRmT1_T2_T3_mT4_P12ihipStream_tbEUlT_E1_NS1_11comp_targetILNS1_3genE3ELNS1_11target_archE908ELNS1_3gpuE7ELNS1_3repE0EEENS1_30default_config_static_selectorELNS0_4arch9wavefront6targetE0EEEvSU_
; %bb.0:
	.section	.rodata,"a",@progbits
	.p2align	6, 0x0
	.amdhsa_kernel _ZN7rocprim17ROCPRIM_400000_NS6detail17trampoline_kernelINS0_14default_configENS1_22reduce_config_selectorIiEEZNS1_11reduce_implILb1ES3_PiS7_iN6hipcub16HIPCUB_304000_NS6detail34convert_binary_result_type_wrapperINS9_3SumENS9_22TransformInputIteratorIbN2at6native12_GLOBAL__N_19NonZeroOpIN3c107complexINSI_4HalfEEEEEPKSL_lEEiEEEE10hipError_tPvRmT1_T2_T3_mT4_P12ihipStream_tbEUlT_E1_NS1_11comp_targetILNS1_3genE3ELNS1_11target_archE908ELNS1_3gpuE7ELNS1_3repE0EEENS1_30default_config_static_selectorELNS0_4arch9wavefront6targetE0EEEvSU_
		.amdhsa_group_segment_fixed_size 0
		.amdhsa_private_segment_fixed_size 0
		.amdhsa_kernarg_size 40
		.amdhsa_user_sgpr_count 2
		.amdhsa_user_sgpr_dispatch_ptr 0
		.amdhsa_user_sgpr_queue_ptr 0
		.amdhsa_user_sgpr_kernarg_segment_ptr 1
		.amdhsa_user_sgpr_dispatch_id 0
		.amdhsa_user_sgpr_private_segment_size 0
		.amdhsa_wavefront_size32 1
		.amdhsa_uses_dynamic_stack 0
		.amdhsa_enable_private_segment 0
		.amdhsa_system_sgpr_workgroup_id_x 1
		.amdhsa_system_sgpr_workgroup_id_y 0
		.amdhsa_system_sgpr_workgroup_id_z 0
		.amdhsa_system_sgpr_workgroup_info 0
		.amdhsa_system_vgpr_workitem_id 0
		.amdhsa_next_free_vgpr 1
		.amdhsa_next_free_sgpr 1
		.amdhsa_reserve_vcc 0
		.amdhsa_float_round_mode_32 0
		.amdhsa_float_round_mode_16_64 0
		.amdhsa_float_denorm_mode_32 3
		.amdhsa_float_denorm_mode_16_64 3
		.amdhsa_fp16_overflow 0
		.amdhsa_workgroup_processor_mode 1
		.amdhsa_memory_ordered 1
		.amdhsa_forward_progress 1
		.amdhsa_inst_pref_size 0
		.amdhsa_round_robin_scheduling 0
		.amdhsa_exception_fp_ieee_invalid_op 0
		.amdhsa_exception_fp_denorm_src 0
		.amdhsa_exception_fp_ieee_div_zero 0
		.amdhsa_exception_fp_ieee_overflow 0
		.amdhsa_exception_fp_ieee_underflow 0
		.amdhsa_exception_fp_ieee_inexact 0
		.amdhsa_exception_int_div_zero 0
	.end_amdhsa_kernel
	.section	.text._ZN7rocprim17ROCPRIM_400000_NS6detail17trampoline_kernelINS0_14default_configENS1_22reduce_config_selectorIiEEZNS1_11reduce_implILb1ES3_PiS7_iN6hipcub16HIPCUB_304000_NS6detail34convert_binary_result_type_wrapperINS9_3SumENS9_22TransformInputIteratorIbN2at6native12_GLOBAL__N_19NonZeroOpIN3c107complexINSI_4HalfEEEEEPKSL_lEEiEEEE10hipError_tPvRmT1_T2_T3_mT4_P12ihipStream_tbEUlT_E1_NS1_11comp_targetILNS1_3genE3ELNS1_11target_archE908ELNS1_3gpuE7ELNS1_3repE0EEENS1_30default_config_static_selectorELNS0_4arch9wavefront6targetE0EEEvSU_,"axG",@progbits,_ZN7rocprim17ROCPRIM_400000_NS6detail17trampoline_kernelINS0_14default_configENS1_22reduce_config_selectorIiEEZNS1_11reduce_implILb1ES3_PiS7_iN6hipcub16HIPCUB_304000_NS6detail34convert_binary_result_type_wrapperINS9_3SumENS9_22TransformInputIteratorIbN2at6native12_GLOBAL__N_19NonZeroOpIN3c107complexINSI_4HalfEEEEEPKSL_lEEiEEEE10hipError_tPvRmT1_T2_T3_mT4_P12ihipStream_tbEUlT_E1_NS1_11comp_targetILNS1_3genE3ELNS1_11target_archE908ELNS1_3gpuE7ELNS1_3repE0EEENS1_30default_config_static_selectorELNS0_4arch9wavefront6targetE0EEEvSU_,comdat
.Lfunc_end638:
	.size	_ZN7rocprim17ROCPRIM_400000_NS6detail17trampoline_kernelINS0_14default_configENS1_22reduce_config_selectorIiEEZNS1_11reduce_implILb1ES3_PiS7_iN6hipcub16HIPCUB_304000_NS6detail34convert_binary_result_type_wrapperINS9_3SumENS9_22TransformInputIteratorIbN2at6native12_GLOBAL__N_19NonZeroOpIN3c107complexINSI_4HalfEEEEEPKSL_lEEiEEEE10hipError_tPvRmT1_T2_T3_mT4_P12ihipStream_tbEUlT_E1_NS1_11comp_targetILNS1_3genE3ELNS1_11target_archE908ELNS1_3gpuE7ELNS1_3repE0EEENS1_30default_config_static_selectorELNS0_4arch9wavefront6targetE0EEEvSU_, .Lfunc_end638-_ZN7rocprim17ROCPRIM_400000_NS6detail17trampoline_kernelINS0_14default_configENS1_22reduce_config_selectorIiEEZNS1_11reduce_implILb1ES3_PiS7_iN6hipcub16HIPCUB_304000_NS6detail34convert_binary_result_type_wrapperINS9_3SumENS9_22TransformInputIteratorIbN2at6native12_GLOBAL__N_19NonZeroOpIN3c107complexINSI_4HalfEEEEEPKSL_lEEiEEEE10hipError_tPvRmT1_T2_T3_mT4_P12ihipStream_tbEUlT_E1_NS1_11comp_targetILNS1_3genE3ELNS1_11target_archE908ELNS1_3gpuE7ELNS1_3repE0EEENS1_30default_config_static_selectorELNS0_4arch9wavefront6targetE0EEEvSU_
                                        ; -- End function
	.set _ZN7rocprim17ROCPRIM_400000_NS6detail17trampoline_kernelINS0_14default_configENS1_22reduce_config_selectorIiEEZNS1_11reduce_implILb1ES3_PiS7_iN6hipcub16HIPCUB_304000_NS6detail34convert_binary_result_type_wrapperINS9_3SumENS9_22TransformInputIteratorIbN2at6native12_GLOBAL__N_19NonZeroOpIN3c107complexINSI_4HalfEEEEEPKSL_lEEiEEEE10hipError_tPvRmT1_T2_T3_mT4_P12ihipStream_tbEUlT_E1_NS1_11comp_targetILNS1_3genE3ELNS1_11target_archE908ELNS1_3gpuE7ELNS1_3repE0EEENS1_30default_config_static_selectorELNS0_4arch9wavefront6targetE0EEEvSU_.num_vgpr, 0
	.set _ZN7rocprim17ROCPRIM_400000_NS6detail17trampoline_kernelINS0_14default_configENS1_22reduce_config_selectorIiEEZNS1_11reduce_implILb1ES3_PiS7_iN6hipcub16HIPCUB_304000_NS6detail34convert_binary_result_type_wrapperINS9_3SumENS9_22TransformInputIteratorIbN2at6native12_GLOBAL__N_19NonZeroOpIN3c107complexINSI_4HalfEEEEEPKSL_lEEiEEEE10hipError_tPvRmT1_T2_T3_mT4_P12ihipStream_tbEUlT_E1_NS1_11comp_targetILNS1_3genE3ELNS1_11target_archE908ELNS1_3gpuE7ELNS1_3repE0EEENS1_30default_config_static_selectorELNS0_4arch9wavefront6targetE0EEEvSU_.num_agpr, 0
	.set _ZN7rocprim17ROCPRIM_400000_NS6detail17trampoline_kernelINS0_14default_configENS1_22reduce_config_selectorIiEEZNS1_11reduce_implILb1ES3_PiS7_iN6hipcub16HIPCUB_304000_NS6detail34convert_binary_result_type_wrapperINS9_3SumENS9_22TransformInputIteratorIbN2at6native12_GLOBAL__N_19NonZeroOpIN3c107complexINSI_4HalfEEEEEPKSL_lEEiEEEE10hipError_tPvRmT1_T2_T3_mT4_P12ihipStream_tbEUlT_E1_NS1_11comp_targetILNS1_3genE3ELNS1_11target_archE908ELNS1_3gpuE7ELNS1_3repE0EEENS1_30default_config_static_selectorELNS0_4arch9wavefront6targetE0EEEvSU_.numbered_sgpr, 0
	.set _ZN7rocprim17ROCPRIM_400000_NS6detail17trampoline_kernelINS0_14default_configENS1_22reduce_config_selectorIiEEZNS1_11reduce_implILb1ES3_PiS7_iN6hipcub16HIPCUB_304000_NS6detail34convert_binary_result_type_wrapperINS9_3SumENS9_22TransformInputIteratorIbN2at6native12_GLOBAL__N_19NonZeroOpIN3c107complexINSI_4HalfEEEEEPKSL_lEEiEEEE10hipError_tPvRmT1_T2_T3_mT4_P12ihipStream_tbEUlT_E1_NS1_11comp_targetILNS1_3genE3ELNS1_11target_archE908ELNS1_3gpuE7ELNS1_3repE0EEENS1_30default_config_static_selectorELNS0_4arch9wavefront6targetE0EEEvSU_.num_named_barrier, 0
	.set _ZN7rocprim17ROCPRIM_400000_NS6detail17trampoline_kernelINS0_14default_configENS1_22reduce_config_selectorIiEEZNS1_11reduce_implILb1ES3_PiS7_iN6hipcub16HIPCUB_304000_NS6detail34convert_binary_result_type_wrapperINS9_3SumENS9_22TransformInputIteratorIbN2at6native12_GLOBAL__N_19NonZeroOpIN3c107complexINSI_4HalfEEEEEPKSL_lEEiEEEE10hipError_tPvRmT1_T2_T3_mT4_P12ihipStream_tbEUlT_E1_NS1_11comp_targetILNS1_3genE3ELNS1_11target_archE908ELNS1_3gpuE7ELNS1_3repE0EEENS1_30default_config_static_selectorELNS0_4arch9wavefront6targetE0EEEvSU_.private_seg_size, 0
	.set _ZN7rocprim17ROCPRIM_400000_NS6detail17trampoline_kernelINS0_14default_configENS1_22reduce_config_selectorIiEEZNS1_11reduce_implILb1ES3_PiS7_iN6hipcub16HIPCUB_304000_NS6detail34convert_binary_result_type_wrapperINS9_3SumENS9_22TransformInputIteratorIbN2at6native12_GLOBAL__N_19NonZeroOpIN3c107complexINSI_4HalfEEEEEPKSL_lEEiEEEE10hipError_tPvRmT1_T2_T3_mT4_P12ihipStream_tbEUlT_E1_NS1_11comp_targetILNS1_3genE3ELNS1_11target_archE908ELNS1_3gpuE7ELNS1_3repE0EEENS1_30default_config_static_selectorELNS0_4arch9wavefront6targetE0EEEvSU_.uses_vcc, 0
	.set _ZN7rocprim17ROCPRIM_400000_NS6detail17trampoline_kernelINS0_14default_configENS1_22reduce_config_selectorIiEEZNS1_11reduce_implILb1ES3_PiS7_iN6hipcub16HIPCUB_304000_NS6detail34convert_binary_result_type_wrapperINS9_3SumENS9_22TransformInputIteratorIbN2at6native12_GLOBAL__N_19NonZeroOpIN3c107complexINSI_4HalfEEEEEPKSL_lEEiEEEE10hipError_tPvRmT1_T2_T3_mT4_P12ihipStream_tbEUlT_E1_NS1_11comp_targetILNS1_3genE3ELNS1_11target_archE908ELNS1_3gpuE7ELNS1_3repE0EEENS1_30default_config_static_selectorELNS0_4arch9wavefront6targetE0EEEvSU_.uses_flat_scratch, 0
	.set _ZN7rocprim17ROCPRIM_400000_NS6detail17trampoline_kernelINS0_14default_configENS1_22reduce_config_selectorIiEEZNS1_11reduce_implILb1ES3_PiS7_iN6hipcub16HIPCUB_304000_NS6detail34convert_binary_result_type_wrapperINS9_3SumENS9_22TransformInputIteratorIbN2at6native12_GLOBAL__N_19NonZeroOpIN3c107complexINSI_4HalfEEEEEPKSL_lEEiEEEE10hipError_tPvRmT1_T2_T3_mT4_P12ihipStream_tbEUlT_E1_NS1_11comp_targetILNS1_3genE3ELNS1_11target_archE908ELNS1_3gpuE7ELNS1_3repE0EEENS1_30default_config_static_selectorELNS0_4arch9wavefront6targetE0EEEvSU_.has_dyn_sized_stack, 0
	.set _ZN7rocprim17ROCPRIM_400000_NS6detail17trampoline_kernelINS0_14default_configENS1_22reduce_config_selectorIiEEZNS1_11reduce_implILb1ES3_PiS7_iN6hipcub16HIPCUB_304000_NS6detail34convert_binary_result_type_wrapperINS9_3SumENS9_22TransformInputIteratorIbN2at6native12_GLOBAL__N_19NonZeroOpIN3c107complexINSI_4HalfEEEEEPKSL_lEEiEEEE10hipError_tPvRmT1_T2_T3_mT4_P12ihipStream_tbEUlT_E1_NS1_11comp_targetILNS1_3genE3ELNS1_11target_archE908ELNS1_3gpuE7ELNS1_3repE0EEENS1_30default_config_static_selectorELNS0_4arch9wavefront6targetE0EEEvSU_.has_recursion, 0
	.set _ZN7rocprim17ROCPRIM_400000_NS6detail17trampoline_kernelINS0_14default_configENS1_22reduce_config_selectorIiEEZNS1_11reduce_implILb1ES3_PiS7_iN6hipcub16HIPCUB_304000_NS6detail34convert_binary_result_type_wrapperINS9_3SumENS9_22TransformInputIteratorIbN2at6native12_GLOBAL__N_19NonZeroOpIN3c107complexINSI_4HalfEEEEEPKSL_lEEiEEEE10hipError_tPvRmT1_T2_T3_mT4_P12ihipStream_tbEUlT_E1_NS1_11comp_targetILNS1_3genE3ELNS1_11target_archE908ELNS1_3gpuE7ELNS1_3repE0EEENS1_30default_config_static_selectorELNS0_4arch9wavefront6targetE0EEEvSU_.has_indirect_call, 0
	.section	.AMDGPU.csdata,"",@progbits
; Kernel info:
; codeLenInByte = 0
; TotalNumSgprs: 0
; NumVgprs: 0
; ScratchSize: 0
; MemoryBound: 0
; FloatMode: 240
; IeeeMode: 1
; LDSByteSize: 0 bytes/workgroup (compile time only)
; SGPRBlocks: 0
; VGPRBlocks: 0
; NumSGPRsForWavesPerEU: 1
; NumVGPRsForWavesPerEU: 1
; Occupancy: 16
; WaveLimiterHint : 0
; COMPUTE_PGM_RSRC2:SCRATCH_EN: 0
; COMPUTE_PGM_RSRC2:USER_SGPR: 2
; COMPUTE_PGM_RSRC2:TRAP_HANDLER: 0
; COMPUTE_PGM_RSRC2:TGID_X_EN: 1
; COMPUTE_PGM_RSRC2:TGID_Y_EN: 0
; COMPUTE_PGM_RSRC2:TGID_Z_EN: 0
; COMPUTE_PGM_RSRC2:TIDIG_COMP_CNT: 0
	.section	.text._ZN7rocprim17ROCPRIM_400000_NS6detail17trampoline_kernelINS0_14default_configENS1_22reduce_config_selectorIiEEZNS1_11reduce_implILb1ES3_PiS7_iN6hipcub16HIPCUB_304000_NS6detail34convert_binary_result_type_wrapperINS9_3SumENS9_22TransformInputIteratorIbN2at6native12_GLOBAL__N_19NonZeroOpIN3c107complexINSI_4HalfEEEEEPKSL_lEEiEEEE10hipError_tPvRmT1_T2_T3_mT4_P12ihipStream_tbEUlT_E1_NS1_11comp_targetILNS1_3genE2ELNS1_11target_archE906ELNS1_3gpuE6ELNS1_3repE0EEENS1_30default_config_static_selectorELNS0_4arch9wavefront6targetE0EEEvSU_,"axG",@progbits,_ZN7rocprim17ROCPRIM_400000_NS6detail17trampoline_kernelINS0_14default_configENS1_22reduce_config_selectorIiEEZNS1_11reduce_implILb1ES3_PiS7_iN6hipcub16HIPCUB_304000_NS6detail34convert_binary_result_type_wrapperINS9_3SumENS9_22TransformInputIteratorIbN2at6native12_GLOBAL__N_19NonZeroOpIN3c107complexINSI_4HalfEEEEEPKSL_lEEiEEEE10hipError_tPvRmT1_T2_T3_mT4_P12ihipStream_tbEUlT_E1_NS1_11comp_targetILNS1_3genE2ELNS1_11target_archE906ELNS1_3gpuE6ELNS1_3repE0EEENS1_30default_config_static_selectorELNS0_4arch9wavefront6targetE0EEEvSU_,comdat
	.globl	_ZN7rocprim17ROCPRIM_400000_NS6detail17trampoline_kernelINS0_14default_configENS1_22reduce_config_selectorIiEEZNS1_11reduce_implILb1ES3_PiS7_iN6hipcub16HIPCUB_304000_NS6detail34convert_binary_result_type_wrapperINS9_3SumENS9_22TransformInputIteratorIbN2at6native12_GLOBAL__N_19NonZeroOpIN3c107complexINSI_4HalfEEEEEPKSL_lEEiEEEE10hipError_tPvRmT1_T2_T3_mT4_P12ihipStream_tbEUlT_E1_NS1_11comp_targetILNS1_3genE2ELNS1_11target_archE906ELNS1_3gpuE6ELNS1_3repE0EEENS1_30default_config_static_selectorELNS0_4arch9wavefront6targetE0EEEvSU_ ; -- Begin function _ZN7rocprim17ROCPRIM_400000_NS6detail17trampoline_kernelINS0_14default_configENS1_22reduce_config_selectorIiEEZNS1_11reduce_implILb1ES3_PiS7_iN6hipcub16HIPCUB_304000_NS6detail34convert_binary_result_type_wrapperINS9_3SumENS9_22TransformInputIteratorIbN2at6native12_GLOBAL__N_19NonZeroOpIN3c107complexINSI_4HalfEEEEEPKSL_lEEiEEEE10hipError_tPvRmT1_T2_T3_mT4_P12ihipStream_tbEUlT_E1_NS1_11comp_targetILNS1_3genE2ELNS1_11target_archE906ELNS1_3gpuE6ELNS1_3repE0EEENS1_30default_config_static_selectorELNS0_4arch9wavefront6targetE0EEEvSU_
	.p2align	8
	.type	_ZN7rocprim17ROCPRIM_400000_NS6detail17trampoline_kernelINS0_14default_configENS1_22reduce_config_selectorIiEEZNS1_11reduce_implILb1ES3_PiS7_iN6hipcub16HIPCUB_304000_NS6detail34convert_binary_result_type_wrapperINS9_3SumENS9_22TransformInputIteratorIbN2at6native12_GLOBAL__N_19NonZeroOpIN3c107complexINSI_4HalfEEEEEPKSL_lEEiEEEE10hipError_tPvRmT1_T2_T3_mT4_P12ihipStream_tbEUlT_E1_NS1_11comp_targetILNS1_3genE2ELNS1_11target_archE906ELNS1_3gpuE6ELNS1_3repE0EEENS1_30default_config_static_selectorELNS0_4arch9wavefront6targetE0EEEvSU_,@function
_ZN7rocprim17ROCPRIM_400000_NS6detail17trampoline_kernelINS0_14default_configENS1_22reduce_config_selectorIiEEZNS1_11reduce_implILb1ES3_PiS7_iN6hipcub16HIPCUB_304000_NS6detail34convert_binary_result_type_wrapperINS9_3SumENS9_22TransformInputIteratorIbN2at6native12_GLOBAL__N_19NonZeroOpIN3c107complexINSI_4HalfEEEEEPKSL_lEEiEEEE10hipError_tPvRmT1_T2_T3_mT4_P12ihipStream_tbEUlT_E1_NS1_11comp_targetILNS1_3genE2ELNS1_11target_archE906ELNS1_3gpuE6ELNS1_3repE0EEENS1_30default_config_static_selectorELNS0_4arch9wavefront6targetE0EEEvSU_: ; @_ZN7rocprim17ROCPRIM_400000_NS6detail17trampoline_kernelINS0_14default_configENS1_22reduce_config_selectorIiEEZNS1_11reduce_implILb1ES3_PiS7_iN6hipcub16HIPCUB_304000_NS6detail34convert_binary_result_type_wrapperINS9_3SumENS9_22TransformInputIteratorIbN2at6native12_GLOBAL__N_19NonZeroOpIN3c107complexINSI_4HalfEEEEEPKSL_lEEiEEEE10hipError_tPvRmT1_T2_T3_mT4_P12ihipStream_tbEUlT_E1_NS1_11comp_targetILNS1_3genE2ELNS1_11target_archE906ELNS1_3gpuE6ELNS1_3repE0EEENS1_30default_config_static_selectorELNS0_4arch9wavefront6targetE0EEEvSU_
; %bb.0:
	.section	.rodata,"a",@progbits
	.p2align	6, 0x0
	.amdhsa_kernel _ZN7rocprim17ROCPRIM_400000_NS6detail17trampoline_kernelINS0_14default_configENS1_22reduce_config_selectorIiEEZNS1_11reduce_implILb1ES3_PiS7_iN6hipcub16HIPCUB_304000_NS6detail34convert_binary_result_type_wrapperINS9_3SumENS9_22TransformInputIteratorIbN2at6native12_GLOBAL__N_19NonZeroOpIN3c107complexINSI_4HalfEEEEEPKSL_lEEiEEEE10hipError_tPvRmT1_T2_T3_mT4_P12ihipStream_tbEUlT_E1_NS1_11comp_targetILNS1_3genE2ELNS1_11target_archE906ELNS1_3gpuE6ELNS1_3repE0EEENS1_30default_config_static_selectorELNS0_4arch9wavefront6targetE0EEEvSU_
		.amdhsa_group_segment_fixed_size 0
		.amdhsa_private_segment_fixed_size 0
		.amdhsa_kernarg_size 40
		.amdhsa_user_sgpr_count 2
		.amdhsa_user_sgpr_dispatch_ptr 0
		.amdhsa_user_sgpr_queue_ptr 0
		.amdhsa_user_sgpr_kernarg_segment_ptr 1
		.amdhsa_user_sgpr_dispatch_id 0
		.amdhsa_user_sgpr_private_segment_size 0
		.amdhsa_wavefront_size32 1
		.amdhsa_uses_dynamic_stack 0
		.amdhsa_enable_private_segment 0
		.amdhsa_system_sgpr_workgroup_id_x 1
		.amdhsa_system_sgpr_workgroup_id_y 0
		.amdhsa_system_sgpr_workgroup_id_z 0
		.amdhsa_system_sgpr_workgroup_info 0
		.amdhsa_system_vgpr_workitem_id 0
		.amdhsa_next_free_vgpr 1
		.amdhsa_next_free_sgpr 1
		.amdhsa_reserve_vcc 0
		.amdhsa_float_round_mode_32 0
		.amdhsa_float_round_mode_16_64 0
		.amdhsa_float_denorm_mode_32 3
		.amdhsa_float_denorm_mode_16_64 3
		.amdhsa_fp16_overflow 0
		.amdhsa_workgroup_processor_mode 1
		.amdhsa_memory_ordered 1
		.amdhsa_forward_progress 1
		.amdhsa_inst_pref_size 0
		.amdhsa_round_robin_scheduling 0
		.amdhsa_exception_fp_ieee_invalid_op 0
		.amdhsa_exception_fp_denorm_src 0
		.amdhsa_exception_fp_ieee_div_zero 0
		.amdhsa_exception_fp_ieee_overflow 0
		.amdhsa_exception_fp_ieee_underflow 0
		.amdhsa_exception_fp_ieee_inexact 0
		.amdhsa_exception_int_div_zero 0
	.end_amdhsa_kernel
	.section	.text._ZN7rocprim17ROCPRIM_400000_NS6detail17trampoline_kernelINS0_14default_configENS1_22reduce_config_selectorIiEEZNS1_11reduce_implILb1ES3_PiS7_iN6hipcub16HIPCUB_304000_NS6detail34convert_binary_result_type_wrapperINS9_3SumENS9_22TransformInputIteratorIbN2at6native12_GLOBAL__N_19NonZeroOpIN3c107complexINSI_4HalfEEEEEPKSL_lEEiEEEE10hipError_tPvRmT1_T2_T3_mT4_P12ihipStream_tbEUlT_E1_NS1_11comp_targetILNS1_3genE2ELNS1_11target_archE906ELNS1_3gpuE6ELNS1_3repE0EEENS1_30default_config_static_selectorELNS0_4arch9wavefront6targetE0EEEvSU_,"axG",@progbits,_ZN7rocprim17ROCPRIM_400000_NS6detail17trampoline_kernelINS0_14default_configENS1_22reduce_config_selectorIiEEZNS1_11reduce_implILb1ES3_PiS7_iN6hipcub16HIPCUB_304000_NS6detail34convert_binary_result_type_wrapperINS9_3SumENS9_22TransformInputIteratorIbN2at6native12_GLOBAL__N_19NonZeroOpIN3c107complexINSI_4HalfEEEEEPKSL_lEEiEEEE10hipError_tPvRmT1_T2_T3_mT4_P12ihipStream_tbEUlT_E1_NS1_11comp_targetILNS1_3genE2ELNS1_11target_archE906ELNS1_3gpuE6ELNS1_3repE0EEENS1_30default_config_static_selectorELNS0_4arch9wavefront6targetE0EEEvSU_,comdat
.Lfunc_end639:
	.size	_ZN7rocprim17ROCPRIM_400000_NS6detail17trampoline_kernelINS0_14default_configENS1_22reduce_config_selectorIiEEZNS1_11reduce_implILb1ES3_PiS7_iN6hipcub16HIPCUB_304000_NS6detail34convert_binary_result_type_wrapperINS9_3SumENS9_22TransformInputIteratorIbN2at6native12_GLOBAL__N_19NonZeroOpIN3c107complexINSI_4HalfEEEEEPKSL_lEEiEEEE10hipError_tPvRmT1_T2_T3_mT4_P12ihipStream_tbEUlT_E1_NS1_11comp_targetILNS1_3genE2ELNS1_11target_archE906ELNS1_3gpuE6ELNS1_3repE0EEENS1_30default_config_static_selectorELNS0_4arch9wavefront6targetE0EEEvSU_, .Lfunc_end639-_ZN7rocprim17ROCPRIM_400000_NS6detail17trampoline_kernelINS0_14default_configENS1_22reduce_config_selectorIiEEZNS1_11reduce_implILb1ES3_PiS7_iN6hipcub16HIPCUB_304000_NS6detail34convert_binary_result_type_wrapperINS9_3SumENS9_22TransformInputIteratorIbN2at6native12_GLOBAL__N_19NonZeroOpIN3c107complexINSI_4HalfEEEEEPKSL_lEEiEEEE10hipError_tPvRmT1_T2_T3_mT4_P12ihipStream_tbEUlT_E1_NS1_11comp_targetILNS1_3genE2ELNS1_11target_archE906ELNS1_3gpuE6ELNS1_3repE0EEENS1_30default_config_static_selectorELNS0_4arch9wavefront6targetE0EEEvSU_
                                        ; -- End function
	.set _ZN7rocprim17ROCPRIM_400000_NS6detail17trampoline_kernelINS0_14default_configENS1_22reduce_config_selectorIiEEZNS1_11reduce_implILb1ES3_PiS7_iN6hipcub16HIPCUB_304000_NS6detail34convert_binary_result_type_wrapperINS9_3SumENS9_22TransformInputIteratorIbN2at6native12_GLOBAL__N_19NonZeroOpIN3c107complexINSI_4HalfEEEEEPKSL_lEEiEEEE10hipError_tPvRmT1_T2_T3_mT4_P12ihipStream_tbEUlT_E1_NS1_11comp_targetILNS1_3genE2ELNS1_11target_archE906ELNS1_3gpuE6ELNS1_3repE0EEENS1_30default_config_static_selectorELNS0_4arch9wavefront6targetE0EEEvSU_.num_vgpr, 0
	.set _ZN7rocprim17ROCPRIM_400000_NS6detail17trampoline_kernelINS0_14default_configENS1_22reduce_config_selectorIiEEZNS1_11reduce_implILb1ES3_PiS7_iN6hipcub16HIPCUB_304000_NS6detail34convert_binary_result_type_wrapperINS9_3SumENS9_22TransformInputIteratorIbN2at6native12_GLOBAL__N_19NonZeroOpIN3c107complexINSI_4HalfEEEEEPKSL_lEEiEEEE10hipError_tPvRmT1_T2_T3_mT4_P12ihipStream_tbEUlT_E1_NS1_11comp_targetILNS1_3genE2ELNS1_11target_archE906ELNS1_3gpuE6ELNS1_3repE0EEENS1_30default_config_static_selectorELNS0_4arch9wavefront6targetE0EEEvSU_.num_agpr, 0
	.set _ZN7rocprim17ROCPRIM_400000_NS6detail17trampoline_kernelINS0_14default_configENS1_22reduce_config_selectorIiEEZNS1_11reduce_implILb1ES3_PiS7_iN6hipcub16HIPCUB_304000_NS6detail34convert_binary_result_type_wrapperINS9_3SumENS9_22TransformInputIteratorIbN2at6native12_GLOBAL__N_19NonZeroOpIN3c107complexINSI_4HalfEEEEEPKSL_lEEiEEEE10hipError_tPvRmT1_T2_T3_mT4_P12ihipStream_tbEUlT_E1_NS1_11comp_targetILNS1_3genE2ELNS1_11target_archE906ELNS1_3gpuE6ELNS1_3repE0EEENS1_30default_config_static_selectorELNS0_4arch9wavefront6targetE0EEEvSU_.numbered_sgpr, 0
	.set _ZN7rocprim17ROCPRIM_400000_NS6detail17trampoline_kernelINS0_14default_configENS1_22reduce_config_selectorIiEEZNS1_11reduce_implILb1ES3_PiS7_iN6hipcub16HIPCUB_304000_NS6detail34convert_binary_result_type_wrapperINS9_3SumENS9_22TransformInputIteratorIbN2at6native12_GLOBAL__N_19NonZeroOpIN3c107complexINSI_4HalfEEEEEPKSL_lEEiEEEE10hipError_tPvRmT1_T2_T3_mT4_P12ihipStream_tbEUlT_E1_NS1_11comp_targetILNS1_3genE2ELNS1_11target_archE906ELNS1_3gpuE6ELNS1_3repE0EEENS1_30default_config_static_selectorELNS0_4arch9wavefront6targetE0EEEvSU_.num_named_barrier, 0
	.set _ZN7rocprim17ROCPRIM_400000_NS6detail17trampoline_kernelINS0_14default_configENS1_22reduce_config_selectorIiEEZNS1_11reduce_implILb1ES3_PiS7_iN6hipcub16HIPCUB_304000_NS6detail34convert_binary_result_type_wrapperINS9_3SumENS9_22TransformInputIteratorIbN2at6native12_GLOBAL__N_19NonZeroOpIN3c107complexINSI_4HalfEEEEEPKSL_lEEiEEEE10hipError_tPvRmT1_T2_T3_mT4_P12ihipStream_tbEUlT_E1_NS1_11comp_targetILNS1_3genE2ELNS1_11target_archE906ELNS1_3gpuE6ELNS1_3repE0EEENS1_30default_config_static_selectorELNS0_4arch9wavefront6targetE0EEEvSU_.private_seg_size, 0
	.set _ZN7rocprim17ROCPRIM_400000_NS6detail17trampoline_kernelINS0_14default_configENS1_22reduce_config_selectorIiEEZNS1_11reduce_implILb1ES3_PiS7_iN6hipcub16HIPCUB_304000_NS6detail34convert_binary_result_type_wrapperINS9_3SumENS9_22TransformInputIteratorIbN2at6native12_GLOBAL__N_19NonZeroOpIN3c107complexINSI_4HalfEEEEEPKSL_lEEiEEEE10hipError_tPvRmT1_T2_T3_mT4_P12ihipStream_tbEUlT_E1_NS1_11comp_targetILNS1_3genE2ELNS1_11target_archE906ELNS1_3gpuE6ELNS1_3repE0EEENS1_30default_config_static_selectorELNS0_4arch9wavefront6targetE0EEEvSU_.uses_vcc, 0
	.set _ZN7rocprim17ROCPRIM_400000_NS6detail17trampoline_kernelINS0_14default_configENS1_22reduce_config_selectorIiEEZNS1_11reduce_implILb1ES3_PiS7_iN6hipcub16HIPCUB_304000_NS6detail34convert_binary_result_type_wrapperINS9_3SumENS9_22TransformInputIteratorIbN2at6native12_GLOBAL__N_19NonZeroOpIN3c107complexINSI_4HalfEEEEEPKSL_lEEiEEEE10hipError_tPvRmT1_T2_T3_mT4_P12ihipStream_tbEUlT_E1_NS1_11comp_targetILNS1_3genE2ELNS1_11target_archE906ELNS1_3gpuE6ELNS1_3repE0EEENS1_30default_config_static_selectorELNS0_4arch9wavefront6targetE0EEEvSU_.uses_flat_scratch, 0
	.set _ZN7rocprim17ROCPRIM_400000_NS6detail17trampoline_kernelINS0_14default_configENS1_22reduce_config_selectorIiEEZNS1_11reduce_implILb1ES3_PiS7_iN6hipcub16HIPCUB_304000_NS6detail34convert_binary_result_type_wrapperINS9_3SumENS9_22TransformInputIteratorIbN2at6native12_GLOBAL__N_19NonZeroOpIN3c107complexINSI_4HalfEEEEEPKSL_lEEiEEEE10hipError_tPvRmT1_T2_T3_mT4_P12ihipStream_tbEUlT_E1_NS1_11comp_targetILNS1_3genE2ELNS1_11target_archE906ELNS1_3gpuE6ELNS1_3repE0EEENS1_30default_config_static_selectorELNS0_4arch9wavefront6targetE0EEEvSU_.has_dyn_sized_stack, 0
	.set _ZN7rocprim17ROCPRIM_400000_NS6detail17trampoline_kernelINS0_14default_configENS1_22reduce_config_selectorIiEEZNS1_11reduce_implILb1ES3_PiS7_iN6hipcub16HIPCUB_304000_NS6detail34convert_binary_result_type_wrapperINS9_3SumENS9_22TransformInputIteratorIbN2at6native12_GLOBAL__N_19NonZeroOpIN3c107complexINSI_4HalfEEEEEPKSL_lEEiEEEE10hipError_tPvRmT1_T2_T3_mT4_P12ihipStream_tbEUlT_E1_NS1_11comp_targetILNS1_3genE2ELNS1_11target_archE906ELNS1_3gpuE6ELNS1_3repE0EEENS1_30default_config_static_selectorELNS0_4arch9wavefront6targetE0EEEvSU_.has_recursion, 0
	.set _ZN7rocprim17ROCPRIM_400000_NS6detail17trampoline_kernelINS0_14default_configENS1_22reduce_config_selectorIiEEZNS1_11reduce_implILb1ES3_PiS7_iN6hipcub16HIPCUB_304000_NS6detail34convert_binary_result_type_wrapperINS9_3SumENS9_22TransformInputIteratorIbN2at6native12_GLOBAL__N_19NonZeroOpIN3c107complexINSI_4HalfEEEEEPKSL_lEEiEEEE10hipError_tPvRmT1_T2_T3_mT4_P12ihipStream_tbEUlT_E1_NS1_11comp_targetILNS1_3genE2ELNS1_11target_archE906ELNS1_3gpuE6ELNS1_3repE0EEENS1_30default_config_static_selectorELNS0_4arch9wavefront6targetE0EEEvSU_.has_indirect_call, 0
	.section	.AMDGPU.csdata,"",@progbits
; Kernel info:
; codeLenInByte = 0
; TotalNumSgprs: 0
; NumVgprs: 0
; ScratchSize: 0
; MemoryBound: 0
; FloatMode: 240
; IeeeMode: 1
; LDSByteSize: 0 bytes/workgroup (compile time only)
; SGPRBlocks: 0
; VGPRBlocks: 0
; NumSGPRsForWavesPerEU: 1
; NumVGPRsForWavesPerEU: 1
; Occupancy: 16
; WaveLimiterHint : 0
; COMPUTE_PGM_RSRC2:SCRATCH_EN: 0
; COMPUTE_PGM_RSRC2:USER_SGPR: 2
; COMPUTE_PGM_RSRC2:TRAP_HANDLER: 0
; COMPUTE_PGM_RSRC2:TGID_X_EN: 1
; COMPUTE_PGM_RSRC2:TGID_Y_EN: 0
; COMPUTE_PGM_RSRC2:TGID_Z_EN: 0
; COMPUTE_PGM_RSRC2:TIDIG_COMP_CNT: 0
	.section	.text._ZN7rocprim17ROCPRIM_400000_NS6detail17trampoline_kernelINS0_14default_configENS1_22reduce_config_selectorIiEEZNS1_11reduce_implILb1ES3_PiS7_iN6hipcub16HIPCUB_304000_NS6detail34convert_binary_result_type_wrapperINS9_3SumENS9_22TransformInputIteratorIbN2at6native12_GLOBAL__N_19NonZeroOpIN3c107complexINSI_4HalfEEEEEPKSL_lEEiEEEE10hipError_tPvRmT1_T2_T3_mT4_P12ihipStream_tbEUlT_E1_NS1_11comp_targetILNS1_3genE10ELNS1_11target_archE1201ELNS1_3gpuE5ELNS1_3repE0EEENS1_30default_config_static_selectorELNS0_4arch9wavefront6targetE0EEEvSU_,"axG",@progbits,_ZN7rocprim17ROCPRIM_400000_NS6detail17trampoline_kernelINS0_14default_configENS1_22reduce_config_selectorIiEEZNS1_11reduce_implILb1ES3_PiS7_iN6hipcub16HIPCUB_304000_NS6detail34convert_binary_result_type_wrapperINS9_3SumENS9_22TransformInputIteratorIbN2at6native12_GLOBAL__N_19NonZeroOpIN3c107complexINSI_4HalfEEEEEPKSL_lEEiEEEE10hipError_tPvRmT1_T2_T3_mT4_P12ihipStream_tbEUlT_E1_NS1_11comp_targetILNS1_3genE10ELNS1_11target_archE1201ELNS1_3gpuE5ELNS1_3repE0EEENS1_30default_config_static_selectorELNS0_4arch9wavefront6targetE0EEEvSU_,comdat
	.globl	_ZN7rocprim17ROCPRIM_400000_NS6detail17trampoline_kernelINS0_14default_configENS1_22reduce_config_selectorIiEEZNS1_11reduce_implILb1ES3_PiS7_iN6hipcub16HIPCUB_304000_NS6detail34convert_binary_result_type_wrapperINS9_3SumENS9_22TransformInputIteratorIbN2at6native12_GLOBAL__N_19NonZeroOpIN3c107complexINSI_4HalfEEEEEPKSL_lEEiEEEE10hipError_tPvRmT1_T2_T3_mT4_P12ihipStream_tbEUlT_E1_NS1_11comp_targetILNS1_3genE10ELNS1_11target_archE1201ELNS1_3gpuE5ELNS1_3repE0EEENS1_30default_config_static_selectorELNS0_4arch9wavefront6targetE0EEEvSU_ ; -- Begin function _ZN7rocprim17ROCPRIM_400000_NS6detail17trampoline_kernelINS0_14default_configENS1_22reduce_config_selectorIiEEZNS1_11reduce_implILb1ES3_PiS7_iN6hipcub16HIPCUB_304000_NS6detail34convert_binary_result_type_wrapperINS9_3SumENS9_22TransformInputIteratorIbN2at6native12_GLOBAL__N_19NonZeroOpIN3c107complexINSI_4HalfEEEEEPKSL_lEEiEEEE10hipError_tPvRmT1_T2_T3_mT4_P12ihipStream_tbEUlT_E1_NS1_11comp_targetILNS1_3genE10ELNS1_11target_archE1201ELNS1_3gpuE5ELNS1_3repE0EEENS1_30default_config_static_selectorELNS0_4arch9wavefront6targetE0EEEvSU_
	.p2align	8
	.type	_ZN7rocprim17ROCPRIM_400000_NS6detail17trampoline_kernelINS0_14default_configENS1_22reduce_config_selectorIiEEZNS1_11reduce_implILb1ES3_PiS7_iN6hipcub16HIPCUB_304000_NS6detail34convert_binary_result_type_wrapperINS9_3SumENS9_22TransformInputIteratorIbN2at6native12_GLOBAL__N_19NonZeroOpIN3c107complexINSI_4HalfEEEEEPKSL_lEEiEEEE10hipError_tPvRmT1_T2_T3_mT4_P12ihipStream_tbEUlT_E1_NS1_11comp_targetILNS1_3genE10ELNS1_11target_archE1201ELNS1_3gpuE5ELNS1_3repE0EEENS1_30default_config_static_selectorELNS0_4arch9wavefront6targetE0EEEvSU_,@function
_ZN7rocprim17ROCPRIM_400000_NS6detail17trampoline_kernelINS0_14default_configENS1_22reduce_config_selectorIiEEZNS1_11reduce_implILb1ES3_PiS7_iN6hipcub16HIPCUB_304000_NS6detail34convert_binary_result_type_wrapperINS9_3SumENS9_22TransformInputIteratorIbN2at6native12_GLOBAL__N_19NonZeroOpIN3c107complexINSI_4HalfEEEEEPKSL_lEEiEEEE10hipError_tPvRmT1_T2_T3_mT4_P12ihipStream_tbEUlT_E1_NS1_11comp_targetILNS1_3genE10ELNS1_11target_archE1201ELNS1_3gpuE5ELNS1_3repE0EEENS1_30default_config_static_selectorELNS0_4arch9wavefront6targetE0EEEvSU_: ; @_ZN7rocprim17ROCPRIM_400000_NS6detail17trampoline_kernelINS0_14default_configENS1_22reduce_config_selectorIiEEZNS1_11reduce_implILb1ES3_PiS7_iN6hipcub16HIPCUB_304000_NS6detail34convert_binary_result_type_wrapperINS9_3SumENS9_22TransformInputIteratorIbN2at6native12_GLOBAL__N_19NonZeroOpIN3c107complexINSI_4HalfEEEEEPKSL_lEEiEEEE10hipError_tPvRmT1_T2_T3_mT4_P12ihipStream_tbEUlT_E1_NS1_11comp_targetILNS1_3genE10ELNS1_11target_archE1201ELNS1_3gpuE5ELNS1_3repE0EEENS1_30default_config_static_selectorELNS0_4arch9wavefront6targetE0EEEvSU_
; %bb.0:
	s_clause 0x1
	s_load_b32 s33, s[0:1], 0x4
	s_load_b128 s[36:39], s[0:1], 0x8
	s_mov_b32 s34, ttmp9
	s_wait_kmcnt 0x0
	s_cmp_lt_i32 s33, 8
	s_cbranch_scc1 .LBB640_11
; %bb.1:
	s_cmp_gt_i32 s33, 15
	s_cbranch_scc0 .LBB640_12
; %bb.2:
	s_cmp_gt_i32 s33, 31
	s_cbranch_scc0 .LBB640_13
; %bb.3:
	s_cmp_eq_u32 s33, 32
	s_mov_b32 s42, 0
	s_cbranch_scc0 .LBB640_14
; %bb.4:
	s_mov_b32 s35, 0
	s_lshl_b32 s2, s34, 13
	s_mov_b32 s3, s35
	s_lshr_b64 s[4:5], s[38:39], 13
	s_lshl_b64 s[6:7], s[2:3], 2
	s_cmp_lg_u64 s[4:5], s[34:35]
	s_add_nc_u64 s[40:41], s[36:37], s[6:7]
	s_cbranch_scc0 .LBB640_23
; %bb.5:
	v_lshlrev_b32_e32 v1, 2, v0
	s_mov_b32 s3, exec_lo
	s_clause 0x1f
	global_load_b32 v2, v1, s[40:41]
	global_load_b32 v3, v1, s[40:41] offset:1024
	global_load_b32 v4, v1, s[40:41] offset:2048
	;; [unrolled: 1-line block ×31, first 2 shown]
	s_wait_loadcnt 0x1e
	v_add_nc_u32_e32 v2, v3, v2
	s_wait_loadcnt 0x1c
	s_delay_alu instid0(VALU_DEP_1) | instskip(SKIP_1) | instid1(VALU_DEP_1)
	v_add3_u32 v2, v2, v4, v5
	s_wait_loadcnt 0x1a
	v_add3_u32 v2, v2, v6, v7
	s_wait_loadcnt 0x18
	s_delay_alu instid0(VALU_DEP_1) | instskip(SKIP_1) | instid1(VALU_DEP_1)
	v_add3_u32 v2, v2, v8, v9
	s_wait_loadcnt 0x16
	v_add3_u32 v2, v2, v10, v11
	;; [unrolled: 5-line block ×7, first 2 shown]
	s_wait_loadcnt 0x0
	s_delay_alu instid0(VALU_DEP_1) | instskip(NEXT) | instid1(VALU_DEP_1)
	v_add3_u32 v1, v2, v32, v1
	v_mov_b32_dpp v2, v1 quad_perm:[1,0,3,2] row_mask:0xf bank_mask:0xf
	s_delay_alu instid0(VALU_DEP_1) | instskip(NEXT) | instid1(VALU_DEP_1)
	v_add_nc_u32_e32 v1, v2, v1
	v_mov_b32_dpp v2, v1 quad_perm:[2,3,0,1] row_mask:0xf bank_mask:0xf
	s_delay_alu instid0(VALU_DEP_1) | instskip(NEXT) | instid1(VALU_DEP_1)
	v_add_nc_u32_e32 v1, v1, v2
	v_mov_b32_dpp v2, v1 row_ror:4 row_mask:0xf bank_mask:0xf
	s_delay_alu instid0(VALU_DEP_1) | instskip(NEXT) | instid1(VALU_DEP_1)
	v_add_nc_u32_e32 v1, v1, v2
	v_mov_b32_dpp v2, v1 row_ror:8 row_mask:0xf bank_mask:0xf
	s_delay_alu instid0(VALU_DEP_1)
	v_add_nc_u32_e32 v1, v1, v2
	ds_swizzle_b32 v2, v1 offset:swizzle(BROADCAST,32,15)
	s_wait_dscnt 0x0
	v_dual_mov_b32 v2, 0 :: v_dual_add_nc_u32 v1, v1, v2
	ds_bpermute_b32 v1, v2, v1 offset:124
	v_mbcnt_lo_u32_b32 v2, -1, 0
	s_delay_alu instid0(VALU_DEP_1)
	v_cmpx_eq_u32_e32 0, v2
	s_cbranch_execz .LBB640_7
; %bb.6:
	v_lshrrev_b32_e32 v3, 3, v0
	s_delay_alu instid0(VALU_DEP_1)
	v_and_b32_e32 v3, 28, v3
	s_wait_dscnt 0x0
	ds_store_b32 v3, v1 offset:96
.LBB640_7:
	s_or_b32 exec_lo, exec_lo, s3
	s_delay_alu instid0(SALU_CYCLE_1)
	s_mov_b32 s3, exec_lo
	s_wait_dscnt 0x0
	s_barrier_signal -1
	s_barrier_wait -1
	global_inv scope:SCOPE_SE
	v_cmpx_gt_u32_e32 32, v0
	s_cbranch_execz .LBB640_9
; %bb.8:
	v_lshl_or_b32 v1, v2, 2, 0x60
	v_and_b32_e32 v3, 7, v2
	ds_load_b32 v1, v1
	v_cmp_ne_u32_e32 vcc_lo, 7, v3
	v_add_co_ci_u32_e64 v4, null, 0, v2, vcc_lo
	v_cmp_gt_u32_e32 vcc_lo, 6, v3
	s_delay_alu instid0(VALU_DEP_2) | instskip(SKIP_2) | instid1(VALU_DEP_1)
	v_lshlrev_b32_e32 v4, 2, v4
	s_wait_alu 0xfffd
	v_cndmask_b32_e64 v3, 0, 2, vcc_lo
	v_add_lshl_u32 v3, v3, v2, 2
	v_lshlrev_b32_e32 v2, 2, v2
	s_wait_dscnt 0x0
	ds_bpermute_b32 v4, v4, v1
	v_or_b32_e32 v2, 16, v2
	s_wait_dscnt 0x0
	v_add_nc_u32_e32 v1, v4, v1
	ds_bpermute_b32 v3, v3, v1
	s_wait_dscnt 0x0
	v_add_nc_u32_e32 v1, v3, v1
	ds_bpermute_b32 v2, v2, v1
	s_wait_dscnt 0x0
	v_add_nc_u32_e32 v1, v2, v1
.LBB640_9:
	s_or_b32 exec_lo, exec_lo, s3
.LBB640_10:
	v_cmp_eq_u32_e64 s2, 0, v0
	s_and_b32 vcc_lo, exec_lo, s42
	s_wait_alu 0xfffe
	s_cbranch_vccnz .LBB640_15
	s_branch .LBB640_93
.LBB640_11:
	s_mov_b32 s2, 0
                                        ; implicit-def: $vgpr1
	s_cbranch_execnz .LBB640_166
	s_branch .LBB640_224
.LBB640_12:
	s_mov_b32 s2, 0
                                        ; implicit-def: $vgpr1
	s_cbranch_execnz .LBB640_134
	s_branch .LBB640_142
.LBB640_13:
	s_mov_b32 s42, -1
.LBB640_14:
	s_mov_b32 s2, 0
                                        ; implicit-def: $vgpr1
	s_and_b32 vcc_lo, exec_lo, s42
	s_cbranch_vccz .LBB640_93
.LBB640_15:
	s_cmp_eq_u32 s33, 16
	s_cbranch_scc0 .LBB640_22
; %bb.16:
	s_mov_b32 s35, 0
	s_lshl_b32 s2, s34, 12
	s_mov_b32 s3, s35
	s_lshr_b64 s[4:5], s[38:39], 12
	s_wait_alu 0xfffe
	s_lshl_b64 s[6:7], s[2:3], 2
	s_cmp_lg_u64 s[4:5], s[34:35]
	s_wait_alu 0xfffe
	s_add_nc_u64 s[16:17], s[36:37], s[6:7]
	s_cbranch_scc0 .LBB640_94
; %bb.17:
	v_lshlrev_b32_e32 v1, 2, v0
	s_mov_b32 s3, exec_lo
	s_clause 0xf
	global_load_b32 v2, v1, s[16:17]
	global_load_b32 v3, v1, s[16:17] offset:1024
	global_load_b32 v4, v1, s[16:17] offset:2048
	;; [unrolled: 1-line block ×15, first 2 shown]
	s_wait_loadcnt 0xe
	v_add_nc_u32_e32 v2, v3, v2
	s_wait_loadcnt 0xc
	s_delay_alu instid0(VALU_DEP_1) | instskip(SKIP_1) | instid1(VALU_DEP_1)
	v_add3_u32 v2, v2, v4, v5
	s_wait_loadcnt 0xa
	v_add3_u32 v2, v2, v6, v7
	s_wait_loadcnt 0x8
	s_delay_alu instid0(VALU_DEP_1) | instskip(SKIP_1) | instid1(VALU_DEP_1)
	v_add3_u32 v2, v2, v8, v9
	s_wait_loadcnt 0x6
	v_add3_u32 v2, v2, v10, v11
	;; [unrolled: 5-line block ×3, first 2 shown]
	s_wait_loadcnt 0x0
	s_delay_alu instid0(VALU_DEP_1) | instskip(NEXT) | instid1(VALU_DEP_1)
	v_add3_u32 v1, v2, v16, v1
	v_mov_b32_dpp v2, v1 quad_perm:[1,0,3,2] row_mask:0xf bank_mask:0xf
	s_delay_alu instid0(VALU_DEP_1) | instskip(NEXT) | instid1(VALU_DEP_1)
	v_add_nc_u32_e32 v1, v2, v1
	v_mov_b32_dpp v2, v1 quad_perm:[2,3,0,1] row_mask:0xf bank_mask:0xf
	s_delay_alu instid0(VALU_DEP_1) | instskip(NEXT) | instid1(VALU_DEP_1)
	v_add_nc_u32_e32 v1, v1, v2
	v_mov_b32_dpp v2, v1 row_ror:4 row_mask:0xf bank_mask:0xf
	s_delay_alu instid0(VALU_DEP_1) | instskip(NEXT) | instid1(VALU_DEP_1)
	v_add_nc_u32_e32 v1, v1, v2
	v_mov_b32_dpp v2, v1 row_ror:8 row_mask:0xf bank_mask:0xf
	s_delay_alu instid0(VALU_DEP_1)
	v_add_nc_u32_e32 v1, v1, v2
	ds_swizzle_b32 v2, v1 offset:swizzle(BROADCAST,32,15)
	s_wait_dscnt 0x0
	v_dual_mov_b32 v2, 0 :: v_dual_add_nc_u32 v1, v1, v2
	ds_bpermute_b32 v1, v2, v1 offset:124
	v_mbcnt_lo_u32_b32 v2, -1, 0
	s_delay_alu instid0(VALU_DEP_1)
	v_cmpx_eq_u32_e32 0, v2
	s_cbranch_execz .LBB640_19
; %bb.18:
	v_lshrrev_b32_e32 v3, 3, v0
	s_delay_alu instid0(VALU_DEP_1)
	v_and_b32_e32 v3, 28, v3
	s_wait_dscnt 0x0
	ds_store_b32 v3, v1
.LBB640_19:
	s_wait_alu 0xfffe
	s_or_b32 exec_lo, exec_lo, s3
	s_delay_alu instid0(SALU_CYCLE_1)
	s_mov_b32 s3, exec_lo
	s_wait_dscnt 0x0
	s_barrier_signal -1
	s_barrier_wait -1
	global_inv scope:SCOPE_SE
	v_cmpx_gt_u32_e32 32, v0
	s_cbranch_execz .LBB640_21
; %bb.20:
	v_and_b32_e32 v1, 7, v2
	s_delay_alu instid0(VALU_DEP_1)
	v_lshlrev_b32_e32 v3, 2, v1
	v_cmp_ne_u32_e32 vcc_lo, 7, v1
	ds_load_b32 v3, v3
	s_wait_alu 0xfffd
	v_add_co_ci_u32_e64 v4, null, 0, v2, vcc_lo
	v_cmp_gt_u32_e32 vcc_lo, 6, v1
	s_delay_alu instid0(VALU_DEP_2) | instskip(SKIP_2) | instid1(VALU_DEP_1)
	v_lshlrev_b32_e32 v4, 2, v4
	s_wait_alu 0xfffd
	v_cndmask_b32_e64 v1, 0, 2, vcc_lo
	v_add_lshl_u32 v1, v1, v2, 2
	v_lshlrev_b32_e32 v2, 2, v2
	s_delay_alu instid0(VALU_DEP_1)
	v_or_b32_e32 v2, 16, v2
	s_wait_dscnt 0x0
	ds_bpermute_b32 v4, v4, v3
	s_wait_dscnt 0x0
	v_add_nc_u32_e32 v3, v4, v3
	ds_bpermute_b32 v1, v1, v3
	s_wait_dscnt 0x0
	v_add_nc_u32_e32 v1, v1, v3
	;; [unrolled: 3-line block ×3, first 2 shown]
.LBB640_21:
	s_wait_alu 0xfffe
	s_or_b32 exec_lo, exec_lo, s3
	s_mov_b32 s3, 0
	s_branch .LBB640_95
.LBB640_22:
                                        ; implicit-def: $vgpr1
	s_branch .LBB640_142
.LBB640_23:
                                        ; implicit-def: $vgpr1
	s_cbranch_execz .LBB640_10
; %bb.24:
	v_mov_b32_e32 v1, 0
	s_sub_co_i32 s43, s38, s2
	s_delay_alu instid0(SALU_CYCLE_1) | instskip(NEXT) | instid1(VALU_DEP_2)
	v_cmp_gt_u32_e32 vcc_lo, s43, v0
	v_dual_mov_b32 v2, v1 :: v_dual_mov_b32 v3, v1
	v_dual_mov_b32 v4, v1 :: v_dual_mov_b32 v5, v1
	;; [unrolled: 1-line block ×15, first 2 shown]
	v_mov_b32_e32 v32, v1
	s_and_saveexec_b32 s2, vcc_lo
	s_cbranch_execz .LBB640_26
; %bb.25:
	v_dual_mov_b32 v3, v1 :: v_dual_lshlrev_b32 v2, 2, v0
	v_dual_mov_b32 v32, v1 :: v_dual_mov_b32 v33, v1
	v_dual_mov_b32 v4, v1 :: v_dual_mov_b32 v5, v1
	global_load_b32 v2, v2, s[40:41]
	v_dual_mov_b32 v6, v1 :: v_dual_mov_b32 v7, v1
	v_dual_mov_b32 v8, v1 :: v_dual_mov_b32 v9, v1
	;; [unrolled: 1-line block ×13, first 2 shown]
	s_wait_loadcnt 0x0
	v_mov_b32_e32 v1, v2
	v_mov_b32_e32 v2, v3
	;; [unrolled: 1-line block ×32, first 2 shown]
.LBB640_26:
	s_or_b32 exec_lo, exec_lo, s2
	v_or_b32_e32 v33, 0x100, v0
	s_delay_alu instid0(VALU_DEP_1)
	v_cmp_gt_u32_e32 vcc_lo, s43, v33
	s_and_saveexec_b32 s2, vcc_lo
	s_cbranch_execz .LBB640_28
; %bb.27:
	v_lshlrev_b32_e32 v2, 2, v0
	global_load_b32 v2, v2, s[40:41] offset:1024
.LBB640_28:
	s_or_b32 exec_lo, exec_lo, s2
	v_or_b32_e32 v33, 0x200, v0
	s_delay_alu instid0(VALU_DEP_1)
	v_cmp_gt_u32_e64 s2, s43, v33
	s_and_saveexec_b32 s3, s2
	s_cbranch_execz .LBB640_30
; %bb.29:
	v_lshlrev_b32_e32 v3, 2, v0
	global_load_b32 v3, v3, s[40:41] offset:2048
.LBB640_30:
	s_or_b32 exec_lo, exec_lo, s3
	v_or_b32_e32 v33, 0x300, v0
	s_delay_alu instid0(VALU_DEP_1)
	v_cmp_gt_u32_e64 s3, s43, v33
	s_and_saveexec_b32 s4, s3
	;; [unrolled: 10-line block ×30, first 2 shown]
	s_cbranch_execz .LBB640_88
; %bb.87:
	v_lshlrev_b32_e32 v32, 2, v0
	global_load_b32 v32, v32, s[40:41] offset:31744
.LBB640_88:
	s_or_b32 exec_lo, exec_lo, s44
	s_wait_loadcnt 0x0
	v_cndmask_b32_e32 v2, 0, v2, vcc_lo
	v_cndmask_b32_e64 v3, 0, v3, s2
	v_cndmask_b32_e64 v4, 0, v4, s3
	s_min_u32 s2, s43, 0x100
	s_mov_b32 s3, exec_lo
	v_add_nc_u32_e32 v1, v2, v1
	v_cndmask_b32_e64 v2, 0, v5, s4
	v_cndmask_b32_e64 v5, 0, v6, s5
	;; [unrolled: 1-line block ×3, first 2 shown]
	s_delay_alu instid0(VALU_DEP_4) | instskip(SKIP_3) | instid1(VALU_DEP_4)
	v_add3_u32 v1, v1, v3, v4
	v_cndmask_b32_e64 v3, 0, v7, s6
	v_cndmask_b32_e64 v4, 0, v8, s7
	;; [unrolled: 1-line block ×3, first 2 shown]
	v_add3_u32 v1, v1, v2, v5
	v_cndmask_b32_e64 v2, 0, v9, s8
	v_cndmask_b32_e64 v5, 0, v10, s9
	s_delay_alu instid0(VALU_DEP_3) | instskip(SKIP_2) | instid1(VALU_DEP_3)
	v_add3_u32 v1, v1, v3, v4
	v_cndmask_b32_e64 v3, 0, v11, s10
	v_cndmask_b32_e64 v4, 0, v12, s11
	v_add3_u32 v1, v1, v2, v5
	v_cndmask_b32_e64 v2, 0, v13, s12
	v_cndmask_b32_e64 v5, 0, v14, s13
	s_delay_alu instid0(VALU_DEP_3) | instskip(SKIP_2) | instid1(VALU_DEP_3)
	v_add3_u32 v1, v1, v3, v4
	v_cndmask_b32_e64 v3, 0, v15, s14
	v_cndmask_b32_e64 v4, 0, v16, s15
	;; [unrolled: 7-line block ×5, first 2 shown]
	v_add3_u32 v1, v1, v2, v5
	v_mbcnt_lo_u32_b32 v2, -1, 0
	v_cndmask_b32_e64 v5, 0, v29, s28
	s_delay_alu instid0(VALU_DEP_3) | instskip(NEXT) | instid1(VALU_DEP_3)
	v_add3_u32 v1, v1, v3, v4
	v_cmp_ne_u32_e32 vcc_lo, 31, v2
	v_cndmask_b32_e64 v3, 0, v32, s31
	s_delay_alu instid0(VALU_DEP_3)
	v_add3_u32 v1, v1, v5, v6
	s_wait_alu 0xfffd
	v_add_co_ci_u32_e64 v4, null, 0, v2, vcc_lo
	v_add_nc_u32_e32 v5, 1, v2
	v_cmp_gt_u32_e32 vcc_lo, 30, v2
	v_add3_u32 v1, v1, v7, v3
	s_delay_alu instid0(VALU_DEP_4)
	v_lshlrev_b32_e32 v4, 2, v4
	s_wait_alu 0xfffd
	v_cndmask_b32_e64 v6, 0, 2, vcc_lo
	ds_bpermute_b32 v3, v4, v1
	v_and_b32_e32 v4, 0xe0, v0
	s_wait_alu 0xfffe
	s_delay_alu instid0(VALU_DEP_1) | instskip(NEXT) | instid1(VALU_DEP_1)
	v_sub_nc_u32_e64 v4, s2, v4 clamp
	v_cmp_lt_u32_e32 vcc_lo, v5, v4
	v_add_lshl_u32 v5, v6, v2, 2
	s_wait_dscnt 0x0
	s_wait_alu 0xfffd
	v_cndmask_b32_e32 v3, 0, v3, vcc_lo
	v_cmp_gt_u32_e32 vcc_lo, 28, v2
	s_delay_alu instid0(VALU_DEP_2) | instskip(SKIP_4) | instid1(VALU_DEP_1)
	v_add_nc_u32_e32 v1, v1, v3
	s_wait_alu 0xfffd
	v_cndmask_b32_e64 v6, 0, 4, vcc_lo
	ds_bpermute_b32 v3, v5, v1
	v_add_nc_u32_e32 v5, 2, v2
	v_cmp_lt_u32_e32 vcc_lo, v5, v4
	v_add_lshl_u32 v5, v6, v2, 2
	s_wait_dscnt 0x0
	s_wait_alu 0xfffd
	v_cndmask_b32_e32 v3, 0, v3, vcc_lo
	v_cmp_gt_u32_e32 vcc_lo, 24, v2
	s_delay_alu instid0(VALU_DEP_2) | instskip(SKIP_4) | instid1(VALU_DEP_1)
	v_add_nc_u32_e32 v1, v1, v3
	s_wait_alu 0xfffd
	v_cndmask_b32_e64 v6, 0, 8, vcc_lo
	ds_bpermute_b32 v3, v5, v1
	v_add_nc_u32_e32 v5, 4, v2
	v_cmp_lt_u32_e32 vcc_lo, v5, v4
	v_add_lshl_u32 v5, v6, v2, 2
	s_wait_dscnt 0x0
	s_wait_alu 0xfffd
	v_cndmask_b32_e32 v3, 0, v3, vcc_lo
	s_delay_alu instid0(VALU_DEP_1) | instskip(SKIP_3) | instid1(VALU_DEP_1)
	v_add_nc_u32_e32 v1, v1, v3
	v_lshlrev_b32_e32 v3, 2, v2
	ds_bpermute_b32 v5, v5, v1
	v_add_nc_u32_e32 v6, 8, v2
	v_cmp_lt_u32_e32 vcc_lo, v6, v4
	v_or_b32_e32 v6, 64, v3
	s_wait_dscnt 0x0
	s_wait_alu 0xfffd
	v_cndmask_b32_e32 v5, 0, v5, vcc_lo
	s_delay_alu instid0(VALU_DEP_1) | instskip(SKIP_2) | instid1(VALU_DEP_1)
	v_add_nc_u32_e32 v1, v1, v5
	ds_bpermute_b32 v5, v6, v1
	v_add_nc_u32_e32 v6, 16, v2
	v_cmp_lt_u32_e32 vcc_lo, v6, v4
	s_wait_dscnt 0x0
	s_wait_alu 0xfffd
	v_cndmask_b32_e32 v4, 0, v5, vcc_lo
	s_delay_alu instid0(VALU_DEP_1)
	v_add_nc_u32_e32 v1, v1, v4
	v_cmpx_eq_u32_e32 0, v2
; %bb.89:
	v_lshrrev_b32_e32 v4, 3, v0
	s_delay_alu instid0(VALU_DEP_1)
	v_and_b32_e32 v4, 28, v4
	ds_store_b32 v4, v1 offset:192
; %bb.90:
	s_or_b32 exec_lo, exec_lo, s3
	s_delay_alu instid0(SALU_CYCLE_1)
	s_mov_b32 s3, exec_lo
	s_wait_dscnt 0x0
	s_barrier_signal -1
	s_barrier_wait -1
	global_inv scope:SCOPE_SE
	v_cmpx_gt_u32_e32 8, v0
	s_cbranch_execz .LBB640_92
; %bb.91:
	ds_load_b32 v1, v3 offset:192
	v_and_b32_e32 v4, 7, v2
	s_add_co_i32 s2, s2, 31
	s_wait_alu 0xfffe
	s_lshr_b32 s2, s2, 5
	s_delay_alu instid0(VALU_DEP_1) | instskip(SKIP_4) | instid1(VALU_DEP_2)
	v_cmp_ne_u32_e32 vcc_lo, 7, v4
	v_add_nc_u32_e32 v6, 1, v4
	s_wait_alu 0xfffd
	v_add_co_ci_u32_e64 v5, null, 0, v2, vcc_lo
	v_cmp_gt_u32_e32 vcc_lo, 6, v4
	v_lshlrev_b32_e32 v5, 2, v5
	s_wait_alu 0xfffd
	v_cndmask_b32_e64 v7, 0, 2, vcc_lo
	s_wait_alu 0xfffe
	v_cmp_gt_u32_e32 vcc_lo, s2, v6
	s_wait_dscnt 0x0
	ds_bpermute_b32 v5, v5, v1
	v_add_lshl_u32 v2, v7, v2, 2
	s_wait_dscnt 0x0
	s_wait_alu 0xfffd
	v_cndmask_b32_e32 v5, 0, v5, vcc_lo
	s_delay_alu instid0(VALU_DEP_1)
	v_add_nc_u32_e32 v1, v5, v1
	v_add_nc_u32_e32 v5, 2, v4
	ds_bpermute_b32 v2, v2, v1
	v_cmp_gt_u32_e32 vcc_lo, s2, v5
	s_wait_dscnt 0x0
	s_wait_alu 0xfffd
	v_cndmask_b32_e32 v2, 0, v2, vcc_lo
	s_delay_alu instid0(VALU_DEP_1)
	v_add_nc_u32_e32 v1, v1, v2
	v_or_b32_e32 v2, 16, v3
	v_add_nc_u32_e32 v3, 4, v4
	ds_bpermute_b32 v2, v2, v1
	v_cmp_gt_u32_e32 vcc_lo, s2, v3
	s_wait_dscnt 0x0
	s_wait_alu 0xfffd
	v_cndmask_b32_e32 v2, 0, v2, vcc_lo
	s_delay_alu instid0(VALU_DEP_1)
	v_add_nc_u32_e32 v1, v1, v2
.LBB640_92:
	s_wait_alu 0xfffe
	s_or_b32 exec_lo, exec_lo, s3
	v_cmp_eq_u32_e64 s2, 0, v0
	s_and_b32 vcc_lo, exec_lo, s42
	s_wait_alu 0xfffe
	s_cbranch_vccnz .LBB640_15
.LBB640_93:
	s_branch .LBB640_142
.LBB640_94:
	s_mov_b32 s3, -1
                                        ; implicit-def: $vgpr1
.LBB640_95:
	s_wait_alu 0xfffe
	s_and_b32 vcc_lo, exec_lo, s3
	s_wait_alu 0xfffe
	s_cbranch_vccz .LBB640_133
; %bb.96:
	v_mov_b32_e32 v1, 0
	s_sub_co_i32 s18, s38, s2
	s_mov_b32 s2, exec_lo
	s_delay_alu instid0(VALU_DEP_1)
	v_dual_mov_b32 v2, v1 :: v_dual_mov_b32 v3, v1
	v_dual_mov_b32 v4, v1 :: v_dual_mov_b32 v5, v1
	v_dual_mov_b32 v6, v1 :: v_dual_mov_b32 v7, v1
	v_dual_mov_b32 v8, v1 :: v_dual_mov_b32 v9, v1
	v_dual_mov_b32 v10, v1 :: v_dual_mov_b32 v11, v1
	v_dual_mov_b32 v12, v1 :: v_dual_mov_b32 v13, v1
	v_dual_mov_b32 v14, v1 :: v_dual_mov_b32 v15, v1
	v_mov_b32_e32 v16, v1
	s_wait_alu 0xfffe
	v_cmpx_gt_u32_e64 s18, v0
	s_cbranch_execz .LBB640_98
; %bb.97:
	v_dual_mov_b32 v3, v1 :: v_dual_lshlrev_b32 v2, 2, v0
	v_dual_mov_b32 v16, v1 :: v_dual_mov_b32 v17, v1
	v_dual_mov_b32 v4, v1 :: v_dual_mov_b32 v5, v1
	global_load_b32 v2, v2, s[16:17]
	v_dual_mov_b32 v6, v1 :: v_dual_mov_b32 v7, v1
	v_dual_mov_b32 v8, v1 :: v_dual_mov_b32 v9, v1
	v_dual_mov_b32 v10, v1 :: v_dual_mov_b32 v11, v1
	v_dual_mov_b32 v12, v1 :: v_dual_mov_b32 v13, v1
	v_dual_mov_b32 v14, v1 :: v_dual_mov_b32 v15, v1
	s_wait_loadcnt 0x0
	v_mov_b32_e32 v1, v2
	v_mov_b32_e32 v2, v3
	;; [unrolled: 1-line block ×16, first 2 shown]
.LBB640_98:
	s_or_b32 exec_lo, exec_lo, s2
	v_or_b32_e32 v17, 0x100, v0
	s_delay_alu instid0(VALU_DEP_1)
	v_cmp_gt_u32_e32 vcc_lo, s18, v17
	s_and_saveexec_b32 s2, vcc_lo
	s_cbranch_execz .LBB640_100
; %bb.99:
	v_lshlrev_b32_e32 v2, 2, v0
	global_load_b32 v2, v2, s[16:17] offset:1024
.LBB640_100:
	s_wait_alu 0xfffe
	s_or_b32 exec_lo, exec_lo, s2
	v_or_b32_e32 v17, 0x200, v0
	s_delay_alu instid0(VALU_DEP_1)
	v_cmp_gt_u32_e64 s2, s18, v17
	s_and_saveexec_b32 s3, s2
	s_cbranch_execz .LBB640_102
; %bb.101:
	v_lshlrev_b32_e32 v3, 2, v0
	global_load_b32 v3, v3, s[16:17] offset:2048
.LBB640_102:
	s_wait_alu 0xfffe
	s_or_b32 exec_lo, exec_lo, s3
	v_or_b32_e32 v17, 0x300, v0
	s_delay_alu instid0(VALU_DEP_1)
	v_cmp_gt_u32_e64 s3, s18, v17
	s_and_saveexec_b32 s4, s3
	s_cbranch_execz .LBB640_104
; %bb.103:
	v_lshlrev_b32_e32 v4, 2, v0
	global_load_b32 v4, v4, s[16:17] offset:3072
.LBB640_104:
	s_wait_alu 0xfffe
	s_or_b32 exec_lo, exec_lo, s4
	v_or_b32_e32 v17, 0x400, v0
	s_delay_alu instid0(VALU_DEP_1)
	v_cmp_gt_u32_e64 s4, s18, v17
	s_and_saveexec_b32 s5, s4
	s_cbranch_execz .LBB640_106
; %bb.105:
	v_lshlrev_b32_e32 v5, 2, v0
	global_load_b32 v5, v5, s[16:17] offset:4096
.LBB640_106:
	s_wait_alu 0xfffe
	s_or_b32 exec_lo, exec_lo, s5
	v_or_b32_e32 v17, 0x500, v0
	s_delay_alu instid0(VALU_DEP_1)
	v_cmp_gt_u32_e64 s5, s18, v17
	s_and_saveexec_b32 s6, s5
	s_cbranch_execz .LBB640_108
; %bb.107:
	v_lshlrev_b32_e32 v6, 2, v0
	global_load_b32 v6, v6, s[16:17] offset:5120
.LBB640_108:
	s_wait_alu 0xfffe
	s_or_b32 exec_lo, exec_lo, s6
	v_or_b32_e32 v17, 0x600, v0
	s_delay_alu instid0(VALU_DEP_1)
	v_cmp_gt_u32_e64 s6, s18, v17
	s_and_saveexec_b32 s7, s6
	s_cbranch_execz .LBB640_110
; %bb.109:
	v_lshlrev_b32_e32 v7, 2, v0
	global_load_b32 v7, v7, s[16:17] offset:6144
.LBB640_110:
	s_wait_alu 0xfffe
	s_or_b32 exec_lo, exec_lo, s7
	v_or_b32_e32 v17, 0x700, v0
	s_delay_alu instid0(VALU_DEP_1)
	v_cmp_gt_u32_e64 s7, s18, v17
	s_and_saveexec_b32 s8, s7
	s_cbranch_execz .LBB640_112
; %bb.111:
	v_lshlrev_b32_e32 v8, 2, v0
	global_load_b32 v8, v8, s[16:17] offset:7168
.LBB640_112:
	s_wait_alu 0xfffe
	s_or_b32 exec_lo, exec_lo, s8
	v_or_b32_e32 v17, 0x800, v0
	s_delay_alu instid0(VALU_DEP_1)
	v_cmp_gt_u32_e64 s8, s18, v17
	s_and_saveexec_b32 s9, s8
	s_cbranch_execz .LBB640_114
; %bb.113:
	v_lshlrev_b32_e32 v9, 2, v0
	global_load_b32 v9, v9, s[16:17] offset:8192
.LBB640_114:
	s_wait_alu 0xfffe
	s_or_b32 exec_lo, exec_lo, s9
	v_or_b32_e32 v17, 0x900, v0
	s_delay_alu instid0(VALU_DEP_1)
	v_cmp_gt_u32_e64 s9, s18, v17
	s_and_saveexec_b32 s10, s9
	s_cbranch_execz .LBB640_116
; %bb.115:
	v_lshlrev_b32_e32 v10, 2, v0
	global_load_b32 v10, v10, s[16:17] offset:9216
.LBB640_116:
	s_wait_alu 0xfffe
	s_or_b32 exec_lo, exec_lo, s10
	v_or_b32_e32 v17, 0xa00, v0
	s_delay_alu instid0(VALU_DEP_1)
	v_cmp_gt_u32_e64 s10, s18, v17
	s_and_saveexec_b32 s11, s10
	s_cbranch_execz .LBB640_118
; %bb.117:
	v_lshlrev_b32_e32 v11, 2, v0
	global_load_b32 v11, v11, s[16:17] offset:10240
.LBB640_118:
	s_wait_alu 0xfffe
	s_or_b32 exec_lo, exec_lo, s11
	v_or_b32_e32 v17, 0xb00, v0
	s_delay_alu instid0(VALU_DEP_1)
	v_cmp_gt_u32_e64 s11, s18, v17
	s_and_saveexec_b32 s12, s11
	s_cbranch_execz .LBB640_120
; %bb.119:
	v_lshlrev_b32_e32 v12, 2, v0
	global_load_b32 v12, v12, s[16:17] offset:11264
.LBB640_120:
	s_wait_alu 0xfffe
	s_or_b32 exec_lo, exec_lo, s12
	v_or_b32_e32 v17, 0xc00, v0
	s_delay_alu instid0(VALU_DEP_1)
	v_cmp_gt_u32_e64 s12, s18, v17
	s_and_saveexec_b32 s13, s12
	s_cbranch_execz .LBB640_122
; %bb.121:
	v_lshlrev_b32_e32 v13, 2, v0
	global_load_b32 v13, v13, s[16:17] offset:12288
.LBB640_122:
	s_wait_alu 0xfffe
	s_or_b32 exec_lo, exec_lo, s13
	v_or_b32_e32 v17, 0xd00, v0
	s_delay_alu instid0(VALU_DEP_1)
	v_cmp_gt_u32_e64 s13, s18, v17
	s_and_saveexec_b32 s14, s13
	s_cbranch_execz .LBB640_124
; %bb.123:
	v_lshlrev_b32_e32 v14, 2, v0
	global_load_b32 v14, v14, s[16:17] offset:13312
.LBB640_124:
	s_wait_alu 0xfffe
	s_or_b32 exec_lo, exec_lo, s14
	v_or_b32_e32 v17, 0xe00, v0
	s_delay_alu instid0(VALU_DEP_1)
	v_cmp_gt_u32_e64 s14, s18, v17
	s_and_saveexec_b32 s15, s14
	s_cbranch_execz .LBB640_126
; %bb.125:
	v_lshlrev_b32_e32 v15, 2, v0
	global_load_b32 v15, v15, s[16:17] offset:14336
.LBB640_126:
	s_wait_alu 0xfffe
	s_or_b32 exec_lo, exec_lo, s15
	v_or_b32_e32 v17, 0xf00, v0
	s_delay_alu instid0(VALU_DEP_1)
	v_cmp_gt_u32_e64 s15, s18, v17
	s_and_saveexec_b32 s19, s15
	s_cbranch_execz .LBB640_128
; %bb.127:
	v_lshlrev_b32_e32 v16, 2, v0
	global_load_b32 v16, v16, s[16:17] offset:15360
.LBB640_128:
	s_wait_alu 0xfffe
	s_or_b32 exec_lo, exec_lo, s19
	s_wait_loadcnt 0x0
	v_cndmask_b32_e32 v2, 0, v2, vcc_lo
	v_cndmask_b32_e64 v3, 0, v3, s2
	v_cndmask_b32_e64 v4, 0, v4, s3
	s_min_u32 s2, s18, 0x100
	s_mov_b32 s3, exec_lo
	v_add_nc_u32_e32 v1, v2, v1
	v_cndmask_b32_e64 v2, 0, v5, s4
	v_cndmask_b32_e64 v5, 0, v6, s5
	;; [unrolled: 1-line block ×3, first 2 shown]
	s_delay_alu instid0(VALU_DEP_4) | instskip(SKIP_3) | instid1(VALU_DEP_4)
	v_add3_u32 v1, v1, v3, v4
	v_cndmask_b32_e64 v3, 0, v7, s6
	v_cndmask_b32_e64 v4, 0, v8, s7
	;; [unrolled: 1-line block ×3, first 2 shown]
	v_add3_u32 v1, v1, v2, v5
	v_cndmask_b32_e64 v2, 0, v9, s8
	v_cndmask_b32_e64 v5, 0, v10, s9
	s_delay_alu instid0(VALU_DEP_3) | instskip(SKIP_2) | instid1(VALU_DEP_3)
	v_add3_u32 v1, v1, v3, v4
	v_cndmask_b32_e64 v3, 0, v11, s10
	v_cndmask_b32_e64 v4, 0, v12, s11
	v_add3_u32 v1, v1, v2, v5
	v_mbcnt_lo_u32_b32 v2, -1, 0
	v_cndmask_b32_e64 v5, 0, v13, s12
	s_delay_alu instid0(VALU_DEP_3) | instskip(NEXT) | instid1(VALU_DEP_3)
	v_add3_u32 v1, v1, v3, v4
	v_cmp_ne_u32_e32 vcc_lo, 31, v2
	v_cndmask_b32_e64 v3, 0, v16, s15
	s_delay_alu instid0(VALU_DEP_3)
	v_add3_u32 v1, v1, v5, v6
	s_wait_alu 0xfffd
	v_add_co_ci_u32_e64 v4, null, 0, v2, vcc_lo
	v_add_nc_u32_e32 v5, 1, v2
	v_cmp_gt_u32_e32 vcc_lo, 30, v2
	v_add3_u32 v1, v1, v7, v3
	s_delay_alu instid0(VALU_DEP_4)
	v_lshlrev_b32_e32 v4, 2, v4
	s_wait_alu 0xfffd
	v_cndmask_b32_e64 v6, 0, 2, vcc_lo
	ds_bpermute_b32 v3, v4, v1
	v_and_b32_e32 v4, 0xe0, v0
	s_wait_alu 0xfffe
	s_delay_alu instid0(VALU_DEP_1) | instskip(NEXT) | instid1(VALU_DEP_1)
	v_sub_nc_u32_e64 v4, s2, v4 clamp
	v_cmp_lt_u32_e32 vcc_lo, v5, v4
	v_add_lshl_u32 v5, v6, v2, 2
	s_wait_dscnt 0x0
	s_wait_alu 0xfffd
	v_cndmask_b32_e32 v3, 0, v3, vcc_lo
	v_cmp_gt_u32_e32 vcc_lo, 28, v2
	s_delay_alu instid0(VALU_DEP_2) | instskip(SKIP_4) | instid1(VALU_DEP_1)
	v_add_nc_u32_e32 v1, v1, v3
	s_wait_alu 0xfffd
	v_cndmask_b32_e64 v6, 0, 4, vcc_lo
	ds_bpermute_b32 v3, v5, v1
	v_add_nc_u32_e32 v5, 2, v2
	v_cmp_lt_u32_e32 vcc_lo, v5, v4
	v_add_lshl_u32 v5, v6, v2, 2
	s_wait_dscnt 0x0
	s_wait_alu 0xfffd
	v_cndmask_b32_e32 v3, 0, v3, vcc_lo
	v_cmp_gt_u32_e32 vcc_lo, 24, v2
	s_delay_alu instid0(VALU_DEP_2) | instskip(SKIP_4) | instid1(VALU_DEP_1)
	v_add_nc_u32_e32 v1, v1, v3
	s_wait_alu 0xfffd
	v_cndmask_b32_e64 v6, 0, 8, vcc_lo
	ds_bpermute_b32 v3, v5, v1
	v_add_nc_u32_e32 v5, 4, v2
	v_cmp_lt_u32_e32 vcc_lo, v5, v4
	v_add_lshl_u32 v5, v6, v2, 2
	s_wait_dscnt 0x0
	s_wait_alu 0xfffd
	v_cndmask_b32_e32 v3, 0, v3, vcc_lo
	s_delay_alu instid0(VALU_DEP_1) | instskip(SKIP_3) | instid1(VALU_DEP_1)
	v_add_nc_u32_e32 v1, v1, v3
	v_lshlrev_b32_e32 v3, 2, v2
	ds_bpermute_b32 v5, v5, v1
	v_add_nc_u32_e32 v6, 8, v2
	v_cmp_lt_u32_e32 vcc_lo, v6, v4
	v_or_b32_e32 v6, 64, v3
	s_wait_dscnt 0x0
	s_wait_alu 0xfffd
	v_cndmask_b32_e32 v5, 0, v5, vcc_lo
	s_delay_alu instid0(VALU_DEP_1) | instskip(SKIP_2) | instid1(VALU_DEP_1)
	v_add_nc_u32_e32 v1, v1, v5
	ds_bpermute_b32 v5, v6, v1
	v_add_nc_u32_e32 v6, 16, v2
	v_cmp_lt_u32_e32 vcc_lo, v6, v4
	s_wait_dscnt 0x0
	s_wait_alu 0xfffd
	v_cndmask_b32_e32 v4, 0, v5, vcc_lo
	s_delay_alu instid0(VALU_DEP_1)
	v_add_nc_u32_e32 v1, v1, v4
	v_cmpx_eq_u32_e32 0, v2
; %bb.129:
	v_lshrrev_b32_e32 v4, 3, v0
	s_delay_alu instid0(VALU_DEP_1)
	v_and_b32_e32 v4, 28, v4
	ds_store_b32 v4, v1 offset:192
; %bb.130:
	s_or_b32 exec_lo, exec_lo, s3
	s_delay_alu instid0(SALU_CYCLE_1)
	s_mov_b32 s3, exec_lo
	s_wait_dscnt 0x0
	s_barrier_signal -1
	s_barrier_wait -1
	global_inv scope:SCOPE_SE
	v_cmpx_gt_u32_e32 8, v0
	s_cbranch_execz .LBB640_132
; %bb.131:
	ds_load_b32 v1, v3 offset:192
	v_and_b32_e32 v4, 7, v2
	s_add_co_i32 s2, s2, 31
	s_wait_alu 0xfffe
	s_lshr_b32 s2, s2, 5
	s_delay_alu instid0(VALU_DEP_1) | instskip(SKIP_4) | instid1(VALU_DEP_2)
	v_cmp_ne_u32_e32 vcc_lo, 7, v4
	v_add_nc_u32_e32 v6, 1, v4
	s_wait_alu 0xfffd
	v_add_co_ci_u32_e64 v5, null, 0, v2, vcc_lo
	v_cmp_gt_u32_e32 vcc_lo, 6, v4
	v_lshlrev_b32_e32 v5, 2, v5
	s_wait_alu 0xfffd
	v_cndmask_b32_e64 v7, 0, 2, vcc_lo
	s_wait_alu 0xfffe
	v_cmp_gt_u32_e32 vcc_lo, s2, v6
	s_wait_dscnt 0x0
	ds_bpermute_b32 v5, v5, v1
	v_add_lshl_u32 v2, v7, v2, 2
	s_wait_dscnt 0x0
	s_wait_alu 0xfffd
	v_cndmask_b32_e32 v5, 0, v5, vcc_lo
	s_delay_alu instid0(VALU_DEP_1)
	v_add_nc_u32_e32 v1, v5, v1
	v_add_nc_u32_e32 v5, 2, v4
	ds_bpermute_b32 v2, v2, v1
	v_cmp_gt_u32_e32 vcc_lo, s2, v5
	s_wait_dscnt 0x0
	s_wait_alu 0xfffd
	v_cndmask_b32_e32 v2, 0, v2, vcc_lo
	s_delay_alu instid0(VALU_DEP_1)
	v_add_nc_u32_e32 v1, v1, v2
	v_or_b32_e32 v2, 16, v3
	v_add_nc_u32_e32 v3, 4, v4
	ds_bpermute_b32 v2, v2, v1
	v_cmp_gt_u32_e32 vcc_lo, s2, v3
	s_wait_dscnt 0x0
	s_wait_alu 0xfffd
	v_cndmask_b32_e32 v2, 0, v2, vcc_lo
	s_delay_alu instid0(VALU_DEP_1)
	v_add_nc_u32_e32 v1, v1, v2
.LBB640_132:
	s_wait_alu 0xfffe
	s_or_b32 exec_lo, exec_lo, s3
.LBB640_133:
	v_cmp_eq_u32_e64 s2, 0, v0
	s_branch .LBB640_142
.LBB640_134:
	s_cmp_eq_u32 s33, 8
	s_cbranch_scc0 .LBB640_141
; %bb.135:
	s_mov_b32 s35, 0
	s_lshl_b32 s2, s34, 11
	s_mov_b32 s3, s35
	s_lshr_b64 s[4:5], s[38:39], 11
	s_lshl_b64 s[6:7], s[2:3], 2
	s_cmp_lg_u64 s[4:5], s[34:35]
	s_add_nc_u64 s[8:9], s[36:37], s[6:7]
	s_cbranch_scc0 .LBB640_143
; %bb.136:
	v_lshlrev_b32_e32 v1, 2, v0
	s_mov_b32 s3, exec_lo
	s_clause 0x7
	global_load_b32 v2, v1, s[8:9]
	global_load_b32 v3, v1, s[8:9] offset:1024
	global_load_b32 v4, v1, s[8:9] offset:2048
	;; [unrolled: 1-line block ×7, first 2 shown]
	s_wait_loadcnt 0x6
	v_add_nc_u32_e32 v2, v3, v2
	s_wait_loadcnt 0x4
	s_delay_alu instid0(VALU_DEP_1) | instskip(SKIP_1) | instid1(VALU_DEP_1)
	v_add3_u32 v2, v2, v4, v5
	s_wait_loadcnt 0x2
	v_add3_u32 v2, v2, v6, v7
	s_wait_loadcnt 0x0
	s_delay_alu instid0(VALU_DEP_1) | instskip(NEXT) | instid1(VALU_DEP_1)
	v_add3_u32 v1, v2, v8, v1
	v_mov_b32_dpp v2, v1 quad_perm:[1,0,3,2] row_mask:0xf bank_mask:0xf
	s_delay_alu instid0(VALU_DEP_1) | instskip(NEXT) | instid1(VALU_DEP_1)
	v_add_nc_u32_e32 v1, v2, v1
	v_mov_b32_dpp v2, v1 quad_perm:[2,3,0,1] row_mask:0xf bank_mask:0xf
	s_delay_alu instid0(VALU_DEP_1) | instskip(NEXT) | instid1(VALU_DEP_1)
	v_add_nc_u32_e32 v1, v1, v2
	v_mov_b32_dpp v2, v1 row_ror:4 row_mask:0xf bank_mask:0xf
	s_delay_alu instid0(VALU_DEP_1) | instskip(NEXT) | instid1(VALU_DEP_1)
	v_add_nc_u32_e32 v1, v1, v2
	v_mov_b32_dpp v2, v1 row_ror:8 row_mask:0xf bank_mask:0xf
	s_delay_alu instid0(VALU_DEP_1)
	v_add_nc_u32_e32 v1, v1, v2
	ds_swizzle_b32 v2, v1 offset:swizzle(BROADCAST,32,15)
	s_wait_dscnt 0x0
	v_dual_mov_b32 v2, 0 :: v_dual_add_nc_u32 v1, v1, v2
	ds_bpermute_b32 v1, v2, v1 offset:124
	v_mbcnt_lo_u32_b32 v2, -1, 0
	s_delay_alu instid0(VALU_DEP_1)
	v_cmpx_eq_u32_e32 0, v2
	s_cbranch_execz .LBB640_138
; %bb.137:
	v_lshrrev_b32_e32 v3, 3, v0
	s_delay_alu instid0(VALU_DEP_1)
	v_and_b32_e32 v3, 28, v3
	s_wait_dscnt 0x0
	ds_store_b32 v3, v1 offset:160
.LBB640_138:
	s_or_b32 exec_lo, exec_lo, s3
	s_delay_alu instid0(SALU_CYCLE_1)
	s_mov_b32 s3, exec_lo
	s_wait_dscnt 0x0
	s_barrier_signal -1
	s_barrier_wait -1
	global_inv scope:SCOPE_SE
	v_cmpx_gt_u32_e32 32, v0
	s_cbranch_execz .LBB640_140
; %bb.139:
	v_and_b32_e32 v1, 7, v2
	s_delay_alu instid0(VALU_DEP_1) | instskip(SKIP_4) | instid1(VALU_DEP_2)
	v_lshlrev_b32_e32 v3, 2, v1
	v_cmp_ne_u32_e32 vcc_lo, 7, v1
	ds_load_b32 v3, v3 offset:160
	v_add_co_ci_u32_e64 v4, null, 0, v2, vcc_lo
	v_cmp_gt_u32_e32 vcc_lo, 6, v1
	v_lshlrev_b32_e32 v4, 2, v4
	s_wait_alu 0xfffd
	v_cndmask_b32_e64 v1, 0, 2, vcc_lo
	s_delay_alu instid0(VALU_DEP_1) | instskip(SKIP_1) | instid1(VALU_DEP_1)
	v_add_lshl_u32 v1, v1, v2, 2
	v_lshlrev_b32_e32 v2, 2, v2
	v_or_b32_e32 v2, 16, v2
	s_wait_dscnt 0x0
	ds_bpermute_b32 v4, v4, v3
	s_wait_dscnt 0x0
	v_add_nc_u32_e32 v3, v4, v3
	ds_bpermute_b32 v1, v1, v3
	s_wait_dscnt 0x0
	v_add_nc_u32_e32 v1, v1, v3
	ds_bpermute_b32 v2, v2, v1
	s_wait_dscnt 0x0
	v_add_nc_u32_e32 v1, v2, v1
.LBB640_140:
	s_or_b32 exec_lo, exec_lo, s3
	s_branch .LBB640_165
.LBB640_141:
                                        ; implicit-def: $vgpr1
.LBB640_142:
	s_branch .LBB640_224
.LBB640_143:
                                        ; implicit-def: $vgpr1
	s_cbranch_execz .LBB640_165
; %bb.144:
	v_mov_b32_e32 v1, 0
	s_sub_co_i32 s10, s38, s2
	s_mov_b32 s2, exec_lo
	s_delay_alu instid0(VALU_DEP_1)
	v_dual_mov_b32 v2, v1 :: v_dual_mov_b32 v3, v1
	v_dual_mov_b32 v4, v1 :: v_dual_mov_b32 v5, v1
	;; [unrolled: 1-line block ×3, first 2 shown]
	v_mov_b32_e32 v8, v1
	v_cmpx_gt_u32_e64 s10, v0
	s_cbranch_execz .LBB640_146
; %bb.145:
	v_dual_mov_b32 v3, v1 :: v_dual_lshlrev_b32 v2, 2, v0
	v_dual_mov_b32 v8, v1 :: v_dual_mov_b32 v9, v1
	v_dual_mov_b32 v4, v1 :: v_dual_mov_b32 v5, v1
	global_load_b32 v2, v2, s[8:9]
	v_dual_mov_b32 v6, v1 :: v_dual_mov_b32 v7, v1
	s_wait_loadcnt 0x0
	v_mov_b32_e32 v1, v2
	v_mov_b32_e32 v2, v3
	;; [unrolled: 1-line block ×8, first 2 shown]
.LBB640_146:
	s_or_b32 exec_lo, exec_lo, s2
	v_or_b32_e32 v9, 0x100, v0
	s_delay_alu instid0(VALU_DEP_1)
	v_cmp_gt_u32_e32 vcc_lo, s10, v9
	s_and_saveexec_b32 s2, vcc_lo
	s_cbranch_execz .LBB640_148
; %bb.147:
	v_lshlrev_b32_e32 v2, 2, v0
	global_load_b32 v2, v2, s[8:9] offset:1024
.LBB640_148:
	s_or_b32 exec_lo, exec_lo, s2
	v_or_b32_e32 v9, 0x200, v0
	s_delay_alu instid0(VALU_DEP_1)
	v_cmp_gt_u32_e64 s2, s10, v9
	s_and_saveexec_b32 s3, s2
	s_cbranch_execz .LBB640_150
; %bb.149:
	v_lshlrev_b32_e32 v3, 2, v0
	global_load_b32 v3, v3, s[8:9] offset:2048
.LBB640_150:
	s_or_b32 exec_lo, exec_lo, s3
	v_or_b32_e32 v9, 0x300, v0
	s_delay_alu instid0(VALU_DEP_1)
	v_cmp_gt_u32_e64 s3, s10, v9
	s_and_saveexec_b32 s4, s3
	;; [unrolled: 10-line block ×6, first 2 shown]
	s_cbranch_execz .LBB640_160
; %bb.159:
	v_lshlrev_b32_e32 v8, 2, v0
	global_load_b32 v8, v8, s[8:9] offset:7168
.LBB640_160:
	s_wait_alu 0xfffe
	s_or_b32 exec_lo, exec_lo, s11
	s_wait_loadcnt 0x0
	v_cndmask_b32_e32 v2, 0, v2, vcc_lo
	v_cndmask_b32_e64 v3, 0, v3, s2
	v_cndmask_b32_e64 v4, 0, v4, s3
	;; [unrolled: 1-line block ×4, first 2 shown]
	v_add_nc_u32_e32 v1, v2, v1
	v_mbcnt_lo_u32_b32 v2, -1, 0
	v_cndmask_b32_e64 v7, 0, v7, s6
	s_min_u32 s2, s10, 0x100
	s_mov_b32 s3, exec_lo
	v_add3_u32 v1, v1, v3, v4
	v_cmp_ne_u32_e32 vcc_lo, 31, v2
	v_cndmask_b32_e64 v3, 0, v8, s7
	s_delay_alu instid0(VALU_DEP_3)
	v_add3_u32 v1, v1, v5, v6
	s_wait_alu 0xfffd
	v_add_co_ci_u32_e64 v4, null, 0, v2, vcc_lo
	v_add_nc_u32_e32 v5, 1, v2
	v_cmp_gt_u32_e32 vcc_lo, 30, v2
	v_add3_u32 v1, v1, v7, v3
	s_delay_alu instid0(VALU_DEP_4)
	v_lshlrev_b32_e32 v4, 2, v4
	s_wait_alu 0xfffd
	v_cndmask_b32_e64 v6, 0, 2, vcc_lo
	ds_bpermute_b32 v3, v4, v1
	v_and_b32_e32 v4, 0xe0, v0
	s_wait_alu 0xfffe
	s_delay_alu instid0(VALU_DEP_1) | instskip(NEXT) | instid1(VALU_DEP_1)
	v_sub_nc_u32_e64 v4, s2, v4 clamp
	v_cmp_lt_u32_e32 vcc_lo, v5, v4
	v_add_lshl_u32 v5, v6, v2, 2
	s_wait_dscnt 0x0
	s_wait_alu 0xfffd
	v_cndmask_b32_e32 v3, 0, v3, vcc_lo
	v_cmp_gt_u32_e32 vcc_lo, 28, v2
	s_delay_alu instid0(VALU_DEP_2) | instskip(SKIP_4) | instid1(VALU_DEP_1)
	v_add_nc_u32_e32 v1, v1, v3
	s_wait_alu 0xfffd
	v_cndmask_b32_e64 v6, 0, 4, vcc_lo
	ds_bpermute_b32 v3, v5, v1
	v_add_nc_u32_e32 v5, 2, v2
	v_cmp_lt_u32_e32 vcc_lo, v5, v4
	v_add_lshl_u32 v5, v6, v2, 2
	s_wait_dscnt 0x0
	s_wait_alu 0xfffd
	v_cndmask_b32_e32 v3, 0, v3, vcc_lo
	v_cmp_gt_u32_e32 vcc_lo, 24, v2
	s_delay_alu instid0(VALU_DEP_2) | instskip(SKIP_4) | instid1(VALU_DEP_1)
	v_add_nc_u32_e32 v1, v1, v3
	s_wait_alu 0xfffd
	v_cndmask_b32_e64 v6, 0, 8, vcc_lo
	ds_bpermute_b32 v3, v5, v1
	v_add_nc_u32_e32 v5, 4, v2
	v_cmp_lt_u32_e32 vcc_lo, v5, v4
	v_add_lshl_u32 v5, v6, v2, 2
	s_wait_dscnt 0x0
	s_wait_alu 0xfffd
	v_cndmask_b32_e32 v3, 0, v3, vcc_lo
	s_delay_alu instid0(VALU_DEP_1) | instskip(SKIP_3) | instid1(VALU_DEP_1)
	v_add_nc_u32_e32 v1, v1, v3
	v_lshlrev_b32_e32 v3, 2, v2
	ds_bpermute_b32 v5, v5, v1
	v_add_nc_u32_e32 v6, 8, v2
	v_cmp_lt_u32_e32 vcc_lo, v6, v4
	v_or_b32_e32 v6, 64, v3
	s_wait_dscnt 0x0
	s_wait_alu 0xfffd
	v_cndmask_b32_e32 v5, 0, v5, vcc_lo
	s_delay_alu instid0(VALU_DEP_1) | instskip(SKIP_2) | instid1(VALU_DEP_1)
	v_add_nc_u32_e32 v1, v1, v5
	ds_bpermute_b32 v5, v6, v1
	v_add_nc_u32_e32 v6, 16, v2
	v_cmp_lt_u32_e32 vcc_lo, v6, v4
	s_wait_dscnt 0x0
	s_wait_alu 0xfffd
	v_cndmask_b32_e32 v4, 0, v5, vcc_lo
	s_delay_alu instid0(VALU_DEP_1)
	v_add_nc_u32_e32 v1, v1, v4
	v_cmpx_eq_u32_e32 0, v2
; %bb.161:
	v_lshrrev_b32_e32 v4, 3, v0
	s_delay_alu instid0(VALU_DEP_1)
	v_and_b32_e32 v4, 28, v4
	ds_store_b32 v4, v1 offset:192
; %bb.162:
	s_or_b32 exec_lo, exec_lo, s3
	s_delay_alu instid0(SALU_CYCLE_1)
	s_mov_b32 s3, exec_lo
	s_wait_dscnt 0x0
	s_barrier_signal -1
	s_barrier_wait -1
	global_inv scope:SCOPE_SE
	v_cmpx_gt_u32_e32 8, v0
	s_cbranch_execz .LBB640_164
; %bb.163:
	ds_load_b32 v1, v3 offset:192
	v_and_b32_e32 v4, 7, v2
	s_add_co_i32 s2, s2, 31
	s_wait_alu 0xfffe
	s_lshr_b32 s2, s2, 5
	s_delay_alu instid0(VALU_DEP_1) | instskip(SKIP_4) | instid1(VALU_DEP_2)
	v_cmp_ne_u32_e32 vcc_lo, 7, v4
	v_add_nc_u32_e32 v6, 1, v4
	s_wait_alu 0xfffd
	v_add_co_ci_u32_e64 v5, null, 0, v2, vcc_lo
	v_cmp_gt_u32_e32 vcc_lo, 6, v4
	v_lshlrev_b32_e32 v5, 2, v5
	s_wait_alu 0xfffd
	v_cndmask_b32_e64 v7, 0, 2, vcc_lo
	s_wait_alu 0xfffe
	v_cmp_gt_u32_e32 vcc_lo, s2, v6
	s_wait_dscnt 0x0
	ds_bpermute_b32 v5, v5, v1
	v_add_lshl_u32 v2, v7, v2, 2
	s_wait_dscnt 0x0
	s_wait_alu 0xfffd
	v_cndmask_b32_e32 v5, 0, v5, vcc_lo
	s_delay_alu instid0(VALU_DEP_1)
	v_add_nc_u32_e32 v1, v5, v1
	v_add_nc_u32_e32 v5, 2, v4
	ds_bpermute_b32 v2, v2, v1
	v_cmp_gt_u32_e32 vcc_lo, s2, v5
	s_wait_dscnt 0x0
	s_wait_alu 0xfffd
	v_cndmask_b32_e32 v2, 0, v2, vcc_lo
	s_delay_alu instid0(VALU_DEP_1)
	v_add_nc_u32_e32 v1, v1, v2
	v_or_b32_e32 v2, 16, v3
	v_add_nc_u32_e32 v3, 4, v4
	ds_bpermute_b32 v2, v2, v1
	v_cmp_gt_u32_e32 vcc_lo, s2, v3
	s_wait_dscnt 0x0
	s_wait_alu 0xfffd
	v_cndmask_b32_e32 v2, 0, v2, vcc_lo
	s_delay_alu instid0(VALU_DEP_1)
	v_add_nc_u32_e32 v1, v1, v2
.LBB640_164:
	s_wait_alu 0xfffe
	s_or_b32 exec_lo, exec_lo, s3
.LBB640_165:
	v_cmp_eq_u32_e64 s2, 0, v0
	s_branch .LBB640_224
.LBB640_166:
	s_cmp_gt_i32 s33, 1
	s_cbranch_scc0 .LBB640_175
; %bb.167:
	s_cmp_gt_i32 s33, 3
	s_cbranch_scc0 .LBB640_176
; %bb.168:
	s_cmp_eq_u32 s33, 4
	s_cbranch_scc0 .LBB640_177
; %bb.169:
	s_mov_b32 s35, 0
	s_lshl_b32 s2, s34, 10
	s_mov_b32 s3, s35
	s_lshr_b64 s[4:5], s[38:39], 10
	s_lshl_b64 s[6:7], s[2:3], 2
	s_cmp_lg_u64 s[4:5], s[34:35]
	s_add_nc_u64 s[4:5], s[36:37], s[6:7]
	s_cbranch_scc0 .LBB640_179
; %bb.170:
	v_lshlrev_b32_e32 v1, 2, v0
	s_mov_b32 s3, exec_lo
	s_clause 0x3
	global_load_b32 v2, v1, s[4:5]
	global_load_b32 v3, v1, s[4:5] offset:1024
	global_load_b32 v4, v1, s[4:5] offset:2048
	;; [unrolled: 1-line block ×3, first 2 shown]
	s_wait_loadcnt 0x2
	v_add_nc_u32_e32 v2, v3, v2
	s_wait_loadcnt 0x0
	s_delay_alu instid0(VALU_DEP_1) | instskip(NEXT) | instid1(VALU_DEP_1)
	v_add3_u32 v1, v2, v4, v1
	v_mov_b32_dpp v2, v1 quad_perm:[1,0,3,2] row_mask:0xf bank_mask:0xf
	s_delay_alu instid0(VALU_DEP_1) | instskip(NEXT) | instid1(VALU_DEP_1)
	v_add_nc_u32_e32 v1, v2, v1
	v_mov_b32_dpp v2, v1 quad_perm:[2,3,0,1] row_mask:0xf bank_mask:0xf
	s_delay_alu instid0(VALU_DEP_1) | instskip(NEXT) | instid1(VALU_DEP_1)
	v_add_nc_u32_e32 v1, v1, v2
	v_mov_b32_dpp v2, v1 row_ror:4 row_mask:0xf bank_mask:0xf
	s_delay_alu instid0(VALU_DEP_1) | instskip(NEXT) | instid1(VALU_DEP_1)
	v_add_nc_u32_e32 v1, v1, v2
	v_mov_b32_dpp v2, v1 row_ror:8 row_mask:0xf bank_mask:0xf
	s_delay_alu instid0(VALU_DEP_1)
	v_add_nc_u32_e32 v1, v1, v2
	ds_swizzle_b32 v2, v1 offset:swizzle(BROADCAST,32,15)
	s_wait_dscnt 0x0
	v_dual_mov_b32 v2, 0 :: v_dual_add_nc_u32 v1, v1, v2
	ds_bpermute_b32 v1, v2, v1 offset:124
	v_mbcnt_lo_u32_b32 v2, -1, 0
	s_delay_alu instid0(VALU_DEP_1)
	v_cmpx_eq_u32_e32 0, v2
	s_cbranch_execz .LBB640_172
; %bb.171:
	v_lshrrev_b32_e32 v3, 3, v0
	s_delay_alu instid0(VALU_DEP_1)
	v_and_b32_e32 v3, 28, v3
	s_wait_dscnt 0x0
	ds_store_b32 v3, v1 offset:128
.LBB640_172:
	s_or_b32 exec_lo, exec_lo, s3
	s_delay_alu instid0(SALU_CYCLE_1)
	s_mov_b32 s3, exec_lo
	s_wait_dscnt 0x0
	s_barrier_signal -1
	s_barrier_wait -1
	global_inv scope:SCOPE_SE
	v_cmpx_gt_u32_e32 32, v0
	s_cbranch_execz .LBB640_174
; %bb.173:
	v_and_b32_e32 v1, 7, v2
	s_delay_alu instid0(VALU_DEP_1) | instskip(SKIP_4) | instid1(VALU_DEP_2)
	v_lshlrev_b32_e32 v3, 2, v1
	v_cmp_ne_u32_e32 vcc_lo, 7, v1
	ds_load_b32 v3, v3 offset:128
	v_add_co_ci_u32_e64 v4, null, 0, v2, vcc_lo
	v_cmp_gt_u32_e32 vcc_lo, 6, v1
	v_lshlrev_b32_e32 v4, 2, v4
	s_wait_alu 0xfffd
	v_cndmask_b32_e64 v1, 0, 2, vcc_lo
	s_delay_alu instid0(VALU_DEP_1) | instskip(SKIP_1) | instid1(VALU_DEP_1)
	v_add_lshl_u32 v1, v1, v2, 2
	v_lshlrev_b32_e32 v2, 2, v2
	v_or_b32_e32 v2, 16, v2
	s_wait_dscnt 0x0
	ds_bpermute_b32 v4, v4, v3
	s_wait_dscnt 0x0
	v_add_nc_u32_e32 v3, v4, v3
	ds_bpermute_b32 v1, v1, v3
	s_wait_dscnt 0x0
	v_add_nc_u32_e32 v1, v1, v3
	;; [unrolled: 3-line block ×3, first 2 shown]
.LBB640_174:
	s_or_b32 exec_lo, exec_lo, s3
	s_mov_b32 s3, 0
	s_branch .LBB640_180
.LBB640_175:
                                        ; implicit-def: $vgpr1
	s_cbranch_execnz .LBB640_215
	s_branch .LBB640_224
.LBB640_176:
                                        ; implicit-def: $vgpr1
	s_cbranch_execz .LBB640_178
	s_branch .LBB640_195
.LBB640_177:
                                        ; implicit-def: $vgpr1
.LBB640_178:
	s_branch .LBB640_224
.LBB640_179:
	s_mov_b32 s3, -1
                                        ; implicit-def: $vgpr1
.LBB640_180:
	s_delay_alu instid0(SALU_CYCLE_1)
	s_and_b32 vcc_lo, exec_lo, s3
	s_wait_alu 0xfffe
	s_cbranch_vccz .LBB640_194
; %bb.181:
	v_mov_b32_e32 v1, 0
	s_sub_co_i32 s6, s38, s2
	s_mov_b32 s2, exec_lo
	s_delay_alu instid0(VALU_DEP_1)
	v_dual_mov_b32 v2, v1 :: v_dual_mov_b32 v3, v1
	v_mov_b32_e32 v4, v1
	v_cmpx_gt_u32_e64 s6, v0
	s_cbranch_execz .LBB640_183
; %bb.182:
	v_dual_mov_b32 v3, v1 :: v_dual_lshlrev_b32 v2, 2, v0
	v_dual_mov_b32 v4, v1 :: v_dual_mov_b32 v5, v1
	global_load_b32 v2, v2, s[4:5]
	s_wait_loadcnt 0x0
	v_mov_b32_e32 v1, v2
	v_mov_b32_e32 v2, v3
	;; [unrolled: 1-line block ×4, first 2 shown]
.LBB640_183:
	s_or_b32 exec_lo, exec_lo, s2
	v_or_b32_e32 v5, 0x100, v0
	s_delay_alu instid0(VALU_DEP_1)
	v_cmp_gt_u32_e32 vcc_lo, s6, v5
	s_and_saveexec_b32 s2, vcc_lo
	s_cbranch_execz .LBB640_185
; %bb.184:
	v_lshlrev_b32_e32 v2, 2, v0
	global_load_b32 v2, v2, s[4:5] offset:1024
.LBB640_185:
	s_or_b32 exec_lo, exec_lo, s2
	v_or_b32_e32 v5, 0x200, v0
	s_delay_alu instid0(VALU_DEP_1)
	v_cmp_gt_u32_e64 s2, s6, v5
	s_and_saveexec_b32 s3, s2
	s_cbranch_execz .LBB640_187
; %bb.186:
	v_lshlrev_b32_e32 v3, 2, v0
	global_load_b32 v3, v3, s[4:5] offset:2048
.LBB640_187:
	s_or_b32 exec_lo, exec_lo, s3
	v_or_b32_e32 v5, 0x300, v0
	s_delay_alu instid0(VALU_DEP_1)
	v_cmp_gt_u32_e64 s3, s6, v5
	s_and_saveexec_b32 s7, s3
	s_cbranch_execz .LBB640_189
; %bb.188:
	v_lshlrev_b32_e32 v4, 2, v0
	global_load_b32 v4, v4, s[4:5] offset:3072
.LBB640_189:
	s_wait_alu 0xfffe
	s_or_b32 exec_lo, exec_lo, s7
	s_wait_loadcnt 0x0
	v_cndmask_b32_e32 v5, 0, v2, vcc_lo
	v_mbcnt_lo_u32_b32 v2, -1, 0
	v_cndmask_b32_e64 v3, 0, v3, s2
	v_cndmask_b32_e64 v4, 0, v4, s3
	s_min_u32 s2, s6, 0x100
	v_add_nc_u32_e32 v1, v5, v1
	v_cmp_ne_u32_e32 vcc_lo, 31, v2
	s_mov_b32 s3, exec_lo
	s_delay_alu instid0(VALU_DEP_2) | instskip(SKIP_4) | instid1(VALU_DEP_3)
	v_add3_u32 v1, v1, v3, v4
	s_wait_alu 0xfffd
	v_add_co_ci_u32_e64 v5, null, 0, v2, vcc_lo
	v_and_b32_e32 v4, 0xe0, v0
	v_cmp_gt_u32_e32 vcc_lo, 30, v2
	v_lshlrev_b32_e32 v3, 2, v5
	v_add_nc_u32_e32 v5, 1, v2
	s_wait_alu 0xfffe
	v_sub_nc_u32_e64 v4, s2, v4 clamp
	s_wait_alu 0xfffd
	v_cndmask_b32_e64 v6, 0, 2, vcc_lo
	ds_bpermute_b32 v3, v3, v1
	v_cmp_lt_u32_e32 vcc_lo, v5, v4
	v_add_lshl_u32 v5, v6, v2, 2
	s_wait_dscnt 0x0
	s_wait_alu 0xfffd
	v_cndmask_b32_e32 v3, 0, v3, vcc_lo
	v_cmp_gt_u32_e32 vcc_lo, 28, v2
	s_delay_alu instid0(VALU_DEP_2) | instskip(SKIP_4) | instid1(VALU_DEP_1)
	v_add_nc_u32_e32 v1, v3, v1
	s_wait_alu 0xfffd
	v_cndmask_b32_e64 v6, 0, 4, vcc_lo
	ds_bpermute_b32 v3, v5, v1
	v_add_nc_u32_e32 v5, 2, v2
	v_cmp_lt_u32_e32 vcc_lo, v5, v4
	v_add_lshl_u32 v5, v6, v2, 2
	s_wait_dscnt 0x0
	s_wait_alu 0xfffd
	v_cndmask_b32_e32 v3, 0, v3, vcc_lo
	v_cmp_gt_u32_e32 vcc_lo, 24, v2
	s_delay_alu instid0(VALU_DEP_2) | instskip(SKIP_4) | instid1(VALU_DEP_1)
	v_add_nc_u32_e32 v1, v1, v3
	s_wait_alu 0xfffd
	v_cndmask_b32_e64 v6, 0, 8, vcc_lo
	ds_bpermute_b32 v3, v5, v1
	v_add_nc_u32_e32 v5, 4, v2
	v_cmp_lt_u32_e32 vcc_lo, v5, v4
	v_add_lshl_u32 v5, v6, v2, 2
	s_wait_dscnt 0x0
	s_wait_alu 0xfffd
	v_dual_cndmask_b32 v3, 0, v3 :: v_dual_add_nc_u32 v6, 8, v2
	s_delay_alu instid0(VALU_DEP_1) | instskip(NEXT) | instid1(VALU_DEP_2)
	v_cmp_lt_u32_e32 vcc_lo, v6, v4
	v_add_nc_u32_e32 v1, v1, v3
	v_lshlrev_b32_e32 v3, 2, v2
	ds_bpermute_b32 v5, v5, v1
	v_or_b32_e32 v6, 64, v3
	s_wait_dscnt 0x0
	s_wait_alu 0xfffd
	v_cndmask_b32_e32 v5, 0, v5, vcc_lo
	s_delay_alu instid0(VALU_DEP_1) | instskip(SKIP_2) | instid1(VALU_DEP_1)
	v_add_nc_u32_e32 v1, v1, v5
	ds_bpermute_b32 v5, v6, v1
	v_add_nc_u32_e32 v6, 16, v2
	v_cmp_lt_u32_e32 vcc_lo, v6, v4
	s_wait_dscnt 0x0
	s_wait_alu 0xfffd
	v_cndmask_b32_e32 v4, 0, v5, vcc_lo
	s_delay_alu instid0(VALU_DEP_1)
	v_add_nc_u32_e32 v1, v1, v4
	v_cmpx_eq_u32_e32 0, v2
; %bb.190:
	v_lshrrev_b32_e32 v4, 3, v0
	s_delay_alu instid0(VALU_DEP_1)
	v_and_b32_e32 v4, 28, v4
	ds_store_b32 v4, v1 offset:192
; %bb.191:
	s_or_b32 exec_lo, exec_lo, s3
	s_delay_alu instid0(SALU_CYCLE_1)
	s_mov_b32 s3, exec_lo
	s_wait_dscnt 0x0
	s_barrier_signal -1
	s_barrier_wait -1
	global_inv scope:SCOPE_SE
	v_cmpx_gt_u32_e32 8, v0
	s_cbranch_execz .LBB640_193
; %bb.192:
	ds_load_b32 v1, v3 offset:192
	v_and_b32_e32 v4, 7, v2
	s_add_co_i32 s2, s2, 31
	s_wait_alu 0xfffe
	s_lshr_b32 s2, s2, 5
	s_delay_alu instid0(VALU_DEP_1) | instskip(SKIP_4) | instid1(VALU_DEP_2)
	v_cmp_ne_u32_e32 vcc_lo, 7, v4
	v_add_nc_u32_e32 v6, 1, v4
	s_wait_alu 0xfffd
	v_add_co_ci_u32_e64 v5, null, 0, v2, vcc_lo
	v_cmp_gt_u32_e32 vcc_lo, 6, v4
	v_lshlrev_b32_e32 v5, 2, v5
	s_wait_alu 0xfffd
	v_cndmask_b32_e64 v7, 0, 2, vcc_lo
	s_wait_alu 0xfffe
	v_cmp_gt_u32_e32 vcc_lo, s2, v6
	s_wait_dscnt 0x0
	ds_bpermute_b32 v5, v5, v1
	v_add_lshl_u32 v2, v7, v2, 2
	s_wait_dscnt 0x0
	s_wait_alu 0xfffd
	v_cndmask_b32_e32 v5, 0, v5, vcc_lo
	s_delay_alu instid0(VALU_DEP_1)
	v_add_nc_u32_e32 v1, v5, v1
	v_add_nc_u32_e32 v5, 2, v4
	ds_bpermute_b32 v2, v2, v1
	v_cmp_gt_u32_e32 vcc_lo, s2, v5
	s_wait_dscnt 0x0
	s_wait_alu 0xfffd
	v_cndmask_b32_e32 v2, 0, v2, vcc_lo
	s_delay_alu instid0(VALU_DEP_1)
	v_add_nc_u32_e32 v1, v1, v2
	v_or_b32_e32 v2, 16, v3
	v_add_nc_u32_e32 v3, 4, v4
	ds_bpermute_b32 v2, v2, v1
	v_cmp_gt_u32_e32 vcc_lo, s2, v3
	s_wait_dscnt 0x0
	s_wait_alu 0xfffd
	v_cndmask_b32_e32 v2, 0, v2, vcc_lo
	s_delay_alu instid0(VALU_DEP_1)
	v_add_nc_u32_e32 v1, v1, v2
.LBB640_193:
	s_wait_alu 0xfffe
	s_or_b32 exec_lo, exec_lo, s3
.LBB640_194:
	v_cmp_eq_u32_e64 s2, 0, v0
	s_branch .LBB640_178
.LBB640_195:
	s_cmp_eq_u32 s33, 2
	s_cbranch_scc0 .LBB640_202
; %bb.196:
	s_mov_b32 s35, 0
	s_lshl_b32 s4, s34, 9
	s_mov_b32 s5, s35
	s_lshr_b64 s[2:3], s[38:39], 9
	s_lshl_b64 s[6:7], s[4:5], 2
	s_cmp_lg_u64 s[2:3], s[34:35]
	s_add_nc_u64 s[2:3], s[36:37], s[6:7]
	s_cbranch_scc0 .LBB640_203
; %bb.197:
	v_lshlrev_b32_e32 v1, 2, v0
	s_mov_b32 s5, exec_lo
	s_clause 0x1
	global_load_b32 v2, v1, s[2:3]
	global_load_b32 v1, v1, s[2:3] offset:1024
	s_wait_loadcnt 0x0
	v_add_nc_u32_e32 v1, v1, v2
	s_delay_alu instid0(VALU_DEP_1) | instskip(NEXT) | instid1(VALU_DEP_1)
	v_mov_b32_dpp v2, v1 quad_perm:[1,0,3,2] row_mask:0xf bank_mask:0xf
	v_add_nc_u32_e32 v1, v2, v1
	s_delay_alu instid0(VALU_DEP_1) | instskip(NEXT) | instid1(VALU_DEP_1)
	v_mov_b32_dpp v2, v1 quad_perm:[2,3,0,1] row_mask:0xf bank_mask:0xf
	v_add_nc_u32_e32 v1, v1, v2
	s_delay_alu instid0(VALU_DEP_1) | instskip(NEXT) | instid1(VALU_DEP_1)
	v_mov_b32_dpp v2, v1 row_ror:4 row_mask:0xf bank_mask:0xf
	v_add_nc_u32_e32 v1, v1, v2
	s_delay_alu instid0(VALU_DEP_1) | instskip(NEXT) | instid1(VALU_DEP_1)
	v_mov_b32_dpp v2, v1 row_ror:8 row_mask:0xf bank_mask:0xf
	v_add_nc_u32_e32 v1, v1, v2
	ds_swizzle_b32 v2, v1 offset:swizzle(BROADCAST,32,15)
	s_wait_dscnt 0x0
	v_dual_mov_b32 v2, 0 :: v_dual_add_nc_u32 v1, v1, v2
	ds_bpermute_b32 v1, v2, v1 offset:124
	v_mbcnt_lo_u32_b32 v2, -1, 0
	s_delay_alu instid0(VALU_DEP_1)
	v_cmpx_eq_u32_e32 0, v2
	s_cbranch_execz .LBB640_199
; %bb.198:
	v_lshrrev_b32_e32 v3, 3, v0
	s_delay_alu instid0(VALU_DEP_1)
	v_and_b32_e32 v3, 28, v3
	s_wait_dscnt 0x0
	ds_store_b32 v3, v1 offset:64
.LBB640_199:
	s_or_b32 exec_lo, exec_lo, s5
	s_delay_alu instid0(SALU_CYCLE_1)
	s_mov_b32 s5, exec_lo
	s_wait_dscnt 0x0
	s_barrier_signal -1
	s_barrier_wait -1
	global_inv scope:SCOPE_SE
	v_cmpx_gt_u32_e32 32, v0
	s_cbranch_execz .LBB640_201
; %bb.200:
	v_and_b32_e32 v1, 7, v2
	s_delay_alu instid0(VALU_DEP_1) | instskip(SKIP_4) | instid1(VALU_DEP_2)
	v_lshlrev_b32_e32 v3, 2, v1
	v_cmp_ne_u32_e32 vcc_lo, 7, v1
	ds_load_b32 v3, v3 offset:64
	v_add_co_ci_u32_e64 v4, null, 0, v2, vcc_lo
	v_cmp_gt_u32_e32 vcc_lo, 6, v1
	v_lshlrev_b32_e32 v4, 2, v4
	s_wait_alu 0xfffd
	v_cndmask_b32_e64 v1, 0, 2, vcc_lo
	s_delay_alu instid0(VALU_DEP_1) | instskip(SKIP_1) | instid1(VALU_DEP_1)
	v_add_lshl_u32 v1, v1, v2, 2
	v_lshlrev_b32_e32 v2, 2, v2
	v_or_b32_e32 v2, 16, v2
	s_wait_dscnt 0x0
	ds_bpermute_b32 v4, v4, v3
	s_wait_dscnt 0x0
	v_add_nc_u32_e32 v3, v4, v3
	ds_bpermute_b32 v1, v1, v3
	s_wait_dscnt 0x0
	v_add_nc_u32_e32 v1, v1, v3
	;; [unrolled: 3-line block ×3, first 2 shown]
.LBB640_201:
	s_or_b32 exec_lo, exec_lo, s5
	s_mov_b32 s5, 0
	s_branch .LBB640_204
.LBB640_202:
                                        ; implicit-def: $vgpr1
	s_branch .LBB640_224
.LBB640_203:
	s_mov_b32 s5, -1
                                        ; implicit-def: $vgpr1
.LBB640_204:
	s_delay_alu instid0(SALU_CYCLE_1)
	s_and_b32 vcc_lo, exec_lo, s5
	s_wait_alu 0xfffe
	s_cbranch_vccz .LBB640_214
; %bb.205:
	v_mov_b32_e32 v1, 0
	s_sub_co_i32 s4, s38, s4
	s_mov_b32 s5, exec_lo
	s_delay_alu instid0(VALU_DEP_1)
	v_mov_b32_e32 v2, v1
	v_cmpx_gt_u32_e64 s4, v0
	s_cbranch_execz .LBB640_207
; %bb.206:
	v_dual_mov_b32 v3, v1 :: v_dual_lshlrev_b32 v2, 2, v0
	global_load_b32 v2, v2, s[2:3]
	s_wait_loadcnt 0x0
	v_mov_b32_e32 v1, v2
	v_mov_b32_e32 v2, v3
.LBB640_207:
	s_or_b32 exec_lo, exec_lo, s5
	v_or_b32_e32 v3, 0x100, v0
	s_delay_alu instid0(VALU_DEP_1)
	v_cmp_gt_u32_e32 vcc_lo, s4, v3
	s_and_saveexec_b32 s5, vcc_lo
	s_cbranch_execz .LBB640_209
; %bb.208:
	v_lshlrev_b32_e32 v2, 2, v0
	global_load_b32 v2, v2, s[2:3] offset:1024
.LBB640_209:
	s_wait_alu 0xfffe
	s_or_b32 exec_lo, exec_lo, s5
	v_mbcnt_lo_u32_b32 v3, -1, 0
	s_wait_loadcnt 0x0
	v_cndmask_b32_e32 v2, 0, v2, vcc_lo
	s_min_u32 s2, s4, 0x100
	s_mov_b32 s3, exec_lo
	v_cmp_ne_u32_e32 vcc_lo, 31, v3
	v_add_nc_u32_e32 v5, 1, v3
	v_add_nc_u32_e32 v1, v2, v1
	s_wait_alu 0xfffd
	v_add_co_ci_u32_e64 v4, null, 0, v3, vcc_lo
	v_cmp_gt_u32_e32 vcc_lo, 30, v3
	s_delay_alu instid0(VALU_DEP_2)
	v_lshlrev_b32_e32 v2, 2, v4
	v_and_b32_e32 v4, 0xe0, v0
	s_wait_alu 0xfffd
	v_cndmask_b32_e64 v6, 0, 2, vcc_lo
	ds_bpermute_b32 v2, v2, v1
	v_sub_nc_u32_e64 v4, s2, v4 clamp
	s_delay_alu instid0(VALU_DEP_1)
	v_cmp_lt_u32_e32 vcc_lo, v5, v4
	v_add_lshl_u32 v5, v6, v3, 2
	s_wait_dscnt 0x0
	s_wait_alu 0xfffd
	v_cndmask_b32_e32 v2, 0, v2, vcc_lo
	v_cmp_gt_u32_e32 vcc_lo, 28, v3
	s_delay_alu instid0(VALU_DEP_2) | instskip(SKIP_4) | instid1(VALU_DEP_1)
	v_add_nc_u32_e32 v1, v2, v1
	s_wait_alu 0xfffd
	v_cndmask_b32_e64 v6, 0, 4, vcc_lo
	ds_bpermute_b32 v2, v5, v1
	v_add_nc_u32_e32 v5, 2, v3
	v_cmp_lt_u32_e32 vcc_lo, v5, v4
	v_add_lshl_u32 v5, v6, v3, 2
	s_wait_dscnt 0x0
	s_wait_alu 0xfffd
	v_cndmask_b32_e32 v2, 0, v2, vcc_lo
	v_cmp_gt_u32_e32 vcc_lo, 24, v3
	s_delay_alu instid0(VALU_DEP_2) | instskip(SKIP_4) | instid1(VALU_DEP_1)
	v_add_nc_u32_e32 v1, v1, v2
	s_wait_alu 0xfffd
	v_cndmask_b32_e64 v6, 0, 8, vcc_lo
	ds_bpermute_b32 v2, v5, v1
	v_add_nc_u32_e32 v5, 4, v3
	v_cmp_lt_u32_e32 vcc_lo, v5, v4
	v_add_lshl_u32 v5, v6, v3, 2
	v_add_nc_u32_e32 v6, 8, v3
	s_wait_dscnt 0x0
	s_wait_alu 0xfffd
	v_cndmask_b32_e32 v2, 0, v2, vcc_lo
	s_delay_alu instid0(VALU_DEP_2) | instskip(NEXT) | instid1(VALU_DEP_2)
	v_cmp_lt_u32_e32 vcc_lo, v6, v4
	v_add_nc_u32_e32 v1, v1, v2
	v_lshlrev_b32_e32 v2, 2, v3
	ds_bpermute_b32 v5, v5, v1
	v_or_b32_e32 v6, 64, v2
	s_wait_dscnt 0x0
	s_wait_alu 0xfffd
	v_cndmask_b32_e32 v5, 0, v5, vcc_lo
	s_delay_alu instid0(VALU_DEP_1) | instskip(SKIP_2) | instid1(VALU_DEP_1)
	v_add_nc_u32_e32 v1, v1, v5
	ds_bpermute_b32 v5, v6, v1
	v_add_nc_u32_e32 v6, 16, v3
	v_cmp_lt_u32_e32 vcc_lo, v6, v4
	s_wait_dscnt 0x0
	s_wait_alu 0xfffd
	v_cndmask_b32_e32 v4, 0, v5, vcc_lo
	s_delay_alu instid0(VALU_DEP_1)
	v_add_nc_u32_e32 v1, v1, v4
	v_cmpx_eq_u32_e32 0, v3
; %bb.210:
	v_lshrrev_b32_e32 v4, 3, v0
	s_delay_alu instid0(VALU_DEP_1)
	v_and_b32_e32 v4, 28, v4
	ds_store_b32 v4, v1 offset:192
; %bb.211:
	s_or_b32 exec_lo, exec_lo, s3
	s_delay_alu instid0(SALU_CYCLE_1)
	s_mov_b32 s3, exec_lo
	s_wait_dscnt 0x0
	s_barrier_signal -1
	s_barrier_wait -1
	global_inv scope:SCOPE_SE
	v_cmpx_gt_u32_e32 8, v0
	s_cbranch_execz .LBB640_213
; %bb.212:
	ds_load_b32 v1, v2 offset:192
	v_and_b32_e32 v4, 7, v3
	s_add_co_i32 s2, s2, 31
	v_or_b32_e32 v2, 16, v2
	s_wait_alu 0xfffe
	s_lshr_b32 s2, s2, 5
	v_cmp_ne_u32_e32 vcc_lo, 7, v4
	v_add_nc_u32_e32 v6, 1, v4
	s_wait_alu 0xfffd
	v_add_co_ci_u32_e64 v5, null, 0, v3, vcc_lo
	v_cmp_gt_u32_e32 vcc_lo, 6, v4
	s_delay_alu instid0(VALU_DEP_2)
	v_lshlrev_b32_e32 v5, 2, v5
	s_wait_alu 0xfffd
	v_cndmask_b32_e64 v7, 0, 2, vcc_lo
	s_wait_alu 0xfffe
	v_cmp_gt_u32_e32 vcc_lo, s2, v6
	s_wait_dscnt 0x0
	ds_bpermute_b32 v5, v5, v1
	v_add_lshl_u32 v3, v7, v3, 2
	s_wait_dscnt 0x0
	s_wait_alu 0xfffd
	v_cndmask_b32_e32 v5, 0, v5, vcc_lo
	s_delay_alu instid0(VALU_DEP_1)
	v_add_nc_u32_e32 v1, v5, v1
	v_add_nc_u32_e32 v5, 2, v4
	ds_bpermute_b32 v3, v3, v1
	v_cmp_gt_u32_e32 vcc_lo, s2, v5
	s_wait_dscnt 0x0
	s_wait_alu 0xfffd
	v_cndmask_b32_e32 v3, 0, v3, vcc_lo
	s_delay_alu instid0(VALU_DEP_1)
	v_add_nc_u32_e32 v1, v1, v3
	v_add_nc_u32_e32 v3, 4, v4
	ds_bpermute_b32 v2, v2, v1
	v_cmp_gt_u32_e32 vcc_lo, s2, v3
	s_wait_dscnt 0x0
	s_wait_alu 0xfffd
	v_cndmask_b32_e32 v2, 0, v2, vcc_lo
	s_delay_alu instid0(VALU_DEP_1)
	v_add_nc_u32_e32 v1, v1, v2
.LBB640_213:
	s_wait_alu 0xfffe
	s_or_b32 exec_lo, exec_lo, s3
.LBB640_214:
	v_cmp_eq_u32_e64 s2, 0, v0
	s_branch .LBB640_224
.LBB640_215:
	s_cmp_eq_u32 s33, 1
	s_cbranch_scc0 .LBB640_223
; %bb.216:
	s_mov_b32 s3, 0
	v_mbcnt_lo_u32_b32 v2, -1, 0
	s_lshr_b64 s[4:5], s[38:39], 8
	s_mov_b32 s35, s3
	s_lshl_b32 s2, s34, 8
	s_cmp_lg_u64 s[4:5], s[34:35]
	s_cbranch_scc0 .LBB640_227
; %bb.217:
	v_lshlrev_b32_e32 v1, 2, v0
	s_lshl_b64 s[4:5], s[2:3], 2
	s_delay_alu instid0(SALU_CYCLE_1) | instskip(SKIP_4) | instid1(VALU_DEP_1)
	s_add_nc_u64 s[4:5], s[36:37], s[4:5]
	global_load_b32 v1, v1, s[4:5]
	s_mov_b32 s4, exec_lo
	s_wait_loadcnt 0x0
	v_mov_b32_dpp v3, v1 quad_perm:[1,0,3,2] row_mask:0xf bank_mask:0xf
	v_add_nc_u32_e32 v1, v3, v1
	s_delay_alu instid0(VALU_DEP_1) | instskip(NEXT) | instid1(VALU_DEP_1)
	v_mov_b32_dpp v3, v1 quad_perm:[2,3,0,1] row_mask:0xf bank_mask:0xf
	v_add_nc_u32_e32 v1, v1, v3
	s_delay_alu instid0(VALU_DEP_1) | instskip(NEXT) | instid1(VALU_DEP_1)
	v_mov_b32_dpp v3, v1 row_ror:4 row_mask:0xf bank_mask:0xf
	v_add_nc_u32_e32 v1, v1, v3
	s_delay_alu instid0(VALU_DEP_1) | instskip(NEXT) | instid1(VALU_DEP_1)
	v_mov_b32_dpp v3, v1 row_ror:8 row_mask:0xf bank_mask:0xf
	v_add_nc_u32_e32 v1, v1, v3
	ds_swizzle_b32 v3, v1 offset:swizzle(BROADCAST,32,15)
	s_wait_dscnt 0x0
	v_add_nc_u32_e32 v1, v1, v3
	v_mov_b32_e32 v3, 0
	ds_bpermute_b32 v1, v3, v1 offset:124
	v_cmpx_eq_u32_e32 0, v2
	s_cbranch_execz .LBB640_219
; %bb.218:
	v_lshrrev_b32_e32 v3, 3, v0
	s_delay_alu instid0(VALU_DEP_1)
	v_and_b32_e32 v3, 28, v3
	s_wait_dscnt 0x0
	ds_store_b32 v3, v1 offset:32
.LBB640_219:
	s_or_b32 exec_lo, exec_lo, s4
	s_delay_alu instid0(SALU_CYCLE_1)
	s_mov_b32 s4, exec_lo
	s_wait_dscnt 0x0
	s_barrier_signal -1
	s_barrier_wait -1
	global_inv scope:SCOPE_SE
	v_cmpx_gt_u32_e32 32, v0
	s_cbranch_execz .LBB640_221
; %bb.220:
	v_and_b32_e32 v1, 7, v2
	s_delay_alu instid0(VALU_DEP_1) | instskip(SKIP_4) | instid1(VALU_DEP_2)
	v_lshlrev_b32_e32 v3, 2, v1
	v_cmp_ne_u32_e32 vcc_lo, 7, v1
	ds_load_b32 v3, v3 offset:32
	v_add_co_ci_u32_e64 v4, null, 0, v2, vcc_lo
	v_cmp_gt_u32_e32 vcc_lo, 6, v1
	v_lshlrev_b32_e32 v4, 2, v4
	s_wait_alu 0xfffd
	v_cndmask_b32_e64 v1, 0, 2, vcc_lo
	s_delay_alu instid0(VALU_DEP_1)
	v_add_lshl_u32 v1, v1, v2, 2
	s_wait_dscnt 0x0
	ds_bpermute_b32 v4, v4, v3
	s_wait_dscnt 0x0
	v_add_nc_u32_e32 v3, v4, v3
	v_lshlrev_b32_e32 v4, 2, v2
	ds_bpermute_b32 v1, v1, v3
	s_wait_dscnt 0x0
	v_add_nc_u32_e32 v1, v1, v3
	v_or_b32_e32 v3, 16, v4
	ds_bpermute_b32 v3, v3, v1
	s_wait_dscnt 0x0
	v_add_nc_u32_e32 v1, v3, v1
.LBB640_221:
	s_or_b32 exec_lo, exec_lo, s4
.LBB640_222:
	v_cmp_eq_u32_e64 s2, 0, v0
	s_and_saveexec_b32 s3, s2
	s_cbranch_execnz .LBB640_225
	s_branch .LBB640_226
.LBB640_223:
                                        ; implicit-def: $vgpr1
                                        ; implicit-def: $sgpr34_sgpr35
.LBB640_224:
	s_delay_alu instid0(VALU_DEP_1)
	s_and_saveexec_b32 s3, s2
	s_cbranch_execz .LBB640_226
.LBB640_225:
	s_load_b96 s[0:2], s[0:1], 0x18
	s_lshl_b64 s[4:5], s[34:35], 2
	s_cmp_lg_u64 s[38:39], 0
	s_cselect_b32 vcc_lo, -1, 0
	s_wait_alu 0xfffe
	v_dual_cndmask_b32 v0, 0, v1 :: v_dual_mov_b32 v1, 0
	s_wait_kmcnt 0x0
	s_delay_alu instid0(VALU_DEP_1)
	v_add_nc_u32_e32 v0, s2, v0
	s_add_nc_u64 s[0:1], s[0:1], s[4:5]
	global_store_b32 v1, v0, s[0:1]
.LBB640_226:
	s_endpgm
.LBB640_227:
                                        ; implicit-def: $vgpr1
	s_cbranch_execz .LBB640_222
; %bb.228:
	s_sub_co_i32 s4, s38, s2
	s_mov_b32 s5, exec_lo
                                        ; implicit-def: $vgpr1
	v_cmpx_gt_u32_e64 s4, v0
	s_cbranch_execz .LBB640_230
; %bb.229:
	v_lshlrev_b32_e32 v1, 2, v0
	s_lshl_b64 s[2:3], s[2:3], 2
	s_delay_alu instid0(SALU_CYCLE_1)
	s_add_nc_u64 s[2:3], s[36:37], s[2:3]
	global_load_b32 v1, v1, s[2:3]
.LBB640_230:
	s_or_b32 exec_lo, exec_lo, s5
	v_cmp_ne_u32_e32 vcc_lo, 31, v2
	s_min_u32 s2, s4, 0x100
	v_add_nc_u32_e32 v5, 1, v2
	s_mov_b32 s3, exec_lo
	v_add_co_ci_u32_e64 v3, null, 0, v2, vcc_lo
	v_cmp_gt_u32_e32 vcc_lo, 30, v2
	s_delay_alu instid0(VALU_DEP_2)
	v_lshlrev_b32_e32 v3, 2, v3
	s_wait_alu 0xfffd
	v_cndmask_b32_e64 v6, 0, 2, vcc_lo
	s_wait_loadcnt 0x0
	ds_bpermute_b32 v3, v3, v1
	v_and_b32_e32 v4, 0xe0, v0
	s_delay_alu instid0(VALU_DEP_1) | instskip(NEXT) | instid1(VALU_DEP_1)
	v_sub_nc_u32_e64 v4, s2, v4 clamp
	v_cmp_lt_u32_e32 vcc_lo, v5, v4
	v_add_lshl_u32 v5, v6, v2, 2
	s_wait_dscnt 0x0
	s_wait_alu 0xfffd
	v_cndmask_b32_e32 v3, 0, v3, vcc_lo
	v_cmp_gt_u32_e32 vcc_lo, 28, v2
	s_delay_alu instid0(VALU_DEP_2) | instskip(SKIP_4) | instid1(VALU_DEP_1)
	v_add_nc_u32_e32 v1, v3, v1
	s_wait_alu 0xfffd
	v_cndmask_b32_e64 v6, 0, 4, vcc_lo
	ds_bpermute_b32 v3, v5, v1
	v_add_nc_u32_e32 v5, 2, v2
	v_cmp_lt_u32_e32 vcc_lo, v5, v4
	v_add_lshl_u32 v5, v6, v2, 2
	s_wait_dscnt 0x0
	s_wait_alu 0xfffd
	v_cndmask_b32_e32 v3, 0, v3, vcc_lo
	v_cmp_gt_u32_e32 vcc_lo, 24, v2
	s_delay_alu instid0(VALU_DEP_2) | instskip(SKIP_4) | instid1(VALU_DEP_1)
	v_add_nc_u32_e32 v1, v1, v3
	s_wait_alu 0xfffd
	v_cndmask_b32_e64 v6, 0, 8, vcc_lo
	ds_bpermute_b32 v3, v5, v1
	v_add_nc_u32_e32 v5, 4, v2
	v_cmp_lt_u32_e32 vcc_lo, v5, v4
	v_add_lshl_u32 v5, v6, v2, 2
	s_wait_dscnt 0x0
	s_wait_alu 0xfffd
	v_dual_cndmask_b32 v3, 0, v3 :: v_dual_add_nc_u32 v6, 8, v2
	s_delay_alu instid0(VALU_DEP_1) | instskip(NEXT) | instid1(VALU_DEP_2)
	v_cmp_lt_u32_e32 vcc_lo, v6, v4
	v_add_nc_u32_e32 v1, v1, v3
	v_lshlrev_b32_e32 v3, 2, v2
	ds_bpermute_b32 v5, v5, v1
	v_or_b32_e32 v6, 64, v3
	s_wait_dscnt 0x0
	s_wait_alu 0xfffd
	v_cndmask_b32_e32 v5, 0, v5, vcc_lo
	s_delay_alu instid0(VALU_DEP_1) | instskip(SKIP_2) | instid1(VALU_DEP_1)
	v_add_nc_u32_e32 v1, v1, v5
	ds_bpermute_b32 v5, v6, v1
	v_add_nc_u32_e32 v6, 16, v2
	v_cmp_lt_u32_e32 vcc_lo, v6, v4
	s_wait_dscnt 0x0
	s_wait_alu 0xfffd
	v_cndmask_b32_e32 v4, 0, v5, vcc_lo
	s_delay_alu instid0(VALU_DEP_1)
	v_add_nc_u32_e32 v1, v1, v4
	v_cmpx_eq_u32_e32 0, v2
; %bb.231:
	v_lshrrev_b32_e32 v4, 3, v0
	s_delay_alu instid0(VALU_DEP_1)
	v_and_b32_e32 v4, 28, v4
	ds_store_b32 v4, v1 offset:192
; %bb.232:
	s_or_b32 exec_lo, exec_lo, s3
	s_delay_alu instid0(SALU_CYCLE_1)
	s_mov_b32 s3, exec_lo
	s_wait_dscnt 0x0
	s_barrier_signal -1
	s_barrier_wait -1
	global_inv scope:SCOPE_SE
	v_cmpx_gt_u32_e32 8, v0
	s_cbranch_execz .LBB640_234
; %bb.233:
	ds_load_b32 v1, v3 offset:192
	v_and_b32_e32 v4, 7, v2
	s_add_co_i32 s2, s2, 31
	s_wait_alu 0xfffe
	s_lshr_b32 s2, s2, 5
	s_delay_alu instid0(VALU_DEP_1) | instskip(SKIP_4) | instid1(VALU_DEP_2)
	v_cmp_ne_u32_e32 vcc_lo, 7, v4
	v_add_nc_u32_e32 v6, 1, v4
	s_wait_alu 0xfffd
	v_add_co_ci_u32_e64 v5, null, 0, v2, vcc_lo
	v_cmp_gt_u32_e32 vcc_lo, 6, v4
	v_lshlrev_b32_e32 v5, 2, v5
	s_wait_alu 0xfffd
	v_cndmask_b32_e64 v7, 0, 2, vcc_lo
	s_wait_alu 0xfffe
	v_cmp_gt_u32_e32 vcc_lo, s2, v6
	s_wait_dscnt 0x0
	ds_bpermute_b32 v5, v5, v1
	v_add_lshl_u32 v2, v7, v2, 2
	s_wait_dscnt 0x0
	s_wait_alu 0xfffd
	v_cndmask_b32_e32 v5, 0, v5, vcc_lo
	s_delay_alu instid0(VALU_DEP_1)
	v_add_nc_u32_e32 v1, v5, v1
	v_add_nc_u32_e32 v5, 2, v4
	ds_bpermute_b32 v2, v2, v1
	v_cmp_gt_u32_e32 vcc_lo, s2, v5
	s_wait_dscnt 0x0
	s_wait_alu 0xfffd
	v_cndmask_b32_e32 v2, 0, v2, vcc_lo
	s_delay_alu instid0(VALU_DEP_1)
	v_add_nc_u32_e32 v1, v1, v2
	v_or_b32_e32 v2, 16, v3
	v_add_nc_u32_e32 v3, 4, v4
	ds_bpermute_b32 v2, v2, v1
	v_cmp_gt_u32_e32 vcc_lo, s2, v3
	s_wait_dscnt 0x0
	s_wait_alu 0xfffd
	v_cndmask_b32_e32 v2, 0, v2, vcc_lo
	s_delay_alu instid0(VALU_DEP_1)
	v_add_nc_u32_e32 v1, v1, v2
.LBB640_234:
	s_wait_alu 0xfffe
	s_or_b32 exec_lo, exec_lo, s3
	v_cmp_eq_u32_e64 s2, 0, v0
	s_and_saveexec_b32 s3, s2
	s_cbranch_execnz .LBB640_225
	s_branch .LBB640_226
	.section	.rodata,"a",@progbits
	.p2align	6, 0x0
	.amdhsa_kernel _ZN7rocprim17ROCPRIM_400000_NS6detail17trampoline_kernelINS0_14default_configENS1_22reduce_config_selectorIiEEZNS1_11reduce_implILb1ES3_PiS7_iN6hipcub16HIPCUB_304000_NS6detail34convert_binary_result_type_wrapperINS9_3SumENS9_22TransformInputIteratorIbN2at6native12_GLOBAL__N_19NonZeroOpIN3c107complexINSI_4HalfEEEEEPKSL_lEEiEEEE10hipError_tPvRmT1_T2_T3_mT4_P12ihipStream_tbEUlT_E1_NS1_11comp_targetILNS1_3genE10ELNS1_11target_archE1201ELNS1_3gpuE5ELNS1_3repE0EEENS1_30default_config_static_selectorELNS0_4arch9wavefront6targetE0EEEvSU_
		.amdhsa_group_segment_fixed_size 224
		.amdhsa_private_segment_fixed_size 0
		.amdhsa_kernarg_size 40
		.amdhsa_user_sgpr_count 2
		.amdhsa_user_sgpr_dispatch_ptr 0
		.amdhsa_user_sgpr_queue_ptr 0
		.amdhsa_user_sgpr_kernarg_segment_ptr 1
		.amdhsa_user_sgpr_dispatch_id 0
		.amdhsa_user_sgpr_private_segment_size 0
		.amdhsa_wavefront_size32 1
		.amdhsa_uses_dynamic_stack 0
		.amdhsa_enable_private_segment 0
		.amdhsa_system_sgpr_workgroup_id_x 1
		.amdhsa_system_sgpr_workgroup_id_y 0
		.amdhsa_system_sgpr_workgroup_id_z 0
		.amdhsa_system_sgpr_workgroup_info 0
		.amdhsa_system_vgpr_workitem_id 0
		.amdhsa_next_free_vgpr 34
		.amdhsa_next_free_sgpr 45
		.amdhsa_reserve_vcc 1
		.amdhsa_float_round_mode_32 0
		.amdhsa_float_round_mode_16_64 0
		.amdhsa_float_denorm_mode_32 3
		.amdhsa_float_denorm_mode_16_64 3
		.amdhsa_fp16_overflow 0
		.amdhsa_workgroup_processor_mode 1
		.amdhsa_memory_ordered 1
		.amdhsa_forward_progress 1
		.amdhsa_inst_pref_size 93
		.amdhsa_round_robin_scheduling 0
		.amdhsa_exception_fp_ieee_invalid_op 0
		.amdhsa_exception_fp_denorm_src 0
		.amdhsa_exception_fp_ieee_div_zero 0
		.amdhsa_exception_fp_ieee_overflow 0
		.amdhsa_exception_fp_ieee_underflow 0
		.amdhsa_exception_fp_ieee_inexact 0
		.amdhsa_exception_int_div_zero 0
	.end_amdhsa_kernel
	.section	.text._ZN7rocprim17ROCPRIM_400000_NS6detail17trampoline_kernelINS0_14default_configENS1_22reduce_config_selectorIiEEZNS1_11reduce_implILb1ES3_PiS7_iN6hipcub16HIPCUB_304000_NS6detail34convert_binary_result_type_wrapperINS9_3SumENS9_22TransformInputIteratorIbN2at6native12_GLOBAL__N_19NonZeroOpIN3c107complexINSI_4HalfEEEEEPKSL_lEEiEEEE10hipError_tPvRmT1_T2_T3_mT4_P12ihipStream_tbEUlT_E1_NS1_11comp_targetILNS1_3genE10ELNS1_11target_archE1201ELNS1_3gpuE5ELNS1_3repE0EEENS1_30default_config_static_selectorELNS0_4arch9wavefront6targetE0EEEvSU_,"axG",@progbits,_ZN7rocprim17ROCPRIM_400000_NS6detail17trampoline_kernelINS0_14default_configENS1_22reduce_config_selectorIiEEZNS1_11reduce_implILb1ES3_PiS7_iN6hipcub16HIPCUB_304000_NS6detail34convert_binary_result_type_wrapperINS9_3SumENS9_22TransformInputIteratorIbN2at6native12_GLOBAL__N_19NonZeroOpIN3c107complexINSI_4HalfEEEEEPKSL_lEEiEEEE10hipError_tPvRmT1_T2_T3_mT4_P12ihipStream_tbEUlT_E1_NS1_11comp_targetILNS1_3genE10ELNS1_11target_archE1201ELNS1_3gpuE5ELNS1_3repE0EEENS1_30default_config_static_selectorELNS0_4arch9wavefront6targetE0EEEvSU_,comdat
.Lfunc_end640:
	.size	_ZN7rocprim17ROCPRIM_400000_NS6detail17trampoline_kernelINS0_14default_configENS1_22reduce_config_selectorIiEEZNS1_11reduce_implILb1ES3_PiS7_iN6hipcub16HIPCUB_304000_NS6detail34convert_binary_result_type_wrapperINS9_3SumENS9_22TransformInputIteratorIbN2at6native12_GLOBAL__N_19NonZeroOpIN3c107complexINSI_4HalfEEEEEPKSL_lEEiEEEE10hipError_tPvRmT1_T2_T3_mT4_P12ihipStream_tbEUlT_E1_NS1_11comp_targetILNS1_3genE10ELNS1_11target_archE1201ELNS1_3gpuE5ELNS1_3repE0EEENS1_30default_config_static_selectorELNS0_4arch9wavefront6targetE0EEEvSU_, .Lfunc_end640-_ZN7rocprim17ROCPRIM_400000_NS6detail17trampoline_kernelINS0_14default_configENS1_22reduce_config_selectorIiEEZNS1_11reduce_implILb1ES3_PiS7_iN6hipcub16HIPCUB_304000_NS6detail34convert_binary_result_type_wrapperINS9_3SumENS9_22TransformInputIteratorIbN2at6native12_GLOBAL__N_19NonZeroOpIN3c107complexINSI_4HalfEEEEEPKSL_lEEiEEEE10hipError_tPvRmT1_T2_T3_mT4_P12ihipStream_tbEUlT_E1_NS1_11comp_targetILNS1_3genE10ELNS1_11target_archE1201ELNS1_3gpuE5ELNS1_3repE0EEENS1_30default_config_static_selectorELNS0_4arch9wavefront6targetE0EEEvSU_
                                        ; -- End function
	.set _ZN7rocprim17ROCPRIM_400000_NS6detail17trampoline_kernelINS0_14default_configENS1_22reduce_config_selectorIiEEZNS1_11reduce_implILb1ES3_PiS7_iN6hipcub16HIPCUB_304000_NS6detail34convert_binary_result_type_wrapperINS9_3SumENS9_22TransformInputIteratorIbN2at6native12_GLOBAL__N_19NonZeroOpIN3c107complexINSI_4HalfEEEEEPKSL_lEEiEEEE10hipError_tPvRmT1_T2_T3_mT4_P12ihipStream_tbEUlT_E1_NS1_11comp_targetILNS1_3genE10ELNS1_11target_archE1201ELNS1_3gpuE5ELNS1_3repE0EEENS1_30default_config_static_selectorELNS0_4arch9wavefront6targetE0EEEvSU_.num_vgpr, 34
	.set _ZN7rocprim17ROCPRIM_400000_NS6detail17trampoline_kernelINS0_14default_configENS1_22reduce_config_selectorIiEEZNS1_11reduce_implILb1ES3_PiS7_iN6hipcub16HIPCUB_304000_NS6detail34convert_binary_result_type_wrapperINS9_3SumENS9_22TransformInputIteratorIbN2at6native12_GLOBAL__N_19NonZeroOpIN3c107complexINSI_4HalfEEEEEPKSL_lEEiEEEE10hipError_tPvRmT1_T2_T3_mT4_P12ihipStream_tbEUlT_E1_NS1_11comp_targetILNS1_3genE10ELNS1_11target_archE1201ELNS1_3gpuE5ELNS1_3repE0EEENS1_30default_config_static_selectorELNS0_4arch9wavefront6targetE0EEEvSU_.num_agpr, 0
	.set _ZN7rocprim17ROCPRIM_400000_NS6detail17trampoline_kernelINS0_14default_configENS1_22reduce_config_selectorIiEEZNS1_11reduce_implILb1ES3_PiS7_iN6hipcub16HIPCUB_304000_NS6detail34convert_binary_result_type_wrapperINS9_3SumENS9_22TransformInputIteratorIbN2at6native12_GLOBAL__N_19NonZeroOpIN3c107complexINSI_4HalfEEEEEPKSL_lEEiEEEE10hipError_tPvRmT1_T2_T3_mT4_P12ihipStream_tbEUlT_E1_NS1_11comp_targetILNS1_3genE10ELNS1_11target_archE1201ELNS1_3gpuE5ELNS1_3repE0EEENS1_30default_config_static_selectorELNS0_4arch9wavefront6targetE0EEEvSU_.numbered_sgpr, 45
	.set _ZN7rocprim17ROCPRIM_400000_NS6detail17trampoline_kernelINS0_14default_configENS1_22reduce_config_selectorIiEEZNS1_11reduce_implILb1ES3_PiS7_iN6hipcub16HIPCUB_304000_NS6detail34convert_binary_result_type_wrapperINS9_3SumENS9_22TransformInputIteratorIbN2at6native12_GLOBAL__N_19NonZeroOpIN3c107complexINSI_4HalfEEEEEPKSL_lEEiEEEE10hipError_tPvRmT1_T2_T3_mT4_P12ihipStream_tbEUlT_E1_NS1_11comp_targetILNS1_3genE10ELNS1_11target_archE1201ELNS1_3gpuE5ELNS1_3repE0EEENS1_30default_config_static_selectorELNS0_4arch9wavefront6targetE0EEEvSU_.num_named_barrier, 0
	.set _ZN7rocprim17ROCPRIM_400000_NS6detail17trampoline_kernelINS0_14default_configENS1_22reduce_config_selectorIiEEZNS1_11reduce_implILb1ES3_PiS7_iN6hipcub16HIPCUB_304000_NS6detail34convert_binary_result_type_wrapperINS9_3SumENS9_22TransformInputIteratorIbN2at6native12_GLOBAL__N_19NonZeroOpIN3c107complexINSI_4HalfEEEEEPKSL_lEEiEEEE10hipError_tPvRmT1_T2_T3_mT4_P12ihipStream_tbEUlT_E1_NS1_11comp_targetILNS1_3genE10ELNS1_11target_archE1201ELNS1_3gpuE5ELNS1_3repE0EEENS1_30default_config_static_selectorELNS0_4arch9wavefront6targetE0EEEvSU_.private_seg_size, 0
	.set _ZN7rocprim17ROCPRIM_400000_NS6detail17trampoline_kernelINS0_14default_configENS1_22reduce_config_selectorIiEEZNS1_11reduce_implILb1ES3_PiS7_iN6hipcub16HIPCUB_304000_NS6detail34convert_binary_result_type_wrapperINS9_3SumENS9_22TransformInputIteratorIbN2at6native12_GLOBAL__N_19NonZeroOpIN3c107complexINSI_4HalfEEEEEPKSL_lEEiEEEE10hipError_tPvRmT1_T2_T3_mT4_P12ihipStream_tbEUlT_E1_NS1_11comp_targetILNS1_3genE10ELNS1_11target_archE1201ELNS1_3gpuE5ELNS1_3repE0EEENS1_30default_config_static_selectorELNS0_4arch9wavefront6targetE0EEEvSU_.uses_vcc, 1
	.set _ZN7rocprim17ROCPRIM_400000_NS6detail17trampoline_kernelINS0_14default_configENS1_22reduce_config_selectorIiEEZNS1_11reduce_implILb1ES3_PiS7_iN6hipcub16HIPCUB_304000_NS6detail34convert_binary_result_type_wrapperINS9_3SumENS9_22TransformInputIteratorIbN2at6native12_GLOBAL__N_19NonZeroOpIN3c107complexINSI_4HalfEEEEEPKSL_lEEiEEEE10hipError_tPvRmT1_T2_T3_mT4_P12ihipStream_tbEUlT_E1_NS1_11comp_targetILNS1_3genE10ELNS1_11target_archE1201ELNS1_3gpuE5ELNS1_3repE0EEENS1_30default_config_static_selectorELNS0_4arch9wavefront6targetE0EEEvSU_.uses_flat_scratch, 0
	.set _ZN7rocprim17ROCPRIM_400000_NS6detail17trampoline_kernelINS0_14default_configENS1_22reduce_config_selectorIiEEZNS1_11reduce_implILb1ES3_PiS7_iN6hipcub16HIPCUB_304000_NS6detail34convert_binary_result_type_wrapperINS9_3SumENS9_22TransformInputIteratorIbN2at6native12_GLOBAL__N_19NonZeroOpIN3c107complexINSI_4HalfEEEEEPKSL_lEEiEEEE10hipError_tPvRmT1_T2_T3_mT4_P12ihipStream_tbEUlT_E1_NS1_11comp_targetILNS1_3genE10ELNS1_11target_archE1201ELNS1_3gpuE5ELNS1_3repE0EEENS1_30default_config_static_selectorELNS0_4arch9wavefront6targetE0EEEvSU_.has_dyn_sized_stack, 0
	.set _ZN7rocprim17ROCPRIM_400000_NS6detail17trampoline_kernelINS0_14default_configENS1_22reduce_config_selectorIiEEZNS1_11reduce_implILb1ES3_PiS7_iN6hipcub16HIPCUB_304000_NS6detail34convert_binary_result_type_wrapperINS9_3SumENS9_22TransformInputIteratorIbN2at6native12_GLOBAL__N_19NonZeroOpIN3c107complexINSI_4HalfEEEEEPKSL_lEEiEEEE10hipError_tPvRmT1_T2_T3_mT4_P12ihipStream_tbEUlT_E1_NS1_11comp_targetILNS1_3genE10ELNS1_11target_archE1201ELNS1_3gpuE5ELNS1_3repE0EEENS1_30default_config_static_selectorELNS0_4arch9wavefront6targetE0EEEvSU_.has_recursion, 0
	.set _ZN7rocprim17ROCPRIM_400000_NS6detail17trampoline_kernelINS0_14default_configENS1_22reduce_config_selectorIiEEZNS1_11reduce_implILb1ES3_PiS7_iN6hipcub16HIPCUB_304000_NS6detail34convert_binary_result_type_wrapperINS9_3SumENS9_22TransformInputIteratorIbN2at6native12_GLOBAL__N_19NonZeroOpIN3c107complexINSI_4HalfEEEEEPKSL_lEEiEEEE10hipError_tPvRmT1_T2_T3_mT4_P12ihipStream_tbEUlT_E1_NS1_11comp_targetILNS1_3genE10ELNS1_11target_archE1201ELNS1_3gpuE5ELNS1_3repE0EEENS1_30default_config_static_selectorELNS0_4arch9wavefront6targetE0EEEvSU_.has_indirect_call, 0
	.section	.AMDGPU.csdata,"",@progbits
; Kernel info:
; codeLenInByte = 11904
; TotalNumSgprs: 47
; NumVgprs: 34
; ScratchSize: 0
; MemoryBound: 0
; FloatMode: 240
; IeeeMode: 1
; LDSByteSize: 224 bytes/workgroup (compile time only)
; SGPRBlocks: 0
; VGPRBlocks: 4
; NumSGPRsForWavesPerEU: 47
; NumVGPRsForWavesPerEU: 34
; Occupancy: 16
; WaveLimiterHint : 1
; COMPUTE_PGM_RSRC2:SCRATCH_EN: 0
; COMPUTE_PGM_RSRC2:USER_SGPR: 2
; COMPUTE_PGM_RSRC2:TRAP_HANDLER: 0
; COMPUTE_PGM_RSRC2:TGID_X_EN: 1
; COMPUTE_PGM_RSRC2:TGID_Y_EN: 0
; COMPUTE_PGM_RSRC2:TGID_Z_EN: 0
; COMPUTE_PGM_RSRC2:TIDIG_COMP_CNT: 0
	.section	.text._ZN7rocprim17ROCPRIM_400000_NS6detail17trampoline_kernelINS0_14default_configENS1_22reduce_config_selectorIiEEZNS1_11reduce_implILb1ES3_PiS7_iN6hipcub16HIPCUB_304000_NS6detail34convert_binary_result_type_wrapperINS9_3SumENS9_22TransformInputIteratorIbN2at6native12_GLOBAL__N_19NonZeroOpIN3c107complexINSI_4HalfEEEEEPKSL_lEEiEEEE10hipError_tPvRmT1_T2_T3_mT4_P12ihipStream_tbEUlT_E1_NS1_11comp_targetILNS1_3genE10ELNS1_11target_archE1200ELNS1_3gpuE4ELNS1_3repE0EEENS1_30default_config_static_selectorELNS0_4arch9wavefront6targetE0EEEvSU_,"axG",@progbits,_ZN7rocprim17ROCPRIM_400000_NS6detail17trampoline_kernelINS0_14default_configENS1_22reduce_config_selectorIiEEZNS1_11reduce_implILb1ES3_PiS7_iN6hipcub16HIPCUB_304000_NS6detail34convert_binary_result_type_wrapperINS9_3SumENS9_22TransformInputIteratorIbN2at6native12_GLOBAL__N_19NonZeroOpIN3c107complexINSI_4HalfEEEEEPKSL_lEEiEEEE10hipError_tPvRmT1_T2_T3_mT4_P12ihipStream_tbEUlT_E1_NS1_11comp_targetILNS1_3genE10ELNS1_11target_archE1200ELNS1_3gpuE4ELNS1_3repE0EEENS1_30default_config_static_selectorELNS0_4arch9wavefront6targetE0EEEvSU_,comdat
	.globl	_ZN7rocprim17ROCPRIM_400000_NS6detail17trampoline_kernelINS0_14default_configENS1_22reduce_config_selectorIiEEZNS1_11reduce_implILb1ES3_PiS7_iN6hipcub16HIPCUB_304000_NS6detail34convert_binary_result_type_wrapperINS9_3SumENS9_22TransformInputIteratorIbN2at6native12_GLOBAL__N_19NonZeroOpIN3c107complexINSI_4HalfEEEEEPKSL_lEEiEEEE10hipError_tPvRmT1_T2_T3_mT4_P12ihipStream_tbEUlT_E1_NS1_11comp_targetILNS1_3genE10ELNS1_11target_archE1200ELNS1_3gpuE4ELNS1_3repE0EEENS1_30default_config_static_selectorELNS0_4arch9wavefront6targetE0EEEvSU_ ; -- Begin function _ZN7rocprim17ROCPRIM_400000_NS6detail17trampoline_kernelINS0_14default_configENS1_22reduce_config_selectorIiEEZNS1_11reduce_implILb1ES3_PiS7_iN6hipcub16HIPCUB_304000_NS6detail34convert_binary_result_type_wrapperINS9_3SumENS9_22TransformInputIteratorIbN2at6native12_GLOBAL__N_19NonZeroOpIN3c107complexINSI_4HalfEEEEEPKSL_lEEiEEEE10hipError_tPvRmT1_T2_T3_mT4_P12ihipStream_tbEUlT_E1_NS1_11comp_targetILNS1_3genE10ELNS1_11target_archE1200ELNS1_3gpuE4ELNS1_3repE0EEENS1_30default_config_static_selectorELNS0_4arch9wavefront6targetE0EEEvSU_
	.p2align	8
	.type	_ZN7rocprim17ROCPRIM_400000_NS6detail17trampoline_kernelINS0_14default_configENS1_22reduce_config_selectorIiEEZNS1_11reduce_implILb1ES3_PiS7_iN6hipcub16HIPCUB_304000_NS6detail34convert_binary_result_type_wrapperINS9_3SumENS9_22TransformInputIteratorIbN2at6native12_GLOBAL__N_19NonZeroOpIN3c107complexINSI_4HalfEEEEEPKSL_lEEiEEEE10hipError_tPvRmT1_T2_T3_mT4_P12ihipStream_tbEUlT_E1_NS1_11comp_targetILNS1_3genE10ELNS1_11target_archE1200ELNS1_3gpuE4ELNS1_3repE0EEENS1_30default_config_static_selectorELNS0_4arch9wavefront6targetE0EEEvSU_,@function
_ZN7rocprim17ROCPRIM_400000_NS6detail17trampoline_kernelINS0_14default_configENS1_22reduce_config_selectorIiEEZNS1_11reduce_implILb1ES3_PiS7_iN6hipcub16HIPCUB_304000_NS6detail34convert_binary_result_type_wrapperINS9_3SumENS9_22TransformInputIteratorIbN2at6native12_GLOBAL__N_19NonZeroOpIN3c107complexINSI_4HalfEEEEEPKSL_lEEiEEEE10hipError_tPvRmT1_T2_T3_mT4_P12ihipStream_tbEUlT_E1_NS1_11comp_targetILNS1_3genE10ELNS1_11target_archE1200ELNS1_3gpuE4ELNS1_3repE0EEENS1_30default_config_static_selectorELNS0_4arch9wavefront6targetE0EEEvSU_: ; @_ZN7rocprim17ROCPRIM_400000_NS6detail17trampoline_kernelINS0_14default_configENS1_22reduce_config_selectorIiEEZNS1_11reduce_implILb1ES3_PiS7_iN6hipcub16HIPCUB_304000_NS6detail34convert_binary_result_type_wrapperINS9_3SumENS9_22TransformInputIteratorIbN2at6native12_GLOBAL__N_19NonZeroOpIN3c107complexINSI_4HalfEEEEEPKSL_lEEiEEEE10hipError_tPvRmT1_T2_T3_mT4_P12ihipStream_tbEUlT_E1_NS1_11comp_targetILNS1_3genE10ELNS1_11target_archE1200ELNS1_3gpuE4ELNS1_3repE0EEENS1_30default_config_static_selectorELNS0_4arch9wavefront6targetE0EEEvSU_
; %bb.0:
	.section	.rodata,"a",@progbits
	.p2align	6, 0x0
	.amdhsa_kernel _ZN7rocprim17ROCPRIM_400000_NS6detail17trampoline_kernelINS0_14default_configENS1_22reduce_config_selectorIiEEZNS1_11reduce_implILb1ES3_PiS7_iN6hipcub16HIPCUB_304000_NS6detail34convert_binary_result_type_wrapperINS9_3SumENS9_22TransformInputIteratorIbN2at6native12_GLOBAL__N_19NonZeroOpIN3c107complexINSI_4HalfEEEEEPKSL_lEEiEEEE10hipError_tPvRmT1_T2_T3_mT4_P12ihipStream_tbEUlT_E1_NS1_11comp_targetILNS1_3genE10ELNS1_11target_archE1200ELNS1_3gpuE4ELNS1_3repE0EEENS1_30default_config_static_selectorELNS0_4arch9wavefront6targetE0EEEvSU_
		.amdhsa_group_segment_fixed_size 0
		.amdhsa_private_segment_fixed_size 0
		.amdhsa_kernarg_size 40
		.amdhsa_user_sgpr_count 2
		.amdhsa_user_sgpr_dispatch_ptr 0
		.amdhsa_user_sgpr_queue_ptr 0
		.amdhsa_user_sgpr_kernarg_segment_ptr 1
		.amdhsa_user_sgpr_dispatch_id 0
		.amdhsa_user_sgpr_private_segment_size 0
		.amdhsa_wavefront_size32 1
		.amdhsa_uses_dynamic_stack 0
		.amdhsa_enable_private_segment 0
		.amdhsa_system_sgpr_workgroup_id_x 1
		.amdhsa_system_sgpr_workgroup_id_y 0
		.amdhsa_system_sgpr_workgroup_id_z 0
		.amdhsa_system_sgpr_workgroup_info 0
		.amdhsa_system_vgpr_workitem_id 0
		.amdhsa_next_free_vgpr 1
		.amdhsa_next_free_sgpr 1
		.amdhsa_reserve_vcc 0
		.amdhsa_float_round_mode_32 0
		.amdhsa_float_round_mode_16_64 0
		.amdhsa_float_denorm_mode_32 3
		.amdhsa_float_denorm_mode_16_64 3
		.amdhsa_fp16_overflow 0
		.amdhsa_workgroup_processor_mode 1
		.amdhsa_memory_ordered 1
		.amdhsa_forward_progress 1
		.amdhsa_inst_pref_size 0
		.amdhsa_round_robin_scheduling 0
		.amdhsa_exception_fp_ieee_invalid_op 0
		.amdhsa_exception_fp_denorm_src 0
		.amdhsa_exception_fp_ieee_div_zero 0
		.amdhsa_exception_fp_ieee_overflow 0
		.amdhsa_exception_fp_ieee_underflow 0
		.amdhsa_exception_fp_ieee_inexact 0
		.amdhsa_exception_int_div_zero 0
	.end_amdhsa_kernel
	.section	.text._ZN7rocprim17ROCPRIM_400000_NS6detail17trampoline_kernelINS0_14default_configENS1_22reduce_config_selectorIiEEZNS1_11reduce_implILb1ES3_PiS7_iN6hipcub16HIPCUB_304000_NS6detail34convert_binary_result_type_wrapperINS9_3SumENS9_22TransformInputIteratorIbN2at6native12_GLOBAL__N_19NonZeroOpIN3c107complexINSI_4HalfEEEEEPKSL_lEEiEEEE10hipError_tPvRmT1_T2_T3_mT4_P12ihipStream_tbEUlT_E1_NS1_11comp_targetILNS1_3genE10ELNS1_11target_archE1200ELNS1_3gpuE4ELNS1_3repE0EEENS1_30default_config_static_selectorELNS0_4arch9wavefront6targetE0EEEvSU_,"axG",@progbits,_ZN7rocprim17ROCPRIM_400000_NS6detail17trampoline_kernelINS0_14default_configENS1_22reduce_config_selectorIiEEZNS1_11reduce_implILb1ES3_PiS7_iN6hipcub16HIPCUB_304000_NS6detail34convert_binary_result_type_wrapperINS9_3SumENS9_22TransformInputIteratorIbN2at6native12_GLOBAL__N_19NonZeroOpIN3c107complexINSI_4HalfEEEEEPKSL_lEEiEEEE10hipError_tPvRmT1_T2_T3_mT4_P12ihipStream_tbEUlT_E1_NS1_11comp_targetILNS1_3genE10ELNS1_11target_archE1200ELNS1_3gpuE4ELNS1_3repE0EEENS1_30default_config_static_selectorELNS0_4arch9wavefront6targetE0EEEvSU_,comdat
.Lfunc_end641:
	.size	_ZN7rocprim17ROCPRIM_400000_NS6detail17trampoline_kernelINS0_14default_configENS1_22reduce_config_selectorIiEEZNS1_11reduce_implILb1ES3_PiS7_iN6hipcub16HIPCUB_304000_NS6detail34convert_binary_result_type_wrapperINS9_3SumENS9_22TransformInputIteratorIbN2at6native12_GLOBAL__N_19NonZeroOpIN3c107complexINSI_4HalfEEEEEPKSL_lEEiEEEE10hipError_tPvRmT1_T2_T3_mT4_P12ihipStream_tbEUlT_E1_NS1_11comp_targetILNS1_3genE10ELNS1_11target_archE1200ELNS1_3gpuE4ELNS1_3repE0EEENS1_30default_config_static_selectorELNS0_4arch9wavefront6targetE0EEEvSU_, .Lfunc_end641-_ZN7rocprim17ROCPRIM_400000_NS6detail17trampoline_kernelINS0_14default_configENS1_22reduce_config_selectorIiEEZNS1_11reduce_implILb1ES3_PiS7_iN6hipcub16HIPCUB_304000_NS6detail34convert_binary_result_type_wrapperINS9_3SumENS9_22TransformInputIteratorIbN2at6native12_GLOBAL__N_19NonZeroOpIN3c107complexINSI_4HalfEEEEEPKSL_lEEiEEEE10hipError_tPvRmT1_T2_T3_mT4_P12ihipStream_tbEUlT_E1_NS1_11comp_targetILNS1_3genE10ELNS1_11target_archE1200ELNS1_3gpuE4ELNS1_3repE0EEENS1_30default_config_static_selectorELNS0_4arch9wavefront6targetE0EEEvSU_
                                        ; -- End function
	.set _ZN7rocprim17ROCPRIM_400000_NS6detail17trampoline_kernelINS0_14default_configENS1_22reduce_config_selectorIiEEZNS1_11reduce_implILb1ES3_PiS7_iN6hipcub16HIPCUB_304000_NS6detail34convert_binary_result_type_wrapperINS9_3SumENS9_22TransformInputIteratorIbN2at6native12_GLOBAL__N_19NonZeroOpIN3c107complexINSI_4HalfEEEEEPKSL_lEEiEEEE10hipError_tPvRmT1_T2_T3_mT4_P12ihipStream_tbEUlT_E1_NS1_11comp_targetILNS1_3genE10ELNS1_11target_archE1200ELNS1_3gpuE4ELNS1_3repE0EEENS1_30default_config_static_selectorELNS0_4arch9wavefront6targetE0EEEvSU_.num_vgpr, 0
	.set _ZN7rocprim17ROCPRIM_400000_NS6detail17trampoline_kernelINS0_14default_configENS1_22reduce_config_selectorIiEEZNS1_11reduce_implILb1ES3_PiS7_iN6hipcub16HIPCUB_304000_NS6detail34convert_binary_result_type_wrapperINS9_3SumENS9_22TransformInputIteratorIbN2at6native12_GLOBAL__N_19NonZeroOpIN3c107complexINSI_4HalfEEEEEPKSL_lEEiEEEE10hipError_tPvRmT1_T2_T3_mT4_P12ihipStream_tbEUlT_E1_NS1_11comp_targetILNS1_3genE10ELNS1_11target_archE1200ELNS1_3gpuE4ELNS1_3repE0EEENS1_30default_config_static_selectorELNS0_4arch9wavefront6targetE0EEEvSU_.num_agpr, 0
	.set _ZN7rocprim17ROCPRIM_400000_NS6detail17trampoline_kernelINS0_14default_configENS1_22reduce_config_selectorIiEEZNS1_11reduce_implILb1ES3_PiS7_iN6hipcub16HIPCUB_304000_NS6detail34convert_binary_result_type_wrapperINS9_3SumENS9_22TransformInputIteratorIbN2at6native12_GLOBAL__N_19NonZeroOpIN3c107complexINSI_4HalfEEEEEPKSL_lEEiEEEE10hipError_tPvRmT1_T2_T3_mT4_P12ihipStream_tbEUlT_E1_NS1_11comp_targetILNS1_3genE10ELNS1_11target_archE1200ELNS1_3gpuE4ELNS1_3repE0EEENS1_30default_config_static_selectorELNS0_4arch9wavefront6targetE0EEEvSU_.numbered_sgpr, 0
	.set _ZN7rocprim17ROCPRIM_400000_NS6detail17trampoline_kernelINS0_14default_configENS1_22reduce_config_selectorIiEEZNS1_11reduce_implILb1ES3_PiS7_iN6hipcub16HIPCUB_304000_NS6detail34convert_binary_result_type_wrapperINS9_3SumENS9_22TransformInputIteratorIbN2at6native12_GLOBAL__N_19NonZeroOpIN3c107complexINSI_4HalfEEEEEPKSL_lEEiEEEE10hipError_tPvRmT1_T2_T3_mT4_P12ihipStream_tbEUlT_E1_NS1_11comp_targetILNS1_3genE10ELNS1_11target_archE1200ELNS1_3gpuE4ELNS1_3repE0EEENS1_30default_config_static_selectorELNS0_4arch9wavefront6targetE0EEEvSU_.num_named_barrier, 0
	.set _ZN7rocprim17ROCPRIM_400000_NS6detail17trampoline_kernelINS0_14default_configENS1_22reduce_config_selectorIiEEZNS1_11reduce_implILb1ES3_PiS7_iN6hipcub16HIPCUB_304000_NS6detail34convert_binary_result_type_wrapperINS9_3SumENS9_22TransformInputIteratorIbN2at6native12_GLOBAL__N_19NonZeroOpIN3c107complexINSI_4HalfEEEEEPKSL_lEEiEEEE10hipError_tPvRmT1_T2_T3_mT4_P12ihipStream_tbEUlT_E1_NS1_11comp_targetILNS1_3genE10ELNS1_11target_archE1200ELNS1_3gpuE4ELNS1_3repE0EEENS1_30default_config_static_selectorELNS0_4arch9wavefront6targetE0EEEvSU_.private_seg_size, 0
	.set _ZN7rocprim17ROCPRIM_400000_NS6detail17trampoline_kernelINS0_14default_configENS1_22reduce_config_selectorIiEEZNS1_11reduce_implILb1ES3_PiS7_iN6hipcub16HIPCUB_304000_NS6detail34convert_binary_result_type_wrapperINS9_3SumENS9_22TransformInputIteratorIbN2at6native12_GLOBAL__N_19NonZeroOpIN3c107complexINSI_4HalfEEEEEPKSL_lEEiEEEE10hipError_tPvRmT1_T2_T3_mT4_P12ihipStream_tbEUlT_E1_NS1_11comp_targetILNS1_3genE10ELNS1_11target_archE1200ELNS1_3gpuE4ELNS1_3repE0EEENS1_30default_config_static_selectorELNS0_4arch9wavefront6targetE0EEEvSU_.uses_vcc, 0
	.set _ZN7rocprim17ROCPRIM_400000_NS6detail17trampoline_kernelINS0_14default_configENS1_22reduce_config_selectorIiEEZNS1_11reduce_implILb1ES3_PiS7_iN6hipcub16HIPCUB_304000_NS6detail34convert_binary_result_type_wrapperINS9_3SumENS9_22TransformInputIteratorIbN2at6native12_GLOBAL__N_19NonZeroOpIN3c107complexINSI_4HalfEEEEEPKSL_lEEiEEEE10hipError_tPvRmT1_T2_T3_mT4_P12ihipStream_tbEUlT_E1_NS1_11comp_targetILNS1_3genE10ELNS1_11target_archE1200ELNS1_3gpuE4ELNS1_3repE0EEENS1_30default_config_static_selectorELNS0_4arch9wavefront6targetE0EEEvSU_.uses_flat_scratch, 0
	.set _ZN7rocprim17ROCPRIM_400000_NS6detail17trampoline_kernelINS0_14default_configENS1_22reduce_config_selectorIiEEZNS1_11reduce_implILb1ES3_PiS7_iN6hipcub16HIPCUB_304000_NS6detail34convert_binary_result_type_wrapperINS9_3SumENS9_22TransformInputIteratorIbN2at6native12_GLOBAL__N_19NonZeroOpIN3c107complexINSI_4HalfEEEEEPKSL_lEEiEEEE10hipError_tPvRmT1_T2_T3_mT4_P12ihipStream_tbEUlT_E1_NS1_11comp_targetILNS1_3genE10ELNS1_11target_archE1200ELNS1_3gpuE4ELNS1_3repE0EEENS1_30default_config_static_selectorELNS0_4arch9wavefront6targetE0EEEvSU_.has_dyn_sized_stack, 0
	.set _ZN7rocprim17ROCPRIM_400000_NS6detail17trampoline_kernelINS0_14default_configENS1_22reduce_config_selectorIiEEZNS1_11reduce_implILb1ES3_PiS7_iN6hipcub16HIPCUB_304000_NS6detail34convert_binary_result_type_wrapperINS9_3SumENS9_22TransformInputIteratorIbN2at6native12_GLOBAL__N_19NonZeroOpIN3c107complexINSI_4HalfEEEEEPKSL_lEEiEEEE10hipError_tPvRmT1_T2_T3_mT4_P12ihipStream_tbEUlT_E1_NS1_11comp_targetILNS1_3genE10ELNS1_11target_archE1200ELNS1_3gpuE4ELNS1_3repE0EEENS1_30default_config_static_selectorELNS0_4arch9wavefront6targetE0EEEvSU_.has_recursion, 0
	.set _ZN7rocprim17ROCPRIM_400000_NS6detail17trampoline_kernelINS0_14default_configENS1_22reduce_config_selectorIiEEZNS1_11reduce_implILb1ES3_PiS7_iN6hipcub16HIPCUB_304000_NS6detail34convert_binary_result_type_wrapperINS9_3SumENS9_22TransformInputIteratorIbN2at6native12_GLOBAL__N_19NonZeroOpIN3c107complexINSI_4HalfEEEEEPKSL_lEEiEEEE10hipError_tPvRmT1_T2_T3_mT4_P12ihipStream_tbEUlT_E1_NS1_11comp_targetILNS1_3genE10ELNS1_11target_archE1200ELNS1_3gpuE4ELNS1_3repE0EEENS1_30default_config_static_selectorELNS0_4arch9wavefront6targetE0EEEvSU_.has_indirect_call, 0
	.section	.AMDGPU.csdata,"",@progbits
; Kernel info:
; codeLenInByte = 0
; TotalNumSgprs: 0
; NumVgprs: 0
; ScratchSize: 0
; MemoryBound: 0
; FloatMode: 240
; IeeeMode: 1
; LDSByteSize: 0 bytes/workgroup (compile time only)
; SGPRBlocks: 0
; VGPRBlocks: 0
; NumSGPRsForWavesPerEU: 1
; NumVGPRsForWavesPerEU: 1
; Occupancy: 16
; WaveLimiterHint : 0
; COMPUTE_PGM_RSRC2:SCRATCH_EN: 0
; COMPUTE_PGM_RSRC2:USER_SGPR: 2
; COMPUTE_PGM_RSRC2:TRAP_HANDLER: 0
; COMPUTE_PGM_RSRC2:TGID_X_EN: 1
; COMPUTE_PGM_RSRC2:TGID_Y_EN: 0
; COMPUTE_PGM_RSRC2:TGID_Z_EN: 0
; COMPUTE_PGM_RSRC2:TIDIG_COMP_CNT: 0
	.section	.text._ZN7rocprim17ROCPRIM_400000_NS6detail17trampoline_kernelINS0_14default_configENS1_22reduce_config_selectorIiEEZNS1_11reduce_implILb1ES3_PiS7_iN6hipcub16HIPCUB_304000_NS6detail34convert_binary_result_type_wrapperINS9_3SumENS9_22TransformInputIteratorIbN2at6native12_GLOBAL__N_19NonZeroOpIN3c107complexINSI_4HalfEEEEEPKSL_lEEiEEEE10hipError_tPvRmT1_T2_T3_mT4_P12ihipStream_tbEUlT_E1_NS1_11comp_targetILNS1_3genE9ELNS1_11target_archE1100ELNS1_3gpuE3ELNS1_3repE0EEENS1_30default_config_static_selectorELNS0_4arch9wavefront6targetE0EEEvSU_,"axG",@progbits,_ZN7rocprim17ROCPRIM_400000_NS6detail17trampoline_kernelINS0_14default_configENS1_22reduce_config_selectorIiEEZNS1_11reduce_implILb1ES3_PiS7_iN6hipcub16HIPCUB_304000_NS6detail34convert_binary_result_type_wrapperINS9_3SumENS9_22TransformInputIteratorIbN2at6native12_GLOBAL__N_19NonZeroOpIN3c107complexINSI_4HalfEEEEEPKSL_lEEiEEEE10hipError_tPvRmT1_T2_T3_mT4_P12ihipStream_tbEUlT_E1_NS1_11comp_targetILNS1_3genE9ELNS1_11target_archE1100ELNS1_3gpuE3ELNS1_3repE0EEENS1_30default_config_static_selectorELNS0_4arch9wavefront6targetE0EEEvSU_,comdat
	.globl	_ZN7rocprim17ROCPRIM_400000_NS6detail17trampoline_kernelINS0_14default_configENS1_22reduce_config_selectorIiEEZNS1_11reduce_implILb1ES3_PiS7_iN6hipcub16HIPCUB_304000_NS6detail34convert_binary_result_type_wrapperINS9_3SumENS9_22TransformInputIteratorIbN2at6native12_GLOBAL__N_19NonZeroOpIN3c107complexINSI_4HalfEEEEEPKSL_lEEiEEEE10hipError_tPvRmT1_T2_T3_mT4_P12ihipStream_tbEUlT_E1_NS1_11comp_targetILNS1_3genE9ELNS1_11target_archE1100ELNS1_3gpuE3ELNS1_3repE0EEENS1_30default_config_static_selectorELNS0_4arch9wavefront6targetE0EEEvSU_ ; -- Begin function _ZN7rocprim17ROCPRIM_400000_NS6detail17trampoline_kernelINS0_14default_configENS1_22reduce_config_selectorIiEEZNS1_11reduce_implILb1ES3_PiS7_iN6hipcub16HIPCUB_304000_NS6detail34convert_binary_result_type_wrapperINS9_3SumENS9_22TransformInputIteratorIbN2at6native12_GLOBAL__N_19NonZeroOpIN3c107complexINSI_4HalfEEEEEPKSL_lEEiEEEE10hipError_tPvRmT1_T2_T3_mT4_P12ihipStream_tbEUlT_E1_NS1_11comp_targetILNS1_3genE9ELNS1_11target_archE1100ELNS1_3gpuE3ELNS1_3repE0EEENS1_30default_config_static_selectorELNS0_4arch9wavefront6targetE0EEEvSU_
	.p2align	8
	.type	_ZN7rocprim17ROCPRIM_400000_NS6detail17trampoline_kernelINS0_14default_configENS1_22reduce_config_selectorIiEEZNS1_11reduce_implILb1ES3_PiS7_iN6hipcub16HIPCUB_304000_NS6detail34convert_binary_result_type_wrapperINS9_3SumENS9_22TransformInputIteratorIbN2at6native12_GLOBAL__N_19NonZeroOpIN3c107complexINSI_4HalfEEEEEPKSL_lEEiEEEE10hipError_tPvRmT1_T2_T3_mT4_P12ihipStream_tbEUlT_E1_NS1_11comp_targetILNS1_3genE9ELNS1_11target_archE1100ELNS1_3gpuE3ELNS1_3repE0EEENS1_30default_config_static_selectorELNS0_4arch9wavefront6targetE0EEEvSU_,@function
_ZN7rocprim17ROCPRIM_400000_NS6detail17trampoline_kernelINS0_14default_configENS1_22reduce_config_selectorIiEEZNS1_11reduce_implILb1ES3_PiS7_iN6hipcub16HIPCUB_304000_NS6detail34convert_binary_result_type_wrapperINS9_3SumENS9_22TransformInputIteratorIbN2at6native12_GLOBAL__N_19NonZeroOpIN3c107complexINSI_4HalfEEEEEPKSL_lEEiEEEE10hipError_tPvRmT1_T2_T3_mT4_P12ihipStream_tbEUlT_E1_NS1_11comp_targetILNS1_3genE9ELNS1_11target_archE1100ELNS1_3gpuE3ELNS1_3repE0EEENS1_30default_config_static_selectorELNS0_4arch9wavefront6targetE0EEEvSU_: ; @_ZN7rocprim17ROCPRIM_400000_NS6detail17trampoline_kernelINS0_14default_configENS1_22reduce_config_selectorIiEEZNS1_11reduce_implILb1ES3_PiS7_iN6hipcub16HIPCUB_304000_NS6detail34convert_binary_result_type_wrapperINS9_3SumENS9_22TransformInputIteratorIbN2at6native12_GLOBAL__N_19NonZeroOpIN3c107complexINSI_4HalfEEEEEPKSL_lEEiEEEE10hipError_tPvRmT1_T2_T3_mT4_P12ihipStream_tbEUlT_E1_NS1_11comp_targetILNS1_3genE9ELNS1_11target_archE1100ELNS1_3gpuE3ELNS1_3repE0EEENS1_30default_config_static_selectorELNS0_4arch9wavefront6targetE0EEEvSU_
; %bb.0:
	.section	.rodata,"a",@progbits
	.p2align	6, 0x0
	.amdhsa_kernel _ZN7rocprim17ROCPRIM_400000_NS6detail17trampoline_kernelINS0_14default_configENS1_22reduce_config_selectorIiEEZNS1_11reduce_implILb1ES3_PiS7_iN6hipcub16HIPCUB_304000_NS6detail34convert_binary_result_type_wrapperINS9_3SumENS9_22TransformInputIteratorIbN2at6native12_GLOBAL__N_19NonZeroOpIN3c107complexINSI_4HalfEEEEEPKSL_lEEiEEEE10hipError_tPvRmT1_T2_T3_mT4_P12ihipStream_tbEUlT_E1_NS1_11comp_targetILNS1_3genE9ELNS1_11target_archE1100ELNS1_3gpuE3ELNS1_3repE0EEENS1_30default_config_static_selectorELNS0_4arch9wavefront6targetE0EEEvSU_
		.amdhsa_group_segment_fixed_size 0
		.amdhsa_private_segment_fixed_size 0
		.amdhsa_kernarg_size 40
		.amdhsa_user_sgpr_count 2
		.amdhsa_user_sgpr_dispatch_ptr 0
		.amdhsa_user_sgpr_queue_ptr 0
		.amdhsa_user_sgpr_kernarg_segment_ptr 1
		.amdhsa_user_sgpr_dispatch_id 0
		.amdhsa_user_sgpr_private_segment_size 0
		.amdhsa_wavefront_size32 1
		.amdhsa_uses_dynamic_stack 0
		.amdhsa_enable_private_segment 0
		.amdhsa_system_sgpr_workgroup_id_x 1
		.amdhsa_system_sgpr_workgroup_id_y 0
		.amdhsa_system_sgpr_workgroup_id_z 0
		.amdhsa_system_sgpr_workgroup_info 0
		.amdhsa_system_vgpr_workitem_id 0
		.amdhsa_next_free_vgpr 1
		.amdhsa_next_free_sgpr 1
		.amdhsa_reserve_vcc 0
		.amdhsa_float_round_mode_32 0
		.amdhsa_float_round_mode_16_64 0
		.amdhsa_float_denorm_mode_32 3
		.amdhsa_float_denorm_mode_16_64 3
		.amdhsa_fp16_overflow 0
		.amdhsa_workgroup_processor_mode 1
		.amdhsa_memory_ordered 1
		.amdhsa_forward_progress 1
		.amdhsa_inst_pref_size 0
		.amdhsa_round_robin_scheduling 0
		.amdhsa_exception_fp_ieee_invalid_op 0
		.amdhsa_exception_fp_denorm_src 0
		.amdhsa_exception_fp_ieee_div_zero 0
		.amdhsa_exception_fp_ieee_overflow 0
		.amdhsa_exception_fp_ieee_underflow 0
		.amdhsa_exception_fp_ieee_inexact 0
		.amdhsa_exception_int_div_zero 0
	.end_amdhsa_kernel
	.section	.text._ZN7rocprim17ROCPRIM_400000_NS6detail17trampoline_kernelINS0_14default_configENS1_22reduce_config_selectorIiEEZNS1_11reduce_implILb1ES3_PiS7_iN6hipcub16HIPCUB_304000_NS6detail34convert_binary_result_type_wrapperINS9_3SumENS9_22TransformInputIteratorIbN2at6native12_GLOBAL__N_19NonZeroOpIN3c107complexINSI_4HalfEEEEEPKSL_lEEiEEEE10hipError_tPvRmT1_T2_T3_mT4_P12ihipStream_tbEUlT_E1_NS1_11comp_targetILNS1_3genE9ELNS1_11target_archE1100ELNS1_3gpuE3ELNS1_3repE0EEENS1_30default_config_static_selectorELNS0_4arch9wavefront6targetE0EEEvSU_,"axG",@progbits,_ZN7rocprim17ROCPRIM_400000_NS6detail17trampoline_kernelINS0_14default_configENS1_22reduce_config_selectorIiEEZNS1_11reduce_implILb1ES3_PiS7_iN6hipcub16HIPCUB_304000_NS6detail34convert_binary_result_type_wrapperINS9_3SumENS9_22TransformInputIteratorIbN2at6native12_GLOBAL__N_19NonZeroOpIN3c107complexINSI_4HalfEEEEEPKSL_lEEiEEEE10hipError_tPvRmT1_T2_T3_mT4_P12ihipStream_tbEUlT_E1_NS1_11comp_targetILNS1_3genE9ELNS1_11target_archE1100ELNS1_3gpuE3ELNS1_3repE0EEENS1_30default_config_static_selectorELNS0_4arch9wavefront6targetE0EEEvSU_,comdat
.Lfunc_end642:
	.size	_ZN7rocprim17ROCPRIM_400000_NS6detail17trampoline_kernelINS0_14default_configENS1_22reduce_config_selectorIiEEZNS1_11reduce_implILb1ES3_PiS7_iN6hipcub16HIPCUB_304000_NS6detail34convert_binary_result_type_wrapperINS9_3SumENS9_22TransformInputIteratorIbN2at6native12_GLOBAL__N_19NonZeroOpIN3c107complexINSI_4HalfEEEEEPKSL_lEEiEEEE10hipError_tPvRmT1_T2_T3_mT4_P12ihipStream_tbEUlT_E1_NS1_11comp_targetILNS1_3genE9ELNS1_11target_archE1100ELNS1_3gpuE3ELNS1_3repE0EEENS1_30default_config_static_selectorELNS0_4arch9wavefront6targetE0EEEvSU_, .Lfunc_end642-_ZN7rocprim17ROCPRIM_400000_NS6detail17trampoline_kernelINS0_14default_configENS1_22reduce_config_selectorIiEEZNS1_11reduce_implILb1ES3_PiS7_iN6hipcub16HIPCUB_304000_NS6detail34convert_binary_result_type_wrapperINS9_3SumENS9_22TransformInputIteratorIbN2at6native12_GLOBAL__N_19NonZeroOpIN3c107complexINSI_4HalfEEEEEPKSL_lEEiEEEE10hipError_tPvRmT1_T2_T3_mT4_P12ihipStream_tbEUlT_E1_NS1_11comp_targetILNS1_3genE9ELNS1_11target_archE1100ELNS1_3gpuE3ELNS1_3repE0EEENS1_30default_config_static_selectorELNS0_4arch9wavefront6targetE0EEEvSU_
                                        ; -- End function
	.set _ZN7rocprim17ROCPRIM_400000_NS6detail17trampoline_kernelINS0_14default_configENS1_22reduce_config_selectorIiEEZNS1_11reduce_implILb1ES3_PiS7_iN6hipcub16HIPCUB_304000_NS6detail34convert_binary_result_type_wrapperINS9_3SumENS9_22TransformInputIteratorIbN2at6native12_GLOBAL__N_19NonZeroOpIN3c107complexINSI_4HalfEEEEEPKSL_lEEiEEEE10hipError_tPvRmT1_T2_T3_mT4_P12ihipStream_tbEUlT_E1_NS1_11comp_targetILNS1_3genE9ELNS1_11target_archE1100ELNS1_3gpuE3ELNS1_3repE0EEENS1_30default_config_static_selectorELNS0_4arch9wavefront6targetE0EEEvSU_.num_vgpr, 0
	.set _ZN7rocprim17ROCPRIM_400000_NS6detail17trampoline_kernelINS0_14default_configENS1_22reduce_config_selectorIiEEZNS1_11reduce_implILb1ES3_PiS7_iN6hipcub16HIPCUB_304000_NS6detail34convert_binary_result_type_wrapperINS9_3SumENS9_22TransformInputIteratorIbN2at6native12_GLOBAL__N_19NonZeroOpIN3c107complexINSI_4HalfEEEEEPKSL_lEEiEEEE10hipError_tPvRmT1_T2_T3_mT4_P12ihipStream_tbEUlT_E1_NS1_11comp_targetILNS1_3genE9ELNS1_11target_archE1100ELNS1_3gpuE3ELNS1_3repE0EEENS1_30default_config_static_selectorELNS0_4arch9wavefront6targetE0EEEvSU_.num_agpr, 0
	.set _ZN7rocprim17ROCPRIM_400000_NS6detail17trampoline_kernelINS0_14default_configENS1_22reduce_config_selectorIiEEZNS1_11reduce_implILb1ES3_PiS7_iN6hipcub16HIPCUB_304000_NS6detail34convert_binary_result_type_wrapperINS9_3SumENS9_22TransformInputIteratorIbN2at6native12_GLOBAL__N_19NonZeroOpIN3c107complexINSI_4HalfEEEEEPKSL_lEEiEEEE10hipError_tPvRmT1_T2_T3_mT4_P12ihipStream_tbEUlT_E1_NS1_11comp_targetILNS1_3genE9ELNS1_11target_archE1100ELNS1_3gpuE3ELNS1_3repE0EEENS1_30default_config_static_selectorELNS0_4arch9wavefront6targetE0EEEvSU_.numbered_sgpr, 0
	.set _ZN7rocprim17ROCPRIM_400000_NS6detail17trampoline_kernelINS0_14default_configENS1_22reduce_config_selectorIiEEZNS1_11reduce_implILb1ES3_PiS7_iN6hipcub16HIPCUB_304000_NS6detail34convert_binary_result_type_wrapperINS9_3SumENS9_22TransformInputIteratorIbN2at6native12_GLOBAL__N_19NonZeroOpIN3c107complexINSI_4HalfEEEEEPKSL_lEEiEEEE10hipError_tPvRmT1_T2_T3_mT4_P12ihipStream_tbEUlT_E1_NS1_11comp_targetILNS1_3genE9ELNS1_11target_archE1100ELNS1_3gpuE3ELNS1_3repE0EEENS1_30default_config_static_selectorELNS0_4arch9wavefront6targetE0EEEvSU_.num_named_barrier, 0
	.set _ZN7rocprim17ROCPRIM_400000_NS6detail17trampoline_kernelINS0_14default_configENS1_22reduce_config_selectorIiEEZNS1_11reduce_implILb1ES3_PiS7_iN6hipcub16HIPCUB_304000_NS6detail34convert_binary_result_type_wrapperINS9_3SumENS9_22TransformInputIteratorIbN2at6native12_GLOBAL__N_19NonZeroOpIN3c107complexINSI_4HalfEEEEEPKSL_lEEiEEEE10hipError_tPvRmT1_T2_T3_mT4_P12ihipStream_tbEUlT_E1_NS1_11comp_targetILNS1_3genE9ELNS1_11target_archE1100ELNS1_3gpuE3ELNS1_3repE0EEENS1_30default_config_static_selectorELNS0_4arch9wavefront6targetE0EEEvSU_.private_seg_size, 0
	.set _ZN7rocprim17ROCPRIM_400000_NS6detail17trampoline_kernelINS0_14default_configENS1_22reduce_config_selectorIiEEZNS1_11reduce_implILb1ES3_PiS7_iN6hipcub16HIPCUB_304000_NS6detail34convert_binary_result_type_wrapperINS9_3SumENS9_22TransformInputIteratorIbN2at6native12_GLOBAL__N_19NonZeroOpIN3c107complexINSI_4HalfEEEEEPKSL_lEEiEEEE10hipError_tPvRmT1_T2_T3_mT4_P12ihipStream_tbEUlT_E1_NS1_11comp_targetILNS1_3genE9ELNS1_11target_archE1100ELNS1_3gpuE3ELNS1_3repE0EEENS1_30default_config_static_selectorELNS0_4arch9wavefront6targetE0EEEvSU_.uses_vcc, 0
	.set _ZN7rocprim17ROCPRIM_400000_NS6detail17trampoline_kernelINS0_14default_configENS1_22reduce_config_selectorIiEEZNS1_11reduce_implILb1ES3_PiS7_iN6hipcub16HIPCUB_304000_NS6detail34convert_binary_result_type_wrapperINS9_3SumENS9_22TransformInputIteratorIbN2at6native12_GLOBAL__N_19NonZeroOpIN3c107complexINSI_4HalfEEEEEPKSL_lEEiEEEE10hipError_tPvRmT1_T2_T3_mT4_P12ihipStream_tbEUlT_E1_NS1_11comp_targetILNS1_3genE9ELNS1_11target_archE1100ELNS1_3gpuE3ELNS1_3repE0EEENS1_30default_config_static_selectorELNS0_4arch9wavefront6targetE0EEEvSU_.uses_flat_scratch, 0
	.set _ZN7rocprim17ROCPRIM_400000_NS6detail17trampoline_kernelINS0_14default_configENS1_22reduce_config_selectorIiEEZNS1_11reduce_implILb1ES3_PiS7_iN6hipcub16HIPCUB_304000_NS6detail34convert_binary_result_type_wrapperINS9_3SumENS9_22TransformInputIteratorIbN2at6native12_GLOBAL__N_19NonZeroOpIN3c107complexINSI_4HalfEEEEEPKSL_lEEiEEEE10hipError_tPvRmT1_T2_T3_mT4_P12ihipStream_tbEUlT_E1_NS1_11comp_targetILNS1_3genE9ELNS1_11target_archE1100ELNS1_3gpuE3ELNS1_3repE0EEENS1_30default_config_static_selectorELNS0_4arch9wavefront6targetE0EEEvSU_.has_dyn_sized_stack, 0
	.set _ZN7rocprim17ROCPRIM_400000_NS6detail17trampoline_kernelINS0_14default_configENS1_22reduce_config_selectorIiEEZNS1_11reduce_implILb1ES3_PiS7_iN6hipcub16HIPCUB_304000_NS6detail34convert_binary_result_type_wrapperINS9_3SumENS9_22TransformInputIteratorIbN2at6native12_GLOBAL__N_19NonZeroOpIN3c107complexINSI_4HalfEEEEEPKSL_lEEiEEEE10hipError_tPvRmT1_T2_T3_mT4_P12ihipStream_tbEUlT_E1_NS1_11comp_targetILNS1_3genE9ELNS1_11target_archE1100ELNS1_3gpuE3ELNS1_3repE0EEENS1_30default_config_static_selectorELNS0_4arch9wavefront6targetE0EEEvSU_.has_recursion, 0
	.set _ZN7rocprim17ROCPRIM_400000_NS6detail17trampoline_kernelINS0_14default_configENS1_22reduce_config_selectorIiEEZNS1_11reduce_implILb1ES3_PiS7_iN6hipcub16HIPCUB_304000_NS6detail34convert_binary_result_type_wrapperINS9_3SumENS9_22TransformInputIteratorIbN2at6native12_GLOBAL__N_19NonZeroOpIN3c107complexINSI_4HalfEEEEEPKSL_lEEiEEEE10hipError_tPvRmT1_T2_T3_mT4_P12ihipStream_tbEUlT_E1_NS1_11comp_targetILNS1_3genE9ELNS1_11target_archE1100ELNS1_3gpuE3ELNS1_3repE0EEENS1_30default_config_static_selectorELNS0_4arch9wavefront6targetE0EEEvSU_.has_indirect_call, 0
	.section	.AMDGPU.csdata,"",@progbits
; Kernel info:
; codeLenInByte = 0
; TotalNumSgprs: 0
; NumVgprs: 0
; ScratchSize: 0
; MemoryBound: 0
; FloatMode: 240
; IeeeMode: 1
; LDSByteSize: 0 bytes/workgroup (compile time only)
; SGPRBlocks: 0
; VGPRBlocks: 0
; NumSGPRsForWavesPerEU: 1
; NumVGPRsForWavesPerEU: 1
; Occupancy: 16
; WaveLimiterHint : 0
; COMPUTE_PGM_RSRC2:SCRATCH_EN: 0
; COMPUTE_PGM_RSRC2:USER_SGPR: 2
; COMPUTE_PGM_RSRC2:TRAP_HANDLER: 0
; COMPUTE_PGM_RSRC2:TGID_X_EN: 1
; COMPUTE_PGM_RSRC2:TGID_Y_EN: 0
; COMPUTE_PGM_RSRC2:TGID_Z_EN: 0
; COMPUTE_PGM_RSRC2:TIDIG_COMP_CNT: 0
	.section	.text._ZN7rocprim17ROCPRIM_400000_NS6detail17trampoline_kernelINS0_14default_configENS1_22reduce_config_selectorIiEEZNS1_11reduce_implILb1ES3_PiS7_iN6hipcub16HIPCUB_304000_NS6detail34convert_binary_result_type_wrapperINS9_3SumENS9_22TransformInputIteratorIbN2at6native12_GLOBAL__N_19NonZeroOpIN3c107complexINSI_4HalfEEEEEPKSL_lEEiEEEE10hipError_tPvRmT1_T2_T3_mT4_P12ihipStream_tbEUlT_E1_NS1_11comp_targetILNS1_3genE8ELNS1_11target_archE1030ELNS1_3gpuE2ELNS1_3repE0EEENS1_30default_config_static_selectorELNS0_4arch9wavefront6targetE0EEEvSU_,"axG",@progbits,_ZN7rocprim17ROCPRIM_400000_NS6detail17trampoline_kernelINS0_14default_configENS1_22reduce_config_selectorIiEEZNS1_11reduce_implILb1ES3_PiS7_iN6hipcub16HIPCUB_304000_NS6detail34convert_binary_result_type_wrapperINS9_3SumENS9_22TransformInputIteratorIbN2at6native12_GLOBAL__N_19NonZeroOpIN3c107complexINSI_4HalfEEEEEPKSL_lEEiEEEE10hipError_tPvRmT1_T2_T3_mT4_P12ihipStream_tbEUlT_E1_NS1_11comp_targetILNS1_3genE8ELNS1_11target_archE1030ELNS1_3gpuE2ELNS1_3repE0EEENS1_30default_config_static_selectorELNS0_4arch9wavefront6targetE0EEEvSU_,comdat
	.globl	_ZN7rocprim17ROCPRIM_400000_NS6detail17trampoline_kernelINS0_14default_configENS1_22reduce_config_selectorIiEEZNS1_11reduce_implILb1ES3_PiS7_iN6hipcub16HIPCUB_304000_NS6detail34convert_binary_result_type_wrapperINS9_3SumENS9_22TransformInputIteratorIbN2at6native12_GLOBAL__N_19NonZeroOpIN3c107complexINSI_4HalfEEEEEPKSL_lEEiEEEE10hipError_tPvRmT1_T2_T3_mT4_P12ihipStream_tbEUlT_E1_NS1_11comp_targetILNS1_3genE8ELNS1_11target_archE1030ELNS1_3gpuE2ELNS1_3repE0EEENS1_30default_config_static_selectorELNS0_4arch9wavefront6targetE0EEEvSU_ ; -- Begin function _ZN7rocprim17ROCPRIM_400000_NS6detail17trampoline_kernelINS0_14default_configENS1_22reduce_config_selectorIiEEZNS1_11reduce_implILb1ES3_PiS7_iN6hipcub16HIPCUB_304000_NS6detail34convert_binary_result_type_wrapperINS9_3SumENS9_22TransformInputIteratorIbN2at6native12_GLOBAL__N_19NonZeroOpIN3c107complexINSI_4HalfEEEEEPKSL_lEEiEEEE10hipError_tPvRmT1_T2_T3_mT4_P12ihipStream_tbEUlT_E1_NS1_11comp_targetILNS1_3genE8ELNS1_11target_archE1030ELNS1_3gpuE2ELNS1_3repE0EEENS1_30default_config_static_selectorELNS0_4arch9wavefront6targetE0EEEvSU_
	.p2align	8
	.type	_ZN7rocprim17ROCPRIM_400000_NS6detail17trampoline_kernelINS0_14default_configENS1_22reduce_config_selectorIiEEZNS1_11reduce_implILb1ES3_PiS7_iN6hipcub16HIPCUB_304000_NS6detail34convert_binary_result_type_wrapperINS9_3SumENS9_22TransformInputIteratorIbN2at6native12_GLOBAL__N_19NonZeroOpIN3c107complexINSI_4HalfEEEEEPKSL_lEEiEEEE10hipError_tPvRmT1_T2_T3_mT4_P12ihipStream_tbEUlT_E1_NS1_11comp_targetILNS1_3genE8ELNS1_11target_archE1030ELNS1_3gpuE2ELNS1_3repE0EEENS1_30default_config_static_selectorELNS0_4arch9wavefront6targetE0EEEvSU_,@function
_ZN7rocprim17ROCPRIM_400000_NS6detail17trampoline_kernelINS0_14default_configENS1_22reduce_config_selectorIiEEZNS1_11reduce_implILb1ES3_PiS7_iN6hipcub16HIPCUB_304000_NS6detail34convert_binary_result_type_wrapperINS9_3SumENS9_22TransformInputIteratorIbN2at6native12_GLOBAL__N_19NonZeroOpIN3c107complexINSI_4HalfEEEEEPKSL_lEEiEEEE10hipError_tPvRmT1_T2_T3_mT4_P12ihipStream_tbEUlT_E1_NS1_11comp_targetILNS1_3genE8ELNS1_11target_archE1030ELNS1_3gpuE2ELNS1_3repE0EEENS1_30default_config_static_selectorELNS0_4arch9wavefront6targetE0EEEvSU_: ; @_ZN7rocprim17ROCPRIM_400000_NS6detail17trampoline_kernelINS0_14default_configENS1_22reduce_config_selectorIiEEZNS1_11reduce_implILb1ES3_PiS7_iN6hipcub16HIPCUB_304000_NS6detail34convert_binary_result_type_wrapperINS9_3SumENS9_22TransformInputIteratorIbN2at6native12_GLOBAL__N_19NonZeroOpIN3c107complexINSI_4HalfEEEEEPKSL_lEEiEEEE10hipError_tPvRmT1_T2_T3_mT4_P12ihipStream_tbEUlT_E1_NS1_11comp_targetILNS1_3genE8ELNS1_11target_archE1030ELNS1_3gpuE2ELNS1_3repE0EEENS1_30default_config_static_selectorELNS0_4arch9wavefront6targetE0EEEvSU_
; %bb.0:
	.section	.rodata,"a",@progbits
	.p2align	6, 0x0
	.amdhsa_kernel _ZN7rocprim17ROCPRIM_400000_NS6detail17trampoline_kernelINS0_14default_configENS1_22reduce_config_selectorIiEEZNS1_11reduce_implILb1ES3_PiS7_iN6hipcub16HIPCUB_304000_NS6detail34convert_binary_result_type_wrapperINS9_3SumENS9_22TransformInputIteratorIbN2at6native12_GLOBAL__N_19NonZeroOpIN3c107complexINSI_4HalfEEEEEPKSL_lEEiEEEE10hipError_tPvRmT1_T2_T3_mT4_P12ihipStream_tbEUlT_E1_NS1_11comp_targetILNS1_3genE8ELNS1_11target_archE1030ELNS1_3gpuE2ELNS1_3repE0EEENS1_30default_config_static_selectorELNS0_4arch9wavefront6targetE0EEEvSU_
		.amdhsa_group_segment_fixed_size 0
		.amdhsa_private_segment_fixed_size 0
		.amdhsa_kernarg_size 40
		.amdhsa_user_sgpr_count 2
		.amdhsa_user_sgpr_dispatch_ptr 0
		.amdhsa_user_sgpr_queue_ptr 0
		.amdhsa_user_sgpr_kernarg_segment_ptr 1
		.amdhsa_user_sgpr_dispatch_id 0
		.amdhsa_user_sgpr_private_segment_size 0
		.amdhsa_wavefront_size32 1
		.amdhsa_uses_dynamic_stack 0
		.amdhsa_enable_private_segment 0
		.amdhsa_system_sgpr_workgroup_id_x 1
		.amdhsa_system_sgpr_workgroup_id_y 0
		.amdhsa_system_sgpr_workgroup_id_z 0
		.amdhsa_system_sgpr_workgroup_info 0
		.amdhsa_system_vgpr_workitem_id 0
		.amdhsa_next_free_vgpr 1
		.amdhsa_next_free_sgpr 1
		.amdhsa_reserve_vcc 0
		.amdhsa_float_round_mode_32 0
		.amdhsa_float_round_mode_16_64 0
		.amdhsa_float_denorm_mode_32 3
		.amdhsa_float_denorm_mode_16_64 3
		.amdhsa_fp16_overflow 0
		.amdhsa_workgroup_processor_mode 1
		.amdhsa_memory_ordered 1
		.amdhsa_forward_progress 1
		.amdhsa_inst_pref_size 0
		.amdhsa_round_robin_scheduling 0
		.amdhsa_exception_fp_ieee_invalid_op 0
		.amdhsa_exception_fp_denorm_src 0
		.amdhsa_exception_fp_ieee_div_zero 0
		.amdhsa_exception_fp_ieee_overflow 0
		.amdhsa_exception_fp_ieee_underflow 0
		.amdhsa_exception_fp_ieee_inexact 0
		.amdhsa_exception_int_div_zero 0
	.end_amdhsa_kernel
	.section	.text._ZN7rocprim17ROCPRIM_400000_NS6detail17trampoline_kernelINS0_14default_configENS1_22reduce_config_selectorIiEEZNS1_11reduce_implILb1ES3_PiS7_iN6hipcub16HIPCUB_304000_NS6detail34convert_binary_result_type_wrapperINS9_3SumENS9_22TransformInputIteratorIbN2at6native12_GLOBAL__N_19NonZeroOpIN3c107complexINSI_4HalfEEEEEPKSL_lEEiEEEE10hipError_tPvRmT1_T2_T3_mT4_P12ihipStream_tbEUlT_E1_NS1_11comp_targetILNS1_3genE8ELNS1_11target_archE1030ELNS1_3gpuE2ELNS1_3repE0EEENS1_30default_config_static_selectorELNS0_4arch9wavefront6targetE0EEEvSU_,"axG",@progbits,_ZN7rocprim17ROCPRIM_400000_NS6detail17trampoline_kernelINS0_14default_configENS1_22reduce_config_selectorIiEEZNS1_11reduce_implILb1ES3_PiS7_iN6hipcub16HIPCUB_304000_NS6detail34convert_binary_result_type_wrapperINS9_3SumENS9_22TransformInputIteratorIbN2at6native12_GLOBAL__N_19NonZeroOpIN3c107complexINSI_4HalfEEEEEPKSL_lEEiEEEE10hipError_tPvRmT1_T2_T3_mT4_P12ihipStream_tbEUlT_E1_NS1_11comp_targetILNS1_3genE8ELNS1_11target_archE1030ELNS1_3gpuE2ELNS1_3repE0EEENS1_30default_config_static_selectorELNS0_4arch9wavefront6targetE0EEEvSU_,comdat
.Lfunc_end643:
	.size	_ZN7rocprim17ROCPRIM_400000_NS6detail17trampoline_kernelINS0_14default_configENS1_22reduce_config_selectorIiEEZNS1_11reduce_implILb1ES3_PiS7_iN6hipcub16HIPCUB_304000_NS6detail34convert_binary_result_type_wrapperINS9_3SumENS9_22TransformInputIteratorIbN2at6native12_GLOBAL__N_19NonZeroOpIN3c107complexINSI_4HalfEEEEEPKSL_lEEiEEEE10hipError_tPvRmT1_T2_T3_mT4_P12ihipStream_tbEUlT_E1_NS1_11comp_targetILNS1_3genE8ELNS1_11target_archE1030ELNS1_3gpuE2ELNS1_3repE0EEENS1_30default_config_static_selectorELNS0_4arch9wavefront6targetE0EEEvSU_, .Lfunc_end643-_ZN7rocprim17ROCPRIM_400000_NS6detail17trampoline_kernelINS0_14default_configENS1_22reduce_config_selectorIiEEZNS1_11reduce_implILb1ES3_PiS7_iN6hipcub16HIPCUB_304000_NS6detail34convert_binary_result_type_wrapperINS9_3SumENS9_22TransformInputIteratorIbN2at6native12_GLOBAL__N_19NonZeroOpIN3c107complexINSI_4HalfEEEEEPKSL_lEEiEEEE10hipError_tPvRmT1_T2_T3_mT4_P12ihipStream_tbEUlT_E1_NS1_11comp_targetILNS1_3genE8ELNS1_11target_archE1030ELNS1_3gpuE2ELNS1_3repE0EEENS1_30default_config_static_selectorELNS0_4arch9wavefront6targetE0EEEvSU_
                                        ; -- End function
	.set _ZN7rocprim17ROCPRIM_400000_NS6detail17trampoline_kernelINS0_14default_configENS1_22reduce_config_selectorIiEEZNS1_11reduce_implILb1ES3_PiS7_iN6hipcub16HIPCUB_304000_NS6detail34convert_binary_result_type_wrapperINS9_3SumENS9_22TransformInputIteratorIbN2at6native12_GLOBAL__N_19NonZeroOpIN3c107complexINSI_4HalfEEEEEPKSL_lEEiEEEE10hipError_tPvRmT1_T2_T3_mT4_P12ihipStream_tbEUlT_E1_NS1_11comp_targetILNS1_3genE8ELNS1_11target_archE1030ELNS1_3gpuE2ELNS1_3repE0EEENS1_30default_config_static_selectorELNS0_4arch9wavefront6targetE0EEEvSU_.num_vgpr, 0
	.set _ZN7rocprim17ROCPRIM_400000_NS6detail17trampoline_kernelINS0_14default_configENS1_22reduce_config_selectorIiEEZNS1_11reduce_implILb1ES3_PiS7_iN6hipcub16HIPCUB_304000_NS6detail34convert_binary_result_type_wrapperINS9_3SumENS9_22TransformInputIteratorIbN2at6native12_GLOBAL__N_19NonZeroOpIN3c107complexINSI_4HalfEEEEEPKSL_lEEiEEEE10hipError_tPvRmT1_T2_T3_mT4_P12ihipStream_tbEUlT_E1_NS1_11comp_targetILNS1_3genE8ELNS1_11target_archE1030ELNS1_3gpuE2ELNS1_3repE0EEENS1_30default_config_static_selectorELNS0_4arch9wavefront6targetE0EEEvSU_.num_agpr, 0
	.set _ZN7rocprim17ROCPRIM_400000_NS6detail17trampoline_kernelINS0_14default_configENS1_22reduce_config_selectorIiEEZNS1_11reduce_implILb1ES3_PiS7_iN6hipcub16HIPCUB_304000_NS6detail34convert_binary_result_type_wrapperINS9_3SumENS9_22TransformInputIteratorIbN2at6native12_GLOBAL__N_19NonZeroOpIN3c107complexINSI_4HalfEEEEEPKSL_lEEiEEEE10hipError_tPvRmT1_T2_T3_mT4_P12ihipStream_tbEUlT_E1_NS1_11comp_targetILNS1_3genE8ELNS1_11target_archE1030ELNS1_3gpuE2ELNS1_3repE0EEENS1_30default_config_static_selectorELNS0_4arch9wavefront6targetE0EEEvSU_.numbered_sgpr, 0
	.set _ZN7rocprim17ROCPRIM_400000_NS6detail17trampoline_kernelINS0_14default_configENS1_22reduce_config_selectorIiEEZNS1_11reduce_implILb1ES3_PiS7_iN6hipcub16HIPCUB_304000_NS6detail34convert_binary_result_type_wrapperINS9_3SumENS9_22TransformInputIteratorIbN2at6native12_GLOBAL__N_19NonZeroOpIN3c107complexINSI_4HalfEEEEEPKSL_lEEiEEEE10hipError_tPvRmT1_T2_T3_mT4_P12ihipStream_tbEUlT_E1_NS1_11comp_targetILNS1_3genE8ELNS1_11target_archE1030ELNS1_3gpuE2ELNS1_3repE0EEENS1_30default_config_static_selectorELNS0_4arch9wavefront6targetE0EEEvSU_.num_named_barrier, 0
	.set _ZN7rocprim17ROCPRIM_400000_NS6detail17trampoline_kernelINS0_14default_configENS1_22reduce_config_selectorIiEEZNS1_11reduce_implILb1ES3_PiS7_iN6hipcub16HIPCUB_304000_NS6detail34convert_binary_result_type_wrapperINS9_3SumENS9_22TransformInputIteratorIbN2at6native12_GLOBAL__N_19NonZeroOpIN3c107complexINSI_4HalfEEEEEPKSL_lEEiEEEE10hipError_tPvRmT1_T2_T3_mT4_P12ihipStream_tbEUlT_E1_NS1_11comp_targetILNS1_3genE8ELNS1_11target_archE1030ELNS1_3gpuE2ELNS1_3repE0EEENS1_30default_config_static_selectorELNS0_4arch9wavefront6targetE0EEEvSU_.private_seg_size, 0
	.set _ZN7rocprim17ROCPRIM_400000_NS6detail17trampoline_kernelINS0_14default_configENS1_22reduce_config_selectorIiEEZNS1_11reduce_implILb1ES3_PiS7_iN6hipcub16HIPCUB_304000_NS6detail34convert_binary_result_type_wrapperINS9_3SumENS9_22TransformInputIteratorIbN2at6native12_GLOBAL__N_19NonZeroOpIN3c107complexINSI_4HalfEEEEEPKSL_lEEiEEEE10hipError_tPvRmT1_T2_T3_mT4_P12ihipStream_tbEUlT_E1_NS1_11comp_targetILNS1_3genE8ELNS1_11target_archE1030ELNS1_3gpuE2ELNS1_3repE0EEENS1_30default_config_static_selectorELNS0_4arch9wavefront6targetE0EEEvSU_.uses_vcc, 0
	.set _ZN7rocprim17ROCPRIM_400000_NS6detail17trampoline_kernelINS0_14default_configENS1_22reduce_config_selectorIiEEZNS1_11reduce_implILb1ES3_PiS7_iN6hipcub16HIPCUB_304000_NS6detail34convert_binary_result_type_wrapperINS9_3SumENS9_22TransformInputIteratorIbN2at6native12_GLOBAL__N_19NonZeroOpIN3c107complexINSI_4HalfEEEEEPKSL_lEEiEEEE10hipError_tPvRmT1_T2_T3_mT4_P12ihipStream_tbEUlT_E1_NS1_11comp_targetILNS1_3genE8ELNS1_11target_archE1030ELNS1_3gpuE2ELNS1_3repE0EEENS1_30default_config_static_selectorELNS0_4arch9wavefront6targetE0EEEvSU_.uses_flat_scratch, 0
	.set _ZN7rocprim17ROCPRIM_400000_NS6detail17trampoline_kernelINS0_14default_configENS1_22reduce_config_selectorIiEEZNS1_11reduce_implILb1ES3_PiS7_iN6hipcub16HIPCUB_304000_NS6detail34convert_binary_result_type_wrapperINS9_3SumENS9_22TransformInputIteratorIbN2at6native12_GLOBAL__N_19NonZeroOpIN3c107complexINSI_4HalfEEEEEPKSL_lEEiEEEE10hipError_tPvRmT1_T2_T3_mT4_P12ihipStream_tbEUlT_E1_NS1_11comp_targetILNS1_3genE8ELNS1_11target_archE1030ELNS1_3gpuE2ELNS1_3repE0EEENS1_30default_config_static_selectorELNS0_4arch9wavefront6targetE0EEEvSU_.has_dyn_sized_stack, 0
	.set _ZN7rocprim17ROCPRIM_400000_NS6detail17trampoline_kernelINS0_14default_configENS1_22reduce_config_selectorIiEEZNS1_11reduce_implILb1ES3_PiS7_iN6hipcub16HIPCUB_304000_NS6detail34convert_binary_result_type_wrapperINS9_3SumENS9_22TransformInputIteratorIbN2at6native12_GLOBAL__N_19NonZeroOpIN3c107complexINSI_4HalfEEEEEPKSL_lEEiEEEE10hipError_tPvRmT1_T2_T3_mT4_P12ihipStream_tbEUlT_E1_NS1_11comp_targetILNS1_3genE8ELNS1_11target_archE1030ELNS1_3gpuE2ELNS1_3repE0EEENS1_30default_config_static_selectorELNS0_4arch9wavefront6targetE0EEEvSU_.has_recursion, 0
	.set _ZN7rocprim17ROCPRIM_400000_NS6detail17trampoline_kernelINS0_14default_configENS1_22reduce_config_selectorIiEEZNS1_11reduce_implILb1ES3_PiS7_iN6hipcub16HIPCUB_304000_NS6detail34convert_binary_result_type_wrapperINS9_3SumENS9_22TransformInputIteratorIbN2at6native12_GLOBAL__N_19NonZeroOpIN3c107complexINSI_4HalfEEEEEPKSL_lEEiEEEE10hipError_tPvRmT1_T2_T3_mT4_P12ihipStream_tbEUlT_E1_NS1_11comp_targetILNS1_3genE8ELNS1_11target_archE1030ELNS1_3gpuE2ELNS1_3repE0EEENS1_30default_config_static_selectorELNS0_4arch9wavefront6targetE0EEEvSU_.has_indirect_call, 0
	.section	.AMDGPU.csdata,"",@progbits
; Kernel info:
; codeLenInByte = 0
; TotalNumSgprs: 0
; NumVgprs: 0
; ScratchSize: 0
; MemoryBound: 0
; FloatMode: 240
; IeeeMode: 1
; LDSByteSize: 0 bytes/workgroup (compile time only)
; SGPRBlocks: 0
; VGPRBlocks: 0
; NumSGPRsForWavesPerEU: 1
; NumVGPRsForWavesPerEU: 1
; Occupancy: 16
; WaveLimiterHint : 0
; COMPUTE_PGM_RSRC2:SCRATCH_EN: 0
; COMPUTE_PGM_RSRC2:USER_SGPR: 2
; COMPUTE_PGM_RSRC2:TRAP_HANDLER: 0
; COMPUTE_PGM_RSRC2:TGID_X_EN: 1
; COMPUTE_PGM_RSRC2:TGID_Y_EN: 0
; COMPUTE_PGM_RSRC2:TGID_Z_EN: 0
; COMPUTE_PGM_RSRC2:TIDIG_COMP_CNT: 0
	.section	.text._ZN7rocprim17ROCPRIM_400000_NS6detail17trampoline_kernelINS0_14default_configENS1_22reduce_config_selectorIbEEZNS1_11reduce_implILb1ES3_N6hipcub16HIPCUB_304000_NS22TransformInputIteratorIbN2at6native12_GLOBAL__N_19NonZeroOpIN3c107complexINSE_4HalfEEEEEPKSH_lEEPiiNS8_6detail34convert_binary_result_type_wrapperINS8_3SumESL_iEEEE10hipError_tPvRmT1_T2_T3_mT4_P12ihipStream_tbEUlT_E0_NS1_11comp_targetILNS1_3genE0ELNS1_11target_archE4294967295ELNS1_3gpuE0ELNS1_3repE0EEENS1_30default_config_static_selectorELNS0_4arch9wavefront6targetE0EEEvSU_,"axG",@progbits,_ZN7rocprim17ROCPRIM_400000_NS6detail17trampoline_kernelINS0_14default_configENS1_22reduce_config_selectorIbEEZNS1_11reduce_implILb1ES3_N6hipcub16HIPCUB_304000_NS22TransformInputIteratorIbN2at6native12_GLOBAL__N_19NonZeroOpIN3c107complexINSE_4HalfEEEEEPKSH_lEEPiiNS8_6detail34convert_binary_result_type_wrapperINS8_3SumESL_iEEEE10hipError_tPvRmT1_T2_T3_mT4_P12ihipStream_tbEUlT_E0_NS1_11comp_targetILNS1_3genE0ELNS1_11target_archE4294967295ELNS1_3gpuE0ELNS1_3repE0EEENS1_30default_config_static_selectorELNS0_4arch9wavefront6targetE0EEEvSU_,comdat
	.globl	_ZN7rocprim17ROCPRIM_400000_NS6detail17trampoline_kernelINS0_14default_configENS1_22reduce_config_selectorIbEEZNS1_11reduce_implILb1ES3_N6hipcub16HIPCUB_304000_NS22TransformInputIteratorIbN2at6native12_GLOBAL__N_19NonZeroOpIN3c107complexINSE_4HalfEEEEEPKSH_lEEPiiNS8_6detail34convert_binary_result_type_wrapperINS8_3SumESL_iEEEE10hipError_tPvRmT1_T2_T3_mT4_P12ihipStream_tbEUlT_E0_NS1_11comp_targetILNS1_3genE0ELNS1_11target_archE4294967295ELNS1_3gpuE0ELNS1_3repE0EEENS1_30default_config_static_selectorELNS0_4arch9wavefront6targetE0EEEvSU_ ; -- Begin function _ZN7rocprim17ROCPRIM_400000_NS6detail17trampoline_kernelINS0_14default_configENS1_22reduce_config_selectorIbEEZNS1_11reduce_implILb1ES3_N6hipcub16HIPCUB_304000_NS22TransformInputIteratorIbN2at6native12_GLOBAL__N_19NonZeroOpIN3c107complexINSE_4HalfEEEEEPKSH_lEEPiiNS8_6detail34convert_binary_result_type_wrapperINS8_3SumESL_iEEEE10hipError_tPvRmT1_T2_T3_mT4_P12ihipStream_tbEUlT_E0_NS1_11comp_targetILNS1_3genE0ELNS1_11target_archE4294967295ELNS1_3gpuE0ELNS1_3repE0EEENS1_30default_config_static_selectorELNS0_4arch9wavefront6targetE0EEEvSU_
	.p2align	8
	.type	_ZN7rocprim17ROCPRIM_400000_NS6detail17trampoline_kernelINS0_14default_configENS1_22reduce_config_selectorIbEEZNS1_11reduce_implILb1ES3_N6hipcub16HIPCUB_304000_NS22TransformInputIteratorIbN2at6native12_GLOBAL__N_19NonZeroOpIN3c107complexINSE_4HalfEEEEEPKSH_lEEPiiNS8_6detail34convert_binary_result_type_wrapperINS8_3SumESL_iEEEE10hipError_tPvRmT1_T2_T3_mT4_P12ihipStream_tbEUlT_E0_NS1_11comp_targetILNS1_3genE0ELNS1_11target_archE4294967295ELNS1_3gpuE0ELNS1_3repE0EEENS1_30default_config_static_selectorELNS0_4arch9wavefront6targetE0EEEvSU_,@function
_ZN7rocprim17ROCPRIM_400000_NS6detail17trampoline_kernelINS0_14default_configENS1_22reduce_config_selectorIbEEZNS1_11reduce_implILb1ES3_N6hipcub16HIPCUB_304000_NS22TransformInputIteratorIbN2at6native12_GLOBAL__N_19NonZeroOpIN3c107complexINSE_4HalfEEEEEPKSH_lEEPiiNS8_6detail34convert_binary_result_type_wrapperINS8_3SumESL_iEEEE10hipError_tPvRmT1_T2_T3_mT4_P12ihipStream_tbEUlT_E0_NS1_11comp_targetILNS1_3genE0ELNS1_11target_archE4294967295ELNS1_3gpuE0ELNS1_3repE0EEENS1_30default_config_static_selectorELNS0_4arch9wavefront6targetE0EEEvSU_: ; @_ZN7rocprim17ROCPRIM_400000_NS6detail17trampoline_kernelINS0_14default_configENS1_22reduce_config_selectorIbEEZNS1_11reduce_implILb1ES3_N6hipcub16HIPCUB_304000_NS22TransformInputIteratorIbN2at6native12_GLOBAL__N_19NonZeroOpIN3c107complexINSE_4HalfEEEEEPKSH_lEEPiiNS8_6detail34convert_binary_result_type_wrapperINS8_3SumESL_iEEEE10hipError_tPvRmT1_T2_T3_mT4_P12ihipStream_tbEUlT_E0_NS1_11comp_targetILNS1_3genE0ELNS1_11target_archE4294967295ELNS1_3gpuE0ELNS1_3repE0EEENS1_30default_config_static_selectorELNS0_4arch9wavefront6targetE0EEEvSU_
; %bb.0:
	.section	.rodata,"a",@progbits
	.p2align	6, 0x0
	.amdhsa_kernel _ZN7rocprim17ROCPRIM_400000_NS6detail17trampoline_kernelINS0_14default_configENS1_22reduce_config_selectorIbEEZNS1_11reduce_implILb1ES3_N6hipcub16HIPCUB_304000_NS22TransformInputIteratorIbN2at6native12_GLOBAL__N_19NonZeroOpIN3c107complexINSE_4HalfEEEEEPKSH_lEEPiiNS8_6detail34convert_binary_result_type_wrapperINS8_3SumESL_iEEEE10hipError_tPvRmT1_T2_T3_mT4_P12ihipStream_tbEUlT_E0_NS1_11comp_targetILNS1_3genE0ELNS1_11target_archE4294967295ELNS1_3gpuE0ELNS1_3repE0EEENS1_30default_config_static_selectorELNS0_4arch9wavefront6targetE0EEEvSU_
		.amdhsa_group_segment_fixed_size 0
		.amdhsa_private_segment_fixed_size 0
		.amdhsa_kernarg_size 64
		.amdhsa_user_sgpr_count 2
		.amdhsa_user_sgpr_dispatch_ptr 0
		.amdhsa_user_sgpr_queue_ptr 0
		.amdhsa_user_sgpr_kernarg_segment_ptr 1
		.amdhsa_user_sgpr_dispatch_id 0
		.amdhsa_user_sgpr_private_segment_size 0
		.amdhsa_wavefront_size32 1
		.amdhsa_uses_dynamic_stack 0
		.amdhsa_enable_private_segment 0
		.amdhsa_system_sgpr_workgroup_id_x 1
		.amdhsa_system_sgpr_workgroup_id_y 0
		.amdhsa_system_sgpr_workgroup_id_z 0
		.amdhsa_system_sgpr_workgroup_info 0
		.amdhsa_system_vgpr_workitem_id 0
		.amdhsa_next_free_vgpr 1
		.amdhsa_next_free_sgpr 1
		.amdhsa_reserve_vcc 0
		.amdhsa_float_round_mode_32 0
		.amdhsa_float_round_mode_16_64 0
		.amdhsa_float_denorm_mode_32 3
		.amdhsa_float_denorm_mode_16_64 3
		.amdhsa_fp16_overflow 0
		.amdhsa_workgroup_processor_mode 1
		.amdhsa_memory_ordered 1
		.amdhsa_forward_progress 1
		.amdhsa_inst_pref_size 0
		.amdhsa_round_robin_scheduling 0
		.amdhsa_exception_fp_ieee_invalid_op 0
		.amdhsa_exception_fp_denorm_src 0
		.amdhsa_exception_fp_ieee_div_zero 0
		.amdhsa_exception_fp_ieee_overflow 0
		.amdhsa_exception_fp_ieee_underflow 0
		.amdhsa_exception_fp_ieee_inexact 0
		.amdhsa_exception_int_div_zero 0
	.end_amdhsa_kernel
	.section	.text._ZN7rocprim17ROCPRIM_400000_NS6detail17trampoline_kernelINS0_14default_configENS1_22reduce_config_selectorIbEEZNS1_11reduce_implILb1ES3_N6hipcub16HIPCUB_304000_NS22TransformInputIteratorIbN2at6native12_GLOBAL__N_19NonZeroOpIN3c107complexINSE_4HalfEEEEEPKSH_lEEPiiNS8_6detail34convert_binary_result_type_wrapperINS8_3SumESL_iEEEE10hipError_tPvRmT1_T2_T3_mT4_P12ihipStream_tbEUlT_E0_NS1_11comp_targetILNS1_3genE0ELNS1_11target_archE4294967295ELNS1_3gpuE0ELNS1_3repE0EEENS1_30default_config_static_selectorELNS0_4arch9wavefront6targetE0EEEvSU_,"axG",@progbits,_ZN7rocprim17ROCPRIM_400000_NS6detail17trampoline_kernelINS0_14default_configENS1_22reduce_config_selectorIbEEZNS1_11reduce_implILb1ES3_N6hipcub16HIPCUB_304000_NS22TransformInputIteratorIbN2at6native12_GLOBAL__N_19NonZeroOpIN3c107complexINSE_4HalfEEEEEPKSH_lEEPiiNS8_6detail34convert_binary_result_type_wrapperINS8_3SumESL_iEEEE10hipError_tPvRmT1_T2_T3_mT4_P12ihipStream_tbEUlT_E0_NS1_11comp_targetILNS1_3genE0ELNS1_11target_archE4294967295ELNS1_3gpuE0ELNS1_3repE0EEENS1_30default_config_static_selectorELNS0_4arch9wavefront6targetE0EEEvSU_,comdat
.Lfunc_end644:
	.size	_ZN7rocprim17ROCPRIM_400000_NS6detail17trampoline_kernelINS0_14default_configENS1_22reduce_config_selectorIbEEZNS1_11reduce_implILb1ES3_N6hipcub16HIPCUB_304000_NS22TransformInputIteratorIbN2at6native12_GLOBAL__N_19NonZeroOpIN3c107complexINSE_4HalfEEEEEPKSH_lEEPiiNS8_6detail34convert_binary_result_type_wrapperINS8_3SumESL_iEEEE10hipError_tPvRmT1_T2_T3_mT4_P12ihipStream_tbEUlT_E0_NS1_11comp_targetILNS1_3genE0ELNS1_11target_archE4294967295ELNS1_3gpuE0ELNS1_3repE0EEENS1_30default_config_static_selectorELNS0_4arch9wavefront6targetE0EEEvSU_, .Lfunc_end644-_ZN7rocprim17ROCPRIM_400000_NS6detail17trampoline_kernelINS0_14default_configENS1_22reduce_config_selectorIbEEZNS1_11reduce_implILb1ES3_N6hipcub16HIPCUB_304000_NS22TransformInputIteratorIbN2at6native12_GLOBAL__N_19NonZeroOpIN3c107complexINSE_4HalfEEEEEPKSH_lEEPiiNS8_6detail34convert_binary_result_type_wrapperINS8_3SumESL_iEEEE10hipError_tPvRmT1_T2_T3_mT4_P12ihipStream_tbEUlT_E0_NS1_11comp_targetILNS1_3genE0ELNS1_11target_archE4294967295ELNS1_3gpuE0ELNS1_3repE0EEENS1_30default_config_static_selectorELNS0_4arch9wavefront6targetE0EEEvSU_
                                        ; -- End function
	.set _ZN7rocprim17ROCPRIM_400000_NS6detail17trampoline_kernelINS0_14default_configENS1_22reduce_config_selectorIbEEZNS1_11reduce_implILb1ES3_N6hipcub16HIPCUB_304000_NS22TransformInputIteratorIbN2at6native12_GLOBAL__N_19NonZeroOpIN3c107complexINSE_4HalfEEEEEPKSH_lEEPiiNS8_6detail34convert_binary_result_type_wrapperINS8_3SumESL_iEEEE10hipError_tPvRmT1_T2_T3_mT4_P12ihipStream_tbEUlT_E0_NS1_11comp_targetILNS1_3genE0ELNS1_11target_archE4294967295ELNS1_3gpuE0ELNS1_3repE0EEENS1_30default_config_static_selectorELNS0_4arch9wavefront6targetE0EEEvSU_.num_vgpr, 0
	.set _ZN7rocprim17ROCPRIM_400000_NS6detail17trampoline_kernelINS0_14default_configENS1_22reduce_config_selectorIbEEZNS1_11reduce_implILb1ES3_N6hipcub16HIPCUB_304000_NS22TransformInputIteratorIbN2at6native12_GLOBAL__N_19NonZeroOpIN3c107complexINSE_4HalfEEEEEPKSH_lEEPiiNS8_6detail34convert_binary_result_type_wrapperINS8_3SumESL_iEEEE10hipError_tPvRmT1_T2_T3_mT4_P12ihipStream_tbEUlT_E0_NS1_11comp_targetILNS1_3genE0ELNS1_11target_archE4294967295ELNS1_3gpuE0ELNS1_3repE0EEENS1_30default_config_static_selectorELNS0_4arch9wavefront6targetE0EEEvSU_.num_agpr, 0
	.set _ZN7rocprim17ROCPRIM_400000_NS6detail17trampoline_kernelINS0_14default_configENS1_22reduce_config_selectorIbEEZNS1_11reduce_implILb1ES3_N6hipcub16HIPCUB_304000_NS22TransformInputIteratorIbN2at6native12_GLOBAL__N_19NonZeroOpIN3c107complexINSE_4HalfEEEEEPKSH_lEEPiiNS8_6detail34convert_binary_result_type_wrapperINS8_3SumESL_iEEEE10hipError_tPvRmT1_T2_T3_mT4_P12ihipStream_tbEUlT_E0_NS1_11comp_targetILNS1_3genE0ELNS1_11target_archE4294967295ELNS1_3gpuE0ELNS1_3repE0EEENS1_30default_config_static_selectorELNS0_4arch9wavefront6targetE0EEEvSU_.numbered_sgpr, 0
	.set _ZN7rocprim17ROCPRIM_400000_NS6detail17trampoline_kernelINS0_14default_configENS1_22reduce_config_selectorIbEEZNS1_11reduce_implILb1ES3_N6hipcub16HIPCUB_304000_NS22TransformInputIteratorIbN2at6native12_GLOBAL__N_19NonZeroOpIN3c107complexINSE_4HalfEEEEEPKSH_lEEPiiNS8_6detail34convert_binary_result_type_wrapperINS8_3SumESL_iEEEE10hipError_tPvRmT1_T2_T3_mT4_P12ihipStream_tbEUlT_E0_NS1_11comp_targetILNS1_3genE0ELNS1_11target_archE4294967295ELNS1_3gpuE0ELNS1_3repE0EEENS1_30default_config_static_selectorELNS0_4arch9wavefront6targetE0EEEvSU_.num_named_barrier, 0
	.set _ZN7rocprim17ROCPRIM_400000_NS6detail17trampoline_kernelINS0_14default_configENS1_22reduce_config_selectorIbEEZNS1_11reduce_implILb1ES3_N6hipcub16HIPCUB_304000_NS22TransformInputIteratorIbN2at6native12_GLOBAL__N_19NonZeroOpIN3c107complexINSE_4HalfEEEEEPKSH_lEEPiiNS8_6detail34convert_binary_result_type_wrapperINS8_3SumESL_iEEEE10hipError_tPvRmT1_T2_T3_mT4_P12ihipStream_tbEUlT_E0_NS1_11comp_targetILNS1_3genE0ELNS1_11target_archE4294967295ELNS1_3gpuE0ELNS1_3repE0EEENS1_30default_config_static_selectorELNS0_4arch9wavefront6targetE0EEEvSU_.private_seg_size, 0
	.set _ZN7rocprim17ROCPRIM_400000_NS6detail17trampoline_kernelINS0_14default_configENS1_22reduce_config_selectorIbEEZNS1_11reduce_implILb1ES3_N6hipcub16HIPCUB_304000_NS22TransformInputIteratorIbN2at6native12_GLOBAL__N_19NonZeroOpIN3c107complexINSE_4HalfEEEEEPKSH_lEEPiiNS8_6detail34convert_binary_result_type_wrapperINS8_3SumESL_iEEEE10hipError_tPvRmT1_T2_T3_mT4_P12ihipStream_tbEUlT_E0_NS1_11comp_targetILNS1_3genE0ELNS1_11target_archE4294967295ELNS1_3gpuE0ELNS1_3repE0EEENS1_30default_config_static_selectorELNS0_4arch9wavefront6targetE0EEEvSU_.uses_vcc, 0
	.set _ZN7rocprim17ROCPRIM_400000_NS6detail17trampoline_kernelINS0_14default_configENS1_22reduce_config_selectorIbEEZNS1_11reduce_implILb1ES3_N6hipcub16HIPCUB_304000_NS22TransformInputIteratorIbN2at6native12_GLOBAL__N_19NonZeroOpIN3c107complexINSE_4HalfEEEEEPKSH_lEEPiiNS8_6detail34convert_binary_result_type_wrapperINS8_3SumESL_iEEEE10hipError_tPvRmT1_T2_T3_mT4_P12ihipStream_tbEUlT_E0_NS1_11comp_targetILNS1_3genE0ELNS1_11target_archE4294967295ELNS1_3gpuE0ELNS1_3repE0EEENS1_30default_config_static_selectorELNS0_4arch9wavefront6targetE0EEEvSU_.uses_flat_scratch, 0
	.set _ZN7rocprim17ROCPRIM_400000_NS6detail17trampoline_kernelINS0_14default_configENS1_22reduce_config_selectorIbEEZNS1_11reduce_implILb1ES3_N6hipcub16HIPCUB_304000_NS22TransformInputIteratorIbN2at6native12_GLOBAL__N_19NonZeroOpIN3c107complexINSE_4HalfEEEEEPKSH_lEEPiiNS8_6detail34convert_binary_result_type_wrapperINS8_3SumESL_iEEEE10hipError_tPvRmT1_T2_T3_mT4_P12ihipStream_tbEUlT_E0_NS1_11comp_targetILNS1_3genE0ELNS1_11target_archE4294967295ELNS1_3gpuE0ELNS1_3repE0EEENS1_30default_config_static_selectorELNS0_4arch9wavefront6targetE0EEEvSU_.has_dyn_sized_stack, 0
	.set _ZN7rocprim17ROCPRIM_400000_NS6detail17trampoline_kernelINS0_14default_configENS1_22reduce_config_selectorIbEEZNS1_11reduce_implILb1ES3_N6hipcub16HIPCUB_304000_NS22TransformInputIteratorIbN2at6native12_GLOBAL__N_19NonZeroOpIN3c107complexINSE_4HalfEEEEEPKSH_lEEPiiNS8_6detail34convert_binary_result_type_wrapperINS8_3SumESL_iEEEE10hipError_tPvRmT1_T2_T3_mT4_P12ihipStream_tbEUlT_E0_NS1_11comp_targetILNS1_3genE0ELNS1_11target_archE4294967295ELNS1_3gpuE0ELNS1_3repE0EEENS1_30default_config_static_selectorELNS0_4arch9wavefront6targetE0EEEvSU_.has_recursion, 0
	.set _ZN7rocprim17ROCPRIM_400000_NS6detail17trampoline_kernelINS0_14default_configENS1_22reduce_config_selectorIbEEZNS1_11reduce_implILb1ES3_N6hipcub16HIPCUB_304000_NS22TransformInputIteratorIbN2at6native12_GLOBAL__N_19NonZeroOpIN3c107complexINSE_4HalfEEEEEPKSH_lEEPiiNS8_6detail34convert_binary_result_type_wrapperINS8_3SumESL_iEEEE10hipError_tPvRmT1_T2_T3_mT4_P12ihipStream_tbEUlT_E0_NS1_11comp_targetILNS1_3genE0ELNS1_11target_archE4294967295ELNS1_3gpuE0ELNS1_3repE0EEENS1_30default_config_static_selectorELNS0_4arch9wavefront6targetE0EEEvSU_.has_indirect_call, 0
	.section	.AMDGPU.csdata,"",@progbits
; Kernel info:
; codeLenInByte = 0
; TotalNumSgprs: 0
; NumVgprs: 0
; ScratchSize: 0
; MemoryBound: 0
; FloatMode: 240
; IeeeMode: 1
; LDSByteSize: 0 bytes/workgroup (compile time only)
; SGPRBlocks: 0
; VGPRBlocks: 0
; NumSGPRsForWavesPerEU: 1
; NumVGPRsForWavesPerEU: 1
; Occupancy: 16
; WaveLimiterHint : 0
; COMPUTE_PGM_RSRC2:SCRATCH_EN: 0
; COMPUTE_PGM_RSRC2:USER_SGPR: 2
; COMPUTE_PGM_RSRC2:TRAP_HANDLER: 0
; COMPUTE_PGM_RSRC2:TGID_X_EN: 1
; COMPUTE_PGM_RSRC2:TGID_Y_EN: 0
; COMPUTE_PGM_RSRC2:TGID_Z_EN: 0
; COMPUTE_PGM_RSRC2:TIDIG_COMP_CNT: 0
	.section	.text._ZN7rocprim17ROCPRIM_400000_NS6detail17trampoline_kernelINS0_14default_configENS1_22reduce_config_selectorIbEEZNS1_11reduce_implILb1ES3_N6hipcub16HIPCUB_304000_NS22TransformInputIteratorIbN2at6native12_GLOBAL__N_19NonZeroOpIN3c107complexINSE_4HalfEEEEEPKSH_lEEPiiNS8_6detail34convert_binary_result_type_wrapperINS8_3SumESL_iEEEE10hipError_tPvRmT1_T2_T3_mT4_P12ihipStream_tbEUlT_E0_NS1_11comp_targetILNS1_3genE5ELNS1_11target_archE942ELNS1_3gpuE9ELNS1_3repE0EEENS1_30default_config_static_selectorELNS0_4arch9wavefront6targetE0EEEvSU_,"axG",@progbits,_ZN7rocprim17ROCPRIM_400000_NS6detail17trampoline_kernelINS0_14default_configENS1_22reduce_config_selectorIbEEZNS1_11reduce_implILb1ES3_N6hipcub16HIPCUB_304000_NS22TransformInputIteratorIbN2at6native12_GLOBAL__N_19NonZeroOpIN3c107complexINSE_4HalfEEEEEPKSH_lEEPiiNS8_6detail34convert_binary_result_type_wrapperINS8_3SumESL_iEEEE10hipError_tPvRmT1_T2_T3_mT4_P12ihipStream_tbEUlT_E0_NS1_11comp_targetILNS1_3genE5ELNS1_11target_archE942ELNS1_3gpuE9ELNS1_3repE0EEENS1_30default_config_static_selectorELNS0_4arch9wavefront6targetE0EEEvSU_,comdat
	.globl	_ZN7rocprim17ROCPRIM_400000_NS6detail17trampoline_kernelINS0_14default_configENS1_22reduce_config_selectorIbEEZNS1_11reduce_implILb1ES3_N6hipcub16HIPCUB_304000_NS22TransformInputIteratorIbN2at6native12_GLOBAL__N_19NonZeroOpIN3c107complexINSE_4HalfEEEEEPKSH_lEEPiiNS8_6detail34convert_binary_result_type_wrapperINS8_3SumESL_iEEEE10hipError_tPvRmT1_T2_T3_mT4_P12ihipStream_tbEUlT_E0_NS1_11comp_targetILNS1_3genE5ELNS1_11target_archE942ELNS1_3gpuE9ELNS1_3repE0EEENS1_30default_config_static_selectorELNS0_4arch9wavefront6targetE0EEEvSU_ ; -- Begin function _ZN7rocprim17ROCPRIM_400000_NS6detail17trampoline_kernelINS0_14default_configENS1_22reduce_config_selectorIbEEZNS1_11reduce_implILb1ES3_N6hipcub16HIPCUB_304000_NS22TransformInputIteratorIbN2at6native12_GLOBAL__N_19NonZeroOpIN3c107complexINSE_4HalfEEEEEPKSH_lEEPiiNS8_6detail34convert_binary_result_type_wrapperINS8_3SumESL_iEEEE10hipError_tPvRmT1_T2_T3_mT4_P12ihipStream_tbEUlT_E0_NS1_11comp_targetILNS1_3genE5ELNS1_11target_archE942ELNS1_3gpuE9ELNS1_3repE0EEENS1_30default_config_static_selectorELNS0_4arch9wavefront6targetE0EEEvSU_
	.p2align	8
	.type	_ZN7rocprim17ROCPRIM_400000_NS6detail17trampoline_kernelINS0_14default_configENS1_22reduce_config_selectorIbEEZNS1_11reduce_implILb1ES3_N6hipcub16HIPCUB_304000_NS22TransformInputIteratorIbN2at6native12_GLOBAL__N_19NonZeroOpIN3c107complexINSE_4HalfEEEEEPKSH_lEEPiiNS8_6detail34convert_binary_result_type_wrapperINS8_3SumESL_iEEEE10hipError_tPvRmT1_T2_T3_mT4_P12ihipStream_tbEUlT_E0_NS1_11comp_targetILNS1_3genE5ELNS1_11target_archE942ELNS1_3gpuE9ELNS1_3repE0EEENS1_30default_config_static_selectorELNS0_4arch9wavefront6targetE0EEEvSU_,@function
_ZN7rocprim17ROCPRIM_400000_NS6detail17trampoline_kernelINS0_14default_configENS1_22reduce_config_selectorIbEEZNS1_11reduce_implILb1ES3_N6hipcub16HIPCUB_304000_NS22TransformInputIteratorIbN2at6native12_GLOBAL__N_19NonZeroOpIN3c107complexINSE_4HalfEEEEEPKSH_lEEPiiNS8_6detail34convert_binary_result_type_wrapperINS8_3SumESL_iEEEE10hipError_tPvRmT1_T2_T3_mT4_P12ihipStream_tbEUlT_E0_NS1_11comp_targetILNS1_3genE5ELNS1_11target_archE942ELNS1_3gpuE9ELNS1_3repE0EEENS1_30default_config_static_selectorELNS0_4arch9wavefront6targetE0EEEvSU_: ; @_ZN7rocprim17ROCPRIM_400000_NS6detail17trampoline_kernelINS0_14default_configENS1_22reduce_config_selectorIbEEZNS1_11reduce_implILb1ES3_N6hipcub16HIPCUB_304000_NS22TransformInputIteratorIbN2at6native12_GLOBAL__N_19NonZeroOpIN3c107complexINSE_4HalfEEEEEPKSH_lEEPiiNS8_6detail34convert_binary_result_type_wrapperINS8_3SumESL_iEEEE10hipError_tPvRmT1_T2_T3_mT4_P12ihipStream_tbEUlT_E0_NS1_11comp_targetILNS1_3genE5ELNS1_11target_archE942ELNS1_3gpuE9ELNS1_3repE0EEENS1_30default_config_static_selectorELNS0_4arch9wavefront6targetE0EEEvSU_
; %bb.0:
	.section	.rodata,"a",@progbits
	.p2align	6, 0x0
	.amdhsa_kernel _ZN7rocprim17ROCPRIM_400000_NS6detail17trampoline_kernelINS0_14default_configENS1_22reduce_config_selectorIbEEZNS1_11reduce_implILb1ES3_N6hipcub16HIPCUB_304000_NS22TransformInputIteratorIbN2at6native12_GLOBAL__N_19NonZeroOpIN3c107complexINSE_4HalfEEEEEPKSH_lEEPiiNS8_6detail34convert_binary_result_type_wrapperINS8_3SumESL_iEEEE10hipError_tPvRmT1_T2_T3_mT4_P12ihipStream_tbEUlT_E0_NS1_11comp_targetILNS1_3genE5ELNS1_11target_archE942ELNS1_3gpuE9ELNS1_3repE0EEENS1_30default_config_static_selectorELNS0_4arch9wavefront6targetE0EEEvSU_
		.amdhsa_group_segment_fixed_size 0
		.amdhsa_private_segment_fixed_size 0
		.amdhsa_kernarg_size 64
		.amdhsa_user_sgpr_count 2
		.amdhsa_user_sgpr_dispatch_ptr 0
		.amdhsa_user_sgpr_queue_ptr 0
		.amdhsa_user_sgpr_kernarg_segment_ptr 1
		.amdhsa_user_sgpr_dispatch_id 0
		.amdhsa_user_sgpr_private_segment_size 0
		.amdhsa_wavefront_size32 1
		.amdhsa_uses_dynamic_stack 0
		.amdhsa_enable_private_segment 0
		.amdhsa_system_sgpr_workgroup_id_x 1
		.amdhsa_system_sgpr_workgroup_id_y 0
		.amdhsa_system_sgpr_workgroup_id_z 0
		.amdhsa_system_sgpr_workgroup_info 0
		.amdhsa_system_vgpr_workitem_id 0
		.amdhsa_next_free_vgpr 1
		.amdhsa_next_free_sgpr 1
		.amdhsa_reserve_vcc 0
		.amdhsa_float_round_mode_32 0
		.amdhsa_float_round_mode_16_64 0
		.amdhsa_float_denorm_mode_32 3
		.amdhsa_float_denorm_mode_16_64 3
		.amdhsa_fp16_overflow 0
		.amdhsa_workgroup_processor_mode 1
		.amdhsa_memory_ordered 1
		.amdhsa_forward_progress 1
		.amdhsa_inst_pref_size 0
		.amdhsa_round_robin_scheduling 0
		.amdhsa_exception_fp_ieee_invalid_op 0
		.amdhsa_exception_fp_denorm_src 0
		.amdhsa_exception_fp_ieee_div_zero 0
		.amdhsa_exception_fp_ieee_overflow 0
		.amdhsa_exception_fp_ieee_underflow 0
		.amdhsa_exception_fp_ieee_inexact 0
		.amdhsa_exception_int_div_zero 0
	.end_amdhsa_kernel
	.section	.text._ZN7rocprim17ROCPRIM_400000_NS6detail17trampoline_kernelINS0_14default_configENS1_22reduce_config_selectorIbEEZNS1_11reduce_implILb1ES3_N6hipcub16HIPCUB_304000_NS22TransformInputIteratorIbN2at6native12_GLOBAL__N_19NonZeroOpIN3c107complexINSE_4HalfEEEEEPKSH_lEEPiiNS8_6detail34convert_binary_result_type_wrapperINS8_3SumESL_iEEEE10hipError_tPvRmT1_T2_T3_mT4_P12ihipStream_tbEUlT_E0_NS1_11comp_targetILNS1_3genE5ELNS1_11target_archE942ELNS1_3gpuE9ELNS1_3repE0EEENS1_30default_config_static_selectorELNS0_4arch9wavefront6targetE0EEEvSU_,"axG",@progbits,_ZN7rocprim17ROCPRIM_400000_NS6detail17trampoline_kernelINS0_14default_configENS1_22reduce_config_selectorIbEEZNS1_11reduce_implILb1ES3_N6hipcub16HIPCUB_304000_NS22TransformInputIteratorIbN2at6native12_GLOBAL__N_19NonZeroOpIN3c107complexINSE_4HalfEEEEEPKSH_lEEPiiNS8_6detail34convert_binary_result_type_wrapperINS8_3SumESL_iEEEE10hipError_tPvRmT1_T2_T3_mT4_P12ihipStream_tbEUlT_E0_NS1_11comp_targetILNS1_3genE5ELNS1_11target_archE942ELNS1_3gpuE9ELNS1_3repE0EEENS1_30default_config_static_selectorELNS0_4arch9wavefront6targetE0EEEvSU_,comdat
.Lfunc_end645:
	.size	_ZN7rocprim17ROCPRIM_400000_NS6detail17trampoline_kernelINS0_14default_configENS1_22reduce_config_selectorIbEEZNS1_11reduce_implILb1ES3_N6hipcub16HIPCUB_304000_NS22TransformInputIteratorIbN2at6native12_GLOBAL__N_19NonZeroOpIN3c107complexINSE_4HalfEEEEEPKSH_lEEPiiNS8_6detail34convert_binary_result_type_wrapperINS8_3SumESL_iEEEE10hipError_tPvRmT1_T2_T3_mT4_P12ihipStream_tbEUlT_E0_NS1_11comp_targetILNS1_3genE5ELNS1_11target_archE942ELNS1_3gpuE9ELNS1_3repE0EEENS1_30default_config_static_selectorELNS0_4arch9wavefront6targetE0EEEvSU_, .Lfunc_end645-_ZN7rocprim17ROCPRIM_400000_NS6detail17trampoline_kernelINS0_14default_configENS1_22reduce_config_selectorIbEEZNS1_11reduce_implILb1ES3_N6hipcub16HIPCUB_304000_NS22TransformInputIteratorIbN2at6native12_GLOBAL__N_19NonZeroOpIN3c107complexINSE_4HalfEEEEEPKSH_lEEPiiNS8_6detail34convert_binary_result_type_wrapperINS8_3SumESL_iEEEE10hipError_tPvRmT1_T2_T3_mT4_P12ihipStream_tbEUlT_E0_NS1_11comp_targetILNS1_3genE5ELNS1_11target_archE942ELNS1_3gpuE9ELNS1_3repE0EEENS1_30default_config_static_selectorELNS0_4arch9wavefront6targetE0EEEvSU_
                                        ; -- End function
	.set _ZN7rocprim17ROCPRIM_400000_NS6detail17trampoline_kernelINS0_14default_configENS1_22reduce_config_selectorIbEEZNS1_11reduce_implILb1ES3_N6hipcub16HIPCUB_304000_NS22TransformInputIteratorIbN2at6native12_GLOBAL__N_19NonZeroOpIN3c107complexINSE_4HalfEEEEEPKSH_lEEPiiNS8_6detail34convert_binary_result_type_wrapperINS8_3SumESL_iEEEE10hipError_tPvRmT1_T2_T3_mT4_P12ihipStream_tbEUlT_E0_NS1_11comp_targetILNS1_3genE5ELNS1_11target_archE942ELNS1_3gpuE9ELNS1_3repE0EEENS1_30default_config_static_selectorELNS0_4arch9wavefront6targetE0EEEvSU_.num_vgpr, 0
	.set _ZN7rocprim17ROCPRIM_400000_NS6detail17trampoline_kernelINS0_14default_configENS1_22reduce_config_selectorIbEEZNS1_11reduce_implILb1ES3_N6hipcub16HIPCUB_304000_NS22TransformInputIteratorIbN2at6native12_GLOBAL__N_19NonZeroOpIN3c107complexINSE_4HalfEEEEEPKSH_lEEPiiNS8_6detail34convert_binary_result_type_wrapperINS8_3SumESL_iEEEE10hipError_tPvRmT1_T2_T3_mT4_P12ihipStream_tbEUlT_E0_NS1_11comp_targetILNS1_3genE5ELNS1_11target_archE942ELNS1_3gpuE9ELNS1_3repE0EEENS1_30default_config_static_selectorELNS0_4arch9wavefront6targetE0EEEvSU_.num_agpr, 0
	.set _ZN7rocprim17ROCPRIM_400000_NS6detail17trampoline_kernelINS0_14default_configENS1_22reduce_config_selectorIbEEZNS1_11reduce_implILb1ES3_N6hipcub16HIPCUB_304000_NS22TransformInputIteratorIbN2at6native12_GLOBAL__N_19NonZeroOpIN3c107complexINSE_4HalfEEEEEPKSH_lEEPiiNS8_6detail34convert_binary_result_type_wrapperINS8_3SumESL_iEEEE10hipError_tPvRmT1_T2_T3_mT4_P12ihipStream_tbEUlT_E0_NS1_11comp_targetILNS1_3genE5ELNS1_11target_archE942ELNS1_3gpuE9ELNS1_3repE0EEENS1_30default_config_static_selectorELNS0_4arch9wavefront6targetE0EEEvSU_.numbered_sgpr, 0
	.set _ZN7rocprim17ROCPRIM_400000_NS6detail17trampoline_kernelINS0_14default_configENS1_22reduce_config_selectorIbEEZNS1_11reduce_implILb1ES3_N6hipcub16HIPCUB_304000_NS22TransformInputIteratorIbN2at6native12_GLOBAL__N_19NonZeroOpIN3c107complexINSE_4HalfEEEEEPKSH_lEEPiiNS8_6detail34convert_binary_result_type_wrapperINS8_3SumESL_iEEEE10hipError_tPvRmT1_T2_T3_mT4_P12ihipStream_tbEUlT_E0_NS1_11comp_targetILNS1_3genE5ELNS1_11target_archE942ELNS1_3gpuE9ELNS1_3repE0EEENS1_30default_config_static_selectorELNS0_4arch9wavefront6targetE0EEEvSU_.num_named_barrier, 0
	.set _ZN7rocprim17ROCPRIM_400000_NS6detail17trampoline_kernelINS0_14default_configENS1_22reduce_config_selectorIbEEZNS1_11reduce_implILb1ES3_N6hipcub16HIPCUB_304000_NS22TransformInputIteratorIbN2at6native12_GLOBAL__N_19NonZeroOpIN3c107complexINSE_4HalfEEEEEPKSH_lEEPiiNS8_6detail34convert_binary_result_type_wrapperINS8_3SumESL_iEEEE10hipError_tPvRmT1_T2_T3_mT4_P12ihipStream_tbEUlT_E0_NS1_11comp_targetILNS1_3genE5ELNS1_11target_archE942ELNS1_3gpuE9ELNS1_3repE0EEENS1_30default_config_static_selectorELNS0_4arch9wavefront6targetE0EEEvSU_.private_seg_size, 0
	.set _ZN7rocprim17ROCPRIM_400000_NS6detail17trampoline_kernelINS0_14default_configENS1_22reduce_config_selectorIbEEZNS1_11reduce_implILb1ES3_N6hipcub16HIPCUB_304000_NS22TransformInputIteratorIbN2at6native12_GLOBAL__N_19NonZeroOpIN3c107complexINSE_4HalfEEEEEPKSH_lEEPiiNS8_6detail34convert_binary_result_type_wrapperINS8_3SumESL_iEEEE10hipError_tPvRmT1_T2_T3_mT4_P12ihipStream_tbEUlT_E0_NS1_11comp_targetILNS1_3genE5ELNS1_11target_archE942ELNS1_3gpuE9ELNS1_3repE0EEENS1_30default_config_static_selectorELNS0_4arch9wavefront6targetE0EEEvSU_.uses_vcc, 0
	.set _ZN7rocprim17ROCPRIM_400000_NS6detail17trampoline_kernelINS0_14default_configENS1_22reduce_config_selectorIbEEZNS1_11reduce_implILb1ES3_N6hipcub16HIPCUB_304000_NS22TransformInputIteratorIbN2at6native12_GLOBAL__N_19NonZeroOpIN3c107complexINSE_4HalfEEEEEPKSH_lEEPiiNS8_6detail34convert_binary_result_type_wrapperINS8_3SumESL_iEEEE10hipError_tPvRmT1_T2_T3_mT4_P12ihipStream_tbEUlT_E0_NS1_11comp_targetILNS1_3genE5ELNS1_11target_archE942ELNS1_3gpuE9ELNS1_3repE0EEENS1_30default_config_static_selectorELNS0_4arch9wavefront6targetE0EEEvSU_.uses_flat_scratch, 0
	.set _ZN7rocprim17ROCPRIM_400000_NS6detail17trampoline_kernelINS0_14default_configENS1_22reduce_config_selectorIbEEZNS1_11reduce_implILb1ES3_N6hipcub16HIPCUB_304000_NS22TransformInputIteratorIbN2at6native12_GLOBAL__N_19NonZeroOpIN3c107complexINSE_4HalfEEEEEPKSH_lEEPiiNS8_6detail34convert_binary_result_type_wrapperINS8_3SumESL_iEEEE10hipError_tPvRmT1_T2_T3_mT4_P12ihipStream_tbEUlT_E0_NS1_11comp_targetILNS1_3genE5ELNS1_11target_archE942ELNS1_3gpuE9ELNS1_3repE0EEENS1_30default_config_static_selectorELNS0_4arch9wavefront6targetE0EEEvSU_.has_dyn_sized_stack, 0
	.set _ZN7rocprim17ROCPRIM_400000_NS6detail17trampoline_kernelINS0_14default_configENS1_22reduce_config_selectorIbEEZNS1_11reduce_implILb1ES3_N6hipcub16HIPCUB_304000_NS22TransformInputIteratorIbN2at6native12_GLOBAL__N_19NonZeroOpIN3c107complexINSE_4HalfEEEEEPKSH_lEEPiiNS8_6detail34convert_binary_result_type_wrapperINS8_3SumESL_iEEEE10hipError_tPvRmT1_T2_T3_mT4_P12ihipStream_tbEUlT_E0_NS1_11comp_targetILNS1_3genE5ELNS1_11target_archE942ELNS1_3gpuE9ELNS1_3repE0EEENS1_30default_config_static_selectorELNS0_4arch9wavefront6targetE0EEEvSU_.has_recursion, 0
	.set _ZN7rocprim17ROCPRIM_400000_NS6detail17trampoline_kernelINS0_14default_configENS1_22reduce_config_selectorIbEEZNS1_11reduce_implILb1ES3_N6hipcub16HIPCUB_304000_NS22TransformInputIteratorIbN2at6native12_GLOBAL__N_19NonZeroOpIN3c107complexINSE_4HalfEEEEEPKSH_lEEPiiNS8_6detail34convert_binary_result_type_wrapperINS8_3SumESL_iEEEE10hipError_tPvRmT1_T2_T3_mT4_P12ihipStream_tbEUlT_E0_NS1_11comp_targetILNS1_3genE5ELNS1_11target_archE942ELNS1_3gpuE9ELNS1_3repE0EEENS1_30default_config_static_selectorELNS0_4arch9wavefront6targetE0EEEvSU_.has_indirect_call, 0
	.section	.AMDGPU.csdata,"",@progbits
; Kernel info:
; codeLenInByte = 0
; TotalNumSgprs: 0
; NumVgprs: 0
; ScratchSize: 0
; MemoryBound: 0
; FloatMode: 240
; IeeeMode: 1
; LDSByteSize: 0 bytes/workgroup (compile time only)
; SGPRBlocks: 0
; VGPRBlocks: 0
; NumSGPRsForWavesPerEU: 1
; NumVGPRsForWavesPerEU: 1
; Occupancy: 16
; WaveLimiterHint : 0
; COMPUTE_PGM_RSRC2:SCRATCH_EN: 0
; COMPUTE_PGM_RSRC2:USER_SGPR: 2
; COMPUTE_PGM_RSRC2:TRAP_HANDLER: 0
; COMPUTE_PGM_RSRC2:TGID_X_EN: 1
; COMPUTE_PGM_RSRC2:TGID_Y_EN: 0
; COMPUTE_PGM_RSRC2:TGID_Z_EN: 0
; COMPUTE_PGM_RSRC2:TIDIG_COMP_CNT: 0
	.section	.text._ZN7rocprim17ROCPRIM_400000_NS6detail17trampoline_kernelINS0_14default_configENS1_22reduce_config_selectorIbEEZNS1_11reduce_implILb1ES3_N6hipcub16HIPCUB_304000_NS22TransformInputIteratorIbN2at6native12_GLOBAL__N_19NonZeroOpIN3c107complexINSE_4HalfEEEEEPKSH_lEEPiiNS8_6detail34convert_binary_result_type_wrapperINS8_3SumESL_iEEEE10hipError_tPvRmT1_T2_T3_mT4_P12ihipStream_tbEUlT_E0_NS1_11comp_targetILNS1_3genE4ELNS1_11target_archE910ELNS1_3gpuE8ELNS1_3repE0EEENS1_30default_config_static_selectorELNS0_4arch9wavefront6targetE0EEEvSU_,"axG",@progbits,_ZN7rocprim17ROCPRIM_400000_NS6detail17trampoline_kernelINS0_14default_configENS1_22reduce_config_selectorIbEEZNS1_11reduce_implILb1ES3_N6hipcub16HIPCUB_304000_NS22TransformInputIteratorIbN2at6native12_GLOBAL__N_19NonZeroOpIN3c107complexINSE_4HalfEEEEEPKSH_lEEPiiNS8_6detail34convert_binary_result_type_wrapperINS8_3SumESL_iEEEE10hipError_tPvRmT1_T2_T3_mT4_P12ihipStream_tbEUlT_E0_NS1_11comp_targetILNS1_3genE4ELNS1_11target_archE910ELNS1_3gpuE8ELNS1_3repE0EEENS1_30default_config_static_selectorELNS0_4arch9wavefront6targetE0EEEvSU_,comdat
	.globl	_ZN7rocprim17ROCPRIM_400000_NS6detail17trampoline_kernelINS0_14default_configENS1_22reduce_config_selectorIbEEZNS1_11reduce_implILb1ES3_N6hipcub16HIPCUB_304000_NS22TransformInputIteratorIbN2at6native12_GLOBAL__N_19NonZeroOpIN3c107complexINSE_4HalfEEEEEPKSH_lEEPiiNS8_6detail34convert_binary_result_type_wrapperINS8_3SumESL_iEEEE10hipError_tPvRmT1_T2_T3_mT4_P12ihipStream_tbEUlT_E0_NS1_11comp_targetILNS1_3genE4ELNS1_11target_archE910ELNS1_3gpuE8ELNS1_3repE0EEENS1_30default_config_static_selectorELNS0_4arch9wavefront6targetE0EEEvSU_ ; -- Begin function _ZN7rocprim17ROCPRIM_400000_NS6detail17trampoline_kernelINS0_14default_configENS1_22reduce_config_selectorIbEEZNS1_11reduce_implILb1ES3_N6hipcub16HIPCUB_304000_NS22TransformInputIteratorIbN2at6native12_GLOBAL__N_19NonZeroOpIN3c107complexINSE_4HalfEEEEEPKSH_lEEPiiNS8_6detail34convert_binary_result_type_wrapperINS8_3SumESL_iEEEE10hipError_tPvRmT1_T2_T3_mT4_P12ihipStream_tbEUlT_E0_NS1_11comp_targetILNS1_3genE4ELNS1_11target_archE910ELNS1_3gpuE8ELNS1_3repE0EEENS1_30default_config_static_selectorELNS0_4arch9wavefront6targetE0EEEvSU_
	.p2align	8
	.type	_ZN7rocprim17ROCPRIM_400000_NS6detail17trampoline_kernelINS0_14default_configENS1_22reduce_config_selectorIbEEZNS1_11reduce_implILb1ES3_N6hipcub16HIPCUB_304000_NS22TransformInputIteratorIbN2at6native12_GLOBAL__N_19NonZeroOpIN3c107complexINSE_4HalfEEEEEPKSH_lEEPiiNS8_6detail34convert_binary_result_type_wrapperINS8_3SumESL_iEEEE10hipError_tPvRmT1_T2_T3_mT4_P12ihipStream_tbEUlT_E0_NS1_11comp_targetILNS1_3genE4ELNS1_11target_archE910ELNS1_3gpuE8ELNS1_3repE0EEENS1_30default_config_static_selectorELNS0_4arch9wavefront6targetE0EEEvSU_,@function
_ZN7rocprim17ROCPRIM_400000_NS6detail17trampoline_kernelINS0_14default_configENS1_22reduce_config_selectorIbEEZNS1_11reduce_implILb1ES3_N6hipcub16HIPCUB_304000_NS22TransformInputIteratorIbN2at6native12_GLOBAL__N_19NonZeroOpIN3c107complexINSE_4HalfEEEEEPKSH_lEEPiiNS8_6detail34convert_binary_result_type_wrapperINS8_3SumESL_iEEEE10hipError_tPvRmT1_T2_T3_mT4_P12ihipStream_tbEUlT_E0_NS1_11comp_targetILNS1_3genE4ELNS1_11target_archE910ELNS1_3gpuE8ELNS1_3repE0EEENS1_30default_config_static_selectorELNS0_4arch9wavefront6targetE0EEEvSU_: ; @_ZN7rocprim17ROCPRIM_400000_NS6detail17trampoline_kernelINS0_14default_configENS1_22reduce_config_selectorIbEEZNS1_11reduce_implILb1ES3_N6hipcub16HIPCUB_304000_NS22TransformInputIteratorIbN2at6native12_GLOBAL__N_19NonZeroOpIN3c107complexINSE_4HalfEEEEEPKSH_lEEPiiNS8_6detail34convert_binary_result_type_wrapperINS8_3SumESL_iEEEE10hipError_tPvRmT1_T2_T3_mT4_P12ihipStream_tbEUlT_E0_NS1_11comp_targetILNS1_3genE4ELNS1_11target_archE910ELNS1_3gpuE8ELNS1_3repE0EEENS1_30default_config_static_selectorELNS0_4arch9wavefront6targetE0EEEvSU_
; %bb.0:
	.section	.rodata,"a",@progbits
	.p2align	6, 0x0
	.amdhsa_kernel _ZN7rocprim17ROCPRIM_400000_NS6detail17trampoline_kernelINS0_14default_configENS1_22reduce_config_selectorIbEEZNS1_11reduce_implILb1ES3_N6hipcub16HIPCUB_304000_NS22TransformInputIteratorIbN2at6native12_GLOBAL__N_19NonZeroOpIN3c107complexINSE_4HalfEEEEEPKSH_lEEPiiNS8_6detail34convert_binary_result_type_wrapperINS8_3SumESL_iEEEE10hipError_tPvRmT1_T2_T3_mT4_P12ihipStream_tbEUlT_E0_NS1_11comp_targetILNS1_3genE4ELNS1_11target_archE910ELNS1_3gpuE8ELNS1_3repE0EEENS1_30default_config_static_selectorELNS0_4arch9wavefront6targetE0EEEvSU_
		.amdhsa_group_segment_fixed_size 0
		.amdhsa_private_segment_fixed_size 0
		.amdhsa_kernarg_size 64
		.amdhsa_user_sgpr_count 2
		.amdhsa_user_sgpr_dispatch_ptr 0
		.amdhsa_user_sgpr_queue_ptr 0
		.amdhsa_user_sgpr_kernarg_segment_ptr 1
		.amdhsa_user_sgpr_dispatch_id 0
		.amdhsa_user_sgpr_private_segment_size 0
		.amdhsa_wavefront_size32 1
		.amdhsa_uses_dynamic_stack 0
		.amdhsa_enable_private_segment 0
		.amdhsa_system_sgpr_workgroup_id_x 1
		.amdhsa_system_sgpr_workgroup_id_y 0
		.amdhsa_system_sgpr_workgroup_id_z 0
		.amdhsa_system_sgpr_workgroup_info 0
		.amdhsa_system_vgpr_workitem_id 0
		.amdhsa_next_free_vgpr 1
		.amdhsa_next_free_sgpr 1
		.amdhsa_reserve_vcc 0
		.amdhsa_float_round_mode_32 0
		.amdhsa_float_round_mode_16_64 0
		.amdhsa_float_denorm_mode_32 3
		.amdhsa_float_denorm_mode_16_64 3
		.amdhsa_fp16_overflow 0
		.amdhsa_workgroup_processor_mode 1
		.amdhsa_memory_ordered 1
		.amdhsa_forward_progress 1
		.amdhsa_inst_pref_size 0
		.amdhsa_round_robin_scheduling 0
		.amdhsa_exception_fp_ieee_invalid_op 0
		.amdhsa_exception_fp_denorm_src 0
		.amdhsa_exception_fp_ieee_div_zero 0
		.amdhsa_exception_fp_ieee_overflow 0
		.amdhsa_exception_fp_ieee_underflow 0
		.amdhsa_exception_fp_ieee_inexact 0
		.amdhsa_exception_int_div_zero 0
	.end_amdhsa_kernel
	.section	.text._ZN7rocprim17ROCPRIM_400000_NS6detail17trampoline_kernelINS0_14default_configENS1_22reduce_config_selectorIbEEZNS1_11reduce_implILb1ES3_N6hipcub16HIPCUB_304000_NS22TransformInputIteratorIbN2at6native12_GLOBAL__N_19NonZeroOpIN3c107complexINSE_4HalfEEEEEPKSH_lEEPiiNS8_6detail34convert_binary_result_type_wrapperINS8_3SumESL_iEEEE10hipError_tPvRmT1_T2_T3_mT4_P12ihipStream_tbEUlT_E0_NS1_11comp_targetILNS1_3genE4ELNS1_11target_archE910ELNS1_3gpuE8ELNS1_3repE0EEENS1_30default_config_static_selectorELNS0_4arch9wavefront6targetE0EEEvSU_,"axG",@progbits,_ZN7rocprim17ROCPRIM_400000_NS6detail17trampoline_kernelINS0_14default_configENS1_22reduce_config_selectorIbEEZNS1_11reduce_implILb1ES3_N6hipcub16HIPCUB_304000_NS22TransformInputIteratorIbN2at6native12_GLOBAL__N_19NonZeroOpIN3c107complexINSE_4HalfEEEEEPKSH_lEEPiiNS8_6detail34convert_binary_result_type_wrapperINS8_3SumESL_iEEEE10hipError_tPvRmT1_T2_T3_mT4_P12ihipStream_tbEUlT_E0_NS1_11comp_targetILNS1_3genE4ELNS1_11target_archE910ELNS1_3gpuE8ELNS1_3repE0EEENS1_30default_config_static_selectorELNS0_4arch9wavefront6targetE0EEEvSU_,comdat
.Lfunc_end646:
	.size	_ZN7rocprim17ROCPRIM_400000_NS6detail17trampoline_kernelINS0_14default_configENS1_22reduce_config_selectorIbEEZNS1_11reduce_implILb1ES3_N6hipcub16HIPCUB_304000_NS22TransformInputIteratorIbN2at6native12_GLOBAL__N_19NonZeroOpIN3c107complexINSE_4HalfEEEEEPKSH_lEEPiiNS8_6detail34convert_binary_result_type_wrapperINS8_3SumESL_iEEEE10hipError_tPvRmT1_T2_T3_mT4_P12ihipStream_tbEUlT_E0_NS1_11comp_targetILNS1_3genE4ELNS1_11target_archE910ELNS1_3gpuE8ELNS1_3repE0EEENS1_30default_config_static_selectorELNS0_4arch9wavefront6targetE0EEEvSU_, .Lfunc_end646-_ZN7rocprim17ROCPRIM_400000_NS6detail17trampoline_kernelINS0_14default_configENS1_22reduce_config_selectorIbEEZNS1_11reduce_implILb1ES3_N6hipcub16HIPCUB_304000_NS22TransformInputIteratorIbN2at6native12_GLOBAL__N_19NonZeroOpIN3c107complexINSE_4HalfEEEEEPKSH_lEEPiiNS8_6detail34convert_binary_result_type_wrapperINS8_3SumESL_iEEEE10hipError_tPvRmT1_T2_T3_mT4_P12ihipStream_tbEUlT_E0_NS1_11comp_targetILNS1_3genE4ELNS1_11target_archE910ELNS1_3gpuE8ELNS1_3repE0EEENS1_30default_config_static_selectorELNS0_4arch9wavefront6targetE0EEEvSU_
                                        ; -- End function
	.set _ZN7rocprim17ROCPRIM_400000_NS6detail17trampoline_kernelINS0_14default_configENS1_22reduce_config_selectorIbEEZNS1_11reduce_implILb1ES3_N6hipcub16HIPCUB_304000_NS22TransformInputIteratorIbN2at6native12_GLOBAL__N_19NonZeroOpIN3c107complexINSE_4HalfEEEEEPKSH_lEEPiiNS8_6detail34convert_binary_result_type_wrapperINS8_3SumESL_iEEEE10hipError_tPvRmT1_T2_T3_mT4_P12ihipStream_tbEUlT_E0_NS1_11comp_targetILNS1_3genE4ELNS1_11target_archE910ELNS1_3gpuE8ELNS1_3repE0EEENS1_30default_config_static_selectorELNS0_4arch9wavefront6targetE0EEEvSU_.num_vgpr, 0
	.set _ZN7rocprim17ROCPRIM_400000_NS6detail17trampoline_kernelINS0_14default_configENS1_22reduce_config_selectorIbEEZNS1_11reduce_implILb1ES3_N6hipcub16HIPCUB_304000_NS22TransformInputIteratorIbN2at6native12_GLOBAL__N_19NonZeroOpIN3c107complexINSE_4HalfEEEEEPKSH_lEEPiiNS8_6detail34convert_binary_result_type_wrapperINS8_3SumESL_iEEEE10hipError_tPvRmT1_T2_T3_mT4_P12ihipStream_tbEUlT_E0_NS1_11comp_targetILNS1_3genE4ELNS1_11target_archE910ELNS1_3gpuE8ELNS1_3repE0EEENS1_30default_config_static_selectorELNS0_4arch9wavefront6targetE0EEEvSU_.num_agpr, 0
	.set _ZN7rocprim17ROCPRIM_400000_NS6detail17trampoline_kernelINS0_14default_configENS1_22reduce_config_selectorIbEEZNS1_11reduce_implILb1ES3_N6hipcub16HIPCUB_304000_NS22TransformInputIteratorIbN2at6native12_GLOBAL__N_19NonZeroOpIN3c107complexINSE_4HalfEEEEEPKSH_lEEPiiNS8_6detail34convert_binary_result_type_wrapperINS8_3SumESL_iEEEE10hipError_tPvRmT1_T2_T3_mT4_P12ihipStream_tbEUlT_E0_NS1_11comp_targetILNS1_3genE4ELNS1_11target_archE910ELNS1_3gpuE8ELNS1_3repE0EEENS1_30default_config_static_selectorELNS0_4arch9wavefront6targetE0EEEvSU_.numbered_sgpr, 0
	.set _ZN7rocprim17ROCPRIM_400000_NS6detail17trampoline_kernelINS0_14default_configENS1_22reduce_config_selectorIbEEZNS1_11reduce_implILb1ES3_N6hipcub16HIPCUB_304000_NS22TransformInputIteratorIbN2at6native12_GLOBAL__N_19NonZeroOpIN3c107complexINSE_4HalfEEEEEPKSH_lEEPiiNS8_6detail34convert_binary_result_type_wrapperINS8_3SumESL_iEEEE10hipError_tPvRmT1_T2_T3_mT4_P12ihipStream_tbEUlT_E0_NS1_11comp_targetILNS1_3genE4ELNS1_11target_archE910ELNS1_3gpuE8ELNS1_3repE0EEENS1_30default_config_static_selectorELNS0_4arch9wavefront6targetE0EEEvSU_.num_named_barrier, 0
	.set _ZN7rocprim17ROCPRIM_400000_NS6detail17trampoline_kernelINS0_14default_configENS1_22reduce_config_selectorIbEEZNS1_11reduce_implILb1ES3_N6hipcub16HIPCUB_304000_NS22TransformInputIteratorIbN2at6native12_GLOBAL__N_19NonZeroOpIN3c107complexINSE_4HalfEEEEEPKSH_lEEPiiNS8_6detail34convert_binary_result_type_wrapperINS8_3SumESL_iEEEE10hipError_tPvRmT1_T2_T3_mT4_P12ihipStream_tbEUlT_E0_NS1_11comp_targetILNS1_3genE4ELNS1_11target_archE910ELNS1_3gpuE8ELNS1_3repE0EEENS1_30default_config_static_selectorELNS0_4arch9wavefront6targetE0EEEvSU_.private_seg_size, 0
	.set _ZN7rocprim17ROCPRIM_400000_NS6detail17trampoline_kernelINS0_14default_configENS1_22reduce_config_selectorIbEEZNS1_11reduce_implILb1ES3_N6hipcub16HIPCUB_304000_NS22TransformInputIteratorIbN2at6native12_GLOBAL__N_19NonZeroOpIN3c107complexINSE_4HalfEEEEEPKSH_lEEPiiNS8_6detail34convert_binary_result_type_wrapperINS8_3SumESL_iEEEE10hipError_tPvRmT1_T2_T3_mT4_P12ihipStream_tbEUlT_E0_NS1_11comp_targetILNS1_3genE4ELNS1_11target_archE910ELNS1_3gpuE8ELNS1_3repE0EEENS1_30default_config_static_selectorELNS0_4arch9wavefront6targetE0EEEvSU_.uses_vcc, 0
	.set _ZN7rocprim17ROCPRIM_400000_NS6detail17trampoline_kernelINS0_14default_configENS1_22reduce_config_selectorIbEEZNS1_11reduce_implILb1ES3_N6hipcub16HIPCUB_304000_NS22TransformInputIteratorIbN2at6native12_GLOBAL__N_19NonZeroOpIN3c107complexINSE_4HalfEEEEEPKSH_lEEPiiNS8_6detail34convert_binary_result_type_wrapperINS8_3SumESL_iEEEE10hipError_tPvRmT1_T2_T3_mT4_P12ihipStream_tbEUlT_E0_NS1_11comp_targetILNS1_3genE4ELNS1_11target_archE910ELNS1_3gpuE8ELNS1_3repE0EEENS1_30default_config_static_selectorELNS0_4arch9wavefront6targetE0EEEvSU_.uses_flat_scratch, 0
	.set _ZN7rocprim17ROCPRIM_400000_NS6detail17trampoline_kernelINS0_14default_configENS1_22reduce_config_selectorIbEEZNS1_11reduce_implILb1ES3_N6hipcub16HIPCUB_304000_NS22TransformInputIteratorIbN2at6native12_GLOBAL__N_19NonZeroOpIN3c107complexINSE_4HalfEEEEEPKSH_lEEPiiNS8_6detail34convert_binary_result_type_wrapperINS8_3SumESL_iEEEE10hipError_tPvRmT1_T2_T3_mT4_P12ihipStream_tbEUlT_E0_NS1_11comp_targetILNS1_3genE4ELNS1_11target_archE910ELNS1_3gpuE8ELNS1_3repE0EEENS1_30default_config_static_selectorELNS0_4arch9wavefront6targetE0EEEvSU_.has_dyn_sized_stack, 0
	.set _ZN7rocprim17ROCPRIM_400000_NS6detail17trampoline_kernelINS0_14default_configENS1_22reduce_config_selectorIbEEZNS1_11reduce_implILb1ES3_N6hipcub16HIPCUB_304000_NS22TransformInputIteratorIbN2at6native12_GLOBAL__N_19NonZeroOpIN3c107complexINSE_4HalfEEEEEPKSH_lEEPiiNS8_6detail34convert_binary_result_type_wrapperINS8_3SumESL_iEEEE10hipError_tPvRmT1_T2_T3_mT4_P12ihipStream_tbEUlT_E0_NS1_11comp_targetILNS1_3genE4ELNS1_11target_archE910ELNS1_3gpuE8ELNS1_3repE0EEENS1_30default_config_static_selectorELNS0_4arch9wavefront6targetE0EEEvSU_.has_recursion, 0
	.set _ZN7rocprim17ROCPRIM_400000_NS6detail17trampoline_kernelINS0_14default_configENS1_22reduce_config_selectorIbEEZNS1_11reduce_implILb1ES3_N6hipcub16HIPCUB_304000_NS22TransformInputIteratorIbN2at6native12_GLOBAL__N_19NonZeroOpIN3c107complexINSE_4HalfEEEEEPKSH_lEEPiiNS8_6detail34convert_binary_result_type_wrapperINS8_3SumESL_iEEEE10hipError_tPvRmT1_T2_T3_mT4_P12ihipStream_tbEUlT_E0_NS1_11comp_targetILNS1_3genE4ELNS1_11target_archE910ELNS1_3gpuE8ELNS1_3repE0EEENS1_30default_config_static_selectorELNS0_4arch9wavefront6targetE0EEEvSU_.has_indirect_call, 0
	.section	.AMDGPU.csdata,"",@progbits
; Kernel info:
; codeLenInByte = 0
; TotalNumSgprs: 0
; NumVgprs: 0
; ScratchSize: 0
; MemoryBound: 0
; FloatMode: 240
; IeeeMode: 1
; LDSByteSize: 0 bytes/workgroup (compile time only)
; SGPRBlocks: 0
; VGPRBlocks: 0
; NumSGPRsForWavesPerEU: 1
; NumVGPRsForWavesPerEU: 1
; Occupancy: 16
; WaveLimiterHint : 0
; COMPUTE_PGM_RSRC2:SCRATCH_EN: 0
; COMPUTE_PGM_RSRC2:USER_SGPR: 2
; COMPUTE_PGM_RSRC2:TRAP_HANDLER: 0
; COMPUTE_PGM_RSRC2:TGID_X_EN: 1
; COMPUTE_PGM_RSRC2:TGID_Y_EN: 0
; COMPUTE_PGM_RSRC2:TGID_Z_EN: 0
; COMPUTE_PGM_RSRC2:TIDIG_COMP_CNT: 0
	.section	.text._ZN7rocprim17ROCPRIM_400000_NS6detail17trampoline_kernelINS0_14default_configENS1_22reduce_config_selectorIbEEZNS1_11reduce_implILb1ES3_N6hipcub16HIPCUB_304000_NS22TransformInputIteratorIbN2at6native12_GLOBAL__N_19NonZeroOpIN3c107complexINSE_4HalfEEEEEPKSH_lEEPiiNS8_6detail34convert_binary_result_type_wrapperINS8_3SumESL_iEEEE10hipError_tPvRmT1_T2_T3_mT4_P12ihipStream_tbEUlT_E0_NS1_11comp_targetILNS1_3genE3ELNS1_11target_archE908ELNS1_3gpuE7ELNS1_3repE0EEENS1_30default_config_static_selectorELNS0_4arch9wavefront6targetE0EEEvSU_,"axG",@progbits,_ZN7rocprim17ROCPRIM_400000_NS6detail17trampoline_kernelINS0_14default_configENS1_22reduce_config_selectorIbEEZNS1_11reduce_implILb1ES3_N6hipcub16HIPCUB_304000_NS22TransformInputIteratorIbN2at6native12_GLOBAL__N_19NonZeroOpIN3c107complexINSE_4HalfEEEEEPKSH_lEEPiiNS8_6detail34convert_binary_result_type_wrapperINS8_3SumESL_iEEEE10hipError_tPvRmT1_T2_T3_mT4_P12ihipStream_tbEUlT_E0_NS1_11comp_targetILNS1_3genE3ELNS1_11target_archE908ELNS1_3gpuE7ELNS1_3repE0EEENS1_30default_config_static_selectorELNS0_4arch9wavefront6targetE0EEEvSU_,comdat
	.globl	_ZN7rocprim17ROCPRIM_400000_NS6detail17trampoline_kernelINS0_14default_configENS1_22reduce_config_selectorIbEEZNS1_11reduce_implILb1ES3_N6hipcub16HIPCUB_304000_NS22TransformInputIteratorIbN2at6native12_GLOBAL__N_19NonZeroOpIN3c107complexINSE_4HalfEEEEEPKSH_lEEPiiNS8_6detail34convert_binary_result_type_wrapperINS8_3SumESL_iEEEE10hipError_tPvRmT1_T2_T3_mT4_P12ihipStream_tbEUlT_E0_NS1_11comp_targetILNS1_3genE3ELNS1_11target_archE908ELNS1_3gpuE7ELNS1_3repE0EEENS1_30default_config_static_selectorELNS0_4arch9wavefront6targetE0EEEvSU_ ; -- Begin function _ZN7rocprim17ROCPRIM_400000_NS6detail17trampoline_kernelINS0_14default_configENS1_22reduce_config_selectorIbEEZNS1_11reduce_implILb1ES3_N6hipcub16HIPCUB_304000_NS22TransformInputIteratorIbN2at6native12_GLOBAL__N_19NonZeroOpIN3c107complexINSE_4HalfEEEEEPKSH_lEEPiiNS8_6detail34convert_binary_result_type_wrapperINS8_3SumESL_iEEEE10hipError_tPvRmT1_T2_T3_mT4_P12ihipStream_tbEUlT_E0_NS1_11comp_targetILNS1_3genE3ELNS1_11target_archE908ELNS1_3gpuE7ELNS1_3repE0EEENS1_30default_config_static_selectorELNS0_4arch9wavefront6targetE0EEEvSU_
	.p2align	8
	.type	_ZN7rocprim17ROCPRIM_400000_NS6detail17trampoline_kernelINS0_14default_configENS1_22reduce_config_selectorIbEEZNS1_11reduce_implILb1ES3_N6hipcub16HIPCUB_304000_NS22TransformInputIteratorIbN2at6native12_GLOBAL__N_19NonZeroOpIN3c107complexINSE_4HalfEEEEEPKSH_lEEPiiNS8_6detail34convert_binary_result_type_wrapperINS8_3SumESL_iEEEE10hipError_tPvRmT1_T2_T3_mT4_P12ihipStream_tbEUlT_E0_NS1_11comp_targetILNS1_3genE3ELNS1_11target_archE908ELNS1_3gpuE7ELNS1_3repE0EEENS1_30default_config_static_selectorELNS0_4arch9wavefront6targetE0EEEvSU_,@function
_ZN7rocprim17ROCPRIM_400000_NS6detail17trampoline_kernelINS0_14default_configENS1_22reduce_config_selectorIbEEZNS1_11reduce_implILb1ES3_N6hipcub16HIPCUB_304000_NS22TransformInputIteratorIbN2at6native12_GLOBAL__N_19NonZeroOpIN3c107complexINSE_4HalfEEEEEPKSH_lEEPiiNS8_6detail34convert_binary_result_type_wrapperINS8_3SumESL_iEEEE10hipError_tPvRmT1_T2_T3_mT4_P12ihipStream_tbEUlT_E0_NS1_11comp_targetILNS1_3genE3ELNS1_11target_archE908ELNS1_3gpuE7ELNS1_3repE0EEENS1_30default_config_static_selectorELNS0_4arch9wavefront6targetE0EEEvSU_: ; @_ZN7rocprim17ROCPRIM_400000_NS6detail17trampoline_kernelINS0_14default_configENS1_22reduce_config_selectorIbEEZNS1_11reduce_implILb1ES3_N6hipcub16HIPCUB_304000_NS22TransformInputIteratorIbN2at6native12_GLOBAL__N_19NonZeroOpIN3c107complexINSE_4HalfEEEEEPKSH_lEEPiiNS8_6detail34convert_binary_result_type_wrapperINS8_3SumESL_iEEEE10hipError_tPvRmT1_T2_T3_mT4_P12ihipStream_tbEUlT_E0_NS1_11comp_targetILNS1_3genE3ELNS1_11target_archE908ELNS1_3gpuE7ELNS1_3repE0EEENS1_30default_config_static_selectorELNS0_4arch9wavefront6targetE0EEEvSU_
; %bb.0:
	.section	.rodata,"a",@progbits
	.p2align	6, 0x0
	.amdhsa_kernel _ZN7rocprim17ROCPRIM_400000_NS6detail17trampoline_kernelINS0_14default_configENS1_22reduce_config_selectorIbEEZNS1_11reduce_implILb1ES3_N6hipcub16HIPCUB_304000_NS22TransformInputIteratorIbN2at6native12_GLOBAL__N_19NonZeroOpIN3c107complexINSE_4HalfEEEEEPKSH_lEEPiiNS8_6detail34convert_binary_result_type_wrapperINS8_3SumESL_iEEEE10hipError_tPvRmT1_T2_T3_mT4_P12ihipStream_tbEUlT_E0_NS1_11comp_targetILNS1_3genE3ELNS1_11target_archE908ELNS1_3gpuE7ELNS1_3repE0EEENS1_30default_config_static_selectorELNS0_4arch9wavefront6targetE0EEEvSU_
		.amdhsa_group_segment_fixed_size 0
		.amdhsa_private_segment_fixed_size 0
		.amdhsa_kernarg_size 64
		.amdhsa_user_sgpr_count 2
		.amdhsa_user_sgpr_dispatch_ptr 0
		.amdhsa_user_sgpr_queue_ptr 0
		.amdhsa_user_sgpr_kernarg_segment_ptr 1
		.amdhsa_user_sgpr_dispatch_id 0
		.amdhsa_user_sgpr_private_segment_size 0
		.amdhsa_wavefront_size32 1
		.amdhsa_uses_dynamic_stack 0
		.amdhsa_enable_private_segment 0
		.amdhsa_system_sgpr_workgroup_id_x 1
		.amdhsa_system_sgpr_workgroup_id_y 0
		.amdhsa_system_sgpr_workgroup_id_z 0
		.amdhsa_system_sgpr_workgroup_info 0
		.amdhsa_system_vgpr_workitem_id 0
		.amdhsa_next_free_vgpr 1
		.amdhsa_next_free_sgpr 1
		.amdhsa_reserve_vcc 0
		.amdhsa_float_round_mode_32 0
		.amdhsa_float_round_mode_16_64 0
		.amdhsa_float_denorm_mode_32 3
		.amdhsa_float_denorm_mode_16_64 3
		.amdhsa_fp16_overflow 0
		.amdhsa_workgroup_processor_mode 1
		.amdhsa_memory_ordered 1
		.amdhsa_forward_progress 1
		.amdhsa_inst_pref_size 0
		.amdhsa_round_robin_scheduling 0
		.amdhsa_exception_fp_ieee_invalid_op 0
		.amdhsa_exception_fp_denorm_src 0
		.amdhsa_exception_fp_ieee_div_zero 0
		.amdhsa_exception_fp_ieee_overflow 0
		.amdhsa_exception_fp_ieee_underflow 0
		.amdhsa_exception_fp_ieee_inexact 0
		.amdhsa_exception_int_div_zero 0
	.end_amdhsa_kernel
	.section	.text._ZN7rocprim17ROCPRIM_400000_NS6detail17trampoline_kernelINS0_14default_configENS1_22reduce_config_selectorIbEEZNS1_11reduce_implILb1ES3_N6hipcub16HIPCUB_304000_NS22TransformInputIteratorIbN2at6native12_GLOBAL__N_19NonZeroOpIN3c107complexINSE_4HalfEEEEEPKSH_lEEPiiNS8_6detail34convert_binary_result_type_wrapperINS8_3SumESL_iEEEE10hipError_tPvRmT1_T2_T3_mT4_P12ihipStream_tbEUlT_E0_NS1_11comp_targetILNS1_3genE3ELNS1_11target_archE908ELNS1_3gpuE7ELNS1_3repE0EEENS1_30default_config_static_selectorELNS0_4arch9wavefront6targetE0EEEvSU_,"axG",@progbits,_ZN7rocprim17ROCPRIM_400000_NS6detail17trampoline_kernelINS0_14default_configENS1_22reduce_config_selectorIbEEZNS1_11reduce_implILb1ES3_N6hipcub16HIPCUB_304000_NS22TransformInputIteratorIbN2at6native12_GLOBAL__N_19NonZeroOpIN3c107complexINSE_4HalfEEEEEPKSH_lEEPiiNS8_6detail34convert_binary_result_type_wrapperINS8_3SumESL_iEEEE10hipError_tPvRmT1_T2_T3_mT4_P12ihipStream_tbEUlT_E0_NS1_11comp_targetILNS1_3genE3ELNS1_11target_archE908ELNS1_3gpuE7ELNS1_3repE0EEENS1_30default_config_static_selectorELNS0_4arch9wavefront6targetE0EEEvSU_,comdat
.Lfunc_end647:
	.size	_ZN7rocprim17ROCPRIM_400000_NS6detail17trampoline_kernelINS0_14default_configENS1_22reduce_config_selectorIbEEZNS1_11reduce_implILb1ES3_N6hipcub16HIPCUB_304000_NS22TransformInputIteratorIbN2at6native12_GLOBAL__N_19NonZeroOpIN3c107complexINSE_4HalfEEEEEPKSH_lEEPiiNS8_6detail34convert_binary_result_type_wrapperINS8_3SumESL_iEEEE10hipError_tPvRmT1_T2_T3_mT4_P12ihipStream_tbEUlT_E0_NS1_11comp_targetILNS1_3genE3ELNS1_11target_archE908ELNS1_3gpuE7ELNS1_3repE0EEENS1_30default_config_static_selectorELNS0_4arch9wavefront6targetE0EEEvSU_, .Lfunc_end647-_ZN7rocprim17ROCPRIM_400000_NS6detail17trampoline_kernelINS0_14default_configENS1_22reduce_config_selectorIbEEZNS1_11reduce_implILb1ES3_N6hipcub16HIPCUB_304000_NS22TransformInputIteratorIbN2at6native12_GLOBAL__N_19NonZeroOpIN3c107complexINSE_4HalfEEEEEPKSH_lEEPiiNS8_6detail34convert_binary_result_type_wrapperINS8_3SumESL_iEEEE10hipError_tPvRmT1_T2_T3_mT4_P12ihipStream_tbEUlT_E0_NS1_11comp_targetILNS1_3genE3ELNS1_11target_archE908ELNS1_3gpuE7ELNS1_3repE0EEENS1_30default_config_static_selectorELNS0_4arch9wavefront6targetE0EEEvSU_
                                        ; -- End function
	.set _ZN7rocprim17ROCPRIM_400000_NS6detail17trampoline_kernelINS0_14default_configENS1_22reduce_config_selectorIbEEZNS1_11reduce_implILb1ES3_N6hipcub16HIPCUB_304000_NS22TransformInputIteratorIbN2at6native12_GLOBAL__N_19NonZeroOpIN3c107complexINSE_4HalfEEEEEPKSH_lEEPiiNS8_6detail34convert_binary_result_type_wrapperINS8_3SumESL_iEEEE10hipError_tPvRmT1_T2_T3_mT4_P12ihipStream_tbEUlT_E0_NS1_11comp_targetILNS1_3genE3ELNS1_11target_archE908ELNS1_3gpuE7ELNS1_3repE0EEENS1_30default_config_static_selectorELNS0_4arch9wavefront6targetE0EEEvSU_.num_vgpr, 0
	.set _ZN7rocprim17ROCPRIM_400000_NS6detail17trampoline_kernelINS0_14default_configENS1_22reduce_config_selectorIbEEZNS1_11reduce_implILb1ES3_N6hipcub16HIPCUB_304000_NS22TransformInputIteratorIbN2at6native12_GLOBAL__N_19NonZeroOpIN3c107complexINSE_4HalfEEEEEPKSH_lEEPiiNS8_6detail34convert_binary_result_type_wrapperINS8_3SumESL_iEEEE10hipError_tPvRmT1_T2_T3_mT4_P12ihipStream_tbEUlT_E0_NS1_11comp_targetILNS1_3genE3ELNS1_11target_archE908ELNS1_3gpuE7ELNS1_3repE0EEENS1_30default_config_static_selectorELNS0_4arch9wavefront6targetE0EEEvSU_.num_agpr, 0
	.set _ZN7rocprim17ROCPRIM_400000_NS6detail17trampoline_kernelINS0_14default_configENS1_22reduce_config_selectorIbEEZNS1_11reduce_implILb1ES3_N6hipcub16HIPCUB_304000_NS22TransformInputIteratorIbN2at6native12_GLOBAL__N_19NonZeroOpIN3c107complexINSE_4HalfEEEEEPKSH_lEEPiiNS8_6detail34convert_binary_result_type_wrapperINS8_3SumESL_iEEEE10hipError_tPvRmT1_T2_T3_mT4_P12ihipStream_tbEUlT_E0_NS1_11comp_targetILNS1_3genE3ELNS1_11target_archE908ELNS1_3gpuE7ELNS1_3repE0EEENS1_30default_config_static_selectorELNS0_4arch9wavefront6targetE0EEEvSU_.numbered_sgpr, 0
	.set _ZN7rocprim17ROCPRIM_400000_NS6detail17trampoline_kernelINS0_14default_configENS1_22reduce_config_selectorIbEEZNS1_11reduce_implILb1ES3_N6hipcub16HIPCUB_304000_NS22TransformInputIteratorIbN2at6native12_GLOBAL__N_19NonZeroOpIN3c107complexINSE_4HalfEEEEEPKSH_lEEPiiNS8_6detail34convert_binary_result_type_wrapperINS8_3SumESL_iEEEE10hipError_tPvRmT1_T2_T3_mT4_P12ihipStream_tbEUlT_E0_NS1_11comp_targetILNS1_3genE3ELNS1_11target_archE908ELNS1_3gpuE7ELNS1_3repE0EEENS1_30default_config_static_selectorELNS0_4arch9wavefront6targetE0EEEvSU_.num_named_barrier, 0
	.set _ZN7rocprim17ROCPRIM_400000_NS6detail17trampoline_kernelINS0_14default_configENS1_22reduce_config_selectorIbEEZNS1_11reduce_implILb1ES3_N6hipcub16HIPCUB_304000_NS22TransformInputIteratorIbN2at6native12_GLOBAL__N_19NonZeroOpIN3c107complexINSE_4HalfEEEEEPKSH_lEEPiiNS8_6detail34convert_binary_result_type_wrapperINS8_3SumESL_iEEEE10hipError_tPvRmT1_T2_T3_mT4_P12ihipStream_tbEUlT_E0_NS1_11comp_targetILNS1_3genE3ELNS1_11target_archE908ELNS1_3gpuE7ELNS1_3repE0EEENS1_30default_config_static_selectorELNS0_4arch9wavefront6targetE0EEEvSU_.private_seg_size, 0
	.set _ZN7rocprim17ROCPRIM_400000_NS6detail17trampoline_kernelINS0_14default_configENS1_22reduce_config_selectorIbEEZNS1_11reduce_implILb1ES3_N6hipcub16HIPCUB_304000_NS22TransformInputIteratorIbN2at6native12_GLOBAL__N_19NonZeroOpIN3c107complexINSE_4HalfEEEEEPKSH_lEEPiiNS8_6detail34convert_binary_result_type_wrapperINS8_3SumESL_iEEEE10hipError_tPvRmT1_T2_T3_mT4_P12ihipStream_tbEUlT_E0_NS1_11comp_targetILNS1_3genE3ELNS1_11target_archE908ELNS1_3gpuE7ELNS1_3repE0EEENS1_30default_config_static_selectorELNS0_4arch9wavefront6targetE0EEEvSU_.uses_vcc, 0
	.set _ZN7rocprim17ROCPRIM_400000_NS6detail17trampoline_kernelINS0_14default_configENS1_22reduce_config_selectorIbEEZNS1_11reduce_implILb1ES3_N6hipcub16HIPCUB_304000_NS22TransformInputIteratorIbN2at6native12_GLOBAL__N_19NonZeroOpIN3c107complexINSE_4HalfEEEEEPKSH_lEEPiiNS8_6detail34convert_binary_result_type_wrapperINS8_3SumESL_iEEEE10hipError_tPvRmT1_T2_T3_mT4_P12ihipStream_tbEUlT_E0_NS1_11comp_targetILNS1_3genE3ELNS1_11target_archE908ELNS1_3gpuE7ELNS1_3repE0EEENS1_30default_config_static_selectorELNS0_4arch9wavefront6targetE0EEEvSU_.uses_flat_scratch, 0
	.set _ZN7rocprim17ROCPRIM_400000_NS6detail17trampoline_kernelINS0_14default_configENS1_22reduce_config_selectorIbEEZNS1_11reduce_implILb1ES3_N6hipcub16HIPCUB_304000_NS22TransformInputIteratorIbN2at6native12_GLOBAL__N_19NonZeroOpIN3c107complexINSE_4HalfEEEEEPKSH_lEEPiiNS8_6detail34convert_binary_result_type_wrapperINS8_3SumESL_iEEEE10hipError_tPvRmT1_T2_T3_mT4_P12ihipStream_tbEUlT_E0_NS1_11comp_targetILNS1_3genE3ELNS1_11target_archE908ELNS1_3gpuE7ELNS1_3repE0EEENS1_30default_config_static_selectorELNS0_4arch9wavefront6targetE0EEEvSU_.has_dyn_sized_stack, 0
	.set _ZN7rocprim17ROCPRIM_400000_NS6detail17trampoline_kernelINS0_14default_configENS1_22reduce_config_selectorIbEEZNS1_11reduce_implILb1ES3_N6hipcub16HIPCUB_304000_NS22TransformInputIteratorIbN2at6native12_GLOBAL__N_19NonZeroOpIN3c107complexINSE_4HalfEEEEEPKSH_lEEPiiNS8_6detail34convert_binary_result_type_wrapperINS8_3SumESL_iEEEE10hipError_tPvRmT1_T2_T3_mT4_P12ihipStream_tbEUlT_E0_NS1_11comp_targetILNS1_3genE3ELNS1_11target_archE908ELNS1_3gpuE7ELNS1_3repE0EEENS1_30default_config_static_selectorELNS0_4arch9wavefront6targetE0EEEvSU_.has_recursion, 0
	.set _ZN7rocprim17ROCPRIM_400000_NS6detail17trampoline_kernelINS0_14default_configENS1_22reduce_config_selectorIbEEZNS1_11reduce_implILb1ES3_N6hipcub16HIPCUB_304000_NS22TransformInputIteratorIbN2at6native12_GLOBAL__N_19NonZeroOpIN3c107complexINSE_4HalfEEEEEPKSH_lEEPiiNS8_6detail34convert_binary_result_type_wrapperINS8_3SumESL_iEEEE10hipError_tPvRmT1_T2_T3_mT4_P12ihipStream_tbEUlT_E0_NS1_11comp_targetILNS1_3genE3ELNS1_11target_archE908ELNS1_3gpuE7ELNS1_3repE0EEENS1_30default_config_static_selectorELNS0_4arch9wavefront6targetE0EEEvSU_.has_indirect_call, 0
	.section	.AMDGPU.csdata,"",@progbits
; Kernel info:
; codeLenInByte = 0
; TotalNumSgprs: 0
; NumVgprs: 0
; ScratchSize: 0
; MemoryBound: 0
; FloatMode: 240
; IeeeMode: 1
; LDSByteSize: 0 bytes/workgroup (compile time only)
; SGPRBlocks: 0
; VGPRBlocks: 0
; NumSGPRsForWavesPerEU: 1
; NumVGPRsForWavesPerEU: 1
; Occupancy: 16
; WaveLimiterHint : 0
; COMPUTE_PGM_RSRC2:SCRATCH_EN: 0
; COMPUTE_PGM_RSRC2:USER_SGPR: 2
; COMPUTE_PGM_RSRC2:TRAP_HANDLER: 0
; COMPUTE_PGM_RSRC2:TGID_X_EN: 1
; COMPUTE_PGM_RSRC2:TGID_Y_EN: 0
; COMPUTE_PGM_RSRC2:TGID_Z_EN: 0
; COMPUTE_PGM_RSRC2:TIDIG_COMP_CNT: 0
	.section	.text._ZN7rocprim17ROCPRIM_400000_NS6detail17trampoline_kernelINS0_14default_configENS1_22reduce_config_selectorIbEEZNS1_11reduce_implILb1ES3_N6hipcub16HIPCUB_304000_NS22TransformInputIteratorIbN2at6native12_GLOBAL__N_19NonZeroOpIN3c107complexINSE_4HalfEEEEEPKSH_lEEPiiNS8_6detail34convert_binary_result_type_wrapperINS8_3SumESL_iEEEE10hipError_tPvRmT1_T2_T3_mT4_P12ihipStream_tbEUlT_E0_NS1_11comp_targetILNS1_3genE2ELNS1_11target_archE906ELNS1_3gpuE6ELNS1_3repE0EEENS1_30default_config_static_selectorELNS0_4arch9wavefront6targetE0EEEvSU_,"axG",@progbits,_ZN7rocprim17ROCPRIM_400000_NS6detail17trampoline_kernelINS0_14default_configENS1_22reduce_config_selectorIbEEZNS1_11reduce_implILb1ES3_N6hipcub16HIPCUB_304000_NS22TransformInputIteratorIbN2at6native12_GLOBAL__N_19NonZeroOpIN3c107complexINSE_4HalfEEEEEPKSH_lEEPiiNS8_6detail34convert_binary_result_type_wrapperINS8_3SumESL_iEEEE10hipError_tPvRmT1_T2_T3_mT4_P12ihipStream_tbEUlT_E0_NS1_11comp_targetILNS1_3genE2ELNS1_11target_archE906ELNS1_3gpuE6ELNS1_3repE0EEENS1_30default_config_static_selectorELNS0_4arch9wavefront6targetE0EEEvSU_,comdat
	.globl	_ZN7rocprim17ROCPRIM_400000_NS6detail17trampoline_kernelINS0_14default_configENS1_22reduce_config_selectorIbEEZNS1_11reduce_implILb1ES3_N6hipcub16HIPCUB_304000_NS22TransformInputIteratorIbN2at6native12_GLOBAL__N_19NonZeroOpIN3c107complexINSE_4HalfEEEEEPKSH_lEEPiiNS8_6detail34convert_binary_result_type_wrapperINS8_3SumESL_iEEEE10hipError_tPvRmT1_T2_T3_mT4_P12ihipStream_tbEUlT_E0_NS1_11comp_targetILNS1_3genE2ELNS1_11target_archE906ELNS1_3gpuE6ELNS1_3repE0EEENS1_30default_config_static_selectorELNS0_4arch9wavefront6targetE0EEEvSU_ ; -- Begin function _ZN7rocprim17ROCPRIM_400000_NS6detail17trampoline_kernelINS0_14default_configENS1_22reduce_config_selectorIbEEZNS1_11reduce_implILb1ES3_N6hipcub16HIPCUB_304000_NS22TransformInputIteratorIbN2at6native12_GLOBAL__N_19NonZeroOpIN3c107complexINSE_4HalfEEEEEPKSH_lEEPiiNS8_6detail34convert_binary_result_type_wrapperINS8_3SumESL_iEEEE10hipError_tPvRmT1_T2_T3_mT4_P12ihipStream_tbEUlT_E0_NS1_11comp_targetILNS1_3genE2ELNS1_11target_archE906ELNS1_3gpuE6ELNS1_3repE0EEENS1_30default_config_static_selectorELNS0_4arch9wavefront6targetE0EEEvSU_
	.p2align	8
	.type	_ZN7rocprim17ROCPRIM_400000_NS6detail17trampoline_kernelINS0_14default_configENS1_22reduce_config_selectorIbEEZNS1_11reduce_implILb1ES3_N6hipcub16HIPCUB_304000_NS22TransformInputIteratorIbN2at6native12_GLOBAL__N_19NonZeroOpIN3c107complexINSE_4HalfEEEEEPKSH_lEEPiiNS8_6detail34convert_binary_result_type_wrapperINS8_3SumESL_iEEEE10hipError_tPvRmT1_T2_T3_mT4_P12ihipStream_tbEUlT_E0_NS1_11comp_targetILNS1_3genE2ELNS1_11target_archE906ELNS1_3gpuE6ELNS1_3repE0EEENS1_30default_config_static_selectorELNS0_4arch9wavefront6targetE0EEEvSU_,@function
_ZN7rocprim17ROCPRIM_400000_NS6detail17trampoline_kernelINS0_14default_configENS1_22reduce_config_selectorIbEEZNS1_11reduce_implILb1ES3_N6hipcub16HIPCUB_304000_NS22TransformInputIteratorIbN2at6native12_GLOBAL__N_19NonZeroOpIN3c107complexINSE_4HalfEEEEEPKSH_lEEPiiNS8_6detail34convert_binary_result_type_wrapperINS8_3SumESL_iEEEE10hipError_tPvRmT1_T2_T3_mT4_P12ihipStream_tbEUlT_E0_NS1_11comp_targetILNS1_3genE2ELNS1_11target_archE906ELNS1_3gpuE6ELNS1_3repE0EEENS1_30default_config_static_selectorELNS0_4arch9wavefront6targetE0EEEvSU_: ; @_ZN7rocprim17ROCPRIM_400000_NS6detail17trampoline_kernelINS0_14default_configENS1_22reduce_config_selectorIbEEZNS1_11reduce_implILb1ES3_N6hipcub16HIPCUB_304000_NS22TransformInputIteratorIbN2at6native12_GLOBAL__N_19NonZeroOpIN3c107complexINSE_4HalfEEEEEPKSH_lEEPiiNS8_6detail34convert_binary_result_type_wrapperINS8_3SumESL_iEEEE10hipError_tPvRmT1_T2_T3_mT4_P12ihipStream_tbEUlT_E0_NS1_11comp_targetILNS1_3genE2ELNS1_11target_archE906ELNS1_3gpuE6ELNS1_3repE0EEENS1_30default_config_static_selectorELNS0_4arch9wavefront6targetE0EEEvSU_
; %bb.0:
	.section	.rodata,"a",@progbits
	.p2align	6, 0x0
	.amdhsa_kernel _ZN7rocprim17ROCPRIM_400000_NS6detail17trampoline_kernelINS0_14default_configENS1_22reduce_config_selectorIbEEZNS1_11reduce_implILb1ES3_N6hipcub16HIPCUB_304000_NS22TransformInputIteratorIbN2at6native12_GLOBAL__N_19NonZeroOpIN3c107complexINSE_4HalfEEEEEPKSH_lEEPiiNS8_6detail34convert_binary_result_type_wrapperINS8_3SumESL_iEEEE10hipError_tPvRmT1_T2_T3_mT4_P12ihipStream_tbEUlT_E0_NS1_11comp_targetILNS1_3genE2ELNS1_11target_archE906ELNS1_3gpuE6ELNS1_3repE0EEENS1_30default_config_static_selectorELNS0_4arch9wavefront6targetE0EEEvSU_
		.amdhsa_group_segment_fixed_size 0
		.amdhsa_private_segment_fixed_size 0
		.amdhsa_kernarg_size 64
		.amdhsa_user_sgpr_count 2
		.amdhsa_user_sgpr_dispatch_ptr 0
		.amdhsa_user_sgpr_queue_ptr 0
		.amdhsa_user_sgpr_kernarg_segment_ptr 1
		.amdhsa_user_sgpr_dispatch_id 0
		.amdhsa_user_sgpr_private_segment_size 0
		.amdhsa_wavefront_size32 1
		.amdhsa_uses_dynamic_stack 0
		.amdhsa_enable_private_segment 0
		.amdhsa_system_sgpr_workgroup_id_x 1
		.amdhsa_system_sgpr_workgroup_id_y 0
		.amdhsa_system_sgpr_workgroup_id_z 0
		.amdhsa_system_sgpr_workgroup_info 0
		.amdhsa_system_vgpr_workitem_id 0
		.amdhsa_next_free_vgpr 1
		.amdhsa_next_free_sgpr 1
		.amdhsa_reserve_vcc 0
		.amdhsa_float_round_mode_32 0
		.amdhsa_float_round_mode_16_64 0
		.amdhsa_float_denorm_mode_32 3
		.amdhsa_float_denorm_mode_16_64 3
		.amdhsa_fp16_overflow 0
		.amdhsa_workgroup_processor_mode 1
		.amdhsa_memory_ordered 1
		.amdhsa_forward_progress 1
		.amdhsa_inst_pref_size 0
		.amdhsa_round_robin_scheduling 0
		.amdhsa_exception_fp_ieee_invalid_op 0
		.amdhsa_exception_fp_denorm_src 0
		.amdhsa_exception_fp_ieee_div_zero 0
		.amdhsa_exception_fp_ieee_overflow 0
		.amdhsa_exception_fp_ieee_underflow 0
		.amdhsa_exception_fp_ieee_inexact 0
		.amdhsa_exception_int_div_zero 0
	.end_amdhsa_kernel
	.section	.text._ZN7rocprim17ROCPRIM_400000_NS6detail17trampoline_kernelINS0_14default_configENS1_22reduce_config_selectorIbEEZNS1_11reduce_implILb1ES3_N6hipcub16HIPCUB_304000_NS22TransformInputIteratorIbN2at6native12_GLOBAL__N_19NonZeroOpIN3c107complexINSE_4HalfEEEEEPKSH_lEEPiiNS8_6detail34convert_binary_result_type_wrapperINS8_3SumESL_iEEEE10hipError_tPvRmT1_T2_T3_mT4_P12ihipStream_tbEUlT_E0_NS1_11comp_targetILNS1_3genE2ELNS1_11target_archE906ELNS1_3gpuE6ELNS1_3repE0EEENS1_30default_config_static_selectorELNS0_4arch9wavefront6targetE0EEEvSU_,"axG",@progbits,_ZN7rocprim17ROCPRIM_400000_NS6detail17trampoline_kernelINS0_14default_configENS1_22reduce_config_selectorIbEEZNS1_11reduce_implILb1ES3_N6hipcub16HIPCUB_304000_NS22TransformInputIteratorIbN2at6native12_GLOBAL__N_19NonZeroOpIN3c107complexINSE_4HalfEEEEEPKSH_lEEPiiNS8_6detail34convert_binary_result_type_wrapperINS8_3SumESL_iEEEE10hipError_tPvRmT1_T2_T3_mT4_P12ihipStream_tbEUlT_E0_NS1_11comp_targetILNS1_3genE2ELNS1_11target_archE906ELNS1_3gpuE6ELNS1_3repE0EEENS1_30default_config_static_selectorELNS0_4arch9wavefront6targetE0EEEvSU_,comdat
.Lfunc_end648:
	.size	_ZN7rocprim17ROCPRIM_400000_NS6detail17trampoline_kernelINS0_14default_configENS1_22reduce_config_selectorIbEEZNS1_11reduce_implILb1ES3_N6hipcub16HIPCUB_304000_NS22TransformInputIteratorIbN2at6native12_GLOBAL__N_19NonZeroOpIN3c107complexINSE_4HalfEEEEEPKSH_lEEPiiNS8_6detail34convert_binary_result_type_wrapperINS8_3SumESL_iEEEE10hipError_tPvRmT1_T2_T3_mT4_P12ihipStream_tbEUlT_E0_NS1_11comp_targetILNS1_3genE2ELNS1_11target_archE906ELNS1_3gpuE6ELNS1_3repE0EEENS1_30default_config_static_selectorELNS0_4arch9wavefront6targetE0EEEvSU_, .Lfunc_end648-_ZN7rocprim17ROCPRIM_400000_NS6detail17trampoline_kernelINS0_14default_configENS1_22reduce_config_selectorIbEEZNS1_11reduce_implILb1ES3_N6hipcub16HIPCUB_304000_NS22TransformInputIteratorIbN2at6native12_GLOBAL__N_19NonZeroOpIN3c107complexINSE_4HalfEEEEEPKSH_lEEPiiNS8_6detail34convert_binary_result_type_wrapperINS8_3SumESL_iEEEE10hipError_tPvRmT1_T2_T3_mT4_P12ihipStream_tbEUlT_E0_NS1_11comp_targetILNS1_3genE2ELNS1_11target_archE906ELNS1_3gpuE6ELNS1_3repE0EEENS1_30default_config_static_selectorELNS0_4arch9wavefront6targetE0EEEvSU_
                                        ; -- End function
	.set _ZN7rocprim17ROCPRIM_400000_NS6detail17trampoline_kernelINS0_14default_configENS1_22reduce_config_selectorIbEEZNS1_11reduce_implILb1ES3_N6hipcub16HIPCUB_304000_NS22TransformInputIteratorIbN2at6native12_GLOBAL__N_19NonZeroOpIN3c107complexINSE_4HalfEEEEEPKSH_lEEPiiNS8_6detail34convert_binary_result_type_wrapperINS8_3SumESL_iEEEE10hipError_tPvRmT1_T2_T3_mT4_P12ihipStream_tbEUlT_E0_NS1_11comp_targetILNS1_3genE2ELNS1_11target_archE906ELNS1_3gpuE6ELNS1_3repE0EEENS1_30default_config_static_selectorELNS0_4arch9wavefront6targetE0EEEvSU_.num_vgpr, 0
	.set _ZN7rocprim17ROCPRIM_400000_NS6detail17trampoline_kernelINS0_14default_configENS1_22reduce_config_selectorIbEEZNS1_11reduce_implILb1ES3_N6hipcub16HIPCUB_304000_NS22TransformInputIteratorIbN2at6native12_GLOBAL__N_19NonZeroOpIN3c107complexINSE_4HalfEEEEEPKSH_lEEPiiNS8_6detail34convert_binary_result_type_wrapperINS8_3SumESL_iEEEE10hipError_tPvRmT1_T2_T3_mT4_P12ihipStream_tbEUlT_E0_NS1_11comp_targetILNS1_3genE2ELNS1_11target_archE906ELNS1_3gpuE6ELNS1_3repE0EEENS1_30default_config_static_selectorELNS0_4arch9wavefront6targetE0EEEvSU_.num_agpr, 0
	.set _ZN7rocprim17ROCPRIM_400000_NS6detail17trampoline_kernelINS0_14default_configENS1_22reduce_config_selectorIbEEZNS1_11reduce_implILb1ES3_N6hipcub16HIPCUB_304000_NS22TransformInputIteratorIbN2at6native12_GLOBAL__N_19NonZeroOpIN3c107complexINSE_4HalfEEEEEPKSH_lEEPiiNS8_6detail34convert_binary_result_type_wrapperINS8_3SumESL_iEEEE10hipError_tPvRmT1_T2_T3_mT4_P12ihipStream_tbEUlT_E0_NS1_11comp_targetILNS1_3genE2ELNS1_11target_archE906ELNS1_3gpuE6ELNS1_3repE0EEENS1_30default_config_static_selectorELNS0_4arch9wavefront6targetE0EEEvSU_.numbered_sgpr, 0
	.set _ZN7rocprim17ROCPRIM_400000_NS6detail17trampoline_kernelINS0_14default_configENS1_22reduce_config_selectorIbEEZNS1_11reduce_implILb1ES3_N6hipcub16HIPCUB_304000_NS22TransformInputIteratorIbN2at6native12_GLOBAL__N_19NonZeroOpIN3c107complexINSE_4HalfEEEEEPKSH_lEEPiiNS8_6detail34convert_binary_result_type_wrapperINS8_3SumESL_iEEEE10hipError_tPvRmT1_T2_T3_mT4_P12ihipStream_tbEUlT_E0_NS1_11comp_targetILNS1_3genE2ELNS1_11target_archE906ELNS1_3gpuE6ELNS1_3repE0EEENS1_30default_config_static_selectorELNS0_4arch9wavefront6targetE0EEEvSU_.num_named_barrier, 0
	.set _ZN7rocprim17ROCPRIM_400000_NS6detail17trampoline_kernelINS0_14default_configENS1_22reduce_config_selectorIbEEZNS1_11reduce_implILb1ES3_N6hipcub16HIPCUB_304000_NS22TransformInputIteratorIbN2at6native12_GLOBAL__N_19NonZeroOpIN3c107complexINSE_4HalfEEEEEPKSH_lEEPiiNS8_6detail34convert_binary_result_type_wrapperINS8_3SumESL_iEEEE10hipError_tPvRmT1_T2_T3_mT4_P12ihipStream_tbEUlT_E0_NS1_11comp_targetILNS1_3genE2ELNS1_11target_archE906ELNS1_3gpuE6ELNS1_3repE0EEENS1_30default_config_static_selectorELNS0_4arch9wavefront6targetE0EEEvSU_.private_seg_size, 0
	.set _ZN7rocprim17ROCPRIM_400000_NS6detail17trampoline_kernelINS0_14default_configENS1_22reduce_config_selectorIbEEZNS1_11reduce_implILb1ES3_N6hipcub16HIPCUB_304000_NS22TransformInputIteratorIbN2at6native12_GLOBAL__N_19NonZeroOpIN3c107complexINSE_4HalfEEEEEPKSH_lEEPiiNS8_6detail34convert_binary_result_type_wrapperINS8_3SumESL_iEEEE10hipError_tPvRmT1_T2_T3_mT4_P12ihipStream_tbEUlT_E0_NS1_11comp_targetILNS1_3genE2ELNS1_11target_archE906ELNS1_3gpuE6ELNS1_3repE0EEENS1_30default_config_static_selectorELNS0_4arch9wavefront6targetE0EEEvSU_.uses_vcc, 0
	.set _ZN7rocprim17ROCPRIM_400000_NS6detail17trampoline_kernelINS0_14default_configENS1_22reduce_config_selectorIbEEZNS1_11reduce_implILb1ES3_N6hipcub16HIPCUB_304000_NS22TransformInputIteratorIbN2at6native12_GLOBAL__N_19NonZeroOpIN3c107complexINSE_4HalfEEEEEPKSH_lEEPiiNS8_6detail34convert_binary_result_type_wrapperINS8_3SumESL_iEEEE10hipError_tPvRmT1_T2_T3_mT4_P12ihipStream_tbEUlT_E0_NS1_11comp_targetILNS1_3genE2ELNS1_11target_archE906ELNS1_3gpuE6ELNS1_3repE0EEENS1_30default_config_static_selectorELNS0_4arch9wavefront6targetE0EEEvSU_.uses_flat_scratch, 0
	.set _ZN7rocprim17ROCPRIM_400000_NS6detail17trampoline_kernelINS0_14default_configENS1_22reduce_config_selectorIbEEZNS1_11reduce_implILb1ES3_N6hipcub16HIPCUB_304000_NS22TransformInputIteratorIbN2at6native12_GLOBAL__N_19NonZeroOpIN3c107complexINSE_4HalfEEEEEPKSH_lEEPiiNS8_6detail34convert_binary_result_type_wrapperINS8_3SumESL_iEEEE10hipError_tPvRmT1_T2_T3_mT4_P12ihipStream_tbEUlT_E0_NS1_11comp_targetILNS1_3genE2ELNS1_11target_archE906ELNS1_3gpuE6ELNS1_3repE0EEENS1_30default_config_static_selectorELNS0_4arch9wavefront6targetE0EEEvSU_.has_dyn_sized_stack, 0
	.set _ZN7rocprim17ROCPRIM_400000_NS6detail17trampoline_kernelINS0_14default_configENS1_22reduce_config_selectorIbEEZNS1_11reduce_implILb1ES3_N6hipcub16HIPCUB_304000_NS22TransformInputIteratorIbN2at6native12_GLOBAL__N_19NonZeroOpIN3c107complexINSE_4HalfEEEEEPKSH_lEEPiiNS8_6detail34convert_binary_result_type_wrapperINS8_3SumESL_iEEEE10hipError_tPvRmT1_T2_T3_mT4_P12ihipStream_tbEUlT_E0_NS1_11comp_targetILNS1_3genE2ELNS1_11target_archE906ELNS1_3gpuE6ELNS1_3repE0EEENS1_30default_config_static_selectorELNS0_4arch9wavefront6targetE0EEEvSU_.has_recursion, 0
	.set _ZN7rocprim17ROCPRIM_400000_NS6detail17trampoline_kernelINS0_14default_configENS1_22reduce_config_selectorIbEEZNS1_11reduce_implILb1ES3_N6hipcub16HIPCUB_304000_NS22TransformInputIteratorIbN2at6native12_GLOBAL__N_19NonZeroOpIN3c107complexINSE_4HalfEEEEEPKSH_lEEPiiNS8_6detail34convert_binary_result_type_wrapperINS8_3SumESL_iEEEE10hipError_tPvRmT1_T2_T3_mT4_P12ihipStream_tbEUlT_E0_NS1_11comp_targetILNS1_3genE2ELNS1_11target_archE906ELNS1_3gpuE6ELNS1_3repE0EEENS1_30default_config_static_selectorELNS0_4arch9wavefront6targetE0EEEvSU_.has_indirect_call, 0
	.section	.AMDGPU.csdata,"",@progbits
; Kernel info:
; codeLenInByte = 0
; TotalNumSgprs: 0
; NumVgprs: 0
; ScratchSize: 0
; MemoryBound: 0
; FloatMode: 240
; IeeeMode: 1
; LDSByteSize: 0 bytes/workgroup (compile time only)
; SGPRBlocks: 0
; VGPRBlocks: 0
; NumSGPRsForWavesPerEU: 1
; NumVGPRsForWavesPerEU: 1
; Occupancy: 16
; WaveLimiterHint : 0
; COMPUTE_PGM_RSRC2:SCRATCH_EN: 0
; COMPUTE_PGM_RSRC2:USER_SGPR: 2
; COMPUTE_PGM_RSRC2:TRAP_HANDLER: 0
; COMPUTE_PGM_RSRC2:TGID_X_EN: 1
; COMPUTE_PGM_RSRC2:TGID_Y_EN: 0
; COMPUTE_PGM_RSRC2:TGID_Z_EN: 0
; COMPUTE_PGM_RSRC2:TIDIG_COMP_CNT: 0
	.section	.text._ZN7rocprim17ROCPRIM_400000_NS6detail17trampoline_kernelINS0_14default_configENS1_22reduce_config_selectorIbEEZNS1_11reduce_implILb1ES3_N6hipcub16HIPCUB_304000_NS22TransformInputIteratorIbN2at6native12_GLOBAL__N_19NonZeroOpIN3c107complexINSE_4HalfEEEEEPKSH_lEEPiiNS8_6detail34convert_binary_result_type_wrapperINS8_3SumESL_iEEEE10hipError_tPvRmT1_T2_T3_mT4_P12ihipStream_tbEUlT_E0_NS1_11comp_targetILNS1_3genE10ELNS1_11target_archE1201ELNS1_3gpuE5ELNS1_3repE0EEENS1_30default_config_static_selectorELNS0_4arch9wavefront6targetE0EEEvSU_,"axG",@progbits,_ZN7rocprim17ROCPRIM_400000_NS6detail17trampoline_kernelINS0_14default_configENS1_22reduce_config_selectorIbEEZNS1_11reduce_implILb1ES3_N6hipcub16HIPCUB_304000_NS22TransformInputIteratorIbN2at6native12_GLOBAL__N_19NonZeroOpIN3c107complexINSE_4HalfEEEEEPKSH_lEEPiiNS8_6detail34convert_binary_result_type_wrapperINS8_3SumESL_iEEEE10hipError_tPvRmT1_T2_T3_mT4_P12ihipStream_tbEUlT_E0_NS1_11comp_targetILNS1_3genE10ELNS1_11target_archE1201ELNS1_3gpuE5ELNS1_3repE0EEENS1_30default_config_static_selectorELNS0_4arch9wavefront6targetE0EEEvSU_,comdat
	.globl	_ZN7rocprim17ROCPRIM_400000_NS6detail17trampoline_kernelINS0_14default_configENS1_22reduce_config_selectorIbEEZNS1_11reduce_implILb1ES3_N6hipcub16HIPCUB_304000_NS22TransformInputIteratorIbN2at6native12_GLOBAL__N_19NonZeroOpIN3c107complexINSE_4HalfEEEEEPKSH_lEEPiiNS8_6detail34convert_binary_result_type_wrapperINS8_3SumESL_iEEEE10hipError_tPvRmT1_T2_T3_mT4_P12ihipStream_tbEUlT_E0_NS1_11comp_targetILNS1_3genE10ELNS1_11target_archE1201ELNS1_3gpuE5ELNS1_3repE0EEENS1_30default_config_static_selectorELNS0_4arch9wavefront6targetE0EEEvSU_ ; -- Begin function _ZN7rocprim17ROCPRIM_400000_NS6detail17trampoline_kernelINS0_14default_configENS1_22reduce_config_selectorIbEEZNS1_11reduce_implILb1ES3_N6hipcub16HIPCUB_304000_NS22TransformInputIteratorIbN2at6native12_GLOBAL__N_19NonZeroOpIN3c107complexINSE_4HalfEEEEEPKSH_lEEPiiNS8_6detail34convert_binary_result_type_wrapperINS8_3SumESL_iEEEE10hipError_tPvRmT1_T2_T3_mT4_P12ihipStream_tbEUlT_E0_NS1_11comp_targetILNS1_3genE10ELNS1_11target_archE1201ELNS1_3gpuE5ELNS1_3repE0EEENS1_30default_config_static_selectorELNS0_4arch9wavefront6targetE0EEEvSU_
	.p2align	8
	.type	_ZN7rocprim17ROCPRIM_400000_NS6detail17trampoline_kernelINS0_14default_configENS1_22reduce_config_selectorIbEEZNS1_11reduce_implILb1ES3_N6hipcub16HIPCUB_304000_NS22TransformInputIteratorIbN2at6native12_GLOBAL__N_19NonZeroOpIN3c107complexINSE_4HalfEEEEEPKSH_lEEPiiNS8_6detail34convert_binary_result_type_wrapperINS8_3SumESL_iEEEE10hipError_tPvRmT1_T2_T3_mT4_P12ihipStream_tbEUlT_E0_NS1_11comp_targetILNS1_3genE10ELNS1_11target_archE1201ELNS1_3gpuE5ELNS1_3repE0EEENS1_30default_config_static_selectorELNS0_4arch9wavefront6targetE0EEEvSU_,@function
_ZN7rocprim17ROCPRIM_400000_NS6detail17trampoline_kernelINS0_14default_configENS1_22reduce_config_selectorIbEEZNS1_11reduce_implILb1ES3_N6hipcub16HIPCUB_304000_NS22TransformInputIteratorIbN2at6native12_GLOBAL__N_19NonZeroOpIN3c107complexINSE_4HalfEEEEEPKSH_lEEPiiNS8_6detail34convert_binary_result_type_wrapperINS8_3SumESL_iEEEE10hipError_tPvRmT1_T2_T3_mT4_P12ihipStream_tbEUlT_E0_NS1_11comp_targetILNS1_3genE10ELNS1_11target_archE1201ELNS1_3gpuE5ELNS1_3repE0EEENS1_30default_config_static_selectorELNS0_4arch9wavefront6targetE0EEEvSU_: ; @_ZN7rocprim17ROCPRIM_400000_NS6detail17trampoline_kernelINS0_14default_configENS1_22reduce_config_selectorIbEEZNS1_11reduce_implILb1ES3_N6hipcub16HIPCUB_304000_NS22TransformInputIteratorIbN2at6native12_GLOBAL__N_19NonZeroOpIN3c107complexINSE_4HalfEEEEEPKSH_lEEPiiNS8_6detail34convert_binary_result_type_wrapperINS8_3SumESL_iEEEE10hipError_tPvRmT1_T2_T3_mT4_P12ihipStream_tbEUlT_E0_NS1_11comp_targetILNS1_3genE10ELNS1_11target_archE1201ELNS1_3gpuE5ELNS1_3repE0EEENS1_30default_config_static_selectorELNS0_4arch9wavefront6targetE0EEEvSU_
; %bb.0:
	s_clause 0x2
	s_load_b256 s[16:23], s[0:1], 0x10
	s_load_b64 s[4:5], s[0:1], 0x0
	s_load_b64 s[26:27], s[0:1], 0x30
	s_lshl_b32 s2, ttmp9, 12
	s_mov_b32 s3, 0
	v_mbcnt_lo_u32_b32 v18, -1, 0
	v_lshlrev_b32_e32 v19, 2, v0
	s_mov_b32 s24, ttmp9
	s_mov_b32 s25, s3
	s_wait_kmcnt 0x0
	s_lshl_b64 s[6:7], s[16:17], 2
	s_lshr_b64 s[8:9], s[18:19], 12
	s_add_nc_u64 s[4:5], s[4:5], s[6:7]
	s_lshl_b64 s[6:7], s[2:3], 2
	s_cmp_lg_u64 s[8:9], s[24:25]
	s_add_nc_u64 s[16:17], s[4:5], s[6:7]
	s_cbranch_scc0 .LBB649_6
; %bb.1:
	s_clause 0xf
	global_load_b32 v1, v19, s[16:17]
	global_load_b32 v2, v19, s[16:17] offset:1024
	global_load_b32 v3, v19, s[16:17] offset:2048
	;; [unrolled: 1-line block ×15, first 2 shown]
	s_mov_b32 s3, exec_lo
	s_wait_loadcnt 0xf
	v_lshrrev_b32_e32 v17, 16, v1
	s_wait_loadcnt 0xe
	v_lshrrev_b32_e32 v20, 16, v2
	;; [unrolled: 2-line block ×5, first 2 shown]
	v_or_b32_e32 v1, v1, v17
	v_or_b32_e32 v2, v2, v20
	;; [unrolled: 1-line block ×3, first 2 shown]
	s_wait_loadcnt 0x9
	v_lshrrev_b32_e32 v25, 16, v7
	v_or_b32_e32 v5, v5, v23
	v_and_b32_e32 v1, 0x7fff, v1
	v_and_b32_e32 v2, 0x7fff, v2
	;; [unrolled: 1-line block ×3, first 2 shown]
	v_or_b32_e32 v4, v4, v22
	v_and_b32_e32 v5, 0x7fff, v5
	v_cmp_ne_u16_e32 vcc_lo, 0, v1
	v_lshrrev_b32_e32 v24, 16, v6
	v_or_b32_e32 v7, v7, v25
	v_and_b32_e32 v4, 0x7fff, v4
	s_wait_loadcnt 0x7
	v_lshrrev_b32_e32 v27, 16, v9
	v_cndmask_b32_e64 v1, 0, 1, vcc_lo
	v_cmp_ne_u16_e32 vcc_lo, 0, v3
	v_or_b32_e32 v6, v6, v24
	v_and_b32_e32 v7, 0x7fff, v7
	v_lshrrev_b32_e32 v26, 16, v8
	v_or_b32_e32 v9, v9, v27
	s_wait_alu 0xfffd
	v_cndmask_b32_e64 v3, 0, 1, vcc_lo
	v_cmp_ne_u16_e32 vcc_lo, 0, v2
	v_and_b32_e32 v6, 0x7fff, v6
	s_wait_loadcnt 0x5
	v_lshrrev_b32_e32 v29, 16, v11
	v_or_b32_e32 v8, v8, v26
	v_and_b32_e32 v9, 0x7fff, v9
	s_wait_alu 0xfffd
	v_add_co_ci_u32_e64 v1, null, 0, v1, vcc_lo
	v_cmp_ne_u16_e32 vcc_lo, 0, v5
	v_lshrrev_b32_e32 v28, 16, v10
	v_or_b32_e32 v11, v11, v29
	v_and_b32_e32 v8, 0x7fff, v8
	s_wait_loadcnt 0x3
	v_lshrrev_b32_e32 v31, 16, v13
	s_wait_alu 0xfffd
	v_cndmask_b32_e64 v2, 0, 1, vcc_lo
	v_cmp_ne_u16_e32 vcc_lo, 0, v4
	v_or_b32_e32 v10, v10, v28
	v_and_b32_e32 v11, 0x7fff, v11
	v_lshrrev_b32_e32 v30, 16, v12
	v_or_b32_e32 v13, v13, v31
	s_wait_alu 0xfffd
	v_add_co_ci_u32_e64 v1, null, v1, v3, vcc_lo
	v_cmp_ne_u16_e32 vcc_lo, 0, v7
	v_and_b32_e32 v10, 0x7fff, v10
	s_wait_loadcnt 0x1
	v_lshrrev_b32_e32 v33, 16, v15
	v_or_b32_e32 v12, v12, v30
	v_and_b32_e32 v13, 0x7fff, v13
	s_wait_alu 0xfffd
	v_cndmask_b32_e64 v3, 0, 1, vcc_lo
	v_cmp_ne_u16_e32 vcc_lo, 0, v6
	v_lshrrev_b32_e32 v32, 16, v14
	v_or_b32_e32 v15, v15, v33
	v_and_b32_e32 v12, 0x7fff, v12
	s_wait_loadcnt 0x0
	v_lshrrev_b32_e32 v34, 16, v16
	s_wait_alu 0xfffd
	v_add_co_ci_u32_e64 v1, null, v1, v2, vcc_lo
	v_cmp_ne_u16_e32 vcc_lo, 0, v9
	v_or_b32_e32 v14, v14, v32
	v_and_b32_e32 v15, 0x7fff, v15
	v_or_b32_e32 v16, v16, v34
	s_wait_alu 0xfffd
	v_cndmask_b32_e64 v2, 0, 1, vcc_lo
	v_cmp_ne_u16_e32 vcc_lo, 0, v8
	v_and_b32_e32 v14, 0x7fff, v14
	v_and_b32_e32 v16, 0x7fff, v16
	s_wait_alu 0xfffd
	v_add_co_ci_u32_e64 v1, null, v1, v3, vcc_lo
	v_cmp_ne_u16_e32 vcc_lo, 0, v11
	s_wait_alu 0xfffd
	v_cndmask_b32_e64 v3, 0, 1, vcc_lo
	v_cmp_ne_u16_e32 vcc_lo, 0, v10
	s_wait_alu 0xfffd
	v_add_co_ci_u32_e64 v1, null, v1, v2, vcc_lo
	v_cmp_ne_u16_e32 vcc_lo, 0, v13
	s_wait_alu 0xfffd
	v_cndmask_b32_e64 v2, 0, 1, vcc_lo
	v_cmp_ne_u16_e32 vcc_lo, 0, v12
	;; [unrolled: 6-line block ×3, first 2 shown]
	s_wait_alu 0xfffd
	v_add_co_ci_u32_e64 v1, null, v1, v2, vcc_lo
	v_cmp_ne_u16_e32 vcc_lo, 0, v16
	s_wait_alu 0xfffd
	s_delay_alu instid0(VALU_DEP_2) | instskip(NEXT) | instid1(VALU_DEP_1)
	v_add_co_ci_u32_e64 v1, null, v1, v3, vcc_lo
	v_mov_b32_dpp v2, v1 quad_perm:[1,0,3,2] row_mask:0xf bank_mask:0xf
	s_delay_alu instid0(VALU_DEP_1) | instskip(NEXT) | instid1(VALU_DEP_1)
	v_add_nc_u32_e32 v1, v1, v2
	v_mov_b32_dpp v2, v1 quad_perm:[2,3,0,1] row_mask:0xf bank_mask:0xf
	s_delay_alu instid0(VALU_DEP_1) | instskip(NEXT) | instid1(VALU_DEP_1)
	v_add_nc_u32_e32 v1, v1, v2
	v_mov_b32_dpp v2, v1 row_ror:4 row_mask:0xf bank_mask:0xf
	s_delay_alu instid0(VALU_DEP_1) | instskip(NEXT) | instid1(VALU_DEP_1)
	v_add_nc_u32_e32 v1, v1, v2
	v_mov_b32_dpp v2, v1 row_ror:8 row_mask:0xf bank_mask:0xf
	s_delay_alu instid0(VALU_DEP_1)
	v_add_nc_u32_e32 v1, v1, v2
	ds_swizzle_b32 v2, v1 offset:swizzle(BROADCAST,32,15)
	s_wait_dscnt 0x0
	v_dual_mov_b32 v2, 0 :: v_dual_add_nc_u32 v1, v1, v2
	ds_bpermute_b32 v1, v2, v1 offset:124
	v_cmpx_eq_u32_e32 0, v18
	s_cbranch_execz .LBB649_3
; %bb.2:
	v_lshrrev_b32_e32 v2, 3, v0
	s_delay_alu instid0(VALU_DEP_1)
	v_and_b32_e32 v2, 28, v2
	s_wait_dscnt 0x0
	ds_store_b32 v2, v1
.LBB649_3:
	s_or_b32 exec_lo, exec_lo, s3
	s_delay_alu instid0(SALU_CYCLE_1)
	s_mov_b32 s3, exec_lo
	s_wait_dscnt 0x0
	s_barrier_signal -1
	s_barrier_wait -1
	global_inv scope:SCOPE_SE
	v_cmpx_gt_u32_e32 32, v0
	s_cbranch_execz .LBB649_5
; %bb.4:
	v_and_b32_e32 v1, 7, v18
	s_delay_alu instid0(VALU_DEP_1)
	v_lshlrev_b32_e32 v2, 2, v1
	v_cmp_ne_u32_e32 vcc_lo, 7, v1
	ds_load_b32 v2, v2
	s_wait_alu 0xfffd
	v_add_co_ci_u32_e64 v3, null, 0, v18, vcc_lo
	v_cmp_gt_u32_e32 vcc_lo, 6, v1
	s_delay_alu instid0(VALU_DEP_2) | instskip(SKIP_2) | instid1(VALU_DEP_1)
	v_lshlrev_b32_e32 v3, 2, v3
	s_wait_alu 0xfffd
	v_cndmask_b32_e64 v1, 0, 2, vcc_lo
	v_add_lshl_u32 v1, v1, v18, 2
	s_wait_dscnt 0x0
	ds_bpermute_b32 v3, v3, v2
	s_wait_dscnt 0x0
	v_add_nc_u32_e32 v2, v3, v2
	v_lshlrev_b32_e32 v3, 2, v18
	ds_bpermute_b32 v1, v1, v2
	s_wait_dscnt 0x0
	v_add_nc_u32_e32 v1, v1, v2
	v_or_b32_e32 v2, 16, v3
	ds_bpermute_b32 v2, v2, v1
	s_wait_dscnt 0x0
	v_add_nc_u32_e32 v1, v2, v1
.LBB649_5:
	s_or_b32 exec_lo, exec_lo, s3
	s_branch .LBB649_44
.LBB649_6:
                                        ; implicit-def: $vgpr1
	s_cbranch_execz .LBB649_44
; %bb.7:
	v_mov_b32_e32 v1, 0
	s_sub_co_i32 s28, s18, s2
	s_mov_b32 s2, exec_lo
	s_delay_alu instid0(VALU_DEP_1)
	v_dual_mov_b32 v2, v1 :: v_dual_mov_b32 v3, v1
	v_dual_mov_b32 v4, v1 :: v_dual_mov_b32 v5, v1
	;; [unrolled: 1-line block ×7, first 2 shown]
	v_mov_b32_e32 v16, v1
	v_cmpx_gt_u32_e64 s28, v0
	s_cbranch_execz .LBB649_9
; %bb.8:
	global_load_b32 v2, v19, s[16:17]
	v_dual_mov_b32 v16, v1 :: v_dual_mov_b32 v17, v1
	v_dual_mov_b32 v3, v1 :: v_dual_mov_b32 v4, v1
	;; [unrolled: 1-line block ×7, first 2 shown]
	s_wait_loadcnt 0x0
	v_lshrrev_b32_e32 v5, 16, v2
	s_delay_alu instid0(VALU_DEP_1) | instskip(NEXT) | instid1(VALU_DEP_1)
	v_or_b32_e32 v2, v2, v5
	v_dual_mov_b32 v5, v1 :: v_dual_and_b32 v2, 0x7fff, v2
	s_delay_alu instid0(VALU_DEP_1) | instskip(SKIP_1) | instid1(VALU_DEP_1)
	v_cmp_ne_u16_e32 vcc_lo, 0, v2
	v_cndmask_b32_e64 v2, 0, 1, vcc_lo
	v_and_b32_e32 v2, 0xffff, v2
	s_delay_alu instid0(VALU_DEP_1)
	v_mov_b32_e32 v1, v2
	v_mov_b32_e32 v2, v3
	;; [unrolled: 1-line block ×16, first 2 shown]
.LBB649_9:
	s_or_b32 exec_lo, exec_lo, s2
	v_or_b32_e32 v17, 0x100, v0
	s_delay_alu instid0(VALU_DEP_1)
	v_cmp_gt_u32_e32 vcc_lo, s28, v17
	s_and_saveexec_b32 s3, vcc_lo
	s_cbranch_execz .LBB649_11
; %bb.10:
	global_load_b32 v2, v19, s[16:17] offset:1024
	s_wait_loadcnt 0x0
	v_lshrrev_b32_e32 v17, 16, v2
	s_delay_alu instid0(VALU_DEP_1) | instskip(NEXT) | instid1(VALU_DEP_1)
	v_or_b32_e32 v2, v2, v17
	v_and_b32_e32 v2, 0x7fff, v2
	s_delay_alu instid0(VALU_DEP_1) | instskip(NEXT) | instid1(VALU_DEP_1)
	v_cmp_ne_u16_e64 s2, 0, v2
	v_cndmask_b32_e64 v2, 0, 1, s2
.LBB649_11:
	s_or_b32 exec_lo, exec_lo, s3
	v_or_b32_e32 v17, 0x200, v0
	s_delay_alu instid0(VALU_DEP_1)
	v_cmp_gt_u32_e64 s2, s28, v17
	s_and_saveexec_b32 s4, s2
	s_cbranch_execz .LBB649_13
; %bb.12:
	global_load_b32 v3, v19, s[16:17] offset:2048
	s_wait_loadcnt 0x0
	v_lshrrev_b32_e32 v17, 16, v3
	s_delay_alu instid0(VALU_DEP_1) | instskip(NEXT) | instid1(VALU_DEP_1)
	v_or_b32_e32 v3, v3, v17
	v_and_b32_e32 v3, 0x7fff, v3
	s_delay_alu instid0(VALU_DEP_1) | instskip(SKIP_1) | instid1(VALU_DEP_1)
	v_cmp_ne_u16_e64 s3, 0, v3
	s_wait_alu 0xf1ff
	v_cndmask_b32_e64 v3, 0, 1, s3
.LBB649_13:
	s_or_b32 exec_lo, exec_lo, s4
	v_or_b32_e32 v17, 0x300, v0
	s_delay_alu instid0(VALU_DEP_1)
	v_cmp_gt_u32_e64 s3, s28, v17
	s_and_saveexec_b32 s5, s3
	s_cbranch_execz .LBB649_15
; %bb.14:
	global_load_b32 v4, v19, s[16:17] offset:3072
	s_wait_loadcnt 0x0
	v_lshrrev_b32_e32 v17, 16, v4
	s_delay_alu instid0(VALU_DEP_1) | instskip(NEXT) | instid1(VALU_DEP_1)
	v_or_b32_e32 v4, v4, v17
	v_and_b32_e32 v4, 0x7fff, v4
	s_delay_alu instid0(VALU_DEP_1) | instskip(NEXT) | instid1(VALU_DEP_1)
	v_cmp_ne_u16_e64 s4, 0, v4
	v_cndmask_b32_e64 v4, 0, 1, s4
.LBB649_15:
	s_or_b32 exec_lo, exec_lo, s5
	v_or_b32_e32 v17, 0x400, v0
	s_delay_alu instid0(VALU_DEP_1)
	v_cmp_gt_u32_e64 s4, s28, v17
	s_and_saveexec_b32 s6, s4
	s_cbranch_execz .LBB649_17
; %bb.16:
	global_load_b32 v5, v19, s[16:17] offset:4096
	s_wait_loadcnt 0x0
	v_lshrrev_b32_e32 v17, 16, v5
	s_delay_alu instid0(VALU_DEP_1) | instskip(NEXT) | instid1(VALU_DEP_1)
	v_or_b32_e32 v5, v5, v17
	v_and_b32_e32 v5, 0x7fff, v5
	s_delay_alu instid0(VALU_DEP_1) | instskip(SKIP_1) | instid1(VALU_DEP_1)
	v_cmp_ne_u16_e64 s5, 0, v5
	s_wait_alu 0xf1ff
	v_cndmask_b32_e64 v5, 0, 1, s5
.LBB649_17:
	s_or_b32 exec_lo, exec_lo, s6
	v_or_b32_e32 v17, 0x500, v0
	s_delay_alu instid0(VALU_DEP_1)
	v_cmp_gt_u32_e64 s5, s28, v17
	s_and_saveexec_b32 s7, s5
	;; [unrolled: 35-line block ×6, first 2 shown]
	s_cbranch_execz .LBB649_35
; %bb.34:
	global_load_b32 v14, v19, s[16:17] offset:13312
	s_wait_loadcnt 0x0
	v_lshrrev_b32_e32 v17, 16, v14
	s_delay_alu instid0(VALU_DEP_1) | instskip(NEXT) | instid1(VALU_DEP_1)
	v_or_b32_e32 v14, v14, v17
	v_and_b32_e32 v14, 0x7fff, v14
	s_delay_alu instid0(VALU_DEP_1) | instskip(NEXT) | instid1(VALU_DEP_1)
	v_cmp_ne_u16_e64 s14, 0, v14
	v_cndmask_b32_e64 v14, 0, 1, s14
.LBB649_35:
	s_or_b32 exec_lo, exec_lo, s15
	v_or_b32_e32 v17, 0xe00, v0
	s_delay_alu instid0(VALU_DEP_1)
	v_cmp_gt_u32_e64 s14, s28, v17
	s_and_saveexec_b32 s29, s14
	s_cbranch_execz .LBB649_37
; %bb.36:
	global_load_b32 v15, v19, s[16:17] offset:14336
	s_wait_loadcnt 0x0
	v_lshrrev_b32_e32 v17, 16, v15
	s_delay_alu instid0(VALU_DEP_1) | instskip(NEXT) | instid1(VALU_DEP_1)
	v_or_b32_e32 v15, v15, v17
	v_and_b32_e32 v15, 0x7fff, v15
	s_delay_alu instid0(VALU_DEP_1) | instskip(SKIP_1) | instid1(VALU_DEP_1)
	v_cmp_ne_u16_e64 s15, 0, v15
	s_wait_alu 0xf1ff
	v_cndmask_b32_e64 v15, 0, 1, s15
.LBB649_37:
	s_wait_alu 0xfffe
	s_or_b32 exec_lo, exec_lo, s29
	v_or_b32_e32 v17, 0xf00, v0
	s_delay_alu instid0(VALU_DEP_1)
	v_cmp_gt_u32_e64 s15, s28, v17
	s_and_saveexec_b32 s29, s15
	s_cbranch_execz .LBB649_39
; %bb.38:
	global_load_b32 v16, v19, s[16:17] offset:15360
	s_wait_loadcnt 0x0
	v_lshrrev_b32_e32 v17, 16, v16
	s_delay_alu instid0(VALU_DEP_1) | instskip(NEXT) | instid1(VALU_DEP_1)
	v_or_b32_e32 v16, v16, v17
	v_and_b32_e32 v16, 0x7fff, v16
	s_delay_alu instid0(VALU_DEP_1) | instskip(NEXT) | instid1(VALU_DEP_1)
	v_cmp_ne_u16_e64 s16, 0, v16
	v_cndmask_b32_e64 v16, 0, 1, s16
.LBB649_39:
	s_wait_alu 0xfffe
	s_or_b32 exec_lo, exec_lo, s29
	v_cndmask_b32_e32 v2, 0, v2, vcc_lo
	v_cndmask_b32_e64 v3, 0, v3, s2
	v_cndmask_b32_e64 v4, 0, v4, s3
	v_cmp_ne_u32_e32 vcc_lo, 31, v18
	s_min_u32 s2, s28, 0x100
	v_add_nc_u32_e32 v1, v2, v1
	v_cndmask_b32_e64 v2, 0, v5, s4
	v_cndmask_b32_e64 v5, 0, v6, s5
	;; [unrolled: 1-line block ×3, first 2 shown]
	s_mov_b32 s3, exec_lo
	v_add3_u32 v1, v1, v3, v4
	v_cndmask_b32_e64 v3, 0, v7, s6
	v_cndmask_b32_e64 v4, 0, v8, s7
	s_delay_alu instid0(VALU_DEP_3) | instskip(SKIP_2) | instid1(VALU_DEP_3)
	v_add3_u32 v1, v1, v2, v5
	v_cndmask_b32_e64 v2, 0, v9, s8
	v_cndmask_b32_e64 v5, 0, v10, s9
	v_add3_u32 v1, v1, v3, v4
	v_cndmask_b32_e64 v3, 0, v11, s10
	v_cndmask_b32_e64 v4, 0, v12, s11
	s_delay_alu instid0(VALU_DEP_3) | instskip(SKIP_2) | instid1(VALU_DEP_3)
	v_add3_u32 v1, v1, v2, v5
	v_cndmask_b32_e64 v2, 0, v13, s12
	v_cndmask_b32_e64 v5, 0, v14, s13
	v_add3_u32 v1, v1, v3, v4
	v_cndmask_b32_e64 v3, 0, v16, s15
	s_wait_alu 0xfffd
	v_add_co_ci_u32_e64 v4, null, 0, v18, vcc_lo
	v_cmp_gt_u32_e32 vcc_lo, 30, v18
	v_add3_u32 v1, v1, v2, v5
	s_delay_alu instid0(VALU_DEP_3)
	v_lshlrev_b32_e32 v2, 2, v4
	v_add_nc_u32_e32 v4, 1, v18
	s_wait_alu 0xfffd
	v_cndmask_b32_e64 v5, 0, 2, vcc_lo
	v_add3_u32 v1, v1, v6, v3
	v_and_b32_e32 v3, 0xe0, v0
	ds_bpermute_b32 v2, v2, v1
	s_wait_alu 0xfffe
	v_sub_nc_u32_e64 v3, s2, v3 clamp
	s_delay_alu instid0(VALU_DEP_1)
	v_cmp_lt_u32_e32 vcc_lo, v4, v3
	v_add_lshl_u32 v4, v5, v18, 2
	s_wait_dscnt 0x0
	s_wait_alu 0xfffd
	v_cndmask_b32_e32 v2, 0, v2, vcc_lo
	v_cmp_gt_u32_e32 vcc_lo, 28, v18
	s_delay_alu instid0(VALU_DEP_2) | instskip(SKIP_4) | instid1(VALU_DEP_1)
	v_add_nc_u32_e32 v1, v1, v2
	s_wait_alu 0xfffd
	v_cndmask_b32_e64 v5, 0, 4, vcc_lo
	ds_bpermute_b32 v2, v4, v1
	v_add_nc_u32_e32 v4, 2, v18
	v_cmp_lt_u32_e32 vcc_lo, v4, v3
	v_add_lshl_u32 v4, v5, v18, 2
	s_wait_dscnt 0x0
	s_wait_alu 0xfffd
	v_cndmask_b32_e32 v2, 0, v2, vcc_lo
	v_cmp_gt_u32_e32 vcc_lo, 24, v18
	s_delay_alu instid0(VALU_DEP_2) | instskip(SKIP_4) | instid1(VALU_DEP_1)
	v_add_nc_u32_e32 v1, v1, v2
	s_wait_alu 0xfffd
	v_cndmask_b32_e64 v5, 0, 8, vcc_lo
	ds_bpermute_b32 v2, v4, v1
	v_add_nc_u32_e32 v4, 4, v18
	v_cmp_lt_u32_e32 vcc_lo, v4, v3
	v_add_lshl_u32 v4, v5, v18, 2
	v_add_nc_u32_e32 v5, 8, v18
	s_wait_dscnt 0x0
	s_wait_alu 0xfffd
	v_cndmask_b32_e32 v2, 0, v2, vcc_lo
	s_delay_alu instid0(VALU_DEP_2) | instskip(NEXT) | instid1(VALU_DEP_2)
	v_cmp_lt_u32_e32 vcc_lo, v5, v3
	v_add_nc_u32_e32 v1, v1, v2
	v_lshlrev_b32_e32 v2, 2, v18
	ds_bpermute_b32 v4, v4, v1
	v_or_b32_e32 v5, 64, v2
	s_wait_dscnt 0x0
	s_wait_alu 0xfffd
	v_cndmask_b32_e32 v4, 0, v4, vcc_lo
	s_delay_alu instid0(VALU_DEP_1) | instskip(SKIP_2) | instid1(VALU_DEP_1)
	v_add_nc_u32_e32 v1, v1, v4
	ds_bpermute_b32 v4, v5, v1
	v_add_nc_u32_e32 v5, 16, v18
	v_cmp_lt_u32_e32 vcc_lo, v5, v3
	s_wait_dscnt 0x0
	s_wait_alu 0xfffd
	v_cndmask_b32_e32 v3, 0, v4, vcc_lo
	s_delay_alu instid0(VALU_DEP_1)
	v_add_nc_u32_e32 v1, v1, v3
	v_cmpx_eq_u32_e32 0, v18
; %bb.40:
	v_lshrrev_b32_e32 v3, 3, v0
	s_delay_alu instid0(VALU_DEP_1)
	v_and_b32_e32 v3, 28, v3
	ds_store_b32 v3, v1 offset:32
; %bb.41:
	s_or_b32 exec_lo, exec_lo, s3
	s_delay_alu instid0(SALU_CYCLE_1)
	s_mov_b32 s3, exec_lo
	s_wait_loadcnt_dscnt 0x0
	s_barrier_signal -1
	s_barrier_wait -1
	global_inv scope:SCOPE_SE
	v_cmpx_gt_u32_e32 8, v0
	s_cbranch_execz .LBB649_43
; %bb.42:
	ds_load_b32 v1, v2 offset:32
	v_and_b32_e32 v3, 7, v18
	s_add_co_i32 s2, s2, 31
	v_or_b32_e32 v2, 16, v2
	s_wait_alu 0xfffe
	s_lshr_b32 s2, s2, 5
	v_cmp_ne_u32_e32 vcc_lo, 7, v3
	v_add_nc_u32_e32 v5, 1, v3
	s_wait_alu 0xfffd
	v_add_co_ci_u32_e64 v4, null, 0, v18, vcc_lo
	v_cmp_gt_u32_e32 vcc_lo, 6, v3
	s_delay_alu instid0(VALU_DEP_2)
	v_lshlrev_b32_e32 v4, 2, v4
	s_wait_alu 0xfffd
	v_cndmask_b32_e64 v6, 0, 2, vcc_lo
	s_wait_alu 0xfffe
	v_cmp_gt_u32_e32 vcc_lo, s2, v5
	s_wait_dscnt 0x0
	ds_bpermute_b32 v4, v4, v1
	v_add_lshl_u32 v5, v6, v18, 2
	s_wait_dscnt 0x0
	s_wait_alu 0xfffd
	v_cndmask_b32_e32 v4, 0, v4, vcc_lo
	s_delay_alu instid0(VALU_DEP_1) | instskip(SKIP_3) | instid1(VALU_DEP_2)
	v_add_nc_u32_e32 v1, v4, v1
	ds_bpermute_b32 v4, v5, v1
	v_add_nc_u32_e32 v5, 2, v3
	v_add_nc_u32_e32 v3, 4, v3
	v_cmp_gt_u32_e32 vcc_lo, s2, v5
	s_wait_dscnt 0x0
	s_wait_alu 0xfffd
	v_cndmask_b32_e32 v4, 0, v4, vcc_lo
	v_cmp_gt_u32_e32 vcc_lo, s2, v3
	s_delay_alu instid0(VALU_DEP_2) | instskip(SKIP_4) | instid1(VALU_DEP_1)
	v_add_nc_u32_e32 v1, v1, v4
	ds_bpermute_b32 v2, v2, v1
	s_wait_dscnt 0x0
	s_wait_alu 0xfffd
	v_cndmask_b32_e32 v2, 0, v2, vcc_lo
	v_add_nc_u32_e32 v1, v1, v2
.LBB649_43:
	s_wait_alu 0xfffe
	s_or_b32 exec_lo, exec_lo, s3
.LBB649_44:
	s_load_b32 s0, s[0:1], 0x38
	s_mov_b32 s1, exec_lo
	v_cmpx_eq_u32_e32 0, v0
	s_cbranch_execz .LBB649_46
; %bb.45:
	s_mul_u64 s[2:3], s[26:27], s[22:23]
	s_wait_alu 0xfffe
	s_lshl_b64 s[2:3], s[2:3], 2
	s_cmp_eq_u64 s[18:19], 0
	s_wait_alu 0xfffe
	s_add_nc_u64 s[2:3], s[20:21], s[2:3]
	s_cselect_b32 s1, -1, 0
	s_wait_kmcnt 0x0
	v_cndmask_b32_e64 v0, v1, s0, s1
	v_mov_b32_e32 v1, 0
	s_lshl_b64 s[0:1], s[24:25], 2
	s_wait_alu 0xfffe
	s_add_nc_u64 s[0:1], s[2:3], s[0:1]
	global_store_b32 v1, v0, s[0:1]
.LBB649_46:
	s_endpgm
	.section	.rodata,"a",@progbits
	.p2align	6, 0x0
	.amdhsa_kernel _ZN7rocprim17ROCPRIM_400000_NS6detail17trampoline_kernelINS0_14default_configENS1_22reduce_config_selectorIbEEZNS1_11reduce_implILb1ES3_N6hipcub16HIPCUB_304000_NS22TransformInputIteratorIbN2at6native12_GLOBAL__N_19NonZeroOpIN3c107complexINSE_4HalfEEEEEPKSH_lEEPiiNS8_6detail34convert_binary_result_type_wrapperINS8_3SumESL_iEEEE10hipError_tPvRmT1_T2_T3_mT4_P12ihipStream_tbEUlT_E0_NS1_11comp_targetILNS1_3genE10ELNS1_11target_archE1201ELNS1_3gpuE5ELNS1_3repE0EEENS1_30default_config_static_selectorELNS0_4arch9wavefront6targetE0EEEvSU_
		.amdhsa_group_segment_fixed_size 64
		.amdhsa_private_segment_fixed_size 0
		.amdhsa_kernarg_size 64
		.amdhsa_user_sgpr_count 2
		.amdhsa_user_sgpr_dispatch_ptr 0
		.amdhsa_user_sgpr_queue_ptr 0
		.amdhsa_user_sgpr_kernarg_segment_ptr 1
		.amdhsa_user_sgpr_dispatch_id 0
		.amdhsa_user_sgpr_private_segment_size 0
		.amdhsa_wavefront_size32 1
		.amdhsa_uses_dynamic_stack 0
		.amdhsa_enable_private_segment 0
		.amdhsa_system_sgpr_workgroup_id_x 1
		.amdhsa_system_sgpr_workgroup_id_y 0
		.amdhsa_system_sgpr_workgroup_id_z 0
		.amdhsa_system_sgpr_workgroup_info 0
		.amdhsa_system_vgpr_workitem_id 0
		.amdhsa_next_free_vgpr 35
		.amdhsa_next_free_sgpr 30
		.amdhsa_reserve_vcc 1
		.amdhsa_float_round_mode_32 0
		.amdhsa_float_round_mode_16_64 0
		.amdhsa_float_denorm_mode_32 3
		.amdhsa_float_denorm_mode_16_64 3
		.amdhsa_fp16_overflow 0
		.amdhsa_workgroup_processor_mode 1
		.amdhsa_memory_ordered 1
		.amdhsa_forward_progress 1
		.amdhsa_inst_pref_size 29
		.amdhsa_round_robin_scheduling 0
		.amdhsa_exception_fp_ieee_invalid_op 0
		.amdhsa_exception_fp_denorm_src 0
		.amdhsa_exception_fp_ieee_div_zero 0
		.amdhsa_exception_fp_ieee_overflow 0
		.amdhsa_exception_fp_ieee_underflow 0
		.amdhsa_exception_fp_ieee_inexact 0
		.amdhsa_exception_int_div_zero 0
	.end_amdhsa_kernel
	.section	.text._ZN7rocprim17ROCPRIM_400000_NS6detail17trampoline_kernelINS0_14default_configENS1_22reduce_config_selectorIbEEZNS1_11reduce_implILb1ES3_N6hipcub16HIPCUB_304000_NS22TransformInputIteratorIbN2at6native12_GLOBAL__N_19NonZeroOpIN3c107complexINSE_4HalfEEEEEPKSH_lEEPiiNS8_6detail34convert_binary_result_type_wrapperINS8_3SumESL_iEEEE10hipError_tPvRmT1_T2_T3_mT4_P12ihipStream_tbEUlT_E0_NS1_11comp_targetILNS1_3genE10ELNS1_11target_archE1201ELNS1_3gpuE5ELNS1_3repE0EEENS1_30default_config_static_selectorELNS0_4arch9wavefront6targetE0EEEvSU_,"axG",@progbits,_ZN7rocprim17ROCPRIM_400000_NS6detail17trampoline_kernelINS0_14default_configENS1_22reduce_config_selectorIbEEZNS1_11reduce_implILb1ES3_N6hipcub16HIPCUB_304000_NS22TransformInputIteratorIbN2at6native12_GLOBAL__N_19NonZeroOpIN3c107complexINSE_4HalfEEEEEPKSH_lEEPiiNS8_6detail34convert_binary_result_type_wrapperINS8_3SumESL_iEEEE10hipError_tPvRmT1_T2_T3_mT4_P12ihipStream_tbEUlT_E0_NS1_11comp_targetILNS1_3genE10ELNS1_11target_archE1201ELNS1_3gpuE5ELNS1_3repE0EEENS1_30default_config_static_selectorELNS0_4arch9wavefront6targetE0EEEvSU_,comdat
.Lfunc_end649:
	.size	_ZN7rocprim17ROCPRIM_400000_NS6detail17trampoline_kernelINS0_14default_configENS1_22reduce_config_selectorIbEEZNS1_11reduce_implILb1ES3_N6hipcub16HIPCUB_304000_NS22TransformInputIteratorIbN2at6native12_GLOBAL__N_19NonZeroOpIN3c107complexINSE_4HalfEEEEEPKSH_lEEPiiNS8_6detail34convert_binary_result_type_wrapperINS8_3SumESL_iEEEE10hipError_tPvRmT1_T2_T3_mT4_P12ihipStream_tbEUlT_E0_NS1_11comp_targetILNS1_3genE10ELNS1_11target_archE1201ELNS1_3gpuE5ELNS1_3repE0EEENS1_30default_config_static_selectorELNS0_4arch9wavefront6targetE0EEEvSU_, .Lfunc_end649-_ZN7rocprim17ROCPRIM_400000_NS6detail17trampoline_kernelINS0_14default_configENS1_22reduce_config_selectorIbEEZNS1_11reduce_implILb1ES3_N6hipcub16HIPCUB_304000_NS22TransformInputIteratorIbN2at6native12_GLOBAL__N_19NonZeroOpIN3c107complexINSE_4HalfEEEEEPKSH_lEEPiiNS8_6detail34convert_binary_result_type_wrapperINS8_3SumESL_iEEEE10hipError_tPvRmT1_T2_T3_mT4_P12ihipStream_tbEUlT_E0_NS1_11comp_targetILNS1_3genE10ELNS1_11target_archE1201ELNS1_3gpuE5ELNS1_3repE0EEENS1_30default_config_static_selectorELNS0_4arch9wavefront6targetE0EEEvSU_
                                        ; -- End function
	.set _ZN7rocprim17ROCPRIM_400000_NS6detail17trampoline_kernelINS0_14default_configENS1_22reduce_config_selectorIbEEZNS1_11reduce_implILb1ES3_N6hipcub16HIPCUB_304000_NS22TransformInputIteratorIbN2at6native12_GLOBAL__N_19NonZeroOpIN3c107complexINSE_4HalfEEEEEPKSH_lEEPiiNS8_6detail34convert_binary_result_type_wrapperINS8_3SumESL_iEEEE10hipError_tPvRmT1_T2_T3_mT4_P12ihipStream_tbEUlT_E0_NS1_11comp_targetILNS1_3genE10ELNS1_11target_archE1201ELNS1_3gpuE5ELNS1_3repE0EEENS1_30default_config_static_selectorELNS0_4arch9wavefront6targetE0EEEvSU_.num_vgpr, 35
	.set _ZN7rocprim17ROCPRIM_400000_NS6detail17trampoline_kernelINS0_14default_configENS1_22reduce_config_selectorIbEEZNS1_11reduce_implILb1ES3_N6hipcub16HIPCUB_304000_NS22TransformInputIteratorIbN2at6native12_GLOBAL__N_19NonZeroOpIN3c107complexINSE_4HalfEEEEEPKSH_lEEPiiNS8_6detail34convert_binary_result_type_wrapperINS8_3SumESL_iEEEE10hipError_tPvRmT1_T2_T3_mT4_P12ihipStream_tbEUlT_E0_NS1_11comp_targetILNS1_3genE10ELNS1_11target_archE1201ELNS1_3gpuE5ELNS1_3repE0EEENS1_30default_config_static_selectorELNS0_4arch9wavefront6targetE0EEEvSU_.num_agpr, 0
	.set _ZN7rocprim17ROCPRIM_400000_NS6detail17trampoline_kernelINS0_14default_configENS1_22reduce_config_selectorIbEEZNS1_11reduce_implILb1ES3_N6hipcub16HIPCUB_304000_NS22TransformInputIteratorIbN2at6native12_GLOBAL__N_19NonZeroOpIN3c107complexINSE_4HalfEEEEEPKSH_lEEPiiNS8_6detail34convert_binary_result_type_wrapperINS8_3SumESL_iEEEE10hipError_tPvRmT1_T2_T3_mT4_P12ihipStream_tbEUlT_E0_NS1_11comp_targetILNS1_3genE10ELNS1_11target_archE1201ELNS1_3gpuE5ELNS1_3repE0EEENS1_30default_config_static_selectorELNS0_4arch9wavefront6targetE0EEEvSU_.numbered_sgpr, 30
	.set _ZN7rocprim17ROCPRIM_400000_NS6detail17trampoline_kernelINS0_14default_configENS1_22reduce_config_selectorIbEEZNS1_11reduce_implILb1ES3_N6hipcub16HIPCUB_304000_NS22TransformInputIteratorIbN2at6native12_GLOBAL__N_19NonZeroOpIN3c107complexINSE_4HalfEEEEEPKSH_lEEPiiNS8_6detail34convert_binary_result_type_wrapperINS8_3SumESL_iEEEE10hipError_tPvRmT1_T2_T3_mT4_P12ihipStream_tbEUlT_E0_NS1_11comp_targetILNS1_3genE10ELNS1_11target_archE1201ELNS1_3gpuE5ELNS1_3repE0EEENS1_30default_config_static_selectorELNS0_4arch9wavefront6targetE0EEEvSU_.num_named_barrier, 0
	.set _ZN7rocprim17ROCPRIM_400000_NS6detail17trampoline_kernelINS0_14default_configENS1_22reduce_config_selectorIbEEZNS1_11reduce_implILb1ES3_N6hipcub16HIPCUB_304000_NS22TransformInputIteratorIbN2at6native12_GLOBAL__N_19NonZeroOpIN3c107complexINSE_4HalfEEEEEPKSH_lEEPiiNS8_6detail34convert_binary_result_type_wrapperINS8_3SumESL_iEEEE10hipError_tPvRmT1_T2_T3_mT4_P12ihipStream_tbEUlT_E0_NS1_11comp_targetILNS1_3genE10ELNS1_11target_archE1201ELNS1_3gpuE5ELNS1_3repE0EEENS1_30default_config_static_selectorELNS0_4arch9wavefront6targetE0EEEvSU_.private_seg_size, 0
	.set _ZN7rocprim17ROCPRIM_400000_NS6detail17trampoline_kernelINS0_14default_configENS1_22reduce_config_selectorIbEEZNS1_11reduce_implILb1ES3_N6hipcub16HIPCUB_304000_NS22TransformInputIteratorIbN2at6native12_GLOBAL__N_19NonZeroOpIN3c107complexINSE_4HalfEEEEEPKSH_lEEPiiNS8_6detail34convert_binary_result_type_wrapperINS8_3SumESL_iEEEE10hipError_tPvRmT1_T2_T3_mT4_P12ihipStream_tbEUlT_E0_NS1_11comp_targetILNS1_3genE10ELNS1_11target_archE1201ELNS1_3gpuE5ELNS1_3repE0EEENS1_30default_config_static_selectorELNS0_4arch9wavefront6targetE0EEEvSU_.uses_vcc, 1
	.set _ZN7rocprim17ROCPRIM_400000_NS6detail17trampoline_kernelINS0_14default_configENS1_22reduce_config_selectorIbEEZNS1_11reduce_implILb1ES3_N6hipcub16HIPCUB_304000_NS22TransformInputIteratorIbN2at6native12_GLOBAL__N_19NonZeroOpIN3c107complexINSE_4HalfEEEEEPKSH_lEEPiiNS8_6detail34convert_binary_result_type_wrapperINS8_3SumESL_iEEEE10hipError_tPvRmT1_T2_T3_mT4_P12ihipStream_tbEUlT_E0_NS1_11comp_targetILNS1_3genE10ELNS1_11target_archE1201ELNS1_3gpuE5ELNS1_3repE0EEENS1_30default_config_static_selectorELNS0_4arch9wavefront6targetE0EEEvSU_.uses_flat_scratch, 0
	.set _ZN7rocprim17ROCPRIM_400000_NS6detail17trampoline_kernelINS0_14default_configENS1_22reduce_config_selectorIbEEZNS1_11reduce_implILb1ES3_N6hipcub16HIPCUB_304000_NS22TransformInputIteratorIbN2at6native12_GLOBAL__N_19NonZeroOpIN3c107complexINSE_4HalfEEEEEPKSH_lEEPiiNS8_6detail34convert_binary_result_type_wrapperINS8_3SumESL_iEEEE10hipError_tPvRmT1_T2_T3_mT4_P12ihipStream_tbEUlT_E0_NS1_11comp_targetILNS1_3genE10ELNS1_11target_archE1201ELNS1_3gpuE5ELNS1_3repE0EEENS1_30default_config_static_selectorELNS0_4arch9wavefront6targetE0EEEvSU_.has_dyn_sized_stack, 0
	.set _ZN7rocprim17ROCPRIM_400000_NS6detail17trampoline_kernelINS0_14default_configENS1_22reduce_config_selectorIbEEZNS1_11reduce_implILb1ES3_N6hipcub16HIPCUB_304000_NS22TransformInputIteratorIbN2at6native12_GLOBAL__N_19NonZeroOpIN3c107complexINSE_4HalfEEEEEPKSH_lEEPiiNS8_6detail34convert_binary_result_type_wrapperINS8_3SumESL_iEEEE10hipError_tPvRmT1_T2_T3_mT4_P12ihipStream_tbEUlT_E0_NS1_11comp_targetILNS1_3genE10ELNS1_11target_archE1201ELNS1_3gpuE5ELNS1_3repE0EEENS1_30default_config_static_selectorELNS0_4arch9wavefront6targetE0EEEvSU_.has_recursion, 0
	.set _ZN7rocprim17ROCPRIM_400000_NS6detail17trampoline_kernelINS0_14default_configENS1_22reduce_config_selectorIbEEZNS1_11reduce_implILb1ES3_N6hipcub16HIPCUB_304000_NS22TransformInputIteratorIbN2at6native12_GLOBAL__N_19NonZeroOpIN3c107complexINSE_4HalfEEEEEPKSH_lEEPiiNS8_6detail34convert_binary_result_type_wrapperINS8_3SumESL_iEEEE10hipError_tPvRmT1_T2_T3_mT4_P12ihipStream_tbEUlT_E0_NS1_11comp_targetILNS1_3genE10ELNS1_11target_archE1201ELNS1_3gpuE5ELNS1_3repE0EEENS1_30default_config_static_selectorELNS0_4arch9wavefront6targetE0EEEvSU_.has_indirect_call, 0
	.section	.AMDGPU.csdata,"",@progbits
; Kernel info:
; codeLenInByte = 3644
; TotalNumSgprs: 32
; NumVgprs: 35
; ScratchSize: 0
; MemoryBound: 0
; FloatMode: 240
; IeeeMode: 1
; LDSByteSize: 64 bytes/workgroup (compile time only)
; SGPRBlocks: 0
; VGPRBlocks: 4
; NumSGPRsForWavesPerEU: 32
; NumVGPRsForWavesPerEU: 35
; Occupancy: 16
; WaveLimiterHint : 1
; COMPUTE_PGM_RSRC2:SCRATCH_EN: 0
; COMPUTE_PGM_RSRC2:USER_SGPR: 2
; COMPUTE_PGM_RSRC2:TRAP_HANDLER: 0
; COMPUTE_PGM_RSRC2:TGID_X_EN: 1
; COMPUTE_PGM_RSRC2:TGID_Y_EN: 0
; COMPUTE_PGM_RSRC2:TGID_Z_EN: 0
; COMPUTE_PGM_RSRC2:TIDIG_COMP_CNT: 0
	.section	.text._ZN7rocprim17ROCPRIM_400000_NS6detail17trampoline_kernelINS0_14default_configENS1_22reduce_config_selectorIbEEZNS1_11reduce_implILb1ES3_N6hipcub16HIPCUB_304000_NS22TransformInputIteratorIbN2at6native12_GLOBAL__N_19NonZeroOpIN3c107complexINSE_4HalfEEEEEPKSH_lEEPiiNS8_6detail34convert_binary_result_type_wrapperINS8_3SumESL_iEEEE10hipError_tPvRmT1_T2_T3_mT4_P12ihipStream_tbEUlT_E0_NS1_11comp_targetILNS1_3genE10ELNS1_11target_archE1200ELNS1_3gpuE4ELNS1_3repE0EEENS1_30default_config_static_selectorELNS0_4arch9wavefront6targetE0EEEvSU_,"axG",@progbits,_ZN7rocprim17ROCPRIM_400000_NS6detail17trampoline_kernelINS0_14default_configENS1_22reduce_config_selectorIbEEZNS1_11reduce_implILb1ES3_N6hipcub16HIPCUB_304000_NS22TransformInputIteratorIbN2at6native12_GLOBAL__N_19NonZeroOpIN3c107complexINSE_4HalfEEEEEPKSH_lEEPiiNS8_6detail34convert_binary_result_type_wrapperINS8_3SumESL_iEEEE10hipError_tPvRmT1_T2_T3_mT4_P12ihipStream_tbEUlT_E0_NS1_11comp_targetILNS1_3genE10ELNS1_11target_archE1200ELNS1_3gpuE4ELNS1_3repE0EEENS1_30default_config_static_selectorELNS0_4arch9wavefront6targetE0EEEvSU_,comdat
	.globl	_ZN7rocprim17ROCPRIM_400000_NS6detail17trampoline_kernelINS0_14default_configENS1_22reduce_config_selectorIbEEZNS1_11reduce_implILb1ES3_N6hipcub16HIPCUB_304000_NS22TransformInputIteratorIbN2at6native12_GLOBAL__N_19NonZeroOpIN3c107complexINSE_4HalfEEEEEPKSH_lEEPiiNS8_6detail34convert_binary_result_type_wrapperINS8_3SumESL_iEEEE10hipError_tPvRmT1_T2_T3_mT4_P12ihipStream_tbEUlT_E0_NS1_11comp_targetILNS1_3genE10ELNS1_11target_archE1200ELNS1_3gpuE4ELNS1_3repE0EEENS1_30default_config_static_selectorELNS0_4arch9wavefront6targetE0EEEvSU_ ; -- Begin function _ZN7rocprim17ROCPRIM_400000_NS6detail17trampoline_kernelINS0_14default_configENS1_22reduce_config_selectorIbEEZNS1_11reduce_implILb1ES3_N6hipcub16HIPCUB_304000_NS22TransformInputIteratorIbN2at6native12_GLOBAL__N_19NonZeroOpIN3c107complexINSE_4HalfEEEEEPKSH_lEEPiiNS8_6detail34convert_binary_result_type_wrapperINS8_3SumESL_iEEEE10hipError_tPvRmT1_T2_T3_mT4_P12ihipStream_tbEUlT_E0_NS1_11comp_targetILNS1_3genE10ELNS1_11target_archE1200ELNS1_3gpuE4ELNS1_3repE0EEENS1_30default_config_static_selectorELNS0_4arch9wavefront6targetE0EEEvSU_
	.p2align	8
	.type	_ZN7rocprim17ROCPRIM_400000_NS6detail17trampoline_kernelINS0_14default_configENS1_22reduce_config_selectorIbEEZNS1_11reduce_implILb1ES3_N6hipcub16HIPCUB_304000_NS22TransformInputIteratorIbN2at6native12_GLOBAL__N_19NonZeroOpIN3c107complexINSE_4HalfEEEEEPKSH_lEEPiiNS8_6detail34convert_binary_result_type_wrapperINS8_3SumESL_iEEEE10hipError_tPvRmT1_T2_T3_mT4_P12ihipStream_tbEUlT_E0_NS1_11comp_targetILNS1_3genE10ELNS1_11target_archE1200ELNS1_3gpuE4ELNS1_3repE0EEENS1_30default_config_static_selectorELNS0_4arch9wavefront6targetE0EEEvSU_,@function
_ZN7rocprim17ROCPRIM_400000_NS6detail17trampoline_kernelINS0_14default_configENS1_22reduce_config_selectorIbEEZNS1_11reduce_implILb1ES3_N6hipcub16HIPCUB_304000_NS22TransformInputIteratorIbN2at6native12_GLOBAL__N_19NonZeroOpIN3c107complexINSE_4HalfEEEEEPKSH_lEEPiiNS8_6detail34convert_binary_result_type_wrapperINS8_3SumESL_iEEEE10hipError_tPvRmT1_T2_T3_mT4_P12ihipStream_tbEUlT_E0_NS1_11comp_targetILNS1_3genE10ELNS1_11target_archE1200ELNS1_3gpuE4ELNS1_3repE0EEENS1_30default_config_static_selectorELNS0_4arch9wavefront6targetE0EEEvSU_: ; @_ZN7rocprim17ROCPRIM_400000_NS6detail17trampoline_kernelINS0_14default_configENS1_22reduce_config_selectorIbEEZNS1_11reduce_implILb1ES3_N6hipcub16HIPCUB_304000_NS22TransformInputIteratorIbN2at6native12_GLOBAL__N_19NonZeroOpIN3c107complexINSE_4HalfEEEEEPKSH_lEEPiiNS8_6detail34convert_binary_result_type_wrapperINS8_3SumESL_iEEEE10hipError_tPvRmT1_T2_T3_mT4_P12ihipStream_tbEUlT_E0_NS1_11comp_targetILNS1_3genE10ELNS1_11target_archE1200ELNS1_3gpuE4ELNS1_3repE0EEENS1_30default_config_static_selectorELNS0_4arch9wavefront6targetE0EEEvSU_
; %bb.0:
	.section	.rodata,"a",@progbits
	.p2align	6, 0x0
	.amdhsa_kernel _ZN7rocprim17ROCPRIM_400000_NS6detail17trampoline_kernelINS0_14default_configENS1_22reduce_config_selectorIbEEZNS1_11reduce_implILb1ES3_N6hipcub16HIPCUB_304000_NS22TransformInputIteratorIbN2at6native12_GLOBAL__N_19NonZeroOpIN3c107complexINSE_4HalfEEEEEPKSH_lEEPiiNS8_6detail34convert_binary_result_type_wrapperINS8_3SumESL_iEEEE10hipError_tPvRmT1_T2_T3_mT4_P12ihipStream_tbEUlT_E0_NS1_11comp_targetILNS1_3genE10ELNS1_11target_archE1200ELNS1_3gpuE4ELNS1_3repE0EEENS1_30default_config_static_selectorELNS0_4arch9wavefront6targetE0EEEvSU_
		.amdhsa_group_segment_fixed_size 0
		.amdhsa_private_segment_fixed_size 0
		.amdhsa_kernarg_size 64
		.amdhsa_user_sgpr_count 2
		.amdhsa_user_sgpr_dispatch_ptr 0
		.amdhsa_user_sgpr_queue_ptr 0
		.amdhsa_user_sgpr_kernarg_segment_ptr 1
		.amdhsa_user_sgpr_dispatch_id 0
		.amdhsa_user_sgpr_private_segment_size 0
		.amdhsa_wavefront_size32 1
		.amdhsa_uses_dynamic_stack 0
		.amdhsa_enable_private_segment 0
		.amdhsa_system_sgpr_workgroup_id_x 1
		.amdhsa_system_sgpr_workgroup_id_y 0
		.amdhsa_system_sgpr_workgroup_id_z 0
		.amdhsa_system_sgpr_workgroup_info 0
		.amdhsa_system_vgpr_workitem_id 0
		.amdhsa_next_free_vgpr 1
		.amdhsa_next_free_sgpr 1
		.amdhsa_reserve_vcc 0
		.amdhsa_float_round_mode_32 0
		.amdhsa_float_round_mode_16_64 0
		.amdhsa_float_denorm_mode_32 3
		.amdhsa_float_denorm_mode_16_64 3
		.amdhsa_fp16_overflow 0
		.amdhsa_workgroup_processor_mode 1
		.amdhsa_memory_ordered 1
		.amdhsa_forward_progress 1
		.amdhsa_inst_pref_size 0
		.amdhsa_round_robin_scheduling 0
		.amdhsa_exception_fp_ieee_invalid_op 0
		.amdhsa_exception_fp_denorm_src 0
		.amdhsa_exception_fp_ieee_div_zero 0
		.amdhsa_exception_fp_ieee_overflow 0
		.amdhsa_exception_fp_ieee_underflow 0
		.amdhsa_exception_fp_ieee_inexact 0
		.amdhsa_exception_int_div_zero 0
	.end_amdhsa_kernel
	.section	.text._ZN7rocprim17ROCPRIM_400000_NS6detail17trampoline_kernelINS0_14default_configENS1_22reduce_config_selectorIbEEZNS1_11reduce_implILb1ES3_N6hipcub16HIPCUB_304000_NS22TransformInputIteratorIbN2at6native12_GLOBAL__N_19NonZeroOpIN3c107complexINSE_4HalfEEEEEPKSH_lEEPiiNS8_6detail34convert_binary_result_type_wrapperINS8_3SumESL_iEEEE10hipError_tPvRmT1_T2_T3_mT4_P12ihipStream_tbEUlT_E0_NS1_11comp_targetILNS1_3genE10ELNS1_11target_archE1200ELNS1_3gpuE4ELNS1_3repE0EEENS1_30default_config_static_selectorELNS0_4arch9wavefront6targetE0EEEvSU_,"axG",@progbits,_ZN7rocprim17ROCPRIM_400000_NS6detail17trampoline_kernelINS0_14default_configENS1_22reduce_config_selectorIbEEZNS1_11reduce_implILb1ES3_N6hipcub16HIPCUB_304000_NS22TransformInputIteratorIbN2at6native12_GLOBAL__N_19NonZeroOpIN3c107complexINSE_4HalfEEEEEPKSH_lEEPiiNS8_6detail34convert_binary_result_type_wrapperINS8_3SumESL_iEEEE10hipError_tPvRmT1_T2_T3_mT4_P12ihipStream_tbEUlT_E0_NS1_11comp_targetILNS1_3genE10ELNS1_11target_archE1200ELNS1_3gpuE4ELNS1_3repE0EEENS1_30default_config_static_selectorELNS0_4arch9wavefront6targetE0EEEvSU_,comdat
.Lfunc_end650:
	.size	_ZN7rocprim17ROCPRIM_400000_NS6detail17trampoline_kernelINS0_14default_configENS1_22reduce_config_selectorIbEEZNS1_11reduce_implILb1ES3_N6hipcub16HIPCUB_304000_NS22TransformInputIteratorIbN2at6native12_GLOBAL__N_19NonZeroOpIN3c107complexINSE_4HalfEEEEEPKSH_lEEPiiNS8_6detail34convert_binary_result_type_wrapperINS8_3SumESL_iEEEE10hipError_tPvRmT1_T2_T3_mT4_P12ihipStream_tbEUlT_E0_NS1_11comp_targetILNS1_3genE10ELNS1_11target_archE1200ELNS1_3gpuE4ELNS1_3repE0EEENS1_30default_config_static_selectorELNS0_4arch9wavefront6targetE0EEEvSU_, .Lfunc_end650-_ZN7rocprim17ROCPRIM_400000_NS6detail17trampoline_kernelINS0_14default_configENS1_22reduce_config_selectorIbEEZNS1_11reduce_implILb1ES3_N6hipcub16HIPCUB_304000_NS22TransformInputIteratorIbN2at6native12_GLOBAL__N_19NonZeroOpIN3c107complexINSE_4HalfEEEEEPKSH_lEEPiiNS8_6detail34convert_binary_result_type_wrapperINS8_3SumESL_iEEEE10hipError_tPvRmT1_T2_T3_mT4_P12ihipStream_tbEUlT_E0_NS1_11comp_targetILNS1_3genE10ELNS1_11target_archE1200ELNS1_3gpuE4ELNS1_3repE0EEENS1_30default_config_static_selectorELNS0_4arch9wavefront6targetE0EEEvSU_
                                        ; -- End function
	.set _ZN7rocprim17ROCPRIM_400000_NS6detail17trampoline_kernelINS0_14default_configENS1_22reduce_config_selectorIbEEZNS1_11reduce_implILb1ES3_N6hipcub16HIPCUB_304000_NS22TransformInputIteratorIbN2at6native12_GLOBAL__N_19NonZeroOpIN3c107complexINSE_4HalfEEEEEPKSH_lEEPiiNS8_6detail34convert_binary_result_type_wrapperINS8_3SumESL_iEEEE10hipError_tPvRmT1_T2_T3_mT4_P12ihipStream_tbEUlT_E0_NS1_11comp_targetILNS1_3genE10ELNS1_11target_archE1200ELNS1_3gpuE4ELNS1_3repE0EEENS1_30default_config_static_selectorELNS0_4arch9wavefront6targetE0EEEvSU_.num_vgpr, 0
	.set _ZN7rocprim17ROCPRIM_400000_NS6detail17trampoline_kernelINS0_14default_configENS1_22reduce_config_selectorIbEEZNS1_11reduce_implILb1ES3_N6hipcub16HIPCUB_304000_NS22TransformInputIteratorIbN2at6native12_GLOBAL__N_19NonZeroOpIN3c107complexINSE_4HalfEEEEEPKSH_lEEPiiNS8_6detail34convert_binary_result_type_wrapperINS8_3SumESL_iEEEE10hipError_tPvRmT1_T2_T3_mT4_P12ihipStream_tbEUlT_E0_NS1_11comp_targetILNS1_3genE10ELNS1_11target_archE1200ELNS1_3gpuE4ELNS1_3repE0EEENS1_30default_config_static_selectorELNS0_4arch9wavefront6targetE0EEEvSU_.num_agpr, 0
	.set _ZN7rocprim17ROCPRIM_400000_NS6detail17trampoline_kernelINS0_14default_configENS1_22reduce_config_selectorIbEEZNS1_11reduce_implILb1ES3_N6hipcub16HIPCUB_304000_NS22TransformInputIteratorIbN2at6native12_GLOBAL__N_19NonZeroOpIN3c107complexINSE_4HalfEEEEEPKSH_lEEPiiNS8_6detail34convert_binary_result_type_wrapperINS8_3SumESL_iEEEE10hipError_tPvRmT1_T2_T3_mT4_P12ihipStream_tbEUlT_E0_NS1_11comp_targetILNS1_3genE10ELNS1_11target_archE1200ELNS1_3gpuE4ELNS1_3repE0EEENS1_30default_config_static_selectorELNS0_4arch9wavefront6targetE0EEEvSU_.numbered_sgpr, 0
	.set _ZN7rocprim17ROCPRIM_400000_NS6detail17trampoline_kernelINS0_14default_configENS1_22reduce_config_selectorIbEEZNS1_11reduce_implILb1ES3_N6hipcub16HIPCUB_304000_NS22TransformInputIteratorIbN2at6native12_GLOBAL__N_19NonZeroOpIN3c107complexINSE_4HalfEEEEEPKSH_lEEPiiNS8_6detail34convert_binary_result_type_wrapperINS8_3SumESL_iEEEE10hipError_tPvRmT1_T2_T3_mT4_P12ihipStream_tbEUlT_E0_NS1_11comp_targetILNS1_3genE10ELNS1_11target_archE1200ELNS1_3gpuE4ELNS1_3repE0EEENS1_30default_config_static_selectorELNS0_4arch9wavefront6targetE0EEEvSU_.num_named_barrier, 0
	.set _ZN7rocprim17ROCPRIM_400000_NS6detail17trampoline_kernelINS0_14default_configENS1_22reduce_config_selectorIbEEZNS1_11reduce_implILb1ES3_N6hipcub16HIPCUB_304000_NS22TransformInputIteratorIbN2at6native12_GLOBAL__N_19NonZeroOpIN3c107complexINSE_4HalfEEEEEPKSH_lEEPiiNS8_6detail34convert_binary_result_type_wrapperINS8_3SumESL_iEEEE10hipError_tPvRmT1_T2_T3_mT4_P12ihipStream_tbEUlT_E0_NS1_11comp_targetILNS1_3genE10ELNS1_11target_archE1200ELNS1_3gpuE4ELNS1_3repE0EEENS1_30default_config_static_selectorELNS0_4arch9wavefront6targetE0EEEvSU_.private_seg_size, 0
	.set _ZN7rocprim17ROCPRIM_400000_NS6detail17trampoline_kernelINS0_14default_configENS1_22reduce_config_selectorIbEEZNS1_11reduce_implILb1ES3_N6hipcub16HIPCUB_304000_NS22TransformInputIteratorIbN2at6native12_GLOBAL__N_19NonZeroOpIN3c107complexINSE_4HalfEEEEEPKSH_lEEPiiNS8_6detail34convert_binary_result_type_wrapperINS8_3SumESL_iEEEE10hipError_tPvRmT1_T2_T3_mT4_P12ihipStream_tbEUlT_E0_NS1_11comp_targetILNS1_3genE10ELNS1_11target_archE1200ELNS1_3gpuE4ELNS1_3repE0EEENS1_30default_config_static_selectorELNS0_4arch9wavefront6targetE0EEEvSU_.uses_vcc, 0
	.set _ZN7rocprim17ROCPRIM_400000_NS6detail17trampoline_kernelINS0_14default_configENS1_22reduce_config_selectorIbEEZNS1_11reduce_implILb1ES3_N6hipcub16HIPCUB_304000_NS22TransformInputIteratorIbN2at6native12_GLOBAL__N_19NonZeroOpIN3c107complexINSE_4HalfEEEEEPKSH_lEEPiiNS8_6detail34convert_binary_result_type_wrapperINS8_3SumESL_iEEEE10hipError_tPvRmT1_T2_T3_mT4_P12ihipStream_tbEUlT_E0_NS1_11comp_targetILNS1_3genE10ELNS1_11target_archE1200ELNS1_3gpuE4ELNS1_3repE0EEENS1_30default_config_static_selectorELNS0_4arch9wavefront6targetE0EEEvSU_.uses_flat_scratch, 0
	.set _ZN7rocprim17ROCPRIM_400000_NS6detail17trampoline_kernelINS0_14default_configENS1_22reduce_config_selectorIbEEZNS1_11reduce_implILb1ES3_N6hipcub16HIPCUB_304000_NS22TransformInputIteratorIbN2at6native12_GLOBAL__N_19NonZeroOpIN3c107complexINSE_4HalfEEEEEPKSH_lEEPiiNS8_6detail34convert_binary_result_type_wrapperINS8_3SumESL_iEEEE10hipError_tPvRmT1_T2_T3_mT4_P12ihipStream_tbEUlT_E0_NS1_11comp_targetILNS1_3genE10ELNS1_11target_archE1200ELNS1_3gpuE4ELNS1_3repE0EEENS1_30default_config_static_selectorELNS0_4arch9wavefront6targetE0EEEvSU_.has_dyn_sized_stack, 0
	.set _ZN7rocprim17ROCPRIM_400000_NS6detail17trampoline_kernelINS0_14default_configENS1_22reduce_config_selectorIbEEZNS1_11reduce_implILb1ES3_N6hipcub16HIPCUB_304000_NS22TransformInputIteratorIbN2at6native12_GLOBAL__N_19NonZeroOpIN3c107complexINSE_4HalfEEEEEPKSH_lEEPiiNS8_6detail34convert_binary_result_type_wrapperINS8_3SumESL_iEEEE10hipError_tPvRmT1_T2_T3_mT4_P12ihipStream_tbEUlT_E0_NS1_11comp_targetILNS1_3genE10ELNS1_11target_archE1200ELNS1_3gpuE4ELNS1_3repE0EEENS1_30default_config_static_selectorELNS0_4arch9wavefront6targetE0EEEvSU_.has_recursion, 0
	.set _ZN7rocprim17ROCPRIM_400000_NS6detail17trampoline_kernelINS0_14default_configENS1_22reduce_config_selectorIbEEZNS1_11reduce_implILb1ES3_N6hipcub16HIPCUB_304000_NS22TransformInputIteratorIbN2at6native12_GLOBAL__N_19NonZeroOpIN3c107complexINSE_4HalfEEEEEPKSH_lEEPiiNS8_6detail34convert_binary_result_type_wrapperINS8_3SumESL_iEEEE10hipError_tPvRmT1_T2_T3_mT4_P12ihipStream_tbEUlT_E0_NS1_11comp_targetILNS1_3genE10ELNS1_11target_archE1200ELNS1_3gpuE4ELNS1_3repE0EEENS1_30default_config_static_selectorELNS0_4arch9wavefront6targetE0EEEvSU_.has_indirect_call, 0
	.section	.AMDGPU.csdata,"",@progbits
; Kernel info:
; codeLenInByte = 0
; TotalNumSgprs: 0
; NumVgprs: 0
; ScratchSize: 0
; MemoryBound: 0
; FloatMode: 240
; IeeeMode: 1
; LDSByteSize: 0 bytes/workgroup (compile time only)
; SGPRBlocks: 0
; VGPRBlocks: 0
; NumSGPRsForWavesPerEU: 1
; NumVGPRsForWavesPerEU: 1
; Occupancy: 16
; WaveLimiterHint : 0
; COMPUTE_PGM_RSRC2:SCRATCH_EN: 0
; COMPUTE_PGM_RSRC2:USER_SGPR: 2
; COMPUTE_PGM_RSRC2:TRAP_HANDLER: 0
; COMPUTE_PGM_RSRC2:TGID_X_EN: 1
; COMPUTE_PGM_RSRC2:TGID_Y_EN: 0
; COMPUTE_PGM_RSRC2:TGID_Z_EN: 0
; COMPUTE_PGM_RSRC2:TIDIG_COMP_CNT: 0
	.section	.text._ZN7rocprim17ROCPRIM_400000_NS6detail17trampoline_kernelINS0_14default_configENS1_22reduce_config_selectorIbEEZNS1_11reduce_implILb1ES3_N6hipcub16HIPCUB_304000_NS22TransformInputIteratorIbN2at6native12_GLOBAL__N_19NonZeroOpIN3c107complexINSE_4HalfEEEEEPKSH_lEEPiiNS8_6detail34convert_binary_result_type_wrapperINS8_3SumESL_iEEEE10hipError_tPvRmT1_T2_T3_mT4_P12ihipStream_tbEUlT_E0_NS1_11comp_targetILNS1_3genE9ELNS1_11target_archE1100ELNS1_3gpuE3ELNS1_3repE0EEENS1_30default_config_static_selectorELNS0_4arch9wavefront6targetE0EEEvSU_,"axG",@progbits,_ZN7rocprim17ROCPRIM_400000_NS6detail17trampoline_kernelINS0_14default_configENS1_22reduce_config_selectorIbEEZNS1_11reduce_implILb1ES3_N6hipcub16HIPCUB_304000_NS22TransformInputIteratorIbN2at6native12_GLOBAL__N_19NonZeroOpIN3c107complexINSE_4HalfEEEEEPKSH_lEEPiiNS8_6detail34convert_binary_result_type_wrapperINS8_3SumESL_iEEEE10hipError_tPvRmT1_T2_T3_mT4_P12ihipStream_tbEUlT_E0_NS1_11comp_targetILNS1_3genE9ELNS1_11target_archE1100ELNS1_3gpuE3ELNS1_3repE0EEENS1_30default_config_static_selectorELNS0_4arch9wavefront6targetE0EEEvSU_,comdat
	.globl	_ZN7rocprim17ROCPRIM_400000_NS6detail17trampoline_kernelINS0_14default_configENS1_22reduce_config_selectorIbEEZNS1_11reduce_implILb1ES3_N6hipcub16HIPCUB_304000_NS22TransformInputIteratorIbN2at6native12_GLOBAL__N_19NonZeroOpIN3c107complexINSE_4HalfEEEEEPKSH_lEEPiiNS8_6detail34convert_binary_result_type_wrapperINS8_3SumESL_iEEEE10hipError_tPvRmT1_T2_T3_mT4_P12ihipStream_tbEUlT_E0_NS1_11comp_targetILNS1_3genE9ELNS1_11target_archE1100ELNS1_3gpuE3ELNS1_3repE0EEENS1_30default_config_static_selectorELNS0_4arch9wavefront6targetE0EEEvSU_ ; -- Begin function _ZN7rocprim17ROCPRIM_400000_NS6detail17trampoline_kernelINS0_14default_configENS1_22reduce_config_selectorIbEEZNS1_11reduce_implILb1ES3_N6hipcub16HIPCUB_304000_NS22TransformInputIteratorIbN2at6native12_GLOBAL__N_19NonZeroOpIN3c107complexINSE_4HalfEEEEEPKSH_lEEPiiNS8_6detail34convert_binary_result_type_wrapperINS8_3SumESL_iEEEE10hipError_tPvRmT1_T2_T3_mT4_P12ihipStream_tbEUlT_E0_NS1_11comp_targetILNS1_3genE9ELNS1_11target_archE1100ELNS1_3gpuE3ELNS1_3repE0EEENS1_30default_config_static_selectorELNS0_4arch9wavefront6targetE0EEEvSU_
	.p2align	8
	.type	_ZN7rocprim17ROCPRIM_400000_NS6detail17trampoline_kernelINS0_14default_configENS1_22reduce_config_selectorIbEEZNS1_11reduce_implILb1ES3_N6hipcub16HIPCUB_304000_NS22TransformInputIteratorIbN2at6native12_GLOBAL__N_19NonZeroOpIN3c107complexINSE_4HalfEEEEEPKSH_lEEPiiNS8_6detail34convert_binary_result_type_wrapperINS8_3SumESL_iEEEE10hipError_tPvRmT1_T2_T3_mT4_P12ihipStream_tbEUlT_E0_NS1_11comp_targetILNS1_3genE9ELNS1_11target_archE1100ELNS1_3gpuE3ELNS1_3repE0EEENS1_30default_config_static_selectorELNS0_4arch9wavefront6targetE0EEEvSU_,@function
_ZN7rocprim17ROCPRIM_400000_NS6detail17trampoline_kernelINS0_14default_configENS1_22reduce_config_selectorIbEEZNS1_11reduce_implILb1ES3_N6hipcub16HIPCUB_304000_NS22TransformInputIteratorIbN2at6native12_GLOBAL__N_19NonZeroOpIN3c107complexINSE_4HalfEEEEEPKSH_lEEPiiNS8_6detail34convert_binary_result_type_wrapperINS8_3SumESL_iEEEE10hipError_tPvRmT1_T2_T3_mT4_P12ihipStream_tbEUlT_E0_NS1_11comp_targetILNS1_3genE9ELNS1_11target_archE1100ELNS1_3gpuE3ELNS1_3repE0EEENS1_30default_config_static_selectorELNS0_4arch9wavefront6targetE0EEEvSU_: ; @_ZN7rocprim17ROCPRIM_400000_NS6detail17trampoline_kernelINS0_14default_configENS1_22reduce_config_selectorIbEEZNS1_11reduce_implILb1ES3_N6hipcub16HIPCUB_304000_NS22TransformInputIteratorIbN2at6native12_GLOBAL__N_19NonZeroOpIN3c107complexINSE_4HalfEEEEEPKSH_lEEPiiNS8_6detail34convert_binary_result_type_wrapperINS8_3SumESL_iEEEE10hipError_tPvRmT1_T2_T3_mT4_P12ihipStream_tbEUlT_E0_NS1_11comp_targetILNS1_3genE9ELNS1_11target_archE1100ELNS1_3gpuE3ELNS1_3repE0EEENS1_30default_config_static_selectorELNS0_4arch9wavefront6targetE0EEEvSU_
; %bb.0:
	.section	.rodata,"a",@progbits
	.p2align	6, 0x0
	.amdhsa_kernel _ZN7rocprim17ROCPRIM_400000_NS6detail17trampoline_kernelINS0_14default_configENS1_22reduce_config_selectorIbEEZNS1_11reduce_implILb1ES3_N6hipcub16HIPCUB_304000_NS22TransformInputIteratorIbN2at6native12_GLOBAL__N_19NonZeroOpIN3c107complexINSE_4HalfEEEEEPKSH_lEEPiiNS8_6detail34convert_binary_result_type_wrapperINS8_3SumESL_iEEEE10hipError_tPvRmT1_T2_T3_mT4_P12ihipStream_tbEUlT_E0_NS1_11comp_targetILNS1_3genE9ELNS1_11target_archE1100ELNS1_3gpuE3ELNS1_3repE0EEENS1_30default_config_static_selectorELNS0_4arch9wavefront6targetE0EEEvSU_
		.amdhsa_group_segment_fixed_size 0
		.amdhsa_private_segment_fixed_size 0
		.amdhsa_kernarg_size 64
		.amdhsa_user_sgpr_count 2
		.amdhsa_user_sgpr_dispatch_ptr 0
		.amdhsa_user_sgpr_queue_ptr 0
		.amdhsa_user_sgpr_kernarg_segment_ptr 1
		.amdhsa_user_sgpr_dispatch_id 0
		.amdhsa_user_sgpr_private_segment_size 0
		.amdhsa_wavefront_size32 1
		.amdhsa_uses_dynamic_stack 0
		.amdhsa_enable_private_segment 0
		.amdhsa_system_sgpr_workgroup_id_x 1
		.amdhsa_system_sgpr_workgroup_id_y 0
		.amdhsa_system_sgpr_workgroup_id_z 0
		.amdhsa_system_sgpr_workgroup_info 0
		.amdhsa_system_vgpr_workitem_id 0
		.amdhsa_next_free_vgpr 1
		.amdhsa_next_free_sgpr 1
		.amdhsa_reserve_vcc 0
		.amdhsa_float_round_mode_32 0
		.amdhsa_float_round_mode_16_64 0
		.amdhsa_float_denorm_mode_32 3
		.amdhsa_float_denorm_mode_16_64 3
		.amdhsa_fp16_overflow 0
		.amdhsa_workgroup_processor_mode 1
		.amdhsa_memory_ordered 1
		.amdhsa_forward_progress 1
		.amdhsa_inst_pref_size 0
		.amdhsa_round_robin_scheduling 0
		.amdhsa_exception_fp_ieee_invalid_op 0
		.amdhsa_exception_fp_denorm_src 0
		.amdhsa_exception_fp_ieee_div_zero 0
		.amdhsa_exception_fp_ieee_overflow 0
		.amdhsa_exception_fp_ieee_underflow 0
		.amdhsa_exception_fp_ieee_inexact 0
		.amdhsa_exception_int_div_zero 0
	.end_amdhsa_kernel
	.section	.text._ZN7rocprim17ROCPRIM_400000_NS6detail17trampoline_kernelINS0_14default_configENS1_22reduce_config_selectorIbEEZNS1_11reduce_implILb1ES3_N6hipcub16HIPCUB_304000_NS22TransformInputIteratorIbN2at6native12_GLOBAL__N_19NonZeroOpIN3c107complexINSE_4HalfEEEEEPKSH_lEEPiiNS8_6detail34convert_binary_result_type_wrapperINS8_3SumESL_iEEEE10hipError_tPvRmT1_T2_T3_mT4_P12ihipStream_tbEUlT_E0_NS1_11comp_targetILNS1_3genE9ELNS1_11target_archE1100ELNS1_3gpuE3ELNS1_3repE0EEENS1_30default_config_static_selectorELNS0_4arch9wavefront6targetE0EEEvSU_,"axG",@progbits,_ZN7rocprim17ROCPRIM_400000_NS6detail17trampoline_kernelINS0_14default_configENS1_22reduce_config_selectorIbEEZNS1_11reduce_implILb1ES3_N6hipcub16HIPCUB_304000_NS22TransformInputIteratorIbN2at6native12_GLOBAL__N_19NonZeroOpIN3c107complexINSE_4HalfEEEEEPKSH_lEEPiiNS8_6detail34convert_binary_result_type_wrapperINS8_3SumESL_iEEEE10hipError_tPvRmT1_T2_T3_mT4_P12ihipStream_tbEUlT_E0_NS1_11comp_targetILNS1_3genE9ELNS1_11target_archE1100ELNS1_3gpuE3ELNS1_3repE0EEENS1_30default_config_static_selectorELNS0_4arch9wavefront6targetE0EEEvSU_,comdat
.Lfunc_end651:
	.size	_ZN7rocprim17ROCPRIM_400000_NS6detail17trampoline_kernelINS0_14default_configENS1_22reduce_config_selectorIbEEZNS1_11reduce_implILb1ES3_N6hipcub16HIPCUB_304000_NS22TransformInputIteratorIbN2at6native12_GLOBAL__N_19NonZeroOpIN3c107complexINSE_4HalfEEEEEPKSH_lEEPiiNS8_6detail34convert_binary_result_type_wrapperINS8_3SumESL_iEEEE10hipError_tPvRmT1_T2_T3_mT4_P12ihipStream_tbEUlT_E0_NS1_11comp_targetILNS1_3genE9ELNS1_11target_archE1100ELNS1_3gpuE3ELNS1_3repE0EEENS1_30default_config_static_selectorELNS0_4arch9wavefront6targetE0EEEvSU_, .Lfunc_end651-_ZN7rocprim17ROCPRIM_400000_NS6detail17trampoline_kernelINS0_14default_configENS1_22reduce_config_selectorIbEEZNS1_11reduce_implILb1ES3_N6hipcub16HIPCUB_304000_NS22TransformInputIteratorIbN2at6native12_GLOBAL__N_19NonZeroOpIN3c107complexINSE_4HalfEEEEEPKSH_lEEPiiNS8_6detail34convert_binary_result_type_wrapperINS8_3SumESL_iEEEE10hipError_tPvRmT1_T2_T3_mT4_P12ihipStream_tbEUlT_E0_NS1_11comp_targetILNS1_3genE9ELNS1_11target_archE1100ELNS1_3gpuE3ELNS1_3repE0EEENS1_30default_config_static_selectorELNS0_4arch9wavefront6targetE0EEEvSU_
                                        ; -- End function
	.set _ZN7rocprim17ROCPRIM_400000_NS6detail17trampoline_kernelINS0_14default_configENS1_22reduce_config_selectorIbEEZNS1_11reduce_implILb1ES3_N6hipcub16HIPCUB_304000_NS22TransformInputIteratorIbN2at6native12_GLOBAL__N_19NonZeroOpIN3c107complexINSE_4HalfEEEEEPKSH_lEEPiiNS8_6detail34convert_binary_result_type_wrapperINS8_3SumESL_iEEEE10hipError_tPvRmT1_T2_T3_mT4_P12ihipStream_tbEUlT_E0_NS1_11comp_targetILNS1_3genE9ELNS1_11target_archE1100ELNS1_3gpuE3ELNS1_3repE0EEENS1_30default_config_static_selectorELNS0_4arch9wavefront6targetE0EEEvSU_.num_vgpr, 0
	.set _ZN7rocprim17ROCPRIM_400000_NS6detail17trampoline_kernelINS0_14default_configENS1_22reduce_config_selectorIbEEZNS1_11reduce_implILb1ES3_N6hipcub16HIPCUB_304000_NS22TransformInputIteratorIbN2at6native12_GLOBAL__N_19NonZeroOpIN3c107complexINSE_4HalfEEEEEPKSH_lEEPiiNS8_6detail34convert_binary_result_type_wrapperINS8_3SumESL_iEEEE10hipError_tPvRmT1_T2_T3_mT4_P12ihipStream_tbEUlT_E0_NS1_11comp_targetILNS1_3genE9ELNS1_11target_archE1100ELNS1_3gpuE3ELNS1_3repE0EEENS1_30default_config_static_selectorELNS0_4arch9wavefront6targetE0EEEvSU_.num_agpr, 0
	.set _ZN7rocprim17ROCPRIM_400000_NS6detail17trampoline_kernelINS0_14default_configENS1_22reduce_config_selectorIbEEZNS1_11reduce_implILb1ES3_N6hipcub16HIPCUB_304000_NS22TransformInputIteratorIbN2at6native12_GLOBAL__N_19NonZeroOpIN3c107complexINSE_4HalfEEEEEPKSH_lEEPiiNS8_6detail34convert_binary_result_type_wrapperINS8_3SumESL_iEEEE10hipError_tPvRmT1_T2_T3_mT4_P12ihipStream_tbEUlT_E0_NS1_11comp_targetILNS1_3genE9ELNS1_11target_archE1100ELNS1_3gpuE3ELNS1_3repE0EEENS1_30default_config_static_selectorELNS0_4arch9wavefront6targetE0EEEvSU_.numbered_sgpr, 0
	.set _ZN7rocprim17ROCPRIM_400000_NS6detail17trampoline_kernelINS0_14default_configENS1_22reduce_config_selectorIbEEZNS1_11reduce_implILb1ES3_N6hipcub16HIPCUB_304000_NS22TransformInputIteratorIbN2at6native12_GLOBAL__N_19NonZeroOpIN3c107complexINSE_4HalfEEEEEPKSH_lEEPiiNS8_6detail34convert_binary_result_type_wrapperINS8_3SumESL_iEEEE10hipError_tPvRmT1_T2_T3_mT4_P12ihipStream_tbEUlT_E0_NS1_11comp_targetILNS1_3genE9ELNS1_11target_archE1100ELNS1_3gpuE3ELNS1_3repE0EEENS1_30default_config_static_selectorELNS0_4arch9wavefront6targetE0EEEvSU_.num_named_barrier, 0
	.set _ZN7rocprim17ROCPRIM_400000_NS6detail17trampoline_kernelINS0_14default_configENS1_22reduce_config_selectorIbEEZNS1_11reduce_implILb1ES3_N6hipcub16HIPCUB_304000_NS22TransformInputIteratorIbN2at6native12_GLOBAL__N_19NonZeroOpIN3c107complexINSE_4HalfEEEEEPKSH_lEEPiiNS8_6detail34convert_binary_result_type_wrapperINS8_3SumESL_iEEEE10hipError_tPvRmT1_T2_T3_mT4_P12ihipStream_tbEUlT_E0_NS1_11comp_targetILNS1_3genE9ELNS1_11target_archE1100ELNS1_3gpuE3ELNS1_3repE0EEENS1_30default_config_static_selectorELNS0_4arch9wavefront6targetE0EEEvSU_.private_seg_size, 0
	.set _ZN7rocprim17ROCPRIM_400000_NS6detail17trampoline_kernelINS0_14default_configENS1_22reduce_config_selectorIbEEZNS1_11reduce_implILb1ES3_N6hipcub16HIPCUB_304000_NS22TransformInputIteratorIbN2at6native12_GLOBAL__N_19NonZeroOpIN3c107complexINSE_4HalfEEEEEPKSH_lEEPiiNS8_6detail34convert_binary_result_type_wrapperINS8_3SumESL_iEEEE10hipError_tPvRmT1_T2_T3_mT4_P12ihipStream_tbEUlT_E0_NS1_11comp_targetILNS1_3genE9ELNS1_11target_archE1100ELNS1_3gpuE3ELNS1_3repE0EEENS1_30default_config_static_selectorELNS0_4arch9wavefront6targetE0EEEvSU_.uses_vcc, 0
	.set _ZN7rocprim17ROCPRIM_400000_NS6detail17trampoline_kernelINS0_14default_configENS1_22reduce_config_selectorIbEEZNS1_11reduce_implILb1ES3_N6hipcub16HIPCUB_304000_NS22TransformInputIteratorIbN2at6native12_GLOBAL__N_19NonZeroOpIN3c107complexINSE_4HalfEEEEEPKSH_lEEPiiNS8_6detail34convert_binary_result_type_wrapperINS8_3SumESL_iEEEE10hipError_tPvRmT1_T2_T3_mT4_P12ihipStream_tbEUlT_E0_NS1_11comp_targetILNS1_3genE9ELNS1_11target_archE1100ELNS1_3gpuE3ELNS1_3repE0EEENS1_30default_config_static_selectorELNS0_4arch9wavefront6targetE0EEEvSU_.uses_flat_scratch, 0
	.set _ZN7rocprim17ROCPRIM_400000_NS6detail17trampoline_kernelINS0_14default_configENS1_22reduce_config_selectorIbEEZNS1_11reduce_implILb1ES3_N6hipcub16HIPCUB_304000_NS22TransformInputIteratorIbN2at6native12_GLOBAL__N_19NonZeroOpIN3c107complexINSE_4HalfEEEEEPKSH_lEEPiiNS8_6detail34convert_binary_result_type_wrapperINS8_3SumESL_iEEEE10hipError_tPvRmT1_T2_T3_mT4_P12ihipStream_tbEUlT_E0_NS1_11comp_targetILNS1_3genE9ELNS1_11target_archE1100ELNS1_3gpuE3ELNS1_3repE0EEENS1_30default_config_static_selectorELNS0_4arch9wavefront6targetE0EEEvSU_.has_dyn_sized_stack, 0
	.set _ZN7rocprim17ROCPRIM_400000_NS6detail17trampoline_kernelINS0_14default_configENS1_22reduce_config_selectorIbEEZNS1_11reduce_implILb1ES3_N6hipcub16HIPCUB_304000_NS22TransformInputIteratorIbN2at6native12_GLOBAL__N_19NonZeroOpIN3c107complexINSE_4HalfEEEEEPKSH_lEEPiiNS8_6detail34convert_binary_result_type_wrapperINS8_3SumESL_iEEEE10hipError_tPvRmT1_T2_T3_mT4_P12ihipStream_tbEUlT_E0_NS1_11comp_targetILNS1_3genE9ELNS1_11target_archE1100ELNS1_3gpuE3ELNS1_3repE0EEENS1_30default_config_static_selectorELNS0_4arch9wavefront6targetE0EEEvSU_.has_recursion, 0
	.set _ZN7rocprim17ROCPRIM_400000_NS6detail17trampoline_kernelINS0_14default_configENS1_22reduce_config_selectorIbEEZNS1_11reduce_implILb1ES3_N6hipcub16HIPCUB_304000_NS22TransformInputIteratorIbN2at6native12_GLOBAL__N_19NonZeroOpIN3c107complexINSE_4HalfEEEEEPKSH_lEEPiiNS8_6detail34convert_binary_result_type_wrapperINS8_3SumESL_iEEEE10hipError_tPvRmT1_T2_T3_mT4_P12ihipStream_tbEUlT_E0_NS1_11comp_targetILNS1_3genE9ELNS1_11target_archE1100ELNS1_3gpuE3ELNS1_3repE0EEENS1_30default_config_static_selectorELNS0_4arch9wavefront6targetE0EEEvSU_.has_indirect_call, 0
	.section	.AMDGPU.csdata,"",@progbits
; Kernel info:
; codeLenInByte = 0
; TotalNumSgprs: 0
; NumVgprs: 0
; ScratchSize: 0
; MemoryBound: 0
; FloatMode: 240
; IeeeMode: 1
; LDSByteSize: 0 bytes/workgroup (compile time only)
; SGPRBlocks: 0
; VGPRBlocks: 0
; NumSGPRsForWavesPerEU: 1
; NumVGPRsForWavesPerEU: 1
; Occupancy: 16
; WaveLimiterHint : 0
; COMPUTE_PGM_RSRC2:SCRATCH_EN: 0
; COMPUTE_PGM_RSRC2:USER_SGPR: 2
; COMPUTE_PGM_RSRC2:TRAP_HANDLER: 0
; COMPUTE_PGM_RSRC2:TGID_X_EN: 1
; COMPUTE_PGM_RSRC2:TGID_Y_EN: 0
; COMPUTE_PGM_RSRC2:TGID_Z_EN: 0
; COMPUTE_PGM_RSRC2:TIDIG_COMP_CNT: 0
	.section	.text._ZN7rocprim17ROCPRIM_400000_NS6detail17trampoline_kernelINS0_14default_configENS1_22reduce_config_selectorIbEEZNS1_11reduce_implILb1ES3_N6hipcub16HIPCUB_304000_NS22TransformInputIteratorIbN2at6native12_GLOBAL__N_19NonZeroOpIN3c107complexINSE_4HalfEEEEEPKSH_lEEPiiNS8_6detail34convert_binary_result_type_wrapperINS8_3SumESL_iEEEE10hipError_tPvRmT1_T2_T3_mT4_P12ihipStream_tbEUlT_E0_NS1_11comp_targetILNS1_3genE8ELNS1_11target_archE1030ELNS1_3gpuE2ELNS1_3repE0EEENS1_30default_config_static_selectorELNS0_4arch9wavefront6targetE0EEEvSU_,"axG",@progbits,_ZN7rocprim17ROCPRIM_400000_NS6detail17trampoline_kernelINS0_14default_configENS1_22reduce_config_selectorIbEEZNS1_11reduce_implILb1ES3_N6hipcub16HIPCUB_304000_NS22TransformInputIteratorIbN2at6native12_GLOBAL__N_19NonZeroOpIN3c107complexINSE_4HalfEEEEEPKSH_lEEPiiNS8_6detail34convert_binary_result_type_wrapperINS8_3SumESL_iEEEE10hipError_tPvRmT1_T2_T3_mT4_P12ihipStream_tbEUlT_E0_NS1_11comp_targetILNS1_3genE8ELNS1_11target_archE1030ELNS1_3gpuE2ELNS1_3repE0EEENS1_30default_config_static_selectorELNS0_4arch9wavefront6targetE0EEEvSU_,comdat
	.globl	_ZN7rocprim17ROCPRIM_400000_NS6detail17trampoline_kernelINS0_14default_configENS1_22reduce_config_selectorIbEEZNS1_11reduce_implILb1ES3_N6hipcub16HIPCUB_304000_NS22TransformInputIteratorIbN2at6native12_GLOBAL__N_19NonZeroOpIN3c107complexINSE_4HalfEEEEEPKSH_lEEPiiNS8_6detail34convert_binary_result_type_wrapperINS8_3SumESL_iEEEE10hipError_tPvRmT1_T2_T3_mT4_P12ihipStream_tbEUlT_E0_NS1_11comp_targetILNS1_3genE8ELNS1_11target_archE1030ELNS1_3gpuE2ELNS1_3repE0EEENS1_30default_config_static_selectorELNS0_4arch9wavefront6targetE0EEEvSU_ ; -- Begin function _ZN7rocprim17ROCPRIM_400000_NS6detail17trampoline_kernelINS0_14default_configENS1_22reduce_config_selectorIbEEZNS1_11reduce_implILb1ES3_N6hipcub16HIPCUB_304000_NS22TransformInputIteratorIbN2at6native12_GLOBAL__N_19NonZeroOpIN3c107complexINSE_4HalfEEEEEPKSH_lEEPiiNS8_6detail34convert_binary_result_type_wrapperINS8_3SumESL_iEEEE10hipError_tPvRmT1_T2_T3_mT4_P12ihipStream_tbEUlT_E0_NS1_11comp_targetILNS1_3genE8ELNS1_11target_archE1030ELNS1_3gpuE2ELNS1_3repE0EEENS1_30default_config_static_selectorELNS0_4arch9wavefront6targetE0EEEvSU_
	.p2align	8
	.type	_ZN7rocprim17ROCPRIM_400000_NS6detail17trampoline_kernelINS0_14default_configENS1_22reduce_config_selectorIbEEZNS1_11reduce_implILb1ES3_N6hipcub16HIPCUB_304000_NS22TransformInputIteratorIbN2at6native12_GLOBAL__N_19NonZeroOpIN3c107complexINSE_4HalfEEEEEPKSH_lEEPiiNS8_6detail34convert_binary_result_type_wrapperINS8_3SumESL_iEEEE10hipError_tPvRmT1_T2_T3_mT4_P12ihipStream_tbEUlT_E0_NS1_11comp_targetILNS1_3genE8ELNS1_11target_archE1030ELNS1_3gpuE2ELNS1_3repE0EEENS1_30default_config_static_selectorELNS0_4arch9wavefront6targetE0EEEvSU_,@function
_ZN7rocprim17ROCPRIM_400000_NS6detail17trampoline_kernelINS0_14default_configENS1_22reduce_config_selectorIbEEZNS1_11reduce_implILb1ES3_N6hipcub16HIPCUB_304000_NS22TransformInputIteratorIbN2at6native12_GLOBAL__N_19NonZeroOpIN3c107complexINSE_4HalfEEEEEPKSH_lEEPiiNS8_6detail34convert_binary_result_type_wrapperINS8_3SumESL_iEEEE10hipError_tPvRmT1_T2_T3_mT4_P12ihipStream_tbEUlT_E0_NS1_11comp_targetILNS1_3genE8ELNS1_11target_archE1030ELNS1_3gpuE2ELNS1_3repE0EEENS1_30default_config_static_selectorELNS0_4arch9wavefront6targetE0EEEvSU_: ; @_ZN7rocprim17ROCPRIM_400000_NS6detail17trampoline_kernelINS0_14default_configENS1_22reduce_config_selectorIbEEZNS1_11reduce_implILb1ES3_N6hipcub16HIPCUB_304000_NS22TransformInputIteratorIbN2at6native12_GLOBAL__N_19NonZeroOpIN3c107complexINSE_4HalfEEEEEPKSH_lEEPiiNS8_6detail34convert_binary_result_type_wrapperINS8_3SumESL_iEEEE10hipError_tPvRmT1_T2_T3_mT4_P12ihipStream_tbEUlT_E0_NS1_11comp_targetILNS1_3genE8ELNS1_11target_archE1030ELNS1_3gpuE2ELNS1_3repE0EEENS1_30default_config_static_selectorELNS0_4arch9wavefront6targetE0EEEvSU_
; %bb.0:
	.section	.rodata,"a",@progbits
	.p2align	6, 0x0
	.amdhsa_kernel _ZN7rocprim17ROCPRIM_400000_NS6detail17trampoline_kernelINS0_14default_configENS1_22reduce_config_selectorIbEEZNS1_11reduce_implILb1ES3_N6hipcub16HIPCUB_304000_NS22TransformInputIteratorIbN2at6native12_GLOBAL__N_19NonZeroOpIN3c107complexINSE_4HalfEEEEEPKSH_lEEPiiNS8_6detail34convert_binary_result_type_wrapperINS8_3SumESL_iEEEE10hipError_tPvRmT1_T2_T3_mT4_P12ihipStream_tbEUlT_E0_NS1_11comp_targetILNS1_3genE8ELNS1_11target_archE1030ELNS1_3gpuE2ELNS1_3repE0EEENS1_30default_config_static_selectorELNS0_4arch9wavefront6targetE0EEEvSU_
		.amdhsa_group_segment_fixed_size 0
		.amdhsa_private_segment_fixed_size 0
		.amdhsa_kernarg_size 64
		.amdhsa_user_sgpr_count 2
		.amdhsa_user_sgpr_dispatch_ptr 0
		.amdhsa_user_sgpr_queue_ptr 0
		.amdhsa_user_sgpr_kernarg_segment_ptr 1
		.amdhsa_user_sgpr_dispatch_id 0
		.amdhsa_user_sgpr_private_segment_size 0
		.amdhsa_wavefront_size32 1
		.amdhsa_uses_dynamic_stack 0
		.amdhsa_enable_private_segment 0
		.amdhsa_system_sgpr_workgroup_id_x 1
		.amdhsa_system_sgpr_workgroup_id_y 0
		.amdhsa_system_sgpr_workgroup_id_z 0
		.amdhsa_system_sgpr_workgroup_info 0
		.amdhsa_system_vgpr_workitem_id 0
		.amdhsa_next_free_vgpr 1
		.amdhsa_next_free_sgpr 1
		.amdhsa_reserve_vcc 0
		.amdhsa_float_round_mode_32 0
		.amdhsa_float_round_mode_16_64 0
		.amdhsa_float_denorm_mode_32 3
		.amdhsa_float_denorm_mode_16_64 3
		.amdhsa_fp16_overflow 0
		.amdhsa_workgroup_processor_mode 1
		.amdhsa_memory_ordered 1
		.amdhsa_forward_progress 1
		.amdhsa_inst_pref_size 0
		.amdhsa_round_robin_scheduling 0
		.amdhsa_exception_fp_ieee_invalid_op 0
		.amdhsa_exception_fp_denorm_src 0
		.amdhsa_exception_fp_ieee_div_zero 0
		.amdhsa_exception_fp_ieee_overflow 0
		.amdhsa_exception_fp_ieee_underflow 0
		.amdhsa_exception_fp_ieee_inexact 0
		.amdhsa_exception_int_div_zero 0
	.end_amdhsa_kernel
	.section	.text._ZN7rocprim17ROCPRIM_400000_NS6detail17trampoline_kernelINS0_14default_configENS1_22reduce_config_selectorIbEEZNS1_11reduce_implILb1ES3_N6hipcub16HIPCUB_304000_NS22TransformInputIteratorIbN2at6native12_GLOBAL__N_19NonZeroOpIN3c107complexINSE_4HalfEEEEEPKSH_lEEPiiNS8_6detail34convert_binary_result_type_wrapperINS8_3SumESL_iEEEE10hipError_tPvRmT1_T2_T3_mT4_P12ihipStream_tbEUlT_E0_NS1_11comp_targetILNS1_3genE8ELNS1_11target_archE1030ELNS1_3gpuE2ELNS1_3repE0EEENS1_30default_config_static_selectorELNS0_4arch9wavefront6targetE0EEEvSU_,"axG",@progbits,_ZN7rocprim17ROCPRIM_400000_NS6detail17trampoline_kernelINS0_14default_configENS1_22reduce_config_selectorIbEEZNS1_11reduce_implILb1ES3_N6hipcub16HIPCUB_304000_NS22TransformInputIteratorIbN2at6native12_GLOBAL__N_19NonZeroOpIN3c107complexINSE_4HalfEEEEEPKSH_lEEPiiNS8_6detail34convert_binary_result_type_wrapperINS8_3SumESL_iEEEE10hipError_tPvRmT1_T2_T3_mT4_P12ihipStream_tbEUlT_E0_NS1_11comp_targetILNS1_3genE8ELNS1_11target_archE1030ELNS1_3gpuE2ELNS1_3repE0EEENS1_30default_config_static_selectorELNS0_4arch9wavefront6targetE0EEEvSU_,comdat
.Lfunc_end652:
	.size	_ZN7rocprim17ROCPRIM_400000_NS6detail17trampoline_kernelINS0_14default_configENS1_22reduce_config_selectorIbEEZNS1_11reduce_implILb1ES3_N6hipcub16HIPCUB_304000_NS22TransformInputIteratorIbN2at6native12_GLOBAL__N_19NonZeroOpIN3c107complexINSE_4HalfEEEEEPKSH_lEEPiiNS8_6detail34convert_binary_result_type_wrapperINS8_3SumESL_iEEEE10hipError_tPvRmT1_T2_T3_mT4_P12ihipStream_tbEUlT_E0_NS1_11comp_targetILNS1_3genE8ELNS1_11target_archE1030ELNS1_3gpuE2ELNS1_3repE0EEENS1_30default_config_static_selectorELNS0_4arch9wavefront6targetE0EEEvSU_, .Lfunc_end652-_ZN7rocprim17ROCPRIM_400000_NS6detail17trampoline_kernelINS0_14default_configENS1_22reduce_config_selectorIbEEZNS1_11reduce_implILb1ES3_N6hipcub16HIPCUB_304000_NS22TransformInputIteratorIbN2at6native12_GLOBAL__N_19NonZeroOpIN3c107complexINSE_4HalfEEEEEPKSH_lEEPiiNS8_6detail34convert_binary_result_type_wrapperINS8_3SumESL_iEEEE10hipError_tPvRmT1_T2_T3_mT4_P12ihipStream_tbEUlT_E0_NS1_11comp_targetILNS1_3genE8ELNS1_11target_archE1030ELNS1_3gpuE2ELNS1_3repE0EEENS1_30default_config_static_selectorELNS0_4arch9wavefront6targetE0EEEvSU_
                                        ; -- End function
	.set _ZN7rocprim17ROCPRIM_400000_NS6detail17trampoline_kernelINS0_14default_configENS1_22reduce_config_selectorIbEEZNS1_11reduce_implILb1ES3_N6hipcub16HIPCUB_304000_NS22TransformInputIteratorIbN2at6native12_GLOBAL__N_19NonZeroOpIN3c107complexINSE_4HalfEEEEEPKSH_lEEPiiNS8_6detail34convert_binary_result_type_wrapperINS8_3SumESL_iEEEE10hipError_tPvRmT1_T2_T3_mT4_P12ihipStream_tbEUlT_E0_NS1_11comp_targetILNS1_3genE8ELNS1_11target_archE1030ELNS1_3gpuE2ELNS1_3repE0EEENS1_30default_config_static_selectorELNS0_4arch9wavefront6targetE0EEEvSU_.num_vgpr, 0
	.set _ZN7rocprim17ROCPRIM_400000_NS6detail17trampoline_kernelINS0_14default_configENS1_22reduce_config_selectorIbEEZNS1_11reduce_implILb1ES3_N6hipcub16HIPCUB_304000_NS22TransformInputIteratorIbN2at6native12_GLOBAL__N_19NonZeroOpIN3c107complexINSE_4HalfEEEEEPKSH_lEEPiiNS8_6detail34convert_binary_result_type_wrapperINS8_3SumESL_iEEEE10hipError_tPvRmT1_T2_T3_mT4_P12ihipStream_tbEUlT_E0_NS1_11comp_targetILNS1_3genE8ELNS1_11target_archE1030ELNS1_3gpuE2ELNS1_3repE0EEENS1_30default_config_static_selectorELNS0_4arch9wavefront6targetE0EEEvSU_.num_agpr, 0
	.set _ZN7rocprim17ROCPRIM_400000_NS6detail17trampoline_kernelINS0_14default_configENS1_22reduce_config_selectorIbEEZNS1_11reduce_implILb1ES3_N6hipcub16HIPCUB_304000_NS22TransformInputIteratorIbN2at6native12_GLOBAL__N_19NonZeroOpIN3c107complexINSE_4HalfEEEEEPKSH_lEEPiiNS8_6detail34convert_binary_result_type_wrapperINS8_3SumESL_iEEEE10hipError_tPvRmT1_T2_T3_mT4_P12ihipStream_tbEUlT_E0_NS1_11comp_targetILNS1_3genE8ELNS1_11target_archE1030ELNS1_3gpuE2ELNS1_3repE0EEENS1_30default_config_static_selectorELNS0_4arch9wavefront6targetE0EEEvSU_.numbered_sgpr, 0
	.set _ZN7rocprim17ROCPRIM_400000_NS6detail17trampoline_kernelINS0_14default_configENS1_22reduce_config_selectorIbEEZNS1_11reduce_implILb1ES3_N6hipcub16HIPCUB_304000_NS22TransformInputIteratorIbN2at6native12_GLOBAL__N_19NonZeroOpIN3c107complexINSE_4HalfEEEEEPKSH_lEEPiiNS8_6detail34convert_binary_result_type_wrapperINS8_3SumESL_iEEEE10hipError_tPvRmT1_T2_T3_mT4_P12ihipStream_tbEUlT_E0_NS1_11comp_targetILNS1_3genE8ELNS1_11target_archE1030ELNS1_3gpuE2ELNS1_3repE0EEENS1_30default_config_static_selectorELNS0_4arch9wavefront6targetE0EEEvSU_.num_named_barrier, 0
	.set _ZN7rocprim17ROCPRIM_400000_NS6detail17trampoline_kernelINS0_14default_configENS1_22reduce_config_selectorIbEEZNS1_11reduce_implILb1ES3_N6hipcub16HIPCUB_304000_NS22TransformInputIteratorIbN2at6native12_GLOBAL__N_19NonZeroOpIN3c107complexINSE_4HalfEEEEEPKSH_lEEPiiNS8_6detail34convert_binary_result_type_wrapperINS8_3SumESL_iEEEE10hipError_tPvRmT1_T2_T3_mT4_P12ihipStream_tbEUlT_E0_NS1_11comp_targetILNS1_3genE8ELNS1_11target_archE1030ELNS1_3gpuE2ELNS1_3repE0EEENS1_30default_config_static_selectorELNS0_4arch9wavefront6targetE0EEEvSU_.private_seg_size, 0
	.set _ZN7rocprim17ROCPRIM_400000_NS6detail17trampoline_kernelINS0_14default_configENS1_22reduce_config_selectorIbEEZNS1_11reduce_implILb1ES3_N6hipcub16HIPCUB_304000_NS22TransformInputIteratorIbN2at6native12_GLOBAL__N_19NonZeroOpIN3c107complexINSE_4HalfEEEEEPKSH_lEEPiiNS8_6detail34convert_binary_result_type_wrapperINS8_3SumESL_iEEEE10hipError_tPvRmT1_T2_T3_mT4_P12ihipStream_tbEUlT_E0_NS1_11comp_targetILNS1_3genE8ELNS1_11target_archE1030ELNS1_3gpuE2ELNS1_3repE0EEENS1_30default_config_static_selectorELNS0_4arch9wavefront6targetE0EEEvSU_.uses_vcc, 0
	.set _ZN7rocprim17ROCPRIM_400000_NS6detail17trampoline_kernelINS0_14default_configENS1_22reduce_config_selectorIbEEZNS1_11reduce_implILb1ES3_N6hipcub16HIPCUB_304000_NS22TransformInputIteratorIbN2at6native12_GLOBAL__N_19NonZeroOpIN3c107complexINSE_4HalfEEEEEPKSH_lEEPiiNS8_6detail34convert_binary_result_type_wrapperINS8_3SumESL_iEEEE10hipError_tPvRmT1_T2_T3_mT4_P12ihipStream_tbEUlT_E0_NS1_11comp_targetILNS1_3genE8ELNS1_11target_archE1030ELNS1_3gpuE2ELNS1_3repE0EEENS1_30default_config_static_selectorELNS0_4arch9wavefront6targetE0EEEvSU_.uses_flat_scratch, 0
	.set _ZN7rocprim17ROCPRIM_400000_NS6detail17trampoline_kernelINS0_14default_configENS1_22reduce_config_selectorIbEEZNS1_11reduce_implILb1ES3_N6hipcub16HIPCUB_304000_NS22TransformInputIteratorIbN2at6native12_GLOBAL__N_19NonZeroOpIN3c107complexINSE_4HalfEEEEEPKSH_lEEPiiNS8_6detail34convert_binary_result_type_wrapperINS8_3SumESL_iEEEE10hipError_tPvRmT1_T2_T3_mT4_P12ihipStream_tbEUlT_E0_NS1_11comp_targetILNS1_3genE8ELNS1_11target_archE1030ELNS1_3gpuE2ELNS1_3repE0EEENS1_30default_config_static_selectorELNS0_4arch9wavefront6targetE0EEEvSU_.has_dyn_sized_stack, 0
	.set _ZN7rocprim17ROCPRIM_400000_NS6detail17trampoline_kernelINS0_14default_configENS1_22reduce_config_selectorIbEEZNS1_11reduce_implILb1ES3_N6hipcub16HIPCUB_304000_NS22TransformInputIteratorIbN2at6native12_GLOBAL__N_19NonZeroOpIN3c107complexINSE_4HalfEEEEEPKSH_lEEPiiNS8_6detail34convert_binary_result_type_wrapperINS8_3SumESL_iEEEE10hipError_tPvRmT1_T2_T3_mT4_P12ihipStream_tbEUlT_E0_NS1_11comp_targetILNS1_3genE8ELNS1_11target_archE1030ELNS1_3gpuE2ELNS1_3repE0EEENS1_30default_config_static_selectorELNS0_4arch9wavefront6targetE0EEEvSU_.has_recursion, 0
	.set _ZN7rocprim17ROCPRIM_400000_NS6detail17trampoline_kernelINS0_14default_configENS1_22reduce_config_selectorIbEEZNS1_11reduce_implILb1ES3_N6hipcub16HIPCUB_304000_NS22TransformInputIteratorIbN2at6native12_GLOBAL__N_19NonZeroOpIN3c107complexINSE_4HalfEEEEEPKSH_lEEPiiNS8_6detail34convert_binary_result_type_wrapperINS8_3SumESL_iEEEE10hipError_tPvRmT1_T2_T3_mT4_P12ihipStream_tbEUlT_E0_NS1_11comp_targetILNS1_3genE8ELNS1_11target_archE1030ELNS1_3gpuE2ELNS1_3repE0EEENS1_30default_config_static_selectorELNS0_4arch9wavefront6targetE0EEEvSU_.has_indirect_call, 0
	.section	.AMDGPU.csdata,"",@progbits
; Kernel info:
; codeLenInByte = 0
; TotalNumSgprs: 0
; NumVgprs: 0
; ScratchSize: 0
; MemoryBound: 0
; FloatMode: 240
; IeeeMode: 1
; LDSByteSize: 0 bytes/workgroup (compile time only)
; SGPRBlocks: 0
; VGPRBlocks: 0
; NumSGPRsForWavesPerEU: 1
; NumVGPRsForWavesPerEU: 1
; Occupancy: 16
; WaveLimiterHint : 0
; COMPUTE_PGM_RSRC2:SCRATCH_EN: 0
; COMPUTE_PGM_RSRC2:USER_SGPR: 2
; COMPUTE_PGM_RSRC2:TRAP_HANDLER: 0
; COMPUTE_PGM_RSRC2:TGID_X_EN: 1
; COMPUTE_PGM_RSRC2:TGID_Y_EN: 0
; COMPUTE_PGM_RSRC2:TGID_Z_EN: 0
; COMPUTE_PGM_RSRC2:TIDIG_COMP_CNT: 0
	.section	.text._ZN7rocprim17ROCPRIM_400000_NS6detail17trampoline_kernelINS0_14default_configENS1_22reduce_config_selectorIbEEZNS1_11reduce_implILb1ES3_N6hipcub16HIPCUB_304000_NS22TransformInputIteratorIbN2at6native12_GLOBAL__N_19NonZeroOpIN3c107complexINSE_4HalfEEEEEPKSH_lEEPiiNS8_6detail34convert_binary_result_type_wrapperINS8_3SumESL_iEEEE10hipError_tPvRmT1_T2_T3_mT4_P12ihipStream_tbEUlT_E1_NS1_11comp_targetILNS1_3genE0ELNS1_11target_archE4294967295ELNS1_3gpuE0ELNS1_3repE0EEENS1_30default_config_static_selectorELNS0_4arch9wavefront6targetE0EEEvSU_,"axG",@progbits,_ZN7rocprim17ROCPRIM_400000_NS6detail17trampoline_kernelINS0_14default_configENS1_22reduce_config_selectorIbEEZNS1_11reduce_implILb1ES3_N6hipcub16HIPCUB_304000_NS22TransformInputIteratorIbN2at6native12_GLOBAL__N_19NonZeroOpIN3c107complexINSE_4HalfEEEEEPKSH_lEEPiiNS8_6detail34convert_binary_result_type_wrapperINS8_3SumESL_iEEEE10hipError_tPvRmT1_T2_T3_mT4_P12ihipStream_tbEUlT_E1_NS1_11comp_targetILNS1_3genE0ELNS1_11target_archE4294967295ELNS1_3gpuE0ELNS1_3repE0EEENS1_30default_config_static_selectorELNS0_4arch9wavefront6targetE0EEEvSU_,comdat
	.globl	_ZN7rocprim17ROCPRIM_400000_NS6detail17trampoline_kernelINS0_14default_configENS1_22reduce_config_selectorIbEEZNS1_11reduce_implILb1ES3_N6hipcub16HIPCUB_304000_NS22TransformInputIteratorIbN2at6native12_GLOBAL__N_19NonZeroOpIN3c107complexINSE_4HalfEEEEEPKSH_lEEPiiNS8_6detail34convert_binary_result_type_wrapperINS8_3SumESL_iEEEE10hipError_tPvRmT1_T2_T3_mT4_P12ihipStream_tbEUlT_E1_NS1_11comp_targetILNS1_3genE0ELNS1_11target_archE4294967295ELNS1_3gpuE0ELNS1_3repE0EEENS1_30default_config_static_selectorELNS0_4arch9wavefront6targetE0EEEvSU_ ; -- Begin function _ZN7rocprim17ROCPRIM_400000_NS6detail17trampoline_kernelINS0_14default_configENS1_22reduce_config_selectorIbEEZNS1_11reduce_implILb1ES3_N6hipcub16HIPCUB_304000_NS22TransformInputIteratorIbN2at6native12_GLOBAL__N_19NonZeroOpIN3c107complexINSE_4HalfEEEEEPKSH_lEEPiiNS8_6detail34convert_binary_result_type_wrapperINS8_3SumESL_iEEEE10hipError_tPvRmT1_T2_T3_mT4_P12ihipStream_tbEUlT_E1_NS1_11comp_targetILNS1_3genE0ELNS1_11target_archE4294967295ELNS1_3gpuE0ELNS1_3repE0EEENS1_30default_config_static_selectorELNS0_4arch9wavefront6targetE0EEEvSU_
	.p2align	8
	.type	_ZN7rocprim17ROCPRIM_400000_NS6detail17trampoline_kernelINS0_14default_configENS1_22reduce_config_selectorIbEEZNS1_11reduce_implILb1ES3_N6hipcub16HIPCUB_304000_NS22TransformInputIteratorIbN2at6native12_GLOBAL__N_19NonZeroOpIN3c107complexINSE_4HalfEEEEEPKSH_lEEPiiNS8_6detail34convert_binary_result_type_wrapperINS8_3SumESL_iEEEE10hipError_tPvRmT1_T2_T3_mT4_P12ihipStream_tbEUlT_E1_NS1_11comp_targetILNS1_3genE0ELNS1_11target_archE4294967295ELNS1_3gpuE0ELNS1_3repE0EEENS1_30default_config_static_selectorELNS0_4arch9wavefront6targetE0EEEvSU_,@function
_ZN7rocprim17ROCPRIM_400000_NS6detail17trampoline_kernelINS0_14default_configENS1_22reduce_config_selectorIbEEZNS1_11reduce_implILb1ES3_N6hipcub16HIPCUB_304000_NS22TransformInputIteratorIbN2at6native12_GLOBAL__N_19NonZeroOpIN3c107complexINSE_4HalfEEEEEPKSH_lEEPiiNS8_6detail34convert_binary_result_type_wrapperINS8_3SumESL_iEEEE10hipError_tPvRmT1_T2_T3_mT4_P12ihipStream_tbEUlT_E1_NS1_11comp_targetILNS1_3genE0ELNS1_11target_archE4294967295ELNS1_3gpuE0ELNS1_3repE0EEENS1_30default_config_static_selectorELNS0_4arch9wavefront6targetE0EEEvSU_: ; @_ZN7rocprim17ROCPRIM_400000_NS6detail17trampoline_kernelINS0_14default_configENS1_22reduce_config_selectorIbEEZNS1_11reduce_implILb1ES3_N6hipcub16HIPCUB_304000_NS22TransformInputIteratorIbN2at6native12_GLOBAL__N_19NonZeroOpIN3c107complexINSE_4HalfEEEEEPKSH_lEEPiiNS8_6detail34convert_binary_result_type_wrapperINS8_3SumESL_iEEEE10hipError_tPvRmT1_T2_T3_mT4_P12ihipStream_tbEUlT_E1_NS1_11comp_targetILNS1_3genE0ELNS1_11target_archE4294967295ELNS1_3gpuE0ELNS1_3repE0EEENS1_30default_config_static_selectorELNS0_4arch9wavefront6targetE0EEEvSU_
; %bb.0:
	.section	.rodata,"a",@progbits
	.p2align	6, 0x0
	.amdhsa_kernel _ZN7rocprim17ROCPRIM_400000_NS6detail17trampoline_kernelINS0_14default_configENS1_22reduce_config_selectorIbEEZNS1_11reduce_implILb1ES3_N6hipcub16HIPCUB_304000_NS22TransformInputIteratorIbN2at6native12_GLOBAL__N_19NonZeroOpIN3c107complexINSE_4HalfEEEEEPKSH_lEEPiiNS8_6detail34convert_binary_result_type_wrapperINS8_3SumESL_iEEEE10hipError_tPvRmT1_T2_T3_mT4_P12ihipStream_tbEUlT_E1_NS1_11comp_targetILNS1_3genE0ELNS1_11target_archE4294967295ELNS1_3gpuE0ELNS1_3repE0EEENS1_30default_config_static_selectorELNS0_4arch9wavefront6targetE0EEEvSU_
		.amdhsa_group_segment_fixed_size 0
		.amdhsa_private_segment_fixed_size 0
		.amdhsa_kernarg_size 48
		.amdhsa_user_sgpr_count 2
		.amdhsa_user_sgpr_dispatch_ptr 0
		.amdhsa_user_sgpr_queue_ptr 0
		.amdhsa_user_sgpr_kernarg_segment_ptr 1
		.amdhsa_user_sgpr_dispatch_id 0
		.amdhsa_user_sgpr_private_segment_size 0
		.amdhsa_wavefront_size32 1
		.amdhsa_uses_dynamic_stack 0
		.amdhsa_enable_private_segment 0
		.amdhsa_system_sgpr_workgroup_id_x 1
		.amdhsa_system_sgpr_workgroup_id_y 0
		.amdhsa_system_sgpr_workgroup_id_z 0
		.amdhsa_system_sgpr_workgroup_info 0
		.amdhsa_system_vgpr_workitem_id 0
		.amdhsa_next_free_vgpr 1
		.amdhsa_next_free_sgpr 1
		.amdhsa_reserve_vcc 0
		.amdhsa_float_round_mode_32 0
		.amdhsa_float_round_mode_16_64 0
		.amdhsa_float_denorm_mode_32 3
		.amdhsa_float_denorm_mode_16_64 3
		.amdhsa_fp16_overflow 0
		.amdhsa_workgroup_processor_mode 1
		.amdhsa_memory_ordered 1
		.amdhsa_forward_progress 1
		.amdhsa_inst_pref_size 0
		.amdhsa_round_robin_scheduling 0
		.amdhsa_exception_fp_ieee_invalid_op 0
		.amdhsa_exception_fp_denorm_src 0
		.amdhsa_exception_fp_ieee_div_zero 0
		.amdhsa_exception_fp_ieee_overflow 0
		.amdhsa_exception_fp_ieee_underflow 0
		.amdhsa_exception_fp_ieee_inexact 0
		.amdhsa_exception_int_div_zero 0
	.end_amdhsa_kernel
	.section	.text._ZN7rocprim17ROCPRIM_400000_NS6detail17trampoline_kernelINS0_14default_configENS1_22reduce_config_selectorIbEEZNS1_11reduce_implILb1ES3_N6hipcub16HIPCUB_304000_NS22TransformInputIteratorIbN2at6native12_GLOBAL__N_19NonZeroOpIN3c107complexINSE_4HalfEEEEEPKSH_lEEPiiNS8_6detail34convert_binary_result_type_wrapperINS8_3SumESL_iEEEE10hipError_tPvRmT1_T2_T3_mT4_P12ihipStream_tbEUlT_E1_NS1_11comp_targetILNS1_3genE0ELNS1_11target_archE4294967295ELNS1_3gpuE0ELNS1_3repE0EEENS1_30default_config_static_selectorELNS0_4arch9wavefront6targetE0EEEvSU_,"axG",@progbits,_ZN7rocprim17ROCPRIM_400000_NS6detail17trampoline_kernelINS0_14default_configENS1_22reduce_config_selectorIbEEZNS1_11reduce_implILb1ES3_N6hipcub16HIPCUB_304000_NS22TransformInputIteratorIbN2at6native12_GLOBAL__N_19NonZeroOpIN3c107complexINSE_4HalfEEEEEPKSH_lEEPiiNS8_6detail34convert_binary_result_type_wrapperINS8_3SumESL_iEEEE10hipError_tPvRmT1_T2_T3_mT4_P12ihipStream_tbEUlT_E1_NS1_11comp_targetILNS1_3genE0ELNS1_11target_archE4294967295ELNS1_3gpuE0ELNS1_3repE0EEENS1_30default_config_static_selectorELNS0_4arch9wavefront6targetE0EEEvSU_,comdat
.Lfunc_end653:
	.size	_ZN7rocprim17ROCPRIM_400000_NS6detail17trampoline_kernelINS0_14default_configENS1_22reduce_config_selectorIbEEZNS1_11reduce_implILb1ES3_N6hipcub16HIPCUB_304000_NS22TransformInputIteratorIbN2at6native12_GLOBAL__N_19NonZeroOpIN3c107complexINSE_4HalfEEEEEPKSH_lEEPiiNS8_6detail34convert_binary_result_type_wrapperINS8_3SumESL_iEEEE10hipError_tPvRmT1_T2_T3_mT4_P12ihipStream_tbEUlT_E1_NS1_11comp_targetILNS1_3genE0ELNS1_11target_archE4294967295ELNS1_3gpuE0ELNS1_3repE0EEENS1_30default_config_static_selectorELNS0_4arch9wavefront6targetE0EEEvSU_, .Lfunc_end653-_ZN7rocprim17ROCPRIM_400000_NS6detail17trampoline_kernelINS0_14default_configENS1_22reduce_config_selectorIbEEZNS1_11reduce_implILb1ES3_N6hipcub16HIPCUB_304000_NS22TransformInputIteratorIbN2at6native12_GLOBAL__N_19NonZeroOpIN3c107complexINSE_4HalfEEEEEPKSH_lEEPiiNS8_6detail34convert_binary_result_type_wrapperINS8_3SumESL_iEEEE10hipError_tPvRmT1_T2_T3_mT4_P12ihipStream_tbEUlT_E1_NS1_11comp_targetILNS1_3genE0ELNS1_11target_archE4294967295ELNS1_3gpuE0ELNS1_3repE0EEENS1_30default_config_static_selectorELNS0_4arch9wavefront6targetE0EEEvSU_
                                        ; -- End function
	.set _ZN7rocprim17ROCPRIM_400000_NS6detail17trampoline_kernelINS0_14default_configENS1_22reduce_config_selectorIbEEZNS1_11reduce_implILb1ES3_N6hipcub16HIPCUB_304000_NS22TransformInputIteratorIbN2at6native12_GLOBAL__N_19NonZeroOpIN3c107complexINSE_4HalfEEEEEPKSH_lEEPiiNS8_6detail34convert_binary_result_type_wrapperINS8_3SumESL_iEEEE10hipError_tPvRmT1_T2_T3_mT4_P12ihipStream_tbEUlT_E1_NS1_11comp_targetILNS1_3genE0ELNS1_11target_archE4294967295ELNS1_3gpuE0ELNS1_3repE0EEENS1_30default_config_static_selectorELNS0_4arch9wavefront6targetE0EEEvSU_.num_vgpr, 0
	.set _ZN7rocprim17ROCPRIM_400000_NS6detail17trampoline_kernelINS0_14default_configENS1_22reduce_config_selectorIbEEZNS1_11reduce_implILb1ES3_N6hipcub16HIPCUB_304000_NS22TransformInputIteratorIbN2at6native12_GLOBAL__N_19NonZeroOpIN3c107complexINSE_4HalfEEEEEPKSH_lEEPiiNS8_6detail34convert_binary_result_type_wrapperINS8_3SumESL_iEEEE10hipError_tPvRmT1_T2_T3_mT4_P12ihipStream_tbEUlT_E1_NS1_11comp_targetILNS1_3genE0ELNS1_11target_archE4294967295ELNS1_3gpuE0ELNS1_3repE0EEENS1_30default_config_static_selectorELNS0_4arch9wavefront6targetE0EEEvSU_.num_agpr, 0
	.set _ZN7rocprim17ROCPRIM_400000_NS6detail17trampoline_kernelINS0_14default_configENS1_22reduce_config_selectorIbEEZNS1_11reduce_implILb1ES3_N6hipcub16HIPCUB_304000_NS22TransformInputIteratorIbN2at6native12_GLOBAL__N_19NonZeroOpIN3c107complexINSE_4HalfEEEEEPKSH_lEEPiiNS8_6detail34convert_binary_result_type_wrapperINS8_3SumESL_iEEEE10hipError_tPvRmT1_T2_T3_mT4_P12ihipStream_tbEUlT_E1_NS1_11comp_targetILNS1_3genE0ELNS1_11target_archE4294967295ELNS1_3gpuE0ELNS1_3repE0EEENS1_30default_config_static_selectorELNS0_4arch9wavefront6targetE0EEEvSU_.numbered_sgpr, 0
	.set _ZN7rocprim17ROCPRIM_400000_NS6detail17trampoline_kernelINS0_14default_configENS1_22reduce_config_selectorIbEEZNS1_11reduce_implILb1ES3_N6hipcub16HIPCUB_304000_NS22TransformInputIteratorIbN2at6native12_GLOBAL__N_19NonZeroOpIN3c107complexINSE_4HalfEEEEEPKSH_lEEPiiNS8_6detail34convert_binary_result_type_wrapperINS8_3SumESL_iEEEE10hipError_tPvRmT1_T2_T3_mT4_P12ihipStream_tbEUlT_E1_NS1_11comp_targetILNS1_3genE0ELNS1_11target_archE4294967295ELNS1_3gpuE0ELNS1_3repE0EEENS1_30default_config_static_selectorELNS0_4arch9wavefront6targetE0EEEvSU_.num_named_barrier, 0
	.set _ZN7rocprim17ROCPRIM_400000_NS6detail17trampoline_kernelINS0_14default_configENS1_22reduce_config_selectorIbEEZNS1_11reduce_implILb1ES3_N6hipcub16HIPCUB_304000_NS22TransformInputIteratorIbN2at6native12_GLOBAL__N_19NonZeroOpIN3c107complexINSE_4HalfEEEEEPKSH_lEEPiiNS8_6detail34convert_binary_result_type_wrapperINS8_3SumESL_iEEEE10hipError_tPvRmT1_T2_T3_mT4_P12ihipStream_tbEUlT_E1_NS1_11comp_targetILNS1_3genE0ELNS1_11target_archE4294967295ELNS1_3gpuE0ELNS1_3repE0EEENS1_30default_config_static_selectorELNS0_4arch9wavefront6targetE0EEEvSU_.private_seg_size, 0
	.set _ZN7rocprim17ROCPRIM_400000_NS6detail17trampoline_kernelINS0_14default_configENS1_22reduce_config_selectorIbEEZNS1_11reduce_implILb1ES3_N6hipcub16HIPCUB_304000_NS22TransformInputIteratorIbN2at6native12_GLOBAL__N_19NonZeroOpIN3c107complexINSE_4HalfEEEEEPKSH_lEEPiiNS8_6detail34convert_binary_result_type_wrapperINS8_3SumESL_iEEEE10hipError_tPvRmT1_T2_T3_mT4_P12ihipStream_tbEUlT_E1_NS1_11comp_targetILNS1_3genE0ELNS1_11target_archE4294967295ELNS1_3gpuE0ELNS1_3repE0EEENS1_30default_config_static_selectorELNS0_4arch9wavefront6targetE0EEEvSU_.uses_vcc, 0
	.set _ZN7rocprim17ROCPRIM_400000_NS6detail17trampoline_kernelINS0_14default_configENS1_22reduce_config_selectorIbEEZNS1_11reduce_implILb1ES3_N6hipcub16HIPCUB_304000_NS22TransformInputIteratorIbN2at6native12_GLOBAL__N_19NonZeroOpIN3c107complexINSE_4HalfEEEEEPKSH_lEEPiiNS8_6detail34convert_binary_result_type_wrapperINS8_3SumESL_iEEEE10hipError_tPvRmT1_T2_T3_mT4_P12ihipStream_tbEUlT_E1_NS1_11comp_targetILNS1_3genE0ELNS1_11target_archE4294967295ELNS1_3gpuE0ELNS1_3repE0EEENS1_30default_config_static_selectorELNS0_4arch9wavefront6targetE0EEEvSU_.uses_flat_scratch, 0
	.set _ZN7rocprim17ROCPRIM_400000_NS6detail17trampoline_kernelINS0_14default_configENS1_22reduce_config_selectorIbEEZNS1_11reduce_implILb1ES3_N6hipcub16HIPCUB_304000_NS22TransformInputIteratorIbN2at6native12_GLOBAL__N_19NonZeroOpIN3c107complexINSE_4HalfEEEEEPKSH_lEEPiiNS8_6detail34convert_binary_result_type_wrapperINS8_3SumESL_iEEEE10hipError_tPvRmT1_T2_T3_mT4_P12ihipStream_tbEUlT_E1_NS1_11comp_targetILNS1_3genE0ELNS1_11target_archE4294967295ELNS1_3gpuE0ELNS1_3repE0EEENS1_30default_config_static_selectorELNS0_4arch9wavefront6targetE0EEEvSU_.has_dyn_sized_stack, 0
	.set _ZN7rocprim17ROCPRIM_400000_NS6detail17trampoline_kernelINS0_14default_configENS1_22reduce_config_selectorIbEEZNS1_11reduce_implILb1ES3_N6hipcub16HIPCUB_304000_NS22TransformInputIteratorIbN2at6native12_GLOBAL__N_19NonZeroOpIN3c107complexINSE_4HalfEEEEEPKSH_lEEPiiNS8_6detail34convert_binary_result_type_wrapperINS8_3SumESL_iEEEE10hipError_tPvRmT1_T2_T3_mT4_P12ihipStream_tbEUlT_E1_NS1_11comp_targetILNS1_3genE0ELNS1_11target_archE4294967295ELNS1_3gpuE0ELNS1_3repE0EEENS1_30default_config_static_selectorELNS0_4arch9wavefront6targetE0EEEvSU_.has_recursion, 0
	.set _ZN7rocprim17ROCPRIM_400000_NS6detail17trampoline_kernelINS0_14default_configENS1_22reduce_config_selectorIbEEZNS1_11reduce_implILb1ES3_N6hipcub16HIPCUB_304000_NS22TransformInputIteratorIbN2at6native12_GLOBAL__N_19NonZeroOpIN3c107complexINSE_4HalfEEEEEPKSH_lEEPiiNS8_6detail34convert_binary_result_type_wrapperINS8_3SumESL_iEEEE10hipError_tPvRmT1_T2_T3_mT4_P12ihipStream_tbEUlT_E1_NS1_11comp_targetILNS1_3genE0ELNS1_11target_archE4294967295ELNS1_3gpuE0ELNS1_3repE0EEENS1_30default_config_static_selectorELNS0_4arch9wavefront6targetE0EEEvSU_.has_indirect_call, 0
	.section	.AMDGPU.csdata,"",@progbits
; Kernel info:
; codeLenInByte = 0
; TotalNumSgprs: 0
; NumVgprs: 0
; ScratchSize: 0
; MemoryBound: 0
; FloatMode: 240
; IeeeMode: 1
; LDSByteSize: 0 bytes/workgroup (compile time only)
; SGPRBlocks: 0
; VGPRBlocks: 0
; NumSGPRsForWavesPerEU: 1
; NumVGPRsForWavesPerEU: 1
; Occupancy: 16
; WaveLimiterHint : 0
; COMPUTE_PGM_RSRC2:SCRATCH_EN: 0
; COMPUTE_PGM_RSRC2:USER_SGPR: 2
; COMPUTE_PGM_RSRC2:TRAP_HANDLER: 0
; COMPUTE_PGM_RSRC2:TGID_X_EN: 1
; COMPUTE_PGM_RSRC2:TGID_Y_EN: 0
; COMPUTE_PGM_RSRC2:TGID_Z_EN: 0
; COMPUTE_PGM_RSRC2:TIDIG_COMP_CNT: 0
	.section	.text._ZN7rocprim17ROCPRIM_400000_NS6detail17trampoline_kernelINS0_14default_configENS1_22reduce_config_selectorIbEEZNS1_11reduce_implILb1ES3_N6hipcub16HIPCUB_304000_NS22TransformInputIteratorIbN2at6native12_GLOBAL__N_19NonZeroOpIN3c107complexINSE_4HalfEEEEEPKSH_lEEPiiNS8_6detail34convert_binary_result_type_wrapperINS8_3SumESL_iEEEE10hipError_tPvRmT1_T2_T3_mT4_P12ihipStream_tbEUlT_E1_NS1_11comp_targetILNS1_3genE5ELNS1_11target_archE942ELNS1_3gpuE9ELNS1_3repE0EEENS1_30default_config_static_selectorELNS0_4arch9wavefront6targetE0EEEvSU_,"axG",@progbits,_ZN7rocprim17ROCPRIM_400000_NS6detail17trampoline_kernelINS0_14default_configENS1_22reduce_config_selectorIbEEZNS1_11reduce_implILb1ES3_N6hipcub16HIPCUB_304000_NS22TransformInputIteratorIbN2at6native12_GLOBAL__N_19NonZeroOpIN3c107complexINSE_4HalfEEEEEPKSH_lEEPiiNS8_6detail34convert_binary_result_type_wrapperINS8_3SumESL_iEEEE10hipError_tPvRmT1_T2_T3_mT4_P12ihipStream_tbEUlT_E1_NS1_11comp_targetILNS1_3genE5ELNS1_11target_archE942ELNS1_3gpuE9ELNS1_3repE0EEENS1_30default_config_static_selectorELNS0_4arch9wavefront6targetE0EEEvSU_,comdat
	.globl	_ZN7rocprim17ROCPRIM_400000_NS6detail17trampoline_kernelINS0_14default_configENS1_22reduce_config_selectorIbEEZNS1_11reduce_implILb1ES3_N6hipcub16HIPCUB_304000_NS22TransformInputIteratorIbN2at6native12_GLOBAL__N_19NonZeroOpIN3c107complexINSE_4HalfEEEEEPKSH_lEEPiiNS8_6detail34convert_binary_result_type_wrapperINS8_3SumESL_iEEEE10hipError_tPvRmT1_T2_T3_mT4_P12ihipStream_tbEUlT_E1_NS1_11comp_targetILNS1_3genE5ELNS1_11target_archE942ELNS1_3gpuE9ELNS1_3repE0EEENS1_30default_config_static_selectorELNS0_4arch9wavefront6targetE0EEEvSU_ ; -- Begin function _ZN7rocprim17ROCPRIM_400000_NS6detail17trampoline_kernelINS0_14default_configENS1_22reduce_config_selectorIbEEZNS1_11reduce_implILb1ES3_N6hipcub16HIPCUB_304000_NS22TransformInputIteratorIbN2at6native12_GLOBAL__N_19NonZeroOpIN3c107complexINSE_4HalfEEEEEPKSH_lEEPiiNS8_6detail34convert_binary_result_type_wrapperINS8_3SumESL_iEEEE10hipError_tPvRmT1_T2_T3_mT4_P12ihipStream_tbEUlT_E1_NS1_11comp_targetILNS1_3genE5ELNS1_11target_archE942ELNS1_3gpuE9ELNS1_3repE0EEENS1_30default_config_static_selectorELNS0_4arch9wavefront6targetE0EEEvSU_
	.p2align	8
	.type	_ZN7rocprim17ROCPRIM_400000_NS6detail17trampoline_kernelINS0_14default_configENS1_22reduce_config_selectorIbEEZNS1_11reduce_implILb1ES3_N6hipcub16HIPCUB_304000_NS22TransformInputIteratorIbN2at6native12_GLOBAL__N_19NonZeroOpIN3c107complexINSE_4HalfEEEEEPKSH_lEEPiiNS8_6detail34convert_binary_result_type_wrapperINS8_3SumESL_iEEEE10hipError_tPvRmT1_T2_T3_mT4_P12ihipStream_tbEUlT_E1_NS1_11comp_targetILNS1_3genE5ELNS1_11target_archE942ELNS1_3gpuE9ELNS1_3repE0EEENS1_30default_config_static_selectorELNS0_4arch9wavefront6targetE0EEEvSU_,@function
_ZN7rocprim17ROCPRIM_400000_NS6detail17trampoline_kernelINS0_14default_configENS1_22reduce_config_selectorIbEEZNS1_11reduce_implILb1ES3_N6hipcub16HIPCUB_304000_NS22TransformInputIteratorIbN2at6native12_GLOBAL__N_19NonZeroOpIN3c107complexINSE_4HalfEEEEEPKSH_lEEPiiNS8_6detail34convert_binary_result_type_wrapperINS8_3SumESL_iEEEE10hipError_tPvRmT1_T2_T3_mT4_P12ihipStream_tbEUlT_E1_NS1_11comp_targetILNS1_3genE5ELNS1_11target_archE942ELNS1_3gpuE9ELNS1_3repE0EEENS1_30default_config_static_selectorELNS0_4arch9wavefront6targetE0EEEvSU_: ; @_ZN7rocprim17ROCPRIM_400000_NS6detail17trampoline_kernelINS0_14default_configENS1_22reduce_config_selectorIbEEZNS1_11reduce_implILb1ES3_N6hipcub16HIPCUB_304000_NS22TransformInputIteratorIbN2at6native12_GLOBAL__N_19NonZeroOpIN3c107complexINSE_4HalfEEEEEPKSH_lEEPiiNS8_6detail34convert_binary_result_type_wrapperINS8_3SumESL_iEEEE10hipError_tPvRmT1_T2_T3_mT4_P12ihipStream_tbEUlT_E1_NS1_11comp_targetILNS1_3genE5ELNS1_11target_archE942ELNS1_3gpuE9ELNS1_3repE0EEENS1_30default_config_static_selectorELNS0_4arch9wavefront6targetE0EEEvSU_
; %bb.0:
	.section	.rodata,"a",@progbits
	.p2align	6, 0x0
	.amdhsa_kernel _ZN7rocprim17ROCPRIM_400000_NS6detail17trampoline_kernelINS0_14default_configENS1_22reduce_config_selectorIbEEZNS1_11reduce_implILb1ES3_N6hipcub16HIPCUB_304000_NS22TransformInputIteratorIbN2at6native12_GLOBAL__N_19NonZeroOpIN3c107complexINSE_4HalfEEEEEPKSH_lEEPiiNS8_6detail34convert_binary_result_type_wrapperINS8_3SumESL_iEEEE10hipError_tPvRmT1_T2_T3_mT4_P12ihipStream_tbEUlT_E1_NS1_11comp_targetILNS1_3genE5ELNS1_11target_archE942ELNS1_3gpuE9ELNS1_3repE0EEENS1_30default_config_static_selectorELNS0_4arch9wavefront6targetE0EEEvSU_
		.amdhsa_group_segment_fixed_size 0
		.amdhsa_private_segment_fixed_size 0
		.amdhsa_kernarg_size 48
		.amdhsa_user_sgpr_count 2
		.amdhsa_user_sgpr_dispatch_ptr 0
		.amdhsa_user_sgpr_queue_ptr 0
		.amdhsa_user_sgpr_kernarg_segment_ptr 1
		.amdhsa_user_sgpr_dispatch_id 0
		.amdhsa_user_sgpr_private_segment_size 0
		.amdhsa_wavefront_size32 1
		.amdhsa_uses_dynamic_stack 0
		.amdhsa_enable_private_segment 0
		.amdhsa_system_sgpr_workgroup_id_x 1
		.amdhsa_system_sgpr_workgroup_id_y 0
		.amdhsa_system_sgpr_workgroup_id_z 0
		.amdhsa_system_sgpr_workgroup_info 0
		.amdhsa_system_vgpr_workitem_id 0
		.amdhsa_next_free_vgpr 1
		.amdhsa_next_free_sgpr 1
		.amdhsa_reserve_vcc 0
		.amdhsa_float_round_mode_32 0
		.amdhsa_float_round_mode_16_64 0
		.amdhsa_float_denorm_mode_32 3
		.amdhsa_float_denorm_mode_16_64 3
		.amdhsa_fp16_overflow 0
		.amdhsa_workgroup_processor_mode 1
		.amdhsa_memory_ordered 1
		.amdhsa_forward_progress 1
		.amdhsa_inst_pref_size 0
		.amdhsa_round_robin_scheduling 0
		.amdhsa_exception_fp_ieee_invalid_op 0
		.amdhsa_exception_fp_denorm_src 0
		.amdhsa_exception_fp_ieee_div_zero 0
		.amdhsa_exception_fp_ieee_overflow 0
		.amdhsa_exception_fp_ieee_underflow 0
		.amdhsa_exception_fp_ieee_inexact 0
		.amdhsa_exception_int_div_zero 0
	.end_amdhsa_kernel
	.section	.text._ZN7rocprim17ROCPRIM_400000_NS6detail17trampoline_kernelINS0_14default_configENS1_22reduce_config_selectorIbEEZNS1_11reduce_implILb1ES3_N6hipcub16HIPCUB_304000_NS22TransformInputIteratorIbN2at6native12_GLOBAL__N_19NonZeroOpIN3c107complexINSE_4HalfEEEEEPKSH_lEEPiiNS8_6detail34convert_binary_result_type_wrapperINS8_3SumESL_iEEEE10hipError_tPvRmT1_T2_T3_mT4_P12ihipStream_tbEUlT_E1_NS1_11comp_targetILNS1_3genE5ELNS1_11target_archE942ELNS1_3gpuE9ELNS1_3repE0EEENS1_30default_config_static_selectorELNS0_4arch9wavefront6targetE0EEEvSU_,"axG",@progbits,_ZN7rocprim17ROCPRIM_400000_NS6detail17trampoline_kernelINS0_14default_configENS1_22reduce_config_selectorIbEEZNS1_11reduce_implILb1ES3_N6hipcub16HIPCUB_304000_NS22TransformInputIteratorIbN2at6native12_GLOBAL__N_19NonZeroOpIN3c107complexINSE_4HalfEEEEEPKSH_lEEPiiNS8_6detail34convert_binary_result_type_wrapperINS8_3SumESL_iEEEE10hipError_tPvRmT1_T2_T3_mT4_P12ihipStream_tbEUlT_E1_NS1_11comp_targetILNS1_3genE5ELNS1_11target_archE942ELNS1_3gpuE9ELNS1_3repE0EEENS1_30default_config_static_selectorELNS0_4arch9wavefront6targetE0EEEvSU_,comdat
.Lfunc_end654:
	.size	_ZN7rocprim17ROCPRIM_400000_NS6detail17trampoline_kernelINS0_14default_configENS1_22reduce_config_selectorIbEEZNS1_11reduce_implILb1ES3_N6hipcub16HIPCUB_304000_NS22TransformInputIteratorIbN2at6native12_GLOBAL__N_19NonZeroOpIN3c107complexINSE_4HalfEEEEEPKSH_lEEPiiNS8_6detail34convert_binary_result_type_wrapperINS8_3SumESL_iEEEE10hipError_tPvRmT1_T2_T3_mT4_P12ihipStream_tbEUlT_E1_NS1_11comp_targetILNS1_3genE5ELNS1_11target_archE942ELNS1_3gpuE9ELNS1_3repE0EEENS1_30default_config_static_selectorELNS0_4arch9wavefront6targetE0EEEvSU_, .Lfunc_end654-_ZN7rocprim17ROCPRIM_400000_NS6detail17trampoline_kernelINS0_14default_configENS1_22reduce_config_selectorIbEEZNS1_11reduce_implILb1ES3_N6hipcub16HIPCUB_304000_NS22TransformInputIteratorIbN2at6native12_GLOBAL__N_19NonZeroOpIN3c107complexINSE_4HalfEEEEEPKSH_lEEPiiNS8_6detail34convert_binary_result_type_wrapperINS8_3SumESL_iEEEE10hipError_tPvRmT1_T2_T3_mT4_P12ihipStream_tbEUlT_E1_NS1_11comp_targetILNS1_3genE5ELNS1_11target_archE942ELNS1_3gpuE9ELNS1_3repE0EEENS1_30default_config_static_selectorELNS0_4arch9wavefront6targetE0EEEvSU_
                                        ; -- End function
	.set _ZN7rocprim17ROCPRIM_400000_NS6detail17trampoline_kernelINS0_14default_configENS1_22reduce_config_selectorIbEEZNS1_11reduce_implILb1ES3_N6hipcub16HIPCUB_304000_NS22TransformInputIteratorIbN2at6native12_GLOBAL__N_19NonZeroOpIN3c107complexINSE_4HalfEEEEEPKSH_lEEPiiNS8_6detail34convert_binary_result_type_wrapperINS8_3SumESL_iEEEE10hipError_tPvRmT1_T2_T3_mT4_P12ihipStream_tbEUlT_E1_NS1_11comp_targetILNS1_3genE5ELNS1_11target_archE942ELNS1_3gpuE9ELNS1_3repE0EEENS1_30default_config_static_selectorELNS0_4arch9wavefront6targetE0EEEvSU_.num_vgpr, 0
	.set _ZN7rocprim17ROCPRIM_400000_NS6detail17trampoline_kernelINS0_14default_configENS1_22reduce_config_selectorIbEEZNS1_11reduce_implILb1ES3_N6hipcub16HIPCUB_304000_NS22TransformInputIteratorIbN2at6native12_GLOBAL__N_19NonZeroOpIN3c107complexINSE_4HalfEEEEEPKSH_lEEPiiNS8_6detail34convert_binary_result_type_wrapperINS8_3SumESL_iEEEE10hipError_tPvRmT1_T2_T3_mT4_P12ihipStream_tbEUlT_E1_NS1_11comp_targetILNS1_3genE5ELNS1_11target_archE942ELNS1_3gpuE9ELNS1_3repE0EEENS1_30default_config_static_selectorELNS0_4arch9wavefront6targetE0EEEvSU_.num_agpr, 0
	.set _ZN7rocprim17ROCPRIM_400000_NS6detail17trampoline_kernelINS0_14default_configENS1_22reduce_config_selectorIbEEZNS1_11reduce_implILb1ES3_N6hipcub16HIPCUB_304000_NS22TransformInputIteratorIbN2at6native12_GLOBAL__N_19NonZeroOpIN3c107complexINSE_4HalfEEEEEPKSH_lEEPiiNS8_6detail34convert_binary_result_type_wrapperINS8_3SumESL_iEEEE10hipError_tPvRmT1_T2_T3_mT4_P12ihipStream_tbEUlT_E1_NS1_11comp_targetILNS1_3genE5ELNS1_11target_archE942ELNS1_3gpuE9ELNS1_3repE0EEENS1_30default_config_static_selectorELNS0_4arch9wavefront6targetE0EEEvSU_.numbered_sgpr, 0
	.set _ZN7rocprim17ROCPRIM_400000_NS6detail17trampoline_kernelINS0_14default_configENS1_22reduce_config_selectorIbEEZNS1_11reduce_implILb1ES3_N6hipcub16HIPCUB_304000_NS22TransformInputIteratorIbN2at6native12_GLOBAL__N_19NonZeroOpIN3c107complexINSE_4HalfEEEEEPKSH_lEEPiiNS8_6detail34convert_binary_result_type_wrapperINS8_3SumESL_iEEEE10hipError_tPvRmT1_T2_T3_mT4_P12ihipStream_tbEUlT_E1_NS1_11comp_targetILNS1_3genE5ELNS1_11target_archE942ELNS1_3gpuE9ELNS1_3repE0EEENS1_30default_config_static_selectorELNS0_4arch9wavefront6targetE0EEEvSU_.num_named_barrier, 0
	.set _ZN7rocprim17ROCPRIM_400000_NS6detail17trampoline_kernelINS0_14default_configENS1_22reduce_config_selectorIbEEZNS1_11reduce_implILb1ES3_N6hipcub16HIPCUB_304000_NS22TransformInputIteratorIbN2at6native12_GLOBAL__N_19NonZeroOpIN3c107complexINSE_4HalfEEEEEPKSH_lEEPiiNS8_6detail34convert_binary_result_type_wrapperINS8_3SumESL_iEEEE10hipError_tPvRmT1_T2_T3_mT4_P12ihipStream_tbEUlT_E1_NS1_11comp_targetILNS1_3genE5ELNS1_11target_archE942ELNS1_3gpuE9ELNS1_3repE0EEENS1_30default_config_static_selectorELNS0_4arch9wavefront6targetE0EEEvSU_.private_seg_size, 0
	.set _ZN7rocprim17ROCPRIM_400000_NS6detail17trampoline_kernelINS0_14default_configENS1_22reduce_config_selectorIbEEZNS1_11reduce_implILb1ES3_N6hipcub16HIPCUB_304000_NS22TransformInputIteratorIbN2at6native12_GLOBAL__N_19NonZeroOpIN3c107complexINSE_4HalfEEEEEPKSH_lEEPiiNS8_6detail34convert_binary_result_type_wrapperINS8_3SumESL_iEEEE10hipError_tPvRmT1_T2_T3_mT4_P12ihipStream_tbEUlT_E1_NS1_11comp_targetILNS1_3genE5ELNS1_11target_archE942ELNS1_3gpuE9ELNS1_3repE0EEENS1_30default_config_static_selectorELNS0_4arch9wavefront6targetE0EEEvSU_.uses_vcc, 0
	.set _ZN7rocprim17ROCPRIM_400000_NS6detail17trampoline_kernelINS0_14default_configENS1_22reduce_config_selectorIbEEZNS1_11reduce_implILb1ES3_N6hipcub16HIPCUB_304000_NS22TransformInputIteratorIbN2at6native12_GLOBAL__N_19NonZeroOpIN3c107complexINSE_4HalfEEEEEPKSH_lEEPiiNS8_6detail34convert_binary_result_type_wrapperINS8_3SumESL_iEEEE10hipError_tPvRmT1_T2_T3_mT4_P12ihipStream_tbEUlT_E1_NS1_11comp_targetILNS1_3genE5ELNS1_11target_archE942ELNS1_3gpuE9ELNS1_3repE0EEENS1_30default_config_static_selectorELNS0_4arch9wavefront6targetE0EEEvSU_.uses_flat_scratch, 0
	.set _ZN7rocprim17ROCPRIM_400000_NS6detail17trampoline_kernelINS0_14default_configENS1_22reduce_config_selectorIbEEZNS1_11reduce_implILb1ES3_N6hipcub16HIPCUB_304000_NS22TransformInputIteratorIbN2at6native12_GLOBAL__N_19NonZeroOpIN3c107complexINSE_4HalfEEEEEPKSH_lEEPiiNS8_6detail34convert_binary_result_type_wrapperINS8_3SumESL_iEEEE10hipError_tPvRmT1_T2_T3_mT4_P12ihipStream_tbEUlT_E1_NS1_11comp_targetILNS1_3genE5ELNS1_11target_archE942ELNS1_3gpuE9ELNS1_3repE0EEENS1_30default_config_static_selectorELNS0_4arch9wavefront6targetE0EEEvSU_.has_dyn_sized_stack, 0
	.set _ZN7rocprim17ROCPRIM_400000_NS6detail17trampoline_kernelINS0_14default_configENS1_22reduce_config_selectorIbEEZNS1_11reduce_implILb1ES3_N6hipcub16HIPCUB_304000_NS22TransformInputIteratorIbN2at6native12_GLOBAL__N_19NonZeroOpIN3c107complexINSE_4HalfEEEEEPKSH_lEEPiiNS8_6detail34convert_binary_result_type_wrapperINS8_3SumESL_iEEEE10hipError_tPvRmT1_T2_T3_mT4_P12ihipStream_tbEUlT_E1_NS1_11comp_targetILNS1_3genE5ELNS1_11target_archE942ELNS1_3gpuE9ELNS1_3repE0EEENS1_30default_config_static_selectorELNS0_4arch9wavefront6targetE0EEEvSU_.has_recursion, 0
	.set _ZN7rocprim17ROCPRIM_400000_NS6detail17trampoline_kernelINS0_14default_configENS1_22reduce_config_selectorIbEEZNS1_11reduce_implILb1ES3_N6hipcub16HIPCUB_304000_NS22TransformInputIteratorIbN2at6native12_GLOBAL__N_19NonZeroOpIN3c107complexINSE_4HalfEEEEEPKSH_lEEPiiNS8_6detail34convert_binary_result_type_wrapperINS8_3SumESL_iEEEE10hipError_tPvRmT1_T2_T3_mT4_P12ihipStream_tbEUlT_E1_NS1_11comp_targetILNS1_3genE5ELNS1_11target_archE942ELNS1_3gpuE9ELNS1_3repE0EEENS1_30default_config_static_selectorELNS0_4arch9wavefront6targetE0EEEvSU_.has_indirect_call, 0
	.section	.AMDGPU.csdata,"",@progbits
; Kernel info:
; codeLenInByte = 0
; TotalNumSgprs: 0
; NumVgprs: 0
; ScratchSize: 0
; MemoryBound: 0
; FloatMode: 240
; IeeeMode: 1
; LDSByteSize: 0 bytes/workgroup (compile time only)
; SGPRBlocks: 0
; VGPRBlocks: 0
; NumSGPRsForWavesPerEU: 1
; NumVGPRsForWavesPerEU: 1
; Occupancy: 16
; WaveLimiterHint : 0
; COMPUTE_PGM_RSRC2:SCRATCH_EN: 0
; COMPUTE_PGM_RSRC2:USER_SGPR: 2
; COMPUTE_PGM_RSRC2:TRAP_HANDLER: 0
; COMPUTE_PGM_RSRC2:TGID_X_EN: 1
; COMPUTE_PGM_RSRC2:TGID_Y_EN: 0
; COMPUTE_PGM_RSRC2:TGID_Z_EN: 0
; COMPUTE_PGM_RSRC2:TIDIG_COMP_CNT: 0
	.section	.text._ZN7rocprim17ROCPRIM_400000_NS6detail17trampoline_kernelINS0_14default_configENS1_22reduce_config_selectorIbEEZNS1_11reduce_implILb1ES3_N6hipcub16HIPCUB_304000_NS22TransformInputIteratorIbN2at6native12_GLOBAL__N_19NonZeroOpIN3c107complexINSE_4HalfEEEEEPKSH_lEEPiiNS8_6detail34convert_binary_result_type_wrapperINS8_3SumESL_iEEEE10hipError_tPvRmT1_T2_T3_mT4_P12ihipStream_tbEUlT_E1_NS1_11comp_targetILNS1_3genE4ELNS1_11target_archE910ELNS1_3gpuE8ELNS1_3repE0EEENS1_30default_config_static_selectorELNS0_4arch9wavefront6targetE0EEEvSU_,"axG",@progbits,_ZN7rocprim17ROCPRIM_400000_NS6detail17trampoline_kernelINS0_14default_configENS1_22reduce_config_selectorIbEEZNS1_11reduce_implILb1ES3_N6hipcub16HIPCUB_304000_NS22TransformInputIteratorIbN2at6native12_GLOBAL__N_19NonZeroOpIN3c107complexINSE_4HalfEEEEEPKSH_lEEPiiNS8_6detail34convert_binary_result_type_wrapperINS8_3SumESL_iEEEE10hipError_tPvRmT1_T2_T3_mT4_P12ihipStream_tbEUlT_E1_NS1_11comp_targetILNS1_3genE4ELNS1_11target_archE910ELNS1_3gpuE8ELNS1_3repE0EEENS1_30default_config_static_selectorELNS0_4arch9wavefront6targetE0EEEvSU_,comdat
	.globl	_ZN7rocprim17ROCPRIM_400000_NS6detail17trampoline_kernelINS0_14default_configENS1_22reduce_config_selectorIbEEZNS1_11reduce_implILb1ES3_N6hipcub16HIPCUB_304000_NS22TransformInputIteratorIbN2at6native12_GLOBAL__N_19NonZeroOpIN3c107complexINSE_4HalfEEEEEPKSH_lEEPiiNS8_6detail34convert_binary_result_type_wrapperINS8_3SumESL_iEEEE10hipError_tPvRmT1_T2_T3_mT4_P12ihipStream_tbEUlT_E1_NS1_11comp_targetILNS1_3genE4ELNS1_11target_archE910ELNS1_3gpuE8ELNS1_3repE0EEENS1_30default_config_static_selectorELNS0_4arch9wavefront6targetE0EEEvSU_ ; -- Begin function _ZN7rocprim17ROCPRIM_400000_NS6detail17trampoline_kernelINS0_14default_configENS1_22reduce_config_selectorIbEEZNS1_11reduce_implILb1ES3_N6hipcub16HIPCUB_304000_NS22TransformInputIteratorIbN2at6native12_GLOBAL__N_19NonZeroOpIN3c107complexINSE_4HalfEEEEEPKSH_lEEPiiNS8_6detail34convert_binary_result_type_wrapperINS8_3SumESL_iEEEE10hipError_tPvRmT1_T2_T3_mT4_P12ihipStream_tbEUlT_E1_NS1_11comp_targetILNS1_3genE4ELNS1_11target_archE910ELNS1_3gpuE8ELNS1_3repE0EEENS1_30default_config_static_selectorELNS0_4arch9wavefront6targetE0EEEvSU_
	.p2align	8
	.type	_ZN7rocprim17ROCPRIM_400000_NS6detail17trampoline_kernelINS0_14default_configENS1_22reduce_config_selectorIbEEZNS1_11reduce_implILb1ES3_N6hipcub16HIPCUB_304000_NS22TransformInputIteratorIbN2at6native12_GLOBAL__N_19NonZeroOpIN3c107complexINSE_4HalfEEEEEPKSH_lEEPiiNS8_6detail34convert_binary_result_type_wrapperINS8_3SumESL_iEEEE10hipError_tPvRmT1_T2_T3_mT4_P12ihipStream_tbEUlT_E1_NS1_11comp_targetILNS1_3genE4ELNS1_11target_archE910ELNS1_3gpuE8ELNS1_3repE0EEENS1_30default_config_static_selectorELNS0_4arch9wavefront6targetE0EEEvSU_,@function
_ZN7rocprim17ROCPRIM_400000_NS6detail17trampoline_kernelINS0_14default_configENS1_22reduce_config_selectorIbEEZNS1_11reduce_implILb1ES3_N6hipcub16HIPCUB_304000_NS22TransformInputIteratorIbN2at6native12_GLOBAL__N_19NonZeroOpIN3c107complexINSE_4HalfEEEEEPKSH_lEEPiiNS8_6detail34convert_binary_result_type_wrapperINS8_3SumESL_iEEEE10hipError_tPvRmT1_T2_T3_mT4_P12ihipStream_tbEUlT_E1_NS1_11comp_targetILNS1_3genE4ELNS1_11target_archE910ELNS1_3gpuE8ELNS1_3repE0EEENS1_30default_config_static_selectorELNS0_4arch9wavefront6targetE0EEEvSU_: ; @_ZN7rocprim17ROCPRIM_400000_NS6detail17trampoline_kernelINS0_14default_configENS1_22reduce_config_selectorIbEEZNS1_11reduce_implILb1ES3_N6hipcub16HIPCUB_304000_NS22TransformInputIteratorIbN2at6native12_GLOBAL__N_19NonZeroOpIN3c107complexINSE_4HalfEEEEEPKSH_lEEPiiNS8_6detail34convert_binary_result_type_wrapperINS8_3SumESL_iEEEE10hipError_tPvRmT1_T2_T3_mT4_P12ihipStream_tbEUlT_E1_NS1_11comp_targetILNS1_3genE4ELNS1_11target_archE910ELNS1_3gpuE8ELNS1_3repE0EEENS1_30default_config_static_selectorELNS0_4arch9wavefront6targetE0EEEvSU_
; %bb.0:
	.section	.rodata,"a",@progbits
	.p2align	6, 0x0
	.amdhsa_kernel _ZN7rocprim17ROCPRIM_400000_NS6detail17trampoline_kernelINS0_14default_configENS1_22reduce_config_selectorIbEEZNS1_11reduce_implILb1ES3_N6hipcub16HIPCUB_304000_NS22TransformInputIteratorIbN2at6native12_GLOBAL__N_19NonZeroOpIN3c107complexINSE_4HalfEEEEEPKSH_lEEPiiNS8_6detail34convert_binary_result_type_wrapperINS8_3SumESL_iEEEE10hipError_tPvRmT1_T2_T3_mT4_P12ihipStream_tbEUlT_E1_NS1_11comp_targetILNS1_3genE4ELNS1_11target_archE910ELNS1_3gpuE8ELNS1_3repE0EEENS1_30default_config_static_selectorELNS0_4arch9wavefront6targetE0EEEvSU_
		.amdhsa_group_segment_fixed_size 0
		.amdhsa_private_segment_fixed_size 0
		.amdhsa_kernarg_size 48
		.amdhsa_user_sgpr_count 2
		.amdhsa_user_sgpr_dispatch_ptr 0
		.amdhsa_user_sgpr_queue_ptr 0
		.amdhsa_user_sgpr_kernarg_segment_ptr 1
		.amdhsa_user_sgpr_dispatch_id 0
		.amdhsa_user_sgpr_private_segment_size 0
		.amdhsa_wavefront_size32 1
		.amdhsa_uses_dynamic_stack 0
		.amdhsa_enable_private_segment 0
		.amdhsa_system_sgpr_workgroup_id_x 1
		.amdhsa_system_sgpr_workgroup_id_y 0
		.amdhsa_system_sgpr_workgroup_id_z 0
		.amdhsa_system_sgpr_workgroup_info 0
		.amdhsa_system_vgpr_workitem_id 0
		.amdhsa_next_free_vgpr 1
		.amdhsa_next_free_sgpr 1
		.amdhsa_reserve_vcc 0
		.amdhsa_float_round_mode_32 0
		.amdhsa_float_round_mode_16_64 0
		.amdhsa_float_denorm_mode_32 3
		.amdhsa_float_denorm_mode_16_64 3
		.amdhsa_fp16_overflow 0
		.amdhsa_workgroup_processor_mode 1
		.amdhsa_memory_ordered 1
		.amdhsa_forward_progress 1
		.amdhsa_inst_pref_size 0
		.amdhsa_round_robin_scheduling 0
		.amdhsa_exception_fp_ieee_invalid_op 0
		.amdhsa_exception_fp_denorm_src 0
		.amdhsa_exception_fp_ieee_div_zero 0
		.amdhsa_exception_fp_ieee_overflow 0
		.amdhsa_exception_fp_ieee_underflow 0
		.amdhsa_exception_fp_ieee_inexact 0
		.amdhsa_exception_int_div_zero 0
	.end_amdhsa_kernel
	.section	.text._ZN7rocprim17ROCPRIM_400000_NS6detail17trampoline_kernelINS0_14default_configENS1_22reduce_config_selectorIbEEZNS1_11reduce_implILb1ES3_N6hipcub16HIPCUB_304000_NS22TransformInputIteratorIbN2at6native12_GLOBAL__N_19NonZeroOpIN3c107complexINSE_4HalfEEEEEPKSH_lEEPiiNS8_6detail34convert_binary_result_type_wrapperINS8_3SumESL_iEEEE10hipError_tPvRmT1_T2_T3_mT4_P12ihipStream_tbEUlT_E1_NS1_11comp_targetILNS1_3genE4ELNS1_11target_archE910ELNS1_3gpuE8ELNS1_3repE0EEENS1_30default_config_static_selectorELNS0_4arch9wavefront6targetE0EEEvSU_,"axG",@progbits,_ZN7rocprim17ROCPRIM_400000_NS6detail17trampoline_kernelINS0_14default_configENS1_22reduce_config_selectorIbEEZNS1_11reduce_implILb1ES3_N6hipcub16HIPCUB_304000_NS22TransformInputIteratorIbN2at6native12_GLOBAL__N_19NonZeroOpIN3c107complexINSE_4HalfEEEEEPKSH_lEEPiiNS8_6detail34convert_binary_result_type_wrapperINS8_3SumESL_iEEEE10hipError_tPvRmT1_T2_T3_mT4_P12ihipStream_tbEUlT_E1_NS1_11comp_targetILNS1_3genE4ELNS1_11target_archE910ELNS1_3gpuE8ELNS1_3repE0EEENS1_30default_config_static_selectorELNS0_4arch9wavefront6targetE0EEEvSU_,comdat
.Lfunc_end655:
	.size	_ZN7rocprim17ROCPRIM_400000_NS6detail17trampoline_kernelINS0_14default_configENS1_22reduce_config_selectorIbEEZNS1_11reduce_implILb1ES3_N6hipcub16HIPCUB_304000_NS22TransformInputIteratorIbN2at6native12_GLOBAL__N_19NonZeroOpIN3c107complexINSE_4HalfEEEEEPKSH_lEEPiiNS8_6detail34convert_binary_result_type_wrapperINS8_3SumESL_iEEEE10hipError_tPvRmT1_T2_T3_mT4_P12ihipStream_tbEUlT_E1_NS1_11comp_targetILNS1_3genE4ELNS1_11target_archE910ELNS1_3gpuE8ELNS1_3repE0EEENS1_30default_config_static_selectorELNS0_4arch9wavefront6targetE0EEEvSU_, .Lfunc_end655-_ZN7rocprim17ROCPRIM_400000_NS6detail17trampoline_kernelINS0_14default_configENS1_22reduce_config_selectorIbEEZNS1_11reduce_implILb1ES3_N6hipcub16HIPCUB_304000_NS22TransformInputIteratorIbN2at6native12_GLOBAL__N_19NonZeroOpIN3c107complexINSE_4HalfEEEEEPKSH_lEEPiiNS8_6detail34convert_binary_result_type_wrapperINS8_3SumESL_iEEEE10hipError_tPvRmT1_T2_T3_mT4_P12ihipStream_tbEUlT_E1_NS1_11comp_targetILNS1_3genE4ELNS1_11target_archE910ELNS1_3gpuE8ELNS1_3repE0EEENS1_30default_config_static_selectorELNS0_4arch9wavefront6targetE0EEEvSU_
                                        ; -- End function
	.set _ZN7rocprim17ROCPRIM_400000_NS6detail17trampoline_kernelINS0_14default_configENS1_22reduce_config_selectorIbEEZNS1_11reduce_implILb1ES3_N6hipcub16HIPCUB_304000_NS22TransformInputIteratorIbN2at6native12_GLOBAL__N_19NonZeroOpIN3c107complexINSE_4HalfEEEEEPKSH_lEEPiiNS8_6detail34convert_binary_result_type_wrapperINS8_3SumESL_iEEEE10hipError_tPvRmT1_T2_T3_mT4_P12ihipStream_tbEUlT_E1_NS1_11comp_targetILNS1_3genE4ELNS1_11target_archE910ELNS1_3gpuE8ELNS1_3repE0EEENS1_30default_config_static_selectorELNS0_4arch9wavefront6targetE0EEEvSU_.num_vgpr, 0
	.set _ZN7rocprim17ROCPRIM_400000_NS6detail17trampoline_kernelINS0_14default_configENS1_22reduce_config_selectorIbEEZNS1_11reduce_implILb1ES3_N6hipcub16HIPCUB_304000_NS22TransformInputIteratorIbN2at6native12_GLOBAL__N_19NonZeroOpIN3c107complexINSE_4HalfEEEEEPKSH_lEEPiiNS8_6detail34convert_binary_result_type_wrapperINS8_3SumESL_iEEEE10hipError_tPvRmT1_T2_T3_mT4_P12ihipStream_tbEUlT_E1_NS1_11comp_targetILNS1_3genE4ELNS1_11target_archE910ELNS1_3gpuE8ELNS1_3repE0EEENS1_30default_config_static_selectorELNS0_4arch9wavefront6targetE0EEEvSU_.num_agpr, 0
	.set _ZN7rocprim17ROCPRIM_400000_NS6detail17trampoline_kernelINS0_14default_configENS1_22reduce_config_selectorIbEEZNS1_11reduce_implILb1ES3_N6hipcub16HIPCUB_304000_NS22TransformInputIteratorIbN2at6native12_GLOBAL__N_19NonZeroOpIN3c107complexINSE_4HalfEEEEEPKSH_lEEPiiNS8_6detail34convert_binary_result_type_wrapperINS8_3SumESL_iEEEE10hipError_tPvRmT1_T2_T3_mT4_P12ihipStream_tbEUlT_E1_NS1_11comp_targetILNS1_3genE4ELNS1_11target_archE910ELNS1_3gpuE8ELNS1_3repE0EEENS1_30default_config_static_selectorELNS0_4arch9wavefront6targetE0EEEvSU_.numbered_sgpr, 0
	.set _ZN7rocprim17ROCPRIM_400000_NS6detail17trampoline_kernelINS0_14default_configENS1_22reduce_config_selectorIbEEZNS1_11reduce_implILb1ES3_N6hipcub16HIPCUB_304000_NS22TransformInputIteratorIbN2at6native12_GLOBAL__N_19NonZeroOpIN3c107complexINSE_4HalfEEEEEPKSH_lEEPiiNS8_6detail34convert_binary_result_type_wrapperINS8_3SumESL_iEEEE10hipError_tPvRmT1_T2_T3_mT4_P12ihipStream_tbEUlT_E1_NS1_11comp_targetILNS1_3genE4ELNS1_11target_archE910ELNS1_3gpuE8ELNS1_3repE0EEENS1_30default_config_static_selectorELNS0_4arch9wavefront6targetE0EEEvSU_.num_named_barrier, 0
	.set _ZN7rocprim17ROCPRIM_400000_NS6detail17trampoline_kernelINS0_14default_configENS1_22reduce_config_selectorIbEEZNS1_11reduce_implILb1ES3_N6hipcub16HIPCUB_304000_NS22TransformInputIteratorIbN2at6native12_GLOBAL__N_19NonZeroOpIN3c107complexINSE_4HalfEEEEEPKSH_lEEPiiNS8_6detail34convert_binary_result_type_wrapperINS8_3SumESL_iEEEE10hipError_tPvRmT1_T2_T3_mT4_P12ihipStream_tbEUlT_E1_NS1_11comp_targetILNS1_3genE4ELNS1_11target_archE910ELNS1_3gpuE8ELNS1_3repE0EEENS1_30default_config_static_selectorELNS0_4arch9wavefront6targetE0EEEvSU_.private_seg_size, 0
	.set _ZN7rocprim17ROCPRIM_400000_NS6detail17trampoline_kernelINS0_14default_configENS1_22reduce_config_selectorIbEEZNS1_11reduce_implILb1ES3_N6hipcub16HIPCUB_304000_NS22TransformInputIteratorIbN2at6native12_GLOBAL__N_19NonZeroOpIN3c107complexINSE_4HalfEEEEEPKSH_lEEPiiNS8_6detail34convert_binary_result_type_wrapperINS8_3SumESL_iEEEE10hipError_tPvRmT1_T2_T3_mT4_P12ihipStream_tbEUlT_E1_NS1_11comp_targetILNS1_3genE4ELNS1_11target_archE910ELNS1_3gpuE8ELNS1_3repE0EEENS1_30default_config_static_selectorELNS0_4arch9wavefront6targetE0EEEvSU_.uses_vcc, 0
	.set _ZN7rocprim17ROCPRIM_400000_NS6detail17trampoline_kernelINS0_14default_configENS1_22reduce_config_selectorIbEEZNS1_11reduce_implILb1ES3_N6hipcub16HIPCUB_304000_NS22TransformInputIteratorIbN2at6native12_GLOBAL__N_19NonZeroOpIN3c107complexINSE_4HalfEEEEEPKSH_lEEPiiNS8_6detail34convert_binary_result_type_wrapperINS8_3SumESL_iEEEE10hipError_tPvRmT1_T2_T3_mT4_P12ihipStream_tbEUlT_E1_NS1_11comp_targetILNS1_3genE4ELNS1_11target_archE910ELNS1_3gpuE8ELNS1_3repE0EEENS1_30default_config_static_selectorELNS0_4arch9wavefront6targetE0EEEvSU_.uses_flat_scratch, 0
	.set _ZN7rocprim17ROCPRIM_400000_NS6detail17trampoline_kernelINS0_14default_configENS1_22reduce_config_selectorIbEEZNS1_11reduce_implILb1ES3_N6hipcub16HIPCUB_304000_NS22TransformInputIteratorIbN2at6native12_GLOBAL__N_19NonZeroOpIN3c107complexINSE_4HalfEEEEEPKSH_lEEPiiNS8_6detail34convert_binary_result_type_wrapperINS8_3SumESL_iEEEE10hipError_tPvRmT1_T2_T3_mT4_P12ihipStream_tbEUlT_E1_NS1_11comp_targetILNS1_3genE4ELNS1_11target_archE910ELNS1_3gpuE8ELNS1_3repE0EEENS1_30default_config_static_selectorELNS0_4arch9wavefront6targetE0EEEvSU_.has_dyn_sized_stack, 0
	.set _ZN7rocprim17ROCPRIM_400000_NS6detail17trampoline_kernelINS0_14default_configENS1_22reduce_config_selectorIbEEZNS1_11reduce_implILb1ES3_N6hipcub16HIPCUB_304000_NS22TransformInputIteratorIbN2at6native12_GLOBAL__N_19NonZeroOpIN3c107complexINSE_4HalfEEEEEPKSH_lEEPiiNS8_6detail34convert_binary_result_type_wrapperINS8_3SumESL_iEEEE10hipError_tPvRmT1_T2_T3_mT4_P12ihipStream_tbEUlT_E1_NS1_11comp_targetILNS1_3genE4ELNS1_11target_archE910ELNS1_3gpuE8ELNS1_3repE0EEENS1_30default_config_static_selectorELNS0_4arch9wavefront6targetE0EEEvSU_.has_recursion, 0
	.set _ZN7rocprim17ROCPRIM_400000_NS6detail17trampoline_kernelINS0_14default_configENS1_22reduce_config_selectorIbEEZNS1_11reduce_implILb1ES3_N6hipcub16HIPCUB_304000_NS22TransformInputIteratorIbN2at6native12_GLOBAL__N_19NonZeroOpIN3c107complexINSE_4HalfEEEEEPKSH_lEEPiiNS8_6detail34convert_binary_result_type_wrapperINS8_3SumESL_iEEEE10hipError_tPvRmT1_T2_T3_mT4_P12ihipStream_tbEUlT_E1_NS1_11comp_targetILNS1_3genE4ELNS1_11target_archE910ELNS1_3gpuE8ELNS1_3repE0EEENS1_30default_config_static_selectorELNS0_4arch9wavefront6targetE0EEEvSU_.has_indirect_call, 0
	.section	.AMDGPU.csdata,"",@progbits
; Kernel info:
; codeLenInByte = 0
; TotalNumSgprs: 0
; NumVgprs: 0
; ScratchSize: 0
; MemoryBound: 0
; FloatMode: 240
; IeeeMode: 1
; LDSByteSize: 0 bytes/workgroup (compile time only)
; SGPRBlocks: 0
; VGPRBlocks: 0
; NumSGPRsForWavesPerEU: 1
; NumVGPRsForWavesPerEU: 1
; Occupancy: 16
; WaveLimiterHint : 0
; COMPUTE_PGM_RSRC2:SCRATCH_EN: 0
; COMPUTE_PGM_RSRC2:USER_SGPR: 2
; COMPUTE_PGM_RSRC2:TRAP_HANDLER: 0
; COMPUTE_PGM_RSRC2:TGID_X_EN: 1
; COMPUTE_PGM_RSRC2:TGID_Y_EN: 0
; COMPUTE_PGM_RSRC2:TGID_Z_EN: 0
; COMPUTE_PGM_RSRC2:TIDIG_COMP_CNT: 0
	.section	.text._ZN7rocprim17ROCPRIM_400000_NS6detail17trampoline_kernelINS0_14default_configENS1_22reduce_config_selectorIbEEZNS1_11reduce_implILb1ES3_N6hipcub16HIPCUB_304000_NS22TransformInputIteratorIbN2at6native12_GLOBAL__N_19NonZeroOpIN3c107complexINSE_4HalfEEEEEPKSH_lEEPiiNS8_6detail34convert_binary_result_type_wrapperINS8_3SumESL_iEEEE10hipError_tPvRmT1_T2_T3_mT4_P12ihipStream_tbEUlT_E1_NS1_11comp_targetILNS1_3genE3ELNS1_11target_archE908ELNS1_3gpuE7ELNS1_3repE0EEENS1_30default_config_static_selectorELNS0_4arch9wavefront6targetE0EEEvSU_,"axG",@progbits,_ZN7rocprim17ROCPRIM_400000_NS6detail17trampoline_kernelINS0_14default_configENS1_22reduce_config_selectorIbEEZNS1_11reduce_implILb1ES3_N6hipcub16HIPCUB_304000_NS22TransformInputIteratorIbN2at6native12_GLOBAL__N_19NonZeroOpIN3c107complexINSE_4HalfEEEEEPKSH_lEEPiiNS8_6detail34convert_binary_result_type_wrapperINS8_3SumESL_iEEEE10hipError_tPvRmT1_T2_T3_mT4_P12ihipStream_tbEUlT_E1_NS1_11comp_targetILNS1_3genE3ELNS1_11target_archE908ELNS1_3gpuE7ELNS1_3repE0EEENS1_30default_config_static_selectorELNS0_4arch9wavefront6targetE0EEEvSU_,comdat
	.globl	_ZN7rocprim17ROCPRIM_400000_NS6detail17trampoline_kernelINS0_14default_configENS1_22reduce_config_selectorIbEEZNS1_11reduce_implILb1ES3_N6hipcub16HIPCUB_304000_NS22TransformInputIteratorIbN2at6native12_GLOBAL__N_19NonZeroOpIN3c107complexINSE_4HalfEEEEEPKSH_lEEPiiNS8_6detail34convert_binary_result_type_wrapperINS8_3SumESL_iEEEE10hipError_tPvRmT1_T2_T3_mT4_P12ihipStream_tbEUlT_E1_NS1_11comp_targetILNS1_3genE3ELNS1_11target_archE908ELNS1_3gpuE7ELNS1_3repE0EEENS1_30default_config_static_selectorELNS0_4arch9wavefront6targetE0EEEvSU_ ; -- Begin function _ZN7rocprim17ROCPRIM_400000_NS6detail17trampoline_kernelINS0_14default_configENS1_22reduce_config_selectorIbEEZNS1_11reduce_implILb1ES3_N6hipcub16HIPCUB_304000_NS22TransformInputIteratorIbN2at6native12_GLOBAL__N_19NonZeroOpIN3c107complexINSE_4HalfEEEEEPKSH_lEEPiiNS8_6detail34convert_binary_result_type_wrapperINS8_3SumESL_iEEEE10hipError_tPvRmT1_T2_T3_mT4_P12ihipStream_tbEUlT_E1_NS1_11comp_targetILNS1_3genE3ELNS1_11target_archE908ELNS1_3gpuE7ELNS1_3repE0EEENS1_30default_config_static_selectorELNS0_4arch9wavefront6targetE0EEEvSU_
	.p2align	8
	.type	_ZN7rocprim17ROCPRIM_400000_NS6detail17trampoline_kernelINS0_14default_configENS1_22reduce_config_selectorIbEEZNS1_11reduce_implILb1ES3_N6hipcub16HIPCUB_304000_NS22TransformInputIteratorIbN2at6native12_GLOBAL__N_19NonZeroOpIN3c107complexINSE_4HalfEEEEEPKSH_lEEPiiNS8_6detail34convert_binary_result_type_wrapperINS8_3SumESL_iEEEE10hipError_tPvRmT1_T2_T3_mT4_P12ihipStream_tbEUlT_E1_NS1_11comp_targetILNS1_3genE3ELNS1_11target_archE908ELNS1_3gpuE7ELNS1_3repE0EEENS1_30default_config_static_selectorELNS0_4arch9wavefront6targetE0EEEvSU_,@function
_ZN7rocprim17ROCPRIM_400000_NS6detail17trampoline_kernelINS0_14default_configENS1_22reduce_config_selectorIbEEZNS1_11reduce_implILb1ES3_N6hipcub16HIPCUB_304000_NS22TransformInputIteratorIbN2at6native12_GLOBAL__N_19NonZeroOpIN3c107complexINSE_4HalfEEEEEPKSH_lEEPiiNS8_6detail34convert_binary_result_type_wrapperINS8_3SumESL_iEEEE10hipError_tPvRmT1_T2_T3_mT4_P12ihipStream_tbEUlT_E1_NS1_11comp_targetILNS1_3genE3ELNS1_11target_archE908ELNS1_3gpuE7ELNS1_3repE0EEENS1_30default_config_static_selectorELNS0_4arch9wavefront6targetE0EEEvSU_: ; @_ZN7rocprim17ROCPRIM_400000_NS6detail17trampoline_kernelINS0_14default_configENS1_22reduce_config_selectorIbEEZNS1_11reduce_implILb1ES3_N6hipcub16HIPCUB_304000_NS22TransformInputIteratorIbN2at6native12_GLOBAL__N_19NonZeroOpIN3c107complexINSE_4HalfEEEEEPKSH_lEEPiiNS8_6detail34convert_binary_result_type_wrapperINS8_3SumESL_iEEEE10hipError_tPvRmT1_T2_T3_mT4_P12ihipStream_tbEUlT_E1_NS1_11comp_targetILNS1_3genE3ELNS1_11target_archE908ELNS1_3gpuE7ELNS1_3repE0EEENS1_30default_config_static_selectorELNS0_4arch9wavefront6targetE0EEEvSU_
; %bb.0:
	.section	.rodata,"a",@progbits
	.p2align	6, 0x0
	.amdhsa_kernel _ZN7rocprim17ROCPRIM_400000_NS6detail17trampoline_kernelINS0_14default_configENS1_22reduce_config_selectorIbEEZNS1_11reduce_implILb1ES3_N6hipcub16HIPCUB_304000_NS22TransformInputIteratorIbN2at6native12_GLOBAL__N_19NonZeroOpIN3c107complexINSE_4HalfEEEEEPKSH_lEEPiiNS8_6detail34convert_binary_result_type_wrapperINS8_3SumESL_iEEEE10hipError_tPvRmT1_T2_T3_mT4_P12ihipStream_tbEUlT_E1_NS1_11comp_targetILNS1_3genE3ELNS1_11target_archE908ELNS1_3gpuE7ELNS1_3repE0EEENS1_30default_config_static_selectorELNS0_4arch9wavefront6targetE0EEEvSU_
		.amdhsa_group_segment_fixed_size 0
		.amdhsa_private_segment_fixed_size 0
		.amdhsa_kernarg_size 48
		.amdhsa_user_sgpr_count 2
		.amdhsa_user_sgpr_dispatch_ptr 0
		.amdhsa_user_sgpr_queue_ptr 0
		.amdhsa_user_sgpr_kernarg_segment_ptr 1
		.amdhsa_user_sgpr_dispatch_id 0
		.amdhsa_user_sgpr_private_segment_size 0
		.amdhsa_wavefront_size32 1
		.amdhsa_uses_dynamic_stack 0
		.amdhsa_enable_private_segment 0
		.amdhsa_system_sgpr_workgroup_id_x 1
		.amdhsa_system_sgpr_workgroup_id_y 0
		.amdhsa_system_sgpr_workgroup_id_z 0
		.amdhsa_system_sgpr_workgroup_info 0
		.amdhsa_system_vgpr_workitem_id 0
		.amdhsa_next_free_vgpr 1
		.amdhsa_next_free_sgpr 1
		.amdhsa_reserve_vcc 0
		.amdhsa_float_round_mode_32 0
		.amdhsa_float_round_mode_16_64 0
		.amdhsa_float_denorm_mode_32 3
		.amdhsa_float_denorm_mode_16_64 3
		.amdhsa_fp16_overflow 0
		.amdhsa_workgroup_processor_mode 1
		.amdhsa_memory_ordered 1
		.amdhsa_forward_progress 1
		.amdhsa_inst_pref_size 0
		.amdhsa_round_robin_scheduling 0
		.amdhsa_exception_fp_ieee_invalid_op 0
		.amdhsa_exception_fp_denorm_src 0
		.amdhsa_exception_fp_ieee_div_zero 0
		.amdhsa_exception_fp_ieee_overflow 0
		.amdhsa_exception_fp_ieee_underflow 0
		.amdhsa_exception_fp_ieee_inexact 0
		.amdhsa_exception_int_div_zero 0
	.end_amdhsa_kernel
	.section	.text._ZN7rocprim17ROCPRIM_400000_NS6detail17trampoline_kernelINS0_14default_configENS1_22reduce_config_selectorIbEEZNS1_11reduce_implILb1ES3_N6hipcub16HIPCUB_304000_NS22TransformInputIteratorIbN2at6native12_GLOBAL__N_19NonZeroOpIN3c107complexINSE_4HalfEEEEEPKSH_lEEPiiNS8_6detail34convert_binary_result_type_wrapperINS8_3SumESL_iEEEE10hipError_tPvRmT1_T2_T3_mT4_P12ihipStream_tbEUlT_E1_NS1_11comp_targetILNS1_3genE3ELNS1_11target_archE908ELNS1_3gpuE7ELNS1_3repE0EEENS1_30default_config_static_selectorELNS0_4arch9wavefront6targetE0EEEvSU_,"axG",@progbits,_ZN7rocprim17ROCPRIM_400000_NS6detail17trampoline_kernelINS0_14default_configENS1_22reduce_config_selectorIbEEZNS1_11reduce_implILb1ES3_N6hipcub16HIPCUB_304000_NS22TransformInputIteratorIbN2at6native12_GLOBAL__N_19NonZeroOpIN3c107complexINSE_4HalfEEEEEPKSH_lEEPiiNS8_6detail34convert_binary_result_type_wrapperINS8_3SumESL_iEEEE10hipError_tPvRmT1_T2_T3_mT4_P12ihipStream_tbEUlT_E1_NS1_11comp_targetILNS1_3genE3ELNS1_11target_archE908ELNS1_3gpuE7ELNS1_3repE0EEENS1_30default_config_static_selectorELNS0_4arch9wavefront6targetE0EEEvSU_,comdat
.Lfunc_end656:
	.size	_ZN7rocprim17ROCPRIM_400000_NS6detail17trampoline_kernelINS0_14default_configENS1_22reduce_config_selectorIbEEZNS1_11reduce_implILb1ES3_N6hipcub16HIPCUB_304000_NS22TransformInputIteratorIbN2at6native12_GLOBAL__N_19NonZeroOpIN3c107complexINSE_4HalfEEEEEPKSH_lEEPiiNS8_6detail34convert_binary_result_type_wrapperINS8_3SumESL_iEEEE10hipError_tPvRmT1_T2_T3_mT4_P12ihipStream_tbEUlT_E1_NS1_11comp_targetILNS1_3genE3ELNS1_11target_archE908ELNS1_3gpuE7ELNS1_3repE0EEENS1_30default_config_static_selectorELNS0_4arch9wavefront6targetE0EEEvSU_, .Lfunc_end656-_ZN7rocprim17ROCPRIM_400000_NS6detail17trampoline_kernelINS0_14default_configENS1_22reduce_config_selectorIbEEZNS1_11reduce_implILb1ES3_N6hipcub16HIPCUB_304000_NS22TransformInputIteratorIbN2at6native12_GLOBAL__N_19NonZeroOpIN3c107complexINSE_4HalfEEEEEPKSH_lEEPiiNS8_6detail34convert_binary_result_type_wrapperINS8_3SumESL_iEEEE10hipError_tPvRmT1_T2_T3_mT4_P12ihipStream_tbEUlT_E1_NS1_11comp_targetILNS1_3genE3ELNS1_11target_archE908ELNS1_3gpuE7ELNS1_3repE0EEENS1_30default_config_static_selectorELNS0_4arch9wavefront6targetE0EEEvSU_
                                        ; -- End function
	.set _ZN7rocprim17ROCPRIM_400000_NS6detail17trampoline_kernelINS0_14default_configENS1_22reduce_config_selectorIbEEZNS1_11reduce_implILb1ES3_N6hipcub16HIPCUB_304000_NS22TransformInputIteratorIbN2at6native12_GLOBAL__N_19NonZeroOpIN3c107complexINSE_4HalfEEEEEPKSH_lEEPiiNS8_6detail34convert_binary_result_type_wrapperINS8_3SumESL_iEEEE10hipError_tPvRmT1_T2_T3_mT4_P12ihipStream_tbEUlT_E1_NS1_11comp_targetILNS1_3genE3ELNS1_11target_archE908ELNS1_3gpuE7ELNS1_3repE0EEENS1_30default_config_static_selectorELNS0_4arch9wavefront6targetE0EEEvSU_.num_vgpr, 0
	.set _ZN7rocprim17ROCPRIM_400000_NS6detail17trampoline_kernelINS0_14default_configENS1_22reduce_config_selectorIbEEZNS1_11reduce_implILb1ES3_N6hipcub16HIPCUB_304000_NS22TransformInputIteratorIbN2at6native12_GLOBAL__N_19NonZeroOpIN3c107complexINSE_4HalfEEEEEPKSH_lEEPiiNS8_6detail34convert_binary_result_type_wrapperINS8_3SumESL_iEEEE10hipError_tPvRmT1_T2_T3_mT4_P12ihipStream_tbEUlT_E1_NS1_11comp_targetILNS1_3genE3ELNS1_11target_archE908ELNS1_3gpuE7ELNS1_3repE0EEENS1_30default_config_static_selectorELNS0_4arch9wavefront6targetE0EEEvSU_.num_agpr, 0
	.set _ZN7rocprim17ROCPRIM_400000_NS6detail17trampoline_kernelINS0_14default_configENS1_22reduce_config_selectorIbEEZNS1_11reduce_implILb1ES3_N6hipcub16HIPCUB_304000_NS22TransformInputIteratorIbN2at6native12_GLOBAL__N_19NonZeroOpIN3c107complexINSE_4HalfEEEEEPKSH_lEEPiiNS8_6detail34convert_binary_result_type_wrapperINS8_3SumESL_iEEEE10hipError_tPvRmT1_T2_T3_mT4_P12ihipStream_tbEUlT_E1_NS1_11comp_targetILNS1_3genE3ELNS1_11target_archE908ELNS1_3gpuE7ELNS1_3repE0EEENS1_30default_config_static_selectorELNS0_4arch9wavefront6targetE0EEEvSU_.numbered_sgpr, 0
	.set _ZN7rocprim17ROCPRIM_400000_NS6detail17trampoline_kernelINS0_14default_configENS1_22reduce_config_selectorIbEEZNS1_11reduce_implILb1ES3_N6hipcub16HIPCUB_304000_NS22TransformInputIteratorIbN2at6native12_GLOBAL__N_19NonZeroOpIN3c107complexINSE_4HalfEEEEEPKSH_lEEPiiNS8_6detail34convert_binary_result_type_wrapperINS8_3SumESL_iEEEE10hipError_tPvRmT1_T2_T3_mT4_P12ihipStream_tbEUlT_E1_NS1_11comp_targetILNS1_3genE3ELNS1_11target_archE908ELNS1_3gpuE7ELNS1_3repE0EEENS1_30default_config_static_selectorELNS0_4arch9wavefront6targetE0EEEvSU_.num_named_barrier, 0
	.set _ZN7rocprim17ROCPRIM_400000_NS6detail17trampoline_kernelINS0_14default_configENS1_22reduce_config_selectorIbEEZNS1_11reduce_implILb1ES3_N6hipcub16HIPCUB_304000_NS22TransformInputIteratorIbN2at6native12_GLOBAL__N_19NonZeroOpIN3c107complexINSE_4HalfEEEEEPKSH_lEEPiiNS8_6detail34convert_binary_result_type_wrapperINS8_3SumESL_iEEEE10hipError_tPvRmT1_T2_T3_mT4_P12ihipStream_tbEUlT_E1_NS1_11comp_targetILNS1_3genE3ELNS1_11target_archE908ELNS1_3gpuE7ELNS1_3repE0EEENS1_30default_config_static_selectorELNS0_4arch9wavefront6targetE0EEEvSU_.private_seg_size, 0
	.set _ZN7rocprim17ROCPRIM_400000_NS6detail17trampoline_kernelINS0_14default_configENS1_22reduce_config_selectorIbEEZNS1_11reduce_implILb1ES3_N6hipcub16HIPCUB_304000_NS22TransformInputIteratorIbN2at6native12_GLOBAL__N_19NonZeroOpIN3c107complexINSE_4HalfEEEEEPKSH_lEEPiiNS8_6detail34convert_binary_result_type_wrapperINS8_3SumESL_iEEEE10hipError_tPvRmT1_T2_T3_mT4_P12ihipStream_tbEUlT_E1_NS1_11comp_targetILNS1_3genE3ELNS1_11target_archE908ELNS1_3gpuE7ELNS1_3repE0EEENS1_30default_config_static_selectorELNS0_4arch9wavefront6targetE0EEEvSU_.uses_vcc, 0
	.set _ZN7rocprim17ROCPRIM_400000_NS6detail17trampoline_kernelINS0_14default_configENS1_22reduce_config_selectorIbEEZNS1_11reduce_implILb1ES3_N6hipcub16HIPCUB_304000_NS22TransformInputIteratorIbN2at6native12_GLOBAL__N_19NonZeroOpIN3c107complexINSE_4HalfEEEEEPKSH_lEEPiiNS8_6detail34convert_binary_result_type_wrapperINS8_3SumESL_iEEEE10hipError_tPvRmT1_T2_T3_mT4_P12ihipStream_tbEUlT_E1_NS1_11comp_targetILNS1_3genE3ELNS1_11target_archE908ELNS1_3gpuE7ELNS1_3repE0EEENS1_30default_config_static_selectorELNS0_4arch9wavefront6targetE0EEEvSU_.uses_flat_scratch, 0
	.set _ZN7rocprim17ROCPRIM_400000_NS6detail17trampoline_kernelINS0_14default_configENS1_22reduce_config_selectorIbEEZNS1_11reduce_implILb1ES3_N6hipcub16HIPCUB_304000_NS22TransformInputIteratorIbN2at6native12_GLOBAL__N_19NonZeroOpIN3c107complexINSE_4HalfEEEEEPKSH_lEEPiiNS8_6detail34convert_binary_result_type_wrapperINS8_3SumESL_iEEEE10hipError_tPvRmT1_T2_T3_mT4_P12ihipStream_tbEUlT_E1_NS1_11comp_targetILNS1_3genE3ELNS1_11target_archE908ELNS1_3gpuE7ELNS1_3repE0EEENS1_30default_config_static_selectorELNS0_4arch9wavefront6targetE0EEEvSU_.has_dyn_sized_stack, 0
	.set _ZN7rocprim17ROCPRIM_400000_NS6detail17trampoline_kernelINS0_14default_configENS1_22reduce_config_selectorIbEEZNS1_11reduce_implILb1ES3_N6hipcub16HIPCUB_304000_NS22TransformInputIteratorIbN2at6native12_GLOBAL__N_19NonZeroOpIN3c107complexINSE_4HalfEEEEEPKSH_lEEPiiNS8_6detail34convert_binary_result_type_wrapperINS8_3SumESL_iEEEE10hipError_tPvRmT1_T2_T3_mT4_P12ihipStream_tbEUlT_E1_NS1_11comp_targetILNS1_3genE3ELNS1_11target_archE908ELNS1_3gpuE7ELNS1_3repE0EEENS1_30default_config_static_selectorELNS0_4arch9wavefront6targetE0EEEvSU_.has_recursion, 0
	.set _ZN7rocprim17ROCPRIM_400000_NS6detail17trampoline_kernelINS0_14default_configENS1_22reduce_config_selectorIbEEZNS1_11reduce_implILb1ES3_N6hipcub16HIPCUB_304000_NS22TransformInputIteratorIbN2at6native12_GLOBAL__N_19NonZeroOpIN3c107complexINSE_4HalfEEEEEPKSH_lEEPiiNS8_6detail34convert_binary_result_type_wrapperINS8_3SumESL_iEEEE10hipError_tPvRmT1_T2_T3_mT4_P12ihipStream_tbEUlT_E1_NS1_11comp_targetILNS1_3genE3ELNS1_11target_archE908ELNS1_3gpuE7ELNS1_3repE0EEENS1_30default_config_static_selectorELNS0_4arch9wavefront6targetE0EEEvSU_.has_indirect_call, 0
	.section	.AMDGPU.csdata,"",@progbits
; Kernel info:
; codeLenInByte = 0
; TotalNumSgprs: 0
; NumVgprs: 0
; ScratchSize: 0
; MemoryBound: 0
; FloatMode: 240
; IeeeMode: 1
; LDSByteSize: 0 bytes/workgroup (compile time only)
; SGPRBlocks: 0
; VGPRBlocks: 0
; NumSGPRsForWavesPerEU: 1
; NumVGPRsForWavesPerEU: 1
; Occupancy: 16
; WaveLimiterHint : 0
; COMPUTE_PGM_RSRC2:SCRATCH_EN: 0
; COMPUTE_PGM_RSRC2:USER_SGPR: 2
; COMPUTE_PGM_RSRC2:TRAP_HANDLER: 0
; COMPUTE_PGM_RSRC2:TGID_X_EN: 1
; COMPUTE_PGM_RSRC2:TGID_Y_EN: 0
; COMPUTE_PGM_RSRC2:TGID_Z_EN: 0
; COMPUTE_PGM_RSRC2:TIDIG_COMP_CNT: 0
	.section	.text._ZN7rocprim17ROCPRIM_400000_NS6detail17trampoline_kernelINS0_14default_configENS1_22reduce_config_selectorIbEEZNS1_11reduce_implILb1ES3_N6hipcub16HIPCUB_304000_NS22TransformInputIteratorIbN2at6native12_GLOBAL__N_19NonZeroOpIN3c107complexINSE_4HalfEEEEEPKSH_lEEPiiNS8_6detail34convert_binary_result_type_wrapperINS8_3SumESL_iEEEE10hipError_tPvRmT1_T2_T3_mT4_P12ihipStream_tbEUlT_E1_NS1_11comp_targetILNS1_3genE2ELNS1_11target_archE906ELNS1_3gpuE6ELNS1_3repE0EEENS1_30default_config_static_selectorELNS0_4arch9wavefront6targetE0EEEvSU_,"axG",@progbits,_ZN7rocprim17ROCPRIM_400000_NS6detail17trampoline_kernelINS0_14default_configENS1_22reduce_config_selectorIbEEZNS1_11reduce_implILb1ES3_N6hipcub16HIPCUB_304000_NS22TransformInputIteratorIbN2at6native12_GLOBAL__N_19NonZeroOpIN3c107complexINSE_4HalfEEEEEPKSH_lEEPiiNS8_6detail34convert_binary_result_type_wrapperINS8_3SumESL_iEEEE10hipError_tPvRmT1_T2_T3_mT4_P12ihipStream_tbEUlT_E1_NS1_11comp_targetILNS1_3genE2ELNS1_11target_archE906ELNS1_3gpuE6ELNS1_3repE0EEENS1_30default_config_static_selectorELNS0_4arch9wavefront6targetE0EEEvSU_,comdat
	.globl	_ZN7rocprim17ROCPRIM_400000_NS6detail17trampoline_kernelINS0_14default_configENS1_22reduce_config_selectorIbEEZNS1_11reduce_implILb1ES3_N6hipcub16HIPCUB_304000_NS22TransformInputIteratorIbN2at6native12_GLOBAL__N_19NonZeroOpIN3c107complexINSE_4HalfEEEEEPKSH_lEEPiiNS8_6detail34convert_binary_result_type_wrapperINS8_3SumESL_iEEEE10hipError_tPvRmT1_T2_T3_mT4_P12ihipStream_tbEUlT_E1_NS1_11comp_targetILNS1_3genE2ELNS1_11target_archE906ELNS1_3gpuE6ELNS1_3repE0EEENS1_30default_config_static_selectorELNS0_4arch9wavefront6targetE0EEEvSU_ ; -- Begin function _ZN7rocprim17ROCPRIM_400000_NS6detail17trampoline_kernelINS0_14default_configENS1_22reduce_config_selectorIbEEZNS1_11reduce_implILb1ES3_N6hipcub16HIPCUB_304000_NS22TransformInputIteratorIbN2at6native12_GLOBAL__N_19NonZeroOpIN3c107complexINSE_4HalfEEEEEPKSH_lEEPiiNS8_6detail34convert_binary_result_type_wrapperINS8_3SumESL_iEEEE10hipError_tPvRmT1_T2_T3_mT4_P12ihipStream_tbEUlT_E1_NS1_11comp_targetILNS1_3genE2ELNS1_11target_archE906ELNS1_3gpuE6ELNS1_3repE0EEENS1_30default_config_static_selectorELNS0_4arch9wavefront6targetE0EEEvSU_
	.p2align	8
	.type	_ZN7rocprim17ROCPRIM_400000_NS6detail17trampoline_kernelINS0_14default_configENS1_22reduce_config_selectorIbEEZNS1_11reduce_implILb1ES3_N6hipcub16HIPCUB_304000_NS22TransformInputIteratorIbN2at6native12_GLOBAL__N_19NonZeroOpIN3c107complexINSE_4HalfEEEEEPKSH_lEEPiiNS8_6detail34convert_binary_result_type_wrapperINS8_3SumESL_iEEEE10hipError_tPvRmT1_T2_T3_mT4_P12ihipStream_tbEUlT_E1_NS1_11comp_targetILNS1_3genE2ELNS1_11target_archE906ELNS1_3gpuE6ELNS1_3repE0EEENS1_30default_config_static_selectorELNS0_4arch9wavefront6targetE0EEEvSU_,@function
_ZN7rocprim17ROCPRIM_400000_NS6detail17trampoline_kernelINS0_14default_configENS1_22reduce_config_selectorIbEEZNS1_11reduce_implILb1ES3_N6hipcub16HIPCUB_304000_NS22TransformInputIteratorIbN2at6native12_GLOBAL__N_19NonZeroOpIN3c107complexINSE_4HalfEEEEEPKSH_lEEPiiNS8_6detail34convert_binary_result_type_wrapperINS8_3SumESL_iEEEE10hipError_tPvRmT1_T2_T3_mT4_P12ihipStream_tbEUlT_E1_NS1_11comp_targetILNS1_3genE2ELNS1_11target_archE906ELNS1_3gpuE6ELNS1_3repE0EEENS1_30default_config_static_selectorELNS0_4arch9wavefront6targetE0EEEvSU_: ; @_ZN7rocprim17ROCPRIM_400000_NS6detail17trampoline_kernelINS0_14default_configENS1_22reduce_config_selectorIbEEZNS1_11reduce_implILb1ES3_N6hipcub16HIPCUB_304000_NS22TransformInputIteratorIbN2at6native12_GLOBAL__N_19NonZeroOpIN3c107complexINSE_4HalfEEEEEPKSH_lEEPiiNS8_6detail34convert_binary_result_type_wrapperINS8_3SumESL_iEEEE10hipError_tPvRmT1_T2_T3_mT4_P12ihipStream_tbEUlT_E1_NS1_11comp_targetILNS1_3genE2ELNS1_11target_archE906ELNS1_3gpuE6ELNS1_3repE0EEENS1_30default_config_static_selectorELNS0_4arch9wavefront6targetE0EEEvSU_
; %bb.0:
	.section	.rodata,"a",@progbits
	.p2align	6, 0x0
	.amdhsa_kernel _ZN7rocprim17ROCPRIM_400000_NS6detail17trampoline_kernelINS0_14default_configENS1_22reduce_config_selectorIbEEZNS1_11reduce_implILb1ES3_N6hipcub16HIPCUB_304000_NS22TransformInputIteratorIbN2at6native12_GLOBAL__N_19NonZeroOpIN3c107complexINSE_4HalfEEEEEPKSH_lEEPiiNS8_6detail34convert_binary_result_type_wrapperINS8_3SumESL_iEEEE10hipError_tPvRmT1_T2_T3_mT4_P12ihipStream_tbEUlT_E1_NS1_11comp_targetILNS1_3genE2ELNS1_11target_archE906ELNS1_3gpuE6ELNS1_3repE0EEENS1_30default_config_static_selectorELNS0_4arch9wavefront6targetE0EEEvSU_
		.amdhsa_group_segment_fixed_size 0
		.amdhsa_private_segment_fixed_size 0
		.amdhsa_kernarg_size 48
		.amdhsa_user_sgpr_count 2
		.amdhsa_user_sgpr_dispatch_ptr 0
		.amdhsa_user_sgpr_queue_ptr 0
		.amdhsa_user_sgpr_kernarg_segment_ptr 1
		.amdhsa_user_sgpr_dispatch_id 0
		.amdhsa_user_sgpr_private_segment_size 0
		.amdhsa_wavefront_size32 1
		.amdhsa_uses_dynamic_stack 0
		.amdhsa_enable_private_segment 0
		.amdhsa_system_sgpr_workgroup_id_x 1
		.amdhsa_system_sgpr_workgroup_id_y 0
		.amdhsa_system_sgpr_workgroup_id_z 0
		.amdhsa_system_sgpr_workgroup_info 0
		.amdhsa_system_vgpr_workitem_id 0
		.amdhsa_next_free_vgpr 1
		.amdhsa_next_free_sgpr 1
		.amdhsa_reserve_vcc 0
		.amdhsa_float_round_mode_32 0
		.amdhsa_float_round_mode_16_64 0
		.amdhsa_float_denorm_mode_32 3
		.amdhsa_float_denorm_mode_16_64 3
		.amdhsa_fp16_overflow 0
		.amdhsa_workgroup_processor_mode 1
		.amdhsa_memory_ordered 1
		.amdhsa_forward_progress 1
		.amdhsa_inst_pref_size 0
		.amdhsa_round_robin_scheduling 0
		.amdhsa_exception_fp_ieee_invalid_op 0
		.amdhsa_exception_fp_denorm_src 0
		.amdhsa_exception_fp_ieee_div_zero 0
		.amdhsa_exception_fp_ieee_overflow 0
		.amdhsa_exception_fp_ieee_underflow 0
		.amdhsa_exception_fp_ieee_inexact 0
		.amdhsa_exception_int_div_zero 0
	.end_amdhsa_kernel
	.section	.text._ZN7rocprim17ROCPRIM_400000_NS6detail17trampoline_kernelINS0_14default_configENS1_22reduce_config_selectorIbEEZNS1_11reduce_implILb1ES3_N6hipcub16HIPCUB_304000_NS22TransformInputIteratorIbN2at6native12_GLOBAL__N_19NonZeroOpIN3c107complexINSE_4HalfEEEEEPKSH_lEEPiiNS8_6detail34convert_binary_result_type_wrapperINS8_3SumESL_iEEEE10hipError_tPvRmT1_T2_T3_mT4_P12ihipStream_tbEUlT_E1_NS1_11comp_targetILNS1_3genE2ELNS1_11target_archE906ELNS1_3gpuE6ELNS1_3repE0EEENS1_30default_config_static_selectorELNS0_4arch9wavefront6targetE0EEEvSU_,"axG",@progbits,_ZN7rocprim17ROCPRIM_400000_NS6detail17trampoline_kernelINS0_14default_configENS1_22reduce_config_selectorIbEEZNS1_11reduce_implILb1ES3_N6hipcub16HIPCUB_304000_NS22TransformInputIteratorIbN2at6native12_GLOBAL__N_19NonZeroOpIN3c107complexINSE_4HalfEEEEEPKSH_lEEPiiNS8_6detail34convert_binary_result_type_wrapperINS8_3SumESL_iEEEE10hipError_tPvRmT1_T2_T3_mT4_P12ihipStream_tbEUlT_E1_NS1_11comp_targetILNS1_3genE2ELNS1_11target_archE906ELNS1_3gpuE6ELNS1_3repE0EEENS1_30default_config_static_selectorELNS0_4arch9wavefront6targetE0EEEvSU_,comdat
.Lfunc_end657:
	.size	_ZN7rocprim17ROCPRIM_400000_NS6detail17trampoline_kernelINS0_14default_configENS1_22reduce_config_selectorIbEEZNS1_11reduce_implILb1ES3_N6hipcub16HIPCUB_304000_NS22TransformInputIteratorIbN2at6native12_GLOBAL__N_19NonZeroOpIN3c107complexINSE_4HalfEEEEEPKSH_lEEPiiNS8_6detail34convert_binary_result_type_wrapperINS8_3SumESL_iEEEE10hipError_tPvRmT1_T2_T3_mT4_P12ihipStream_tbEUlT_E1_NS1_11comp_targetILNS1_3genE2ELNS1_11target_archE906ELNS1_3gpuE6ELNS1_3repE0EEENS1_30default_config_static_selectorELNS0_4arch9wavefront6targetE0EEEvSU_, .Lfunc_end657-_ZN7rocprim17ROCPRIM_400000_NS6detail17trampoline_kernelINS0_14default_configENS1_22reduce_config_selectorIbEEZNS1_11reduce_implILb1ES3_N6hipcub16HIPCUB_304000_NS22TransformInputIteratorIbN2at6native12_GLOBAL__N_19NonZeroOpIN3c107complexINSE_4HalfEEEEEPKSH_lEEPiiNS8_6detail34convert_binary_result_type_wrapperINS8_3SumESL_iEEEE10hipError_tPvRmT1_T2_T3_mT4_P12ihipStream_tbEUlT_E1_NS1_11comp_targetILNS1_3genE2ELNS1_11target_archE906ELNS1_3gpuE6ELNS1_3repE0EEENS1_30default_config_static_selectorELNS0_4arch9wavefront6targetE0EEEvSU_
                                        ; -- End function
	.set _ZN7rocprim17ROCPRIM_400000_NS6detail17trampoline_kernelINS0_14default_configENS1_22reduce_config_selectorIbEEZNS1_11reduce_implILb1ES3_N6hipcub16HIPCUB_304000_NS22TransformInputIteratorIbN2at6native12_GLOBAL__N_19NonZeroOpIN3c107complexINSE_4HalfEEEEEPKSH_lEEPiiNS8_6detail34convert_binary_result_type_wrapperINS8_3SumESL_iEEEE10hipError_tPvRmT1_T2_T3_mT4_P12ihipStream_tbEUlT_E1_NS1_11comp_targetILNS1_3genE2ELNS1_11target_archE906ELNS1_3gpuE6ELNS1_3repE0EEENS1_30default_config_static_selectorELNS0_4arch9wavefront6targetE0EEEvSU_.num_vgpr, 0
	.set _ZN7rocprim17ROCPRIM_400000_NS6detail17trampoline_kernelINS0_14default_configENS1_22reduce_config_selectorIbEEZNS1_11reduce_implILb1ES3_N6hipcub16HIPCUB_304000_NS22TransformInputIteratorIbN2at6native12_GLOBAL__N_19NonZeroOpIN3c107complexINSE_4HalfEEEEEPKSH_lEEPiiNS8_6detail34convert_binary_result_type_wrapperINS8_3SumESL_iEEEE10hipError_tPvRmT1_T2_T3_mT4_P12ihipStream_tbEUlT_E1_NS1_11comp_targetILNS1_3genE2ELNS1_11target_archE906ELNS1_3gpuE6ELNS1_3repE0EEENS1_30default_config_static_selectorELNS0_4arch9wavefront6targetE0EEEvSU_.num_agpr, 0
	.set _ZN7rocprim17ROCPRIM_400000_NS6detail17trampoline_kernelINS0_14default_configENS1_22reduce_config_selectorIbEEZNS1_11reduce_implILb1ES3_N6hipcub16HIPCUB_304000_NS22TransformInputIteratorIbN2at6native12_GLOBAL__N_19NonZeroOpIN3c107complexINSE_4HalfEEEEEPKSH_lEEPiiNS8_6detail34convert_binary_result_type_wrapperINS8_3SumESL_iEEEE10hipError_tPvRmT1_T2_T3_mT4_P12ihipStream_tbEUlT_E1_NS1_11comp_targetILNS1_3genE2ELNS1_11target_archE906ELNS1_3gpuE6ELNS1_3repE0EEENS1_30default_config_static_selectorELNS0_4arch9wavefront6targetE0EEEvSU_.numbered_sgpr, 0
	.set _ZN7rocprim17ROCPRIM_400000_NS6detail17trampoline_kernelINS0_14default_configENS1_22reduce_config_selectorIbEEZNS1_11reduce_implILb1ES3_N6hipcub16HIPCUB_304000_NS22TransformInputIteratorIbN2at6native12_GLOBAL__N_19NonZeroOpIN3c107complexINSE_4HalfEEEEEPKSH_lEEPiiNS8_6detail34convert_binary_result_type_wrapperINS8_3SumESL_iEEEE10hipError_tPvRmT1_T2_T3_mT4_P12ihipStream_tbEUlT_E1_NS1_11comp_targetILNS1_3genE2ELNS1_11target_archE906ELNS1_3gpuE6ELNS1_3repE0EEENS1_30default_config_static_selectorELNS0_4arch9wavefront6targetE0EEEvSU_.num_named_barrier, 0
	.set _ZN7rocprim17ROCPRIM_400000_NS6detail17trampoline_kernelINS0_14default_configENS1_22reduce_config_selectorIbEEZNS1_11reduce_implILb1ES3_N6hipcub16HIPCUB_304000_NS22TransformInputIteratorIbN2at6native12_GLOBAL__N_19NonZeroOpIN3c107complexINSE_4HalfEEEEEPKSH_lEEPiiNS8_6detail34convert_binary_result_type_wrapperINS8_3SumESL_iEEEE10hipError_tPvRmT1_T2_T3_mT4_P12ihipStream_tbEUlT_E1_NS1_11comp_targetILNS1_3genE2ELNS1_11target_archE906ELNS1_3gpuE6ELNS1_3repE0EEENS1_30default_config_static_selectorELNS0_4arch9wavefront6targetE0EEEvSU_.private_seg_size, 0
	.set _ZN7rocprim17ROCPRIM_400000_NS6detail17trampoline_kernelINS0_14default_configENS1_22reduce_config_selectorIbEEZNS1_11reduce_implILb1ES3_N6hipcub16HIPCUB_304000_NS22TransformInputIteratorIbN2at6native12_GLOBAL__N_19NonZeroOpIN3c107complexINSE_4HalfEEEEEPKSH_lEEPiiNS8_6detail34convert_binary_result_type_wrapperINS8_3SumESL_iEEEE10hipError_tPvRmT1_T2_T3_mT4_P12ihipStream_tbEUlT_E1_NS1_11comp_targetILNS1_3genE2ELNS1_11target_archE906ELNS1_3gpuE6ELNS1_3repE0EEENS1_30default_config_static_selectorELNS0_4arch9wavefront6targetE0EEEvSU_.uses_vcc, 0
	.set _ZN7rocprim17ROCPRIM_400000_NS6detail17trampoline_kernelINS0_14default_configENS1_22reduce_config_selectorIbEEZNS1_11reduce_implILb1ES3_N6hipcub16HIPCUB_304000_NS22TransformInputIteratorIbN2at6native12_GLOBAL__N_19NonZeroOpIN3c107complexINSE_4HalfEEEEEPKSH_lEEPiiNS8_6detail34convert_binary_result_type_wrapperINS8_3SumESL_iEEEE10hipError_tPvRmT1_T2_T3_mT4_P12ihipStream_tbEUlT_E1_NS1_11comp_targetILNS1_3genE2ELNS1_11target_archE906ELNS1_3gpuE6ELNS1_3repE0EEENS1_30default_config_static_selectorELNS0_4arch9wavefront6targetE0EEEvSU_.uses_flat_scratch, 0
	.set _ZN7rocprim17ROCPRIM_400000_NS6detail17trampoline_kernelINS0_14default_configENS1_22reduce_config_selectorIbEEZNS1_11reduce_implILb1ES3_N6hipcub16HIPCUB_304000_NS22TransformInputIteratorIbN2at6native12_GLOBAL__N_19NonZeroOpIN3c107complexINSE_4HalfEEEEEPKSH_lEEPiiNS8_6detail34convert_binary_result_type_wrapperINS8_3SumESL_iEEEE10hipError_tPvRmT1_T2_T3_mT4_P12ihipStream_tbEUlT_E1_NS1_11comp_targetILNS1_3genE2ELNS1_11target_archE906ELNS1_3gpuE6ELNS1_3repE0EEENS1_30default_config_static_selectorELNS0_4arch9wavefront6targetE0EEEvSU_.has_dyn_sized_stack, 0
	.set _ZN7rocprim17ROCPRIM_400000_NS6detail17trampoline_kernelINS0_14default_configENS1_22reduce_config_selectorIbEEZNS1_11reduce_implILb1ES3_N6hipcub16HIPCUB_304000_NS22TransformInputIteratorIbN2at6native12_GLOBAL__N_19NonZeroOpIN3c107complexINSE_4HalfEEEEEPKSH_lEEPiiNS8_6detail34convert_binary_result_type_wrapperINS8_3SumESL_iEEEE10hipError_tPvRmT1_T2_T3_mT4_P12ihipStream_tbEUlT_E1_NS1_11comp_targetILNS1_3genE2ELNS1_11target_archE906ELNS1_3gpuE6ELNS1_3repE0EEENS1_30default_config_static_selectorELNS0_4arch9wavefront6targetE0EEEvSU_.has_recursion, 0
	.set _ZN7rocprim17ROCPRIM_400000_NS6detail17trampoline_kernelINS0_14default_configENS1_22reduce_config_selectorIbEEZNS1_11reduce_implILb1ES3_N6hipcub16HIPCUB_304000_NS22TransformInputIteratorIbN2at6native12_GLOBAL__N_19NonZeroOpIN3c107complexINSE_4HalfEEEEEPKSH_lEEPiiNS8_6detail34convert_binary_result_type_wrapperINS8_3SumESL_iEEEE10hipError_tPvRmT1_T2_T3_mT4_P12ihipStream_tbEUlT_E1_NS1_11comp_targetILNS1_3genE2ELNS1_11target_archE906ELNS1_3gpuE6ELNS1_3repE0EEENS1_30default_config_static_selectorELNS0_4arch9wavefront6targetE0EEEvSU_.has_indirect_call, 0
	.section	.AMDGPU.csdata,"",@progbits
; Kernel info:
; codeLenInByte = 0
; TotalNumSgprs: 0
; NumVgprs: 0
; ScratchSize: 0
; MemoryBound: 0
; FloatMode: 240
; IeeeMode: 1
; LDSByteSize: 0 bytes/workgroup (compile time only)
; SGPRBlocks: 0
; VGPRBlocks: 0
; NumSGPRsForWavesPerEU: 1
; NumVGPRsForWavesPerEU: 1
; Occupancy: 16
; WaveLimiterHint : 0
; COMPUTE_PGM_RSRC2:SCRATCH_EN: 0
; COMPUTE_PGM_RSRC2:USER_SGPR: 2
; COMPUTE_PGM_RSRC2:TRAP_HANDLER: 0
; COMPUTE_PGM_RSRC2:TGID_X_EN: 1
; COMPUTE_PGM_RSRC2:TGID_Y_EN: 0
; COMPUTE_PGM_RSRC2:TGID_Z_EN: 0
; COMPUTE_PGM_RSRC2:TIDIG_COMP_CNT: 0
	.section	.text._ZN7rocprim17ROCPRIM_400000_NS6detail17trampoline_kernelINS0_14default_configENS1_22reduce_config_selectorIbEEZNS1_11reduce_implILb1ES3_N6hipcub16HIPCUB_304000_NS22TransformInputIteratorIbN2at6native12_GLOBAL__N_19NonZeroOpIN3c107complexINSE_4HalfEEEEEPKSH_lEEPiiNS8_6detail34convert_binary_result_type_wrapperINS8_3SumESL_iEEEE10hipError_tPvRmT1_T2_T3_mT4_P12ihipStream_tbEUlT_E1_NS1_11comp_targetILNS1_3genE10ELNS1_11target_archE1201ELNS1_3gpuE5ELNS1_3repE0EEENS1_30default_config_static_selectorELNS0_4arch9wavefront6targetE0EEEvSU_,"axG",@progbits,_ZN7rocprim17ROCPRIM_400000_NS6detail17trampoline_kernelINS0_14default_configENS1_22reduce_config_selectorIbEEZNS1_11reduce_implILb1ES3_N6hipcub16HIPCUB_304000_NS22TransformInputIteratorIbN2at6native12_GLOBAL__N_19NonZeroOpIN3c107complexINSE_4HalfEEEEEPKSH_lEEPiiNS8_6detail34convert_binary_result_type_wrapperINS8_3SumESL_iEEEE10hipError_tPvRmT1_T2_T3_mT4_P12ihipStream_tbEUlT_E1_NS1_11comp_targetILNS1_3genE10ELNS1_11target_archE1201ELNS1_3gpuE5ELNS1_3repE0EEENS1_30default_config_static_selectorELNS0_4arch9wavefront6targetE0EEEvSU_,comdat
	.globl	_ZN7rocprim17ROCPRIM_400000_NS6detail17trampoline_kernelINS0_14default_configENS1_22reduce_config_selectorIbEEZNS1_11reduce_implILb1ES3_N6hipcub16HIPCUB_304000_NS22TransformInputIteratorIbN2at6native12_GLOBAL__N_19NonZeroOpIN3c107complexINSE_4HalfEEEEEPKSH_lEEPiiNS8_6detail34convert_binary_result_type_wrapperINS8_3SumESL_iEEEE10hipError_tPvRmT1_T2_T3_mT4_P12ihipStream_tbEUlT_E1_NS1_11comp_targetILNS1_3genE10ELNS1_11target_archE1201ELNS1_3gpuE5ELNS1_3repE0EEENS1_30default_config_static_selectorELNS0_4arch9wavefront6targetE0EEEvSU_ ; -- Begin function _ZN7rocprim17ROCPRIM_400000_NS6detail17trampoline_kernelINS0_14default_configENS1_22reduce_config_selectorIbEEZNS1_11reduce_implILb1ES3_N6hipcub16HIPCUB_304000_NS22TransformInputIteratorIbN2at6native12_GLOBAL__N_19NonZeroOpIN3c107complexINSE_4HalfEEEEEPKSH_lEEPiiNS8_6detail34convert_binary_result_type_wrapperINS8_3SumESL_iEEEE10hipError_tPvRmT1_T2_T3_mT4_P12ihipStream_tbEUlT_E1_NS1_11comp_targetILNS1_3genE10ELNS1_11target_archE1201ELNS1_3gpuE5ELNS1_3repE0EEENS1_30default_config_static_selectorELNS0_4arch9wavefront6targetE0EEEvSU_
	.p2align	8
	.type	_ZN7rocprim17ROCPRIM_400000_NS6detail17trampoline_kernelINS0_14default_configENS1_22reduce_config_selectorIbEEZNS1_11reduce_implILb1ES3_N6hipcub16HIPCUB_304000_NS22TransformInputIteratorIbN2at6native12_GLOBAL__N_19NonZeroOpIN3c107complexINSE_4HalfEEEEEPKSH_lEEPiiNS8_6detail34convert_binary_result_type_wrapperINS8_3SumESL_iEEEE10hipError_tPvRmT1_T2_T3_mT4_P12ihipStream_tbEUlT_E1_NS1_11comp_targetILNS1_3genE10ELNS1_11target_archE1201ELNS1_3gpuE5ELNS1_3repE0EEENS1_30default_config_static_selectorELNS0_4arch9wavefront6targetE0EEEvSU_,@function
_ZN7rocprim17ROCPRIM_400000_NS6detail17trampoline_kernelINS0_14default_configENS1_22reduce_config_selectorIbEEZNS1_11reduce_implILb1ES3_N6hipcub16HIPCUB_304000_NS22TransformInputIteratorIbN2at6native12_GLOBAL__N_19NonZeroOpIN3c107complexINSE_4HalfEEEEEPKSH_lEEPiiNS8_6detail34convert_binary_result_type_wrapperINS8_3SumESL_iEEEE10hipError_tPvRmT1_T2_T3_mT4_P12ihipStream_tbEUlT_E1_NS1_11comp_targetILNS1_3genE10ELNS1_11target_archE1201ELNS1_3gpuE5ELNS1_3repE0EEENS1_30default_config_static_selectorELNS0_4arch9wavefront6targetE0EEEvSU_: ; @_ZN7rocprim17ROCPRIM_400000_NS6detail17trampoline_kernelINS0_14default_configENS1_22reduce_config_selectorIbEEZNS1_11reduce_implILb1ES3_N6hipcub16HIPCUB_304000_NS22TransformInputIteratorIbN2at6native12_GLOBAL__N_19NonZeroOpIN3c107complexINSE_4HalfEEEEEPKSH_lEEPiiNS8_6detail34convert_binary_result_type_wrapperINS8_3SumESL_iEEEE10hipError_tPvRmT1_T2_T3_mT4_P12ihipStream_tbEUlT_E1_NS1_11comp_targetILNS1_3genE10ELNS1_11target_archE1201ELNS1_3gpuE5ELNS1_3repE0EEENS1_30default_config_static_selectorELNS0_4arch9wavefront6targetE0EEEvSU_
; %bb.0:
	s_clause 0x2
	s_load_b32 s44, s[0:1], 0x4
	s_load_b64 s[40:41], s[0:1], 0x8
	s_load_b128 s[36:39], s[0:1], 0x18
	s_mov_b32 s34, ttmp9
	s_wait_kmcnt 0x0
	s_cmp_lt_i32 s44, 16
	s_cbranch_scc1 .LBB658_12
; %bb.1:
	s_cmp_gt_i32 s44, 63
	s_cbranch_scc0 .LBB658_13
; %bb.2:
	s_cmp_gt_i32 s44, 0x7f
	s_cbranch_scc0 .LBB658_22
; %bb.3:
	s_cmp_eq_u32 s44, 0x80
	s_mov_b32 s6, 0
	s_cbranch_scc0 .LBB658_23
; %bb.4:
	s_mov_b32 s35, 0
	s_lshl_b32 s4, s34, 15
	s_mov_b32 s5, s35
	s_lshr_b64 s[2:3], s[36:37], 15
	s_lshl_b64 s[8:9], s[4:5], 2
	s_cmp_lg_u64 s[2:3], s[34:35]
	s_add_nc_u64 s[2:3], s[40:41], s[8:9]
	s_cbranch_scc0 .LBB658_34
; %bb.5:
	v_lshlrev_b32_e32 v1, 2, v0
	s_mov_b32 s5, exec_lo
	s_clause 0x1f
	global_load_b32 v2, v1, s[2:3]
	global_load_b32 v3, v1, s[2:3] offset:1024
	global_load_b32 v4, v1, s[2:3] offset:2048
	global_load_b32 v5, v1, s[2:3] offset:3072
	global_load_b32 v6, v1, s[2:3] offset:4096
	global_load_b32 v7, v1, s[2:3] offset:5120
	global_load_b32 v8, v1, s[2:3] offset:6144
	global_load_b32 v9, v1, s[2:3] offset:7168
	global_load_b32 v10, v1, s[2:3] offset:8192
	global_load_b32 v11, v1, s[2:3] offset:9216
	global_load_b32 v12, v1, s[2:3] offset:10240
	global_load_b32 v13, v1, s[2:3] offset:11264
	global_load_b32 v14, v1, s[2:3] offset:12288
	global_load_b32 v16, v1, s[2:3] offset:13312
	global_load_b32 v17, v1, s[2:3] offset:14336
	global_load_b32 v20, v1, s[2:3] offset:15360
	global_load_b32 v23, v1, s[2:3] offset:16384
	global_load_b32 v25, v1, s[2:3] offset:17408
	global_load_b32 v27, v1, s[2:3] offset:18432
	global_load_b32 v30, v1, s[2:3] offset:19456
	global_load_b32 v32, v1, s[2:3] offset:20480
	global_load_b32 v34, v1, s[2:3] offset:21504
	global_load_b32 v37, v1, s[2:3] offset:22528
	global_load_b32 v40, v1, s[2:3] offset:23552
	global_load_b32 v43, v1, s[2:3] offset:24576
	global_load_b32 v44, v1, s[2:3] offset:25600
	global_load_b32 v49, v1, s[2:3] offset:26624
	global_load_b32 v55, v1, s[2:3] offset:27648
	global_load_b32 v57, v1, s[2:3] offset:28672
	global_load_b32 v62, v1, s[2:3] offset:29696
	global_load_b32 v67, v1, s[2:3] offset:30720
	global_load_b32 v73, v1, s[2:3] offset:31744
	s_clause 0x1f
	global_load_b32 v79, v1, s[2:3] offset:32768
	global_load_b32 v83, v1, s[2:3] offset:33792
	global_load_b32 v85, v1, s[2:3] offset:34816
	global_load_b32 v89, v1, s[2:3] offset:35840
	global_load_b32 v91, v1, s[2:3] offset:36864
	global_load_b32 v92, v1, s[2:3] offset:37888
	global_load_b32 v93, v1, s[2:3] offset:38912
	global_load_b32 v94, v1, s[2:3] offset:39936
	global_load_b32 v95, v1, s[2:3] offset:40960
	global_load_b32 v96, v1, s[2:3] offset:41984
	global_load_b32 v97, v1, s[2:3] offset:43008
	global_load_b32 v98, v1, s[2:3] offset:44032
	global_load_b32 v99, v1, s[2:3] offset:45056
	global_load_b32 v100, v1, s[2:3] offset:46080
	global_load_b32 v101, v1, s[2:3] offset:47104
	global_load_b32 v102, v1, s[2:3] offset:48128
	global_load_b32 v103, v1, s[2:3] offset:49152
	global_load_b32 v104, v1, s[2:3] offset:50176
	global_load_b32 v105, v1, s[2:3] offset:51200
	global_load_b32 v106, v1, s[2:3] offset:52224
	global_load_b32 v107, v1, s[2:3] offset:53248
	global_load_b32 v108, v1, s[2:3] offset:54272
	global_load_b32 v109, v1, s[2:3] offset:55296
	global_load_b32 v110, v1, s[2:3] offset:56320
	global_load_b32 v111, v1, s[2:3] offset:57344
	global_load_b32 v75, v1, s[2:3] offset:58368
	global_load_b32 v80, v1, s[2:3] offset:59392
	global_load_b32 v76, v1, s[2:3] offset:61440
	global_load_b32 v68, v1, s[2:3] offset:64512
	global_load_b32 v87, v1, s[2:3] offset:62464
	global_load_b32 v112, v1, s[2:3] offset:60416
	global_load_b32 v90, v1, s[2:3] offset:63488
	s_clause 0x1f
	global_load_b32 v77, v1, s[2:3] offset:65536
	;; [unrolled: 33-line block ×3, first 2 shown]
	global_load_b32 v35, v1, s[2:3] offset:99328
	global_load_b32 v39, v1, s[2:3] offset:100352
	;; [unrolled: 1-line block ×14, first 2 shown]
	s_wait_loadcnt 0x3e
	v_lshrrev_b32_e32 v113, 16, v2
	v_lshrrev_b32_e32 v114, 16, v3
	;; [unrolled: 1-line block ×5, first 2 shown]
	v_or_b32_e32 v2, v2, v113
	v_lshrrev_b32_e32 v119, 16, v8
	v_or_b32_e32 v4, v4, v115
	v_lshrrev_b32_e32 v121, 16, v10
	v_or_b32_e32 v6, v6, v117
	v_and_b32_e32 v2, 0x7fff, v2
	v_or_b32_e32 v8, v8, v119
	v_and_b32_e32 v4, 0x7fff, v4
	v_lshrrev_b32_e32 v123, 16, v12
	v_and_b32_e32 v6, 0x7fff, v6
	v_cmp_ne_u16_e32 vcc_lo, 0, v2
	v_or_b32_e32 v10, v10, v121
	v_and_b32_e32 v8, 0x7fff, v8
	v_lshrrev_b32_e32 v125, 16, v14
	v_or_b32_e32 v12, v12, v123
	v_cndmask_b32_e64 v2, 0, 1, vcc_lo
	v_cmp_ne_u16_e32 vcc_lo, 0, v4
	v_and_b32_e32 v10, 0x7fff, v10
	v_lshrrev_b32_e32 v127, 16, v17
	v_or_b32_e32 v14, v14, v125
	v_and_b32_e32 v12, 0x7fff, v12
	s_wait_alu 0xfffd
	v_cndmask_b32_e64 v4, 0, 1, vcc_lo
	v_cmp_ne_u16_e32 vcc_lo, 0, v6
	v_lshrrev_b32_e32 v129, 16, v23
	v_or_b32_e32 v17, v17, v127
	v_and_b32_e32 v14, 0x7fff, v14
	v_lshrrev_b32_e32 v131, 16, v27
	s_wait_alu 0xfffd
	v_cndmask_b32_e64 v6, 0, 1, vcc_lo
	v_cmp_ne_u16_e32 vcc_lo, 0, v8
	v_or_b32_e32 v23, v23, v129
	v_and_b32_e32 v17, 0x7fff, v17
	v_lshrrev_b32_e32 v133, 16, v32
	v_or_b32_e32 v27, v27, v131
	s_wait_alu 0xfffd
	v_cndmask_b32_e64 v8, 0, 1, vcc_lo
	v_cmp_ne_u16_e32 vcc_lo, 0, v10
	v_and_b32_e32 v23, 0x7fff, v23
	v_lshrrev_b32_e32 v135, 16, v37
	v_or_b32_e32 v32, v32, v133
	v_and_b32_e32 v27, 0x7fff, v27
	s_wait_alu 0xfffd
	v_cndmask_b32_e64 v10, 0, 1, vcc_lo
	v_cmp_ne_u16_e32 vcc_lo, 0, v12
	v_lshrrev_b32_e32 v137, 16, v43
	v_or_b32_e32 v37, v37, v135
	v_and_b32_e32 v32, 0x7fff, v32
	v_lshrrev_b32_e32 v139, 16, v49
	s_wait_alu 0xfffd
	v_cndmask_b32_e64 v12, 0, 1, vcc_lo
	v_cmp_ne_u16_e32 vcc_lo, 0, v14
	v_or_b32_e32 v43, v43, v137
	v_and_b32_e32 v37, 0x7fff, v37
	v_or_b32_e32 v3, v3, v114
	v_lshrrev_b32_e32 v114, 16, v57
	s_wait_alu 0xfffd
	v_cndmask_b32_e64 v14, 0, 1, vcc_lo
	v_cmp_ne_u16_e32 vcc_lo, 0, v17
	v_or_b32_e32 v49, v49, v139
	v_and_b32_e32 v43, 0x7fff, v43
	v_lshrrev_b32_e32 v118, 16, v7
	v_or_b32_e32 v5, v5, v116
	s_wait_alu 0xfffd
	v_cndmask_b32_e64 v17, 0, 1, vcc_lo
	v_cmp_ne_u16_e32 vcc_lo, 0, v23
	v_lshrrev_b32_e32 v116, 16, v67
	v_or_b32_e32 v57, v57, v114
	v_and_b32_e32 v49, 0x7fff, v49
	v_lshrrev_b32_e32 v120, 16, v9
	s_wait_alu 0xfffd
	v_cndmask_b32_e64 v23, 0, 1, vcc_lo
	v_cmp_ne_u16_e32 vcc_lo, 0, v27
	v_or_b32_e32 v7, v7, v118
	v_lshrrev_b32_e32 v118, 16, v79
	v_or_b32_e32 v67, v67, v116
	v_and_b32_e32 v57, 0x7fff, v57
	s_wait_alu 0xfffd
	v_cndmask_b32_e64 v27, 0, 1, vcc_lo
	v_cmp_ne_u16_e32 vcc_lo, 0, v32
	v_lshrrev_b32_e32 v122, 16, v11
	v_or_b32_e32 v9, v9, v120
	v_lshrrev_b32_e32 v120, 16, v85
	v_or_b32_e32 v79, v79, v118
	s_wait_alu 0xfffd
	v_cndmask_b32_e64 v32, 0, 1, vcc_lo
	v_cmp_ne_u16_e32 vcc_lo, 0, v37
	v_and_b32_e32 v67, 0x7fff, v67
	v_lshrrev_b32_e32 v124, 16, v13
	v_or_b32_e32 v11, v11, v122
	v_lshrrev_b32_e32 v122, 16, v91
	s_wait_alu 0xfffd
	v_cndmask_b32_e64 v37, 0, 1, vcc_lo
	v_cmp_ne_u16_e32 vcc_lo, 0, v43
	v_or_b32_e32 v85, v85, v120
	v_and_b32_e32 v79, 0x7fff, v79
	v_lshrrev_b32_e32 v126, 16, v16
	v_or_b32_e32 v13, v13, v124
	s_wait_alu 0xfffd
	v_cndmask_b32_e64 v43, 0, 1, vcc_lo
	v_cmp_ne_u16_e32 vcc_lo, 0, v49
	v_lshrrev_b32_e32 v124, 16, v93
	v_or_b32_e32 v91, v91, v122
	v_and_b32_e32 v85, 0x7fff, v85
	v_lshrrev_b32_e32 v128, 16, v20
	s_wait_alu 0xfffd
	v_cndmask_b32_e64 v49, 0, 1, vcc_lo
	v_cmp_ne_u16_e32 vcc_lo, 0, v57
	v_or_b32_e32 v16, v16, v126
	v_lshrrev_b32_e32 v126, 16, v95
	v_or_b32_e32 v93, v93, v124
	v_and_b32_e32 v91, 0x7fff, v91
	s_wait_alu 0xfffd
	v_cndmask_b32_e64 v57, 0, 1, vcc_lo
	v_cmp_ne_u16_e32 vcc_lo, 0, v67
	v_lshrrev_b32_e32 v130, 16, v25
	v_or_b32_e32 v20, v20, v128
	v_lshrrev_b32_e32 v128, 16, v97
	v_or_b32_e32 v95, v95, v126
	s_wait_alu 0xfffd
	v_cndmask_b32_e64 v67, 0, 1, vcc_lo
	v_cmp_ne_u16_e32 vcc_lo, 0, v79
	v_and_b32_e32 v93, 0x7fff, v93
	v_lshrrev_b32_e32 v132, 16, v30
	v_or_b32_e32 v25, v25, v130
	v_lshrrev_b32_e32 v130, 16, v99
	s_wait_alu 0xfffd
	v_cndmask_b32_e64 v79, 0, 1, vcc_lo
	v_cmp_ne_u16_e32 vcc_lo, 0, v85
	v_or_b32_e32 v97, v97, v128
	v_and_b32_e32 v95, 0x7fff, v95
	v_lshrrev_b32_e32 v134, 16, v34
	v_or_b32_e32 v30, v30, v132
	s_wait_alu 0xfffd
	v_cndmask_b32_e64 v85, 0, 1, vcc_lo
	v_cmp_ne_u16_e32 vcc_lo, 0, v91
	v_lshrrev_b32_e32 v132, 16, v101
	v_or_b32_e32 v99, v99, v130
	v_and_b32_e32 v97, 0x7fff, v97
	v_lshrrev_b32_e32 v136, 16, v40
	s_wait_alu 0xfffd
	v_cndmask_b32_e64 v91, 0, 1, vcc_lo
	v_cmp_ne_u16_e32 vcc_lo, 0, v93
	v_or_b32_e32 v34, v34, v134
	v_lshrrev_b32_e32 v134, 16, v103
	v_or_b32_e32 v101, v101, v132
	v_and_b32_e32 v99, 0x7fff, v99
	s_wait_alu 0xfffd
	v_cndmask_b32_e64 v93, 0, 1, vcc_lo
	v_cmp_ne_u16_e32 vcc_lo, 0, v95
	v_lshrrev_b32_e32 v115, 16, v62
	v_lshrrev_b32_e32 v138, 16, v44
	v_or_b32_e32 v40, v40, v136
	s_wait_loadcnt 0x3c
	v_lshrrev_b32_e32 v136, 16, v105
	s_wait_alu 0xfffd
	v_cndmask_b32_e64 v95, 0, 1, vcc_lo
	v_cmp_ne_u16_e32 vcc_lo, 0, v97
	v_or_b32_e32 v103, v103, v134
	v_and_b32_e32 v101, 0x7fff, v101
	v_or_b32_e32 v62, v62, v115
	s_wait_loadcnt 0x36
	v_lshrrev_b32_e32 v115, 16, v111
	s_wait_alu 0xfffd
	v_cndmask_b32_e64 v97, 0, 1, vcc_lo
	v_cmp_ne_u16_e32 vcc_lo, 0, v99
	s_wait_loadcnt 0x35
	v_lshrrev_b32_e32 v116, 16, v75
	v_lshrrev_b32_e32 v113, 16, v55
	v_or_b32_e32 v44, v44, v138
	v_lshrrev_b32_e32 v138, 16, v107
	v_or_b32_e32 v105, v105, v136
	v_and_b32_e32 v103, 0x7fff, v103
	s_wait_alu 0xfffd
	v_cndmask_b32_e64 v99, 0, 1, vcc_lo
	v_cmp_ne_u16_e32 vcc_lo, 0, v101
	v_or_b32_e32 v111, v111, v115
	v_or_b32_e32 v75, v75, v116
	s_clause 0x1
	global_load_b32 v115, v1, s[2:3] offset:114688
	global_load_b32 v116, v1, s[2:3] offset:113664
	v_or_b32_e32 v55, v55, v113
	v_lshrrev_b32_e32 v113, 16, v109
	v_or_b32_e32 v107, v107, v138
	v_and_b32_e32 v105, 0x7fff, v105
	s_wait_alu 0xfffd
	v_cndmask_b32_e64 v101, 0, 1, vcc_lo
	v_cmp_ne_u16_e32 vcc_lo, 0, v103
	v_lshrrev_b32_e32 v117, 16, v73
	v_or_b32_e32 v109, v109, v113
	v_and_b32_e32 v107, 0x7fff, v107
	s_wait_loadcnt 0x35
	v_lshrrev_b32_e32 v113, 16, v76
	s_wait_alu 0xfffd
	v_cndmask_b32_e64 v103, 0, 1, vcc_lo
	v_cmp_ne_u16_e32 vcc_lo, 0, v105
	v_or_b32_e32 v73, v73, v117
	v_lshrrev_b32_e32 v117, 16, v80
	v_and_b32_e32 v109, 0x7fff, v109
	v_lshrrev_b32_e32 v114, 16, v110
	s_wait_alu 0xfffd
	v_cndmask_b32_e64 v105, 0, 1, vcc_lo
	v_cmp_ne_u16_e32 vcc_lo, 0, v107
	v_and_b32_e32 v111, 0x7fff, v111
	v_or_b32_e32 v80, v80, v117
	v_or_b32_e32 v76, v76, v113
	s_wait_loadcnt 0x31
	v_lshrrev_b32_e32 v113, 16, v90
	s_wait_alu 0xfffd
	v_cndmask_b32_e64 v107, 0, 1, vcc_lo
	v_cmp_ne_u16_e32 vcc_lo, 0, v109
	v_or_b32_e32 v110, v110, v114
	v_lshrrev_b32_e32 v114, 16, v112
	v_and_b32_e32 v80, 0x7fff, v80
	v_or_b32_e32 v90, v90, v113
	s_wait_alu 0xfffd
	v_cndmask_b32_e64 v109, 0, 1, vcc_lo
	v_cmp_ne_u16_e32 vcc_lo, 0, v111
	s_wait_loadcnt 0x30
	v_lshrrev_b32_e32 v113, 16, v77
	s_clause 0x1
	global_load_b32 v117, v1, s[2:3] offset:115712
	global_load_b32 v118, v1, s[2:3] offset:116736
	v_or_b32_e32 v112, v112, v114
	v_and_b32_e32 v76, 0x7fff, v76
	s_wait_alu 0xfffd
	v_cndmask_b32_e64 v111, 0, 1, vcc_lo
	v_cmp_ne_u16_e32 vcc_lo, 0, v80
	v_lshrrev_b32_e32 v114, 16, v87
	v_or_b32_e32 v77, v77, v113
	s_wait_loadcnt 0x31
	v_lshrrev_b32_e32 v113, 16, v74
	v_and_b32_e32 v90, 0x7fff, v90
	s_wait_alu 0xfffd
	v_cndmask_b32_e64 v80, 0, 1, vcc_lo
	v_cmp_ne_u16_e32 vcc_lo, 0, v76
	v_or_b32_e32 v87, v87, v114
	v_lshrrev_b32_e32 v114, 16, v68
	v_or_b32_e32 v74, v74, v113
	s_wait_loadcnt 0x30
	v_lshrrev_b32_e32 v113, 16, v72
	s_wait_alu 0xfffd
	v_cndmask_b32_e64 v76, 0, 1, vcc_lo
	v_cmp_ne_u16_e32 vcc_lo, 0, v90
	v_or_b32_e32 v68, v68, v114
	v_and_b32_e32 v77, 0x7fff, v77
	s_wait_loadcnt 0x2f
	v_lshrrev_b32_e32 v114, 16, v84
	v_or_b32_e32 v72, v72, v113
	v_lshrrev_b32_e32 v119, 16, v83
	s_wait_alu 0xfffd
	v_cndmask_b32_e64 v90, 0, 1, vcc_lo
	v_cmp_ne_u16_e32 vcc_lo, 0, v77
	v_or_b32_e32 v84, v84, v114
	s_wait_loadcnt 0x2b
	v_lshrrev_b32_e32 v114, 16, v86
	v_and_b32_e32 v72, 0x7fff, v72
	v_or_b32_e32 v83, v83, v119
	s_wait_alu 0xfffd
	v_cndmask_b32_e64 v77, 0, 1, vcc_lo
	s_clause 0x1
	global_load_b32 v119, v1, s[2:3] offset:117760
	global_load_b32 v120, v1, s[2:3] offset:118784
	v_and_b32_e32 v84, 0x7fff, v84
	v_or_b32_e32 v86, v86, v114
	v_cmp_ne_u16_e32 vcc_lo, 0, v72
	s_wait_loadcnt 0x2c
	v_lshrrev_b32_e32 v114, 16, v63
	v_lshrrev_b32_e32 v123, 16, v92
	s_wait_loadcnt 0x2a
	v_lshrrev_b32_e32 v122, 16, v71
	v_and_b32_e32 v86, 0x7fff, v86
	s_wait_alu 0xfffd
	v_cndmask_b32_e64 v72, 0, 1, vcc_lo
	v_cmp_ne_u16_e32 vcc_lo, 0, v84
	v_or_b32_e32 v63, v63, v114
	v_or_b32_e32 v92, v92, v123
	v_lshrrev_b32_e32 v113, 16, v88
	s_wait_loadcnt 0x28
	v_lshrrev_b32_e32 v123, 16, v81
	s_wait_alu 0xfffd
	v_cndmask_b32_e64 v84, 0, 1, vcc_lo
	v_cmp_ne_u16_e32 vcc_lo, 0, v86
	v_and_b32_e32 v63, 0x7fff, v63
	v_or_b32_e32 v71, v71, v122
	v_or_b32_e32 v88, v88, v113
	v_lshrrev_b32_e32 v113, 16, v82
	s_wait_alu 0xfffd
	v_cndmask_b32_e64 v86, 0, 1, vcc_lo
	v_or_b32_e32 v81, v81, v123
	v_cmp_ne_u16_e32 vcc_lo, 0, v63
	v_and_b32_e32 v71, 0x7fff, v71
	s_wait_loadcnt 0x26
	v_lshrrev_b32_e32 v122, 16, v66
	v_lshrrev_b32_e32 v121, 16, v89
	;; [unrolled: 1-line block ×3, first 2 shown]
	v_or_b32_e32 v82, v82, v113
	v_lshrrev_b32_e32 v113, 16, v70
	s_wait_alu 0xfffd
	v_cndmask_b32_e64 v63, 0, 1, vcc_lo
	v_and_b32_e32 v81, 0x7fff, v81
	v_cmp_ne_u16_e32 vcc_lo, 0, v71
	v_or_b32_e32 v66, v66, v122
	s_wait_loadcnt 0x24
	v_lshrrev_b32_e32 v122, 16, v65
	v_or_b32_e32 v89, v89, v121
	v_or_b32_e32 v94, v94, v125
	;; [unrolled: 1-line block ×3, first 2 shown]
	s_clause 0x1
	global_load_b32 v113, v1, s[2:3] offset:119808
	global_load_b32 v121, v1, s[2:3] offset:120832
	s_wait_alu 0xfffd
	v_cndmask_b32_e64 v71, 0, 1, vcc_lo
	v_cmp_ne_u16_e32 vcc_lo, 0, v81
	v_and_b32_e32 v66, 0x7fff, v66
	s_wait_loadcnt 0x24
	v_lshrrev_b32_e32 v125, 16, v78
	v_or_b32_e32 v65, v65, v122
	s_wait_loadcnt 0x22
	v_lshrrev_b32_e32 v126, 16, v60
	s_wait_alu 0xfffd
	v_cndmask_b32_e64 v81, 0, 1, vcc_lo
	v_cmp_ne_u16_e32 vcc_lo, 0, v66
	v_or_b32_e32 v78, v78, v125
	v_and_b32_e32 v65, 0x7fff, v65
	v_or_b32_e32 v60, v60, v126
	s_wait_loadcnt 0x20
	v_lshrrev_b32_e32 v126, 16, v50
	s_wait_alu 0xfffd
	v_cndmask_b32_e64 v66, 0, 1, vcc_lo
	v_and_b32_e32 v78, 0x7fff, v78
	v_cmp_ne_u16_e32 vcc_lo, 0, v65
	v_lshrrev_b32_e32 v129, 16, v98
	v_and_b32_e32 v60, 0x7fff, v60
	s_wait_loadcnt 0x1e
	v_lshrrev_b32_e32 v128, 16, v61
	v_or_b32_e32 v50, v50, v126
	s_wait_alu 0xfffd
	v_cndmask_b32_e64 v65, 0, 1, vcc_lo
	v_cmp_ne_u16_e32 vcc_lo, 0, v78
	v_lshrrev_b32_e32 v126, 16, v48
	v_or_b32_e32 v98, v98, v129
	v_or_b32_e32 v61, v61, v128
	v_and_b32_e32 v50, 0x7fff, v50
	s_wait_alu 0xfffd
	v_cndmask_b32_e64 v78, 0, 1, vcc_lo
	v_cmp_ne_u16_e32 vcc_lo, 0, v60
	v_or_b32_e32 v48, v48, v126
	s_wait_loadcnt 0x1d
	v_lshrrev_b32_e32 v126, 16, v45
	s_wait_loadcnt 0x1c
	v_lshrrev_b32_e32 v129, 16, v46
	s_clause 0x1
	global_load_b32 v123, v1, s[2:3] offset:121856
	global_load_b32 v124, v1, s[2:3] offset:122880
	s_wait_alu 0xfffd
	v_cndmask_b32_e64 v60, 0, 1, vcc_lo
	v_and_b32_e32 v61, 0x7fff, v61
	v_cmp_ne_u16_e32 vcc_lo, 0, v50
	v_or_b32_e32 v45, v45, v126
	s_wait_loadcnt 0x1c
	v_lshrrev_b32_e32 v126, 16, v54
	v_or_b32_e32 v46, v46, v129
	v_lshrrev_b32_e32 v114, 16, v64
	s_wait_alu 0xfffd
	v_cndmask_b32_e64 v50, 0, 1, vcc_lo
	v_cmp_ne_u16_e32 vcc_lo, 0, v61
	v_or_b32_e32 v54, v54, v126
	v_and_b32_e32 v46, 0x7fff, v46
	s_wait_loadcnt 0x1a
	v_lshrrev_b32_e32 v126, 16, v51
	v_and_b32_e32 v3, 0x7fff, v3
	s_wait_alu 0xfffd
	v_cndmask_b32_e64 v61, 0, 1, vcc_lo
	v_and_b32_e32 v54, 0x7fff, v54
	v_cmp_ne_u16_e32 vcc_lo, 0, v46
	v_or_b32_e32 v51, v51, v126
	v_or_b32_e32 v64, v64, v114
	v_lshrrev_b32_e32 v114, 16, v69
	s_wait_loadcnt 0x18
	v_lshrrev_b32_e32 v126, 16, v47
	s_wait_alu 0xfffd
	v_cndmask_b32_e64 v46, 0, 1, vcc_lo
	v_and_b32_e32 v51, 0x7fff, v51
	v_cmp_ne_u16_e32 vcc_lo, 0, v54
	v_and_b32_e32 v5, 0x7fff, v5
	v_or_b32_e32 v69, v69, v114
	v_lshrrev_b32_e32 v114, 16, v58
	s_clause 0x1
	global_load_b32 v122, v1, s[2:3] offset:123904
	global_load_b32 v125, v1, s[2:3] offset:124928
	s_wait_alu 0xfffd
	v_cndmask_b32_e64 v54, 0, 1, vcc_lo
	v_cmp_ne_u16_e32 vcc_lo, 0, v51
	v_or_b32_e32 v47, v47, v126
	v_or_b32_e32 v58, v58, v114
	v_lshrrev_b32_e32 v114, 16, v59
	v_and_b32_e32 v7, 0x7fff, v7
	s_wait_alu 0xfffd
	v_cndmask_b32_e64 v51, 0, 1, vcc_lo
	v_cmp_ne_u16_e32 vcc_lo, 0, v3
	v_and_b32_e32 v3, 0x7fff, v47
	v_or_b32_e32 v59, v59, v114
	v_lshrrev_b32_e32 v114, 16, v52
	v_and_b32_e32 v9, 0x7fff, v9
	s_wait_alu 0xfffd
	v_add_co_ci_u32_e64 v2, null, 0, v2, vcc_lo
	v_cmp_ne_u16_e32 vcc_lo, 0, v5
	v_or_b32_e32 v52, v52, v114
	v_lshrrev_b32_e32 v114, 16, v56
	v_lshrrev_b32_e32 v127, 16, v96
	v_and_b32_e32 v11, 0x7fff, v11
	s_wait_alu 0xfffd
	v_add_co_ci_u32_e64 v2, null, v2, v4, vcc_lo
	v_cmp_ne_u16_e32 vcc_lo, 0, v3
	v_or_b32_e32 v56, v56, v114
	v_lshrrev_b32_e32 v114, 16, v53
	s_wait_loadcnt 0x18
	v_lshrrev_b32_e32 v4, 16, v39
	v_or_b32_e32 v96, v96, v127
	s_wait_alu 0xfffd
	v_cndmask_b32_e64 v3, 0, 1, vcc_lo
	v_cmp_ne_u16_e32 vcc_lo, 0, v7
	v_and_b32_e32 v13, 0x7fff, v13
	s_clause 0x2
	global_load_b32 v127, v1, s[2:3] offset:125952
	global_load_b32 v128, v1, s[2:3] offset:128000
	;; [unrolled: 1-line block ×3, first 2 shown]
	s_wait_alu 0xfffd
	v_add_co_ci_u32_e64 v2, null, v2, v6, vcc_lo
	v_cmp_ne_u16_e32 vcc_lo, 0, v9
	v_or_b32_e32 v53, v53, v114
	global_load_b32 v114, v1, s[2:3] offset:126976
	v_or_b32_e32 v4, v39, v4
	v_and_b32_e32 v16, 0x7fff, v16
	s_wait_alu 0xfffd
	v_add_co_ci_u32_e64 v2, null, v2, v8, vcc_lo
	v_cmp_ne_u16_e32 vcc_lo, 0, v11
	v_and_b32_e32 v4, 0x7fff, v4
	v_and_b32_e32 v20, 0x7fff, v20
	;; [unrolled: 1-line block ×3, first 2 shown]
	s_wait_loadcnt 0x1a
	v_lshrrev_b32_e32 v6, 16, v36
	s_wait_alu 0xfffd
	v_add_co_ci_u32_e64 v2, null, v2, v10, vcc_lo
	v_cmp_ne_u16_e32 vcc_lo, 0, v13
	v_and_b32_e32 v30, 0x7fff, v30
	v_or_b32_e32 v6, v36, v6
	v_and_b32_e32 v34, 0x7fff, v34
	global_load_b32 v1, v1, s[2:3] offset:130048
	s_wait_alu 0xfffd
	v_add_co_ci_u32_e64 v2, null, v2, v12, vcc_lo
	v_cmp_ne_u16_e32 vcc_lo, 0, v4
	v_and_b32_e32 v6, 0x7fff, v6
	v_and_b32_e32 v40, 0x7fff, v40
	;; [unrolled: 1-line block ×3, first 2 shown]
	s_wait_loadcnt 0x19
	v_lshrrev_b32_e32 v8, 16, v33
	s_wait_alu 0xfffd
	v_cndmask_b32_e64 v4, 0, 1, vcc_lo
	v_cmp_ne_u16_e32 vcc_lo, 0, v16
	v_and_b32_e32 v55, 0x7fff, v55
	v_and_b32_e32 v62, 0x7fff, v62
	v_or_b32_e32 v8, v33, v8
	v_and_b32_e32 v73, 0x7fff, v73
	s_wait_alu 0xfffd
	v_add_co_ci_u32_e64 v2, null, v2, v14, vcc_lo
	v_cmp_ne_u16_e32 vcc_lo, 0, v20
	v_and_b32_e32 v8, 0x7fff, v8
	v_and_b32_e32 v83, 0x7fff, v83
	s_wait_loadcnt 0x17
	v_lshrrev_b32_e32 v10, 16, v29
	v_and_b32_e32 v89, 0x7fff, v89
	s_wait_alu 0xfffd
	v_add_co_ci_u32_e64 v2, null, v2, v17, vcc_lo
	v_cmp_ne_u16_e32 vcc_lo, 0, v25
	v_or_b32_e32 v10, v29, v10
	v_and_b32_e32 v92, 0x7fff, v92
	v_and_b32_e32 v94, 0x7fff, v94
	;; [unrolled: 1-line block ×3, first 2 shown]
	s_wait_alu 0xfffd
	v_add_co_ci_u32_e64 v2, null, v2, v23, vcc_lo
	v_cmp_ne_u16_e32 vcc_lo, 0, v30
	v_and_b32_e32 v10, 0x7fff, v10
	s_wait_loadcnt 0x15
	v_lshrrev_b32_e32 v12, 16, v26
	v_lshrrev_b32_e32 v131, 16, v100
	v_and_b32_e32 v98, 0x7fff, v98
	s_wait_alu 0xfffd
	v_add_co_ci_u32_e64 v2, null, v2, v27, vcc_lo
	v_cmp_ne_u16_e32 vcc_lo, 0, v6
	v_or_b32_e32 v12, v26, v12
	v_lshrrev_b32_e32 v133, 16, v102
	v_or_b32_e32 v100, v100, v131
	v_lshrrev_b32_e32 v135, 16, v104
	s_wait_alu 0xfffd
	v_cndmask_b32_e64 v6, 0, 1, vcc_lo
	v_cmp_ne_u16_e32 vcc_lo, 0, v34
	v_and_b32_e32 v12, 0x7fff, v12
	v_or_b32_e32 v102, v102, v133
	v_and_b32_e32 v100, 0x7fff, v100
	v_lshrrev_b32_e32 v137, 16, v106
	s_wait_alu 0xfffd
	v_add_co_ci_u32_e64 v2, null, v2, v32, vcc_lo
	v_cmp_ne_u16_e32 vcc_lo, 0, v40
	v_or_b32_e32 v104, v104, v135
	v_and_b32_e32 v102, 0x7fff, v102
	v_or_b32_e32 v106, v106, v137
	s_wait_loadcnt 0x13
	v_lshrrev_b32_e32 v14, 16, v22
	s_wait_alu 0xfffd
	v_add_co_ci_u32_e64 v2, null, v2, v37, vcc_lo
	v_cmp_ne_u16_e32 vcc_lo, 0, v44
	v_and_b32_e32 v104, 0x7fff, v104
	v_lshrrev_b32_e32 v139, 16, v108
	v_and_b32_e32 v106, 0x7fff, v106
	v_or_b32_e32 v14, v22, v14
	s_wait_alu 0xfffd
	v_add_co_ci_u32_e64 v2, null, v2, v43, vcc_lo
	v_cmp_ne_u16_e32 vcc_lo, 0, v55
	v_or_b32_e32 v108, v108, v139
	v_and_b32_e32 v14, 0x7fff, v14
	v_and_b32_e32 v110, 0x7fff, v110
	;; [unrolled: 1-line block ×3, first 2 shown]
	s_wait_alu 0xfffd
	v_add_co_ci_u32_e64 v2, null, v2, v49, vcc_lo
	v_cmp_ne_u16_e32 vcc_lo, 0, v8
	v_and_b32_e32 v108, 0x7fff, v108
	s_wait_loadcnt 0x11
	v_lshrrev_b32_e32 v17, 16, v19
	v_and_b32_e32 v112, 0x7fff, v112
	v_and_b32_e32 v87, 0x7fff, v87
	s_wait_alu 0xfffd
	v_cndmask_b32_e64 v8, 0, 1, vcc_lo
	v_cmp_ne_u16_e32 vcc_lo, 0, v62
	v_or_b32_e32 v17, v19, v17
	v_lshrrev_b32_e32 v16, 16, v18
	v_and_b32_e32 v68, 0x7fff, v68
	v_and_b32_e32 v74, 0x7fff, v74
	s_wait_alu 0xfffd
	v_add_co_ci_u32_e64 v2, null, v2, v57, vcc_lo
	v_cmp_ne_u16_e32 vcc_lo, 0, v73
	v_and_b32_e32 v17, 0x7fff, v17
	v_or_b32_e32 v16, v18, v16
	v_lshrrev_b32_e32 v18, 16, v15
	v_and_b32_e32 v88, 0x7fff, v88
	s_wait_alu 0xfffd
	v_add_co_ci_u32_e64 v2, null, v2, v67, vcc_lo
	v_cmp_ne_u16_e32 vcc_lo, 0, v83
	v_or_b32_e32 v15, v15, v18
	v_and_b32_e32 v82, 0x7fff, v82
	v_and_b32_e32 v70, 0x7fff, v70
	;; [unrolled: 1-line block ×3, first 2 shown]
	s_wait_alu 0xfffd
	v_add_co_ci_u32_e64 v2, null, v2, v79, vcc_lo
	v_cmp_ne_u16_e32 vcc_lo, 0, v89
	v_and_b32_e32 v69, 0x7fff, v69
	v_and_b32_e32 v58, 0x7fff, v58
	;; [unrolled: 1-line block ×4, first 2 shown]
	s_wait_alu 0xfffd
	v_add_co_ci_u32_e64 v2, null, v2, v85, vcc_lo
	v_cmp_ne_u16_e32 vcc_lo, 0, v10
	v_and_b32_e32 v56, 0x7fff, v56
	v_and_b32_e32 v53, 0x7fff, v53
	;; [unrolled: 1-line block ×3, first 2 shown]
	v_lshrrev_b32_e32 v130, 16, v38
	s_wait_alu 0xfffd
	v_cndmask_b32_e64 v10, 0, 1, vcc_lo
	v_cmp_ne_u16_e32 vcc_lo, 0, v92
	s_wait_loadcnt 0x10
	v_lshrrev_b32_e32 v18, 16, v115
	v_lshrrev_b32_e32 v11, 16, v24
	v_and_b32_e32 v45, 0x7fff, v45
	v_or_b32_e32 v38, v38, v130
	s_wait_alu 0xfffd
	v_add_co_ci_u32_e64 v2, null, v2, v91, vcc_lo
	v_cmp_ne_u16_e32 vcc_lo, 0, v94
	v_or_b32_e32 v18, v115, v18
	v_or_b32_e32 v11, v24, v11
	v_lshrrev_b32_e32 v130, 16, v41
	v_and_b32_e32 v38, 0x7fff, v38
	s_wait_alu 0xfffd
	v_add_co_ci_u32_e64 v2, null, v2, v93, vcc_lo
	v_cmp_ne_u16_e32 vcc_lo, 0, v96
	v_and_b32_e32 v18, 0x7fff, v18
	v_or_b32_e32 v41, v41, v130
	v_lshrrev_b32_e32 v130, 16, v42
	v_lshrrev_b32_e32 v5, 16, v35
	s_wait_alu 0xfffd
	v_add_co_ci_u32_e64 v2, null, v2, v95, vcc_lo
	v_cmp_ne_u16_e32 vcc_lo, 0, v98
	v_and_b32_e32 v41, 0x7fff, v41
	v_or_b32_e32 v42, v42, v130
	v_or_b32_e32 v5, v35, v5
	v_lshrrev_b32_e32 v7, 16, v31
	s_wait_alu 0xfffd
	v_add_co_ci_u32_e64 v2, null, v2, v97, vcc_lo
	v_cmp_ne_u16_e32 vcc_lo, 0, v12
	v_and_b32_e32 v42, 0x7fff, v42
	v_and_b32_e32 v5, 0x7fff, v5
	v_or_b32_e32 v7, v31, v7
	s_wait_loadcnt 0xd
	v_lshrrev_b32_e32 v20, 16, v118
	s_wait_alu 0xfffd
	v_cndmask_b32_e64 v12, 0, 1, vcc_lo
	v_cmp_ne_u16_e32 vcc_lo, 0, v100
	v_lshrrev_b32_e32 v9, 16, v28
	v_and_b32_e32 v7, 0x7fff, v7
	v_or_b32_e32 v20, v118, v20
	v_lshrrev_b32_e32 v13, 16, v21
	s_wait_alu 0xfffd
	v_add_co_ci_u32_e64 v2, null, v2, v99, vcc_lo
	v_cmp_ne_u16_e32 vcc_lo, 0, v102
	v_and_b32_e32 v20, 0x7fff, v20
	v_or_b32_e32 v9, v28, v9
	v_and_b32_e32 v11, 0x7fff, v11
	v_or_b32_e32 v13, v21, v13
	s_wait_alu 0xfffd
	v_add_co_ci_u32_e64 v2, null, v2, v101, vcc_lo
	v_cmp_ne_u16_e32 vcc_lo, 0, v104
	v_and_b32_e32 v9, 0x7fff, v9
	v_and_b32_e32 v13, 0x7fff, v13
	;; [unrolled: 1-line block ×3, first 2 shown]
	v_lshrrev_b32_e32 v19, 16, v116
	s_wait_alu 0xfffd
	v_add_co_ci_u32_e64 v2, null, v2, v103, vcc_lo
	v_cmp_ne_u16_e32 vcc_lo, 0, v106
	v_and_b32_e32 v15, 0x7fff, v15
	v_or_b32_e32 v19, v116, v19
	v_lshrrev_b32_e32 v21, 16, v117
	s_wait_alu 0xfffd
	v_add_co_ci_u32_e64 v2, null, v2, v105, vcc_lo
	v_cmp_ne_u16_e32 vcc_lo, 0, v14
	s_wait_loadcnt 0xb
	v_lshrrev_b32_e32 v22, 16, v120
	v_and_b32_e32 v19, 0x7fff, v19
	v_or_b32_e32 v21, v117, v21
	v_lshrrev_b32_e32 v23, 16, v119
	s_wait_alu 0xfffd
	v_cndmask_b32_e64 v14, 0, 1, vcc_lo
	v_cmp_ne_u16_e32 vcc_lo, 0, v108
	v_or_b32_e32 v22, v120, v22
	v_and_b32_e32 v21, 0x7fff, v21
	v_or_b32_e32 v23, v119, v23
	s_wait_alu 0xfffd
	v_add_co_ci_u32_e64 v2, null, v2, v107, vcc_lo
	v_cmp_ne_u16_e32 vcc_lo, 0, v110
	v_and_b32_e32 v22, 0x7fff, v22
	v_and_b32_e32 v23, 0x7fff, v23
	s_wait_alu 0xfffd
	v_add_co_ci_u32_e64 v2, null, v2, v109, vcc_lo
	v_cmp_ne_u16_e32 vcc_lo, 0, v75
	s_wait_alu 0xfffd
	s_delay_alu instid0(VALU_DEP_2) | instskip(SKIP_2) | instid1(VALU_DEP_2)
	v_add_co_ci_u32_e64 v2, null, v2, v111, vcc_lo
	v_cmp_ne_u16_e32 vcc_lo, 0, v112
	s_wait_alu 0xfffd
	v_add_co_ci_u32_e64 v2, null, v2, v80, vcc_lo
	v_cmp_ne_u16_e32 vcc_lo, 0, v17
	s_wait_loadcnt 0xa
	v_lshrrev_b32_e32 v25, 16, v113
	s_wait_loadcnt 0x9
	v_lshrrev_b32_e32 v24, 16, v121
	s_wait_alu 0xfffd
	v_cndmask_b32_e64 v17, 0, 1, vcc_lo
	v_cmp_ne_u16_e32 vcc_lo, 0, v87
	s_delay_alu instid0(VALU_DEP_3)
	v_or_b32_e32 v24, v121, v24
	v_or_b32_e32 v25, v113, v25
	s_wait_alu 0xfffd
	v_add_co_ci_u32_e64 v2, null, v2, v76, vcc_lo
	v_cmp_ne_u16_e32 vcc_lo, 0, v68
	v_and_b32_e32 v24, 0x7fff, v24
	v_and_b32_e32 v25, 0x7fff, v25
	s_wait_alu 0xfffd
	v_add_co_ci_u32_e64 v2, null, v2, v90, vcc_lo
	v_cmp_ne_u16_e32 vcc_lo, 0, v74
	s_wait_alu 0xfffd
	s_delay_alu instid0(VALU_DEP_2) | instskip(SKIP_2) | instid1(VALU_DEP_2)
	v_add_co_ci_u32_e64 v2, null, v2, v77, vcc_lo
	v_cmp_ne_u16_e32 vcc_lo, 0, v88
	s_wait_alu 0xfffd
	v_add_co_ci_u32_e64 v2, null, v2, v72, vcc_lo
	v_cmp_ne_u16_e32 vcc_lo, 0, v18
	s_wait_loadcnt 0x7
	v_lshrrev_b32_e32 v26, 16, v124
	v_lshrrev_b32_e32 v27, 16, v123
	s_wait_alu 0xfffd
	v_cndmask_b32_e64 v18, 0, 1, vcc_lo
	v_cmp_ne_u16_e32 vcc_lo, 0, v82
	v_or_b32_e32 v26, v124, v26
	v_or_b32_e32 v27, v123, v27
	s_wait_alu 0xfffd
	v_add_co_ci_u32_e64 v2, null, v2, v84, vcc_lo
	v_cmp_ne_u16_e32 vcc_lo, 0, v70
	s_wait_alu 0xfffd
	s_delay_alu instid0(VALU_DEP_2) | instskip(SKIP_2) | instid1(VALU_DEP_2)
	v_add_co_ci_u32_e64 v2, null, v2, v86, vcc_lo
	v_cmp_ne_u16_e32 vcc_lo, 0, v64
	s_wait_alu 0xfffd
	v_add_co_ci_u32_e64 v2, null, v2, v63, vcc_lo
	v_cmp_ne_u16_e32 vcc_lo, 0, v69
	s_wait_alu 0xfffd
	s_delay_alu instid0(VALU_DEP_2)
	v_add_co_ci_u32_e64 v2, null, v2, v71, vcc_lo
	v_cmp_ne_u16_e32 vcc_lo, 0, v20
	s_wait_alu 0xfffd
	v_cndmask_b32_e64 v20, 0, 1, vcc_lo
	v_cmp_ne_u16_e32 vcc_lo, 0, v58
	s_wait_alu 0xfffd
	v_add_co_ci_u32_e64 v2, null, v2, v81, vcc_lo
	v_cmp_ne_u16_e32 vcc_lo, 0, v59
	s_wait_alu 0xfffd
	s_delay_alu instid0(VALU_DEP_2) | instskip(SKIP_2) | instid1(VALU_DEP_2)
	v_add_co_ci_u32_e64 v2, null, v2, v66, vcc_lo
	v_cmp_ne_u16_e32 vcc_lo, 0, v52
	s_wait_alu 0xfffd
	v_add_co_ci_u32_e64 v2, null, v2, v65, vcc_lo
	v_cmp_ne_u16_e32 vcc_lo, 0, v56
	s_wait_alu 0xfffd
	s_delay_alu instid0(VALU_DEP_2)
	v_add_co_ci_u32_e64 v2, null, v2, v78, vcc_lo
	v_cmp_ne_u16_e32 vcc_lo, 0, v22
	s_wait_alu 0xfffd
	v_cndmask_b32_e64 v22, 0, 1, vcc_lo
	v_cmp_ne_u16_e32 vcc_lo, 0, v53
	;; [unrolled: 17-line block ×3, first 2 shown]
	s_wait_alu 0xfffd
	v_add_co_ci_u32_e64 v2, null, v2, v54, vcc_lo
	v_cmp_ne_u16_e32 vcc_lo, 0, v42
	s_wait_alu 0xfffd
	s_delay_alu instid0(VALU_DEP_2) | instskip(SKIP_3) | instid1(VALU_DEP_3)
	v_add_co_ci_u32_e64 v2, null, v2, v51, vcc_lo
	v_cmp_ne_u16_e32 vcc_lo, 0, v5
	v_and_b32_e32 v5, 0x7fff, v27
	s_wait_alu 0xfffd
	v_add_co_ci_u32_e64 v2, null, v2, v3, vcc_lo
	v_and_b32_e32 v3, 0x7fff, v26
	v_cmp_ne_u16_e32 vcc_lo, 0, v7
	s_wait_loadcnt 0x4
	v_lshrrev_b32_e32 v7, 16, v127
	s_wait_alu 0xfffd
	v_add_co_ci_u32_e64 v2, null, v2, v4, vcc_lo
	v_cmp_ne_u16_e32 vcc_lo, 0, v3
	v_lshrrev_b32_e32 v4, 16, v125
	v_or_b32_e32 v7, v127, v7
	s_wait_alu 0xfffd
	v_cndmask_b32_e64 v3, 0, 1, vcc_lo
	v_cmp_ne_u16_e32 vcc_lo, 0, v9
	v_or_b32_e32 v4, v125, v4
	v_and_b32_e32 v7, 0x7fff, v7
	s_wait_loadcnt 0x3
	v_lshrrev_b32_e32 v9, 16, v128
	s_wait_alu 0xfffd
	v_add_co_ci_u32_e64 v2, null, v2, v6, vcc_lo
	v_cmp_ne_u16_e32 vcc_lo, 0, v11
	v_and_b32_e32 v4, 0x7fff, v4
	v_lshrrev_b32_e32 v6, 16, v122
	v_or_b32_e32 v9, v128, v9
	s_wait_alu 0xfffd
	v_add_co_ci_u32_e64 v2, null, v2, v8, vcc_lo
	v_cmp_ne_u16_e32 vcc_lo, 0, v13
	s_wait_loadcnt 0x1
	v_lshrrev_b32_e32 v8, 16, v114
	v_or_b32_e32 v6, v122, v6
	v_and_b32_e32 v9, 0x7fff, v9
	s_wait_alu 0xfffd
	v_add_co_ci_u32_e64 v2, null, v2, v10, vcc_lo
	v_cmp_ne_u16_e32 vcc_lo, 0, v16
	v_or_b32_e32 v8, v114, v8
	v_and_b32_e32 v6, 0x7fff, v6
	v_lshrrev_b32_e32 v10, 16, v129
	s_wait_alu 0xfffd
	v_add_co_ci_u32_e64 v2, null, v2, v12, vcc_lo
	v_cmp_ne_u16_e32 vcc_lo, 0, v4
	v_and_b32_e32 v8, 0x7fff, v8
	s_wait_alu 0xfffd
	v_cndmask_b32_e64 v4, 0, 1, vcc_lo
	v_cmp_ne_u16_e32 vcc_lo, 0, v15
	s_wait_alu 0xfffd
	v_add_co_ci_u32_e64 v2, null, v2, v14, vcc_lo
	v_cmp_ne_u16_e32 vcc_lo, 0, v19
	s_wait_alu 0xfffd
	s_delay_alu instid0(VALU_DEP_2) | instskip(SKIP_2) | instid1(VALU_DEP_2)
	v_add_co_ci_u32_e64 v2, null, v2, v17, vcc_lo
	v_cmp_ne_u16_e32 vcc_lo, 0, v21
	s_wait_alu 0xfffd
	v_add_co_ci_u32_e64 v2, null, v2, v18, vcc_lo
	v_cmp_ne_u16_e32 vcc_lo, 0, v23
	s_wait_alu 0xfffd
	s_delay_alu instid0(VALU_DEP_2)
	v_add_co_ci_u32_e64 v2, null, v2, v20, vcc_lo
	v_cmp_ne_u16_e32 vcc_lo, 0, v8
	s_wait_alu 0xfffd
	v_cndmask_b32_e64 v8, 0, 1, vcc_lo
	v_cmp_ne_u16_e32 vcc_lo, 0, v25
	s_wait_alu 0xfffd
	v_add_co_ci_u32_e64 v2, null, v2, v22, vcc_lo
	v_cmp_ne_u16_e32 vcc_lo, 0, v5
	v_or_b32_e32 v5, v129, v10
	s_wait_loadcnt 0x0
	v_lshrrev_b32_e32 v10, 16, v1
	s_wait_alu 0xfffd
	v_add_co_ci_u32_e64 v2, null, v2, v24, vcc_lo
	v_cmp_ne_u16_e32 vcc_lo, 0, v6
	s_delay_alu instid0(VALU_DEP_3) | instskip(SKIP_1) | instid1(VALU_DEP_3)
	v_or_b32_e32 v1, v1, v10
	s_wait_alu 0xfffd
	v_add_co_ci_u32_e64 v2, null, v2, v3, vcc_lo
	v_and_b32_e32 v3, 0x7fff, v5
	v_cmp_ne_u16_e32 vcc_lo, 0, v7
	v_and_b32_e32 v1, 0x7fff, v1
	s_wait_alu 0xfffd
	v_add_co_ci_u32_e64 v2, null, v2, v4, vcc_lo
	v_cmp_ne_u16_e32 vcc_lo, 0, v3
	s_wait_alu 0xfffd
	v_cndmask_b32_e64 v3, 0, 1, vcc_lo
	v_cmp_ne_u16_e32 vcc_lo, 0, v9
	s_wait_alu 0xfffd
	v_add_co_ci_u32_e64 v2, null, v2, v8, vcc_lo
	v_cmp_ne_u16_e32 vcc_lo, 0, v1
	s_wait_alu 0xfffd
	s_delay_alu instid0(VALU_DEP_2) | instskip(NEXT) | instid1(VALU_DEP_1)
	v_add_co_ci_u32_e64 v1, null, v2, v3, vcc_lo
	v_mov_b32_dpp v2, v1 quad_perm:[1,0,3,2] row_mask:0xf bank_mask:0xf
	s_delay_alu instid0(VALU_DEP_1) | instskip(NEXT) | instid1(VALU_DEP_1)
	v_add_nc_u32_e32 v1, v1, v2
	v_mov_b32_dpp v2, v1 quad_perm:[2,3,0,1] row_mask:0xf bank_mask:0xf
	s_delay_alu instid0(VALU_DEP_1) | instskip(NEXT) | instid1(VALU_DEP_1)
	v_add_nc_u32_e32 v1, v1, v2
	v_mov_b32_dpp v2, v1 row_ror:4 row_mask:0xf bank_mask:0xf
	s_delay_alu instid0(VALU_DEP_1) | instskip(NEXT) | instid1(VALU_DEP_1)
	v_add_nc_u32_e32 v1, v1, v2
	v_mov_b32_dpp v2, v1 row_ror:8 row_mask:0xf bank_mask:0xf
	s_delay_alu instid0(VALU_DEP_1)
	v_add_nc_u32_e32 v1, v1, v2
	ds_swizzle_b32 v2, v1 offset:swizzle(BROADCAST,32,15)
	s_wait_dscnt 0x0
	v_dual_mov_b32 v2, 0 :: v_dual_add_nc_u32 v1, v1, v2
	ds_bpermute_b32 v1, v2, v1 offset:124
	v_mbcnt_lo_u32_b32 v2, -1, 0
	s_delay_alu instid0(VALU_DEP_1)
	v_cmpx_eq_u32_e32 0, v2
	s_cbranch_execz .LBB658_7
; %bb.6:
	v_lshrrev_b32_e32 v3, 3, v0
	s_delay_alu instid0(VALU_DEP_1)
	v_and_b32_e32 v3, 28, v3
	s_wait_dscnt 0x0
	ds_store_b32 v3, v1
.LBB658_7:
	s_or_b32 exec_lo, exec_lo, s5
	s_delay_alu instid0(SALU_CYCLE_1)
	s_mov_b32 s5, exec_lo
	s_wait_dscnt 0x0
	s_barrier_signal -1
	s_barrier_wait -1
	global_inv scope:SCOPE_SE
	v_cmpx_gt_u32_e32 32, v0
	s_cbranch_execz .LBB658_9
; %bb.8:
	v_and_b32_e32 v1, 7, v2
	s_delay_alu instid0(VALU_DEP_1)
	v_lshlrev_b32_e32 v3, 2, v1
	v_cmp_ne_u32_e32 vcc_lo, 7, v1
	ds_load_b32 v3, v3
	s_wait_alu 0xfffd
	v_add_co_ci_u32_e64 v4, null, 0, v2, vcc_lo
	v_cmp_gt_u32_e32 vcc_lo, 6, v1
	s_delay_alu instid0(VALU_DEP_2) | instskip(SKIP_2) | instid1(VALU_DEP_1)
	v_lshlrev_b32_e32 v4, 2, v4
	s_wait_alu 0xfffd
	v_cndmask_b32_e64 v1, 0, 2, vcc_lo
	v_add_lshl_u32 v1, v1, v2, 2
	v_lshlrev_b32_e32 v2, 2, v2
	s_delay_alu instid0(VALU_DEP_1)
	v_or_b32_e32 v2, 16, v2
	s_wait_dscnt 0x0
	ds_bpermute_b32 v4, v4, v3
	s_wait_dscnt 0x0
	v_add_nc_u32_e32 v3, v4, v3
	ds_bpermute_b32 v1, v1, v3
	s_wait_dscnt 0x0
	v_add_nc_u32_e32 v1, v1, v3
	;; [unrolled: 3-line block ×3, first 2 shown]
.LBB658_9:
	s_or_b32 exec_lo, exec_lo, s5
.LBB658_10:
	v_cmp_eq_u32_e64 s2, 0, v0
	s_and_b32 vcc_lo, exec_lo, s6
	s_wait_alu 0xfffe
	s_cbranch_vccnz .LBB658_24
.LBB658_11:
	s_branch .LBB658_512
.LBB658_12:
	s_mov_b32 s2, 0
                                        ; implicit-def: $vgpr1
	s_cbranch_execz .LBB658_623
	s_branch .LBB658_513
.LBB658_13:
	s_mov_b32 s2, 0
                                        ; implicit-def: $vgpr1
	s_cbranch_execz .LBB658_512
; %bb.14:
	s_cmp_gt_i32 s44, 31
	s_cbranch_scc0 .LBB658_31
; %bb.15:
	s_cmp_eq_u32 s44, 32
	s_cbranch_scc0 .LBB658_32
; %bb.16:
	s_mov_b32 s35, 0
	s_lshl_b32 s2, s34, 13
	s_mov_b32 s3, s35
	s_lshr_b64 s[4:5], s[36:37], 13
	s_lshl_b64 s[6:7], s[2:3], 2
	s_cmp_lg_u64 s[4:5], s[34:35]
	s_add_nc_u64 s[42:43], s[40:41], s[6:7]
	s_cbranch_scc0 .LBB658_296
; %bb.17:
	v_lshlrev_b32_e32 v1, 2, v0
	s_mov_b32 s3, exec_lo
	s_clause 0x1f
	global_load_b32 v2, v1, s[42:43]
	global_load_b32 v3, v1, s[42:43] offset:1024
	global_load_b32 v4, v1, s[42:43] offset:2048
	;; [unrolled: 1-line block ×31, first 2 shown]
	s_wait_loadcnt 0x1f
	v_lshrrev_b32_e32 v33, 16, v2
	s_wait_loadcnt 0x1e
	v_lshrrev_b32_e32 v34, 16, v3
	;; [unrolled: 2-line block ×5, first 2 shown]
	v_or_b32_e32 v2, v2, v33
	v_or_b32_e32 v3, v3, v34
	;; [unrolled: 1-line block ×3, first 2 shown]
	s_wait_loadcnt 0x19
	v_lshrrev_b32_e32 v39, 16, v8
	v_or_b32_e32 v6, v6, v37
	v_and_b32_e32 v2, 0x7fff, v2
	v_and_b32_e32 v3, 0x7fff, v3
	;; [unrolled: 1-line block ×3, first 2 shown]
	v_or_b32_e32 v5, v5, v36
	v_and_b32_e32 v6, 0x7fff, v6
	v_cmp_ne_u16_e32 vcc_lo, 0, v2
	v_lshrrev_b32_e32 v38, 16, v7
	v_or_b32_e32 v8, v8, v39
	v_and_b32_e32 v5, 0x7fff, v5
	s_wait_loadcnt 0x17
	v_lshrrev_b32_e32 v41, 16, v10
	v_cndmask_b32_e64 v2, 0, 1, vcc_lo
	v_cmp_ne_u16_e32 vcc_lo, 0, v4
	v_or_b32_e32 v7, v7, v38
	v_and_b32_e32 v8, 0x7fff, v8
	v_lshrrev_b32_e32 v40, 16, v9
	v_or_b32_e32 v10, v10, v41
	s_wait_alu 0xfffd
	v_cndmask_b32_e64 v4, 0, 1, vcc_lo
	v_cmp_ne_u16_e32 vcc_lo, 0, v3
	v_and_b32_e32 v7, 0x7fff, v7
	s_wait_loadcnt 0x15
	v_lshrrev_b32_e32 v43, 16, v12
	v_or_b32_e32 v9, v9, v40
	v_and_b32_e32 v10, 0x7fff, v10
	s_wait_alu 0xfffd
	v_add_co_ci_u32_e64 v2, null, 0, v2, vcc_lo
	v_cmp_ne_u16_e32 vcc_lo, 0, v6
	v_lshrrev_b32_e32 v42, 16, v11
	v_or_b32_e32 v12, v12, v43
	v_and_b32_e32 v9, 0x7fff, v9
	s_wait_loadcnt 0x13
	v_lshrrev_b32_e32 v45, 16, v14
	s_wait_alu 0xfffd
	v_cndmask_b32_e64 v3, 0, 1, vcc_lo
	v_cmp_ne_u16_e32 vcc_lo, 0, v5
	v_or_b32_e32 v11, v11, v42
	v_and_b32_e32 v12, 0x7fff, v12
	v_lshrrev_b32_e32 v44, 16, v13
	v_or_b32_e32 v14, v14, v45
	s_wait_alu 0xfffd
	v_add_co_ci_u32_e64 v2, null, v2, v4, vcc_lo
	v_cmp_ne_u16_e32 vcc_lo, 0, v8
	v_and_b32_e32 v11, 0x7fff, v11
	s_wait_loadcnt 0x11
	v_lshrrev_b32_e32 v47, 16, v16
	v_or_b32_e32 v13, v13, v44
	v_and_b32_e32 v14, 0x7fff, v14
	s_wait_alu 0xfffd
	v_cndmask_b32_e64 v4, 0, 1, vcc_lo
	v_cmp_ne_u16_e32 vcc_lo, 0, v7
	v_lshrrev_b32_e32 v46, 16, v15
	v_or_b32_e32 v16, v16, v47
	v_and_b32_e32 v13, 0x7fff, v13
	s_wait_loadcnt 0xf
	v_lshrrev_b32_e32 v49, 16, v18
	s_wait_alu 0xfffd
	v_add_co_ci_u32_e64 v2, null, v2, v3, vcc_lo
	v_cmp_ne_u16_e32 vcc_lo, 0, v10
	v_or_b32_e32 v15, v15, v46
	v_and_b32_e32 v16, 0x7fff, v16
	v_lshrrev_b32_e32 v48, 16, v17
	v_or_b32_e32 v18, v18, v49
	s_wait_alu 0xfffd
	v_cndmask_b32_e64 v3, 0, 1, vcc_lo
	v_cmp_ne_u16_e32 vcc_lo, 0, v9
	v_and_b32_e32 v15, 0x7fff, v15
	s_wait_loadcnt 0xd
	v_lshrrev_b32_e32 v51, 16, v20
	v_or_b32_e32 v17, v17, v48
	v_and_b32_e32 v18, 0x7fff, v18
	s_wait_alu 0xfffd
	v_add_co_ci_u32_e64 v2, null, v2, v4, vcc_lo
	v_cmp_ne_u16_e32 vcc_lo, 0, v12
	v_lshrrev_b32_e32 v50, 16, v19
	v_or_b32_e32 v20, v20, v51
	v_and_b32_e32 v17, 0x7fff, v17
	s_wait_loadcnt 0xb
	v_lshrrev_b32_e32 v53, 16, v22
	s_wait_alu 0xfffd
	v_cndmask_b32_e64 v4, 0, 1, vcc_lo
	v_cmp_ne_u16_e32 vcc_lo, 0, v11
	v_or_b32_e32 v19, v19, v50
	v_and_b32_e32 v20, 0x7fff, v20
	v_lshrrev_b32_e32 v52, 16, v21
	v_or_b32_e32 v22, v22, v53
	s_wait_alu 0xfffd
	v_add_co_ci_u32_e64 v2, null, v2, v3, vcc_lo
	v_cmp_ne_u16_e32 vcc_lo, 0, v14
	v_and_b32_e32 v19, 0x7fff, v19
	s_wait_loadcnt 0x9
	v_lshrrev_b32_e32 v55, 16, v24
	v_or_b32_e32 v21, v21, v52
	v_and_b32_e32 v22, 0x7fff, v22
	s_wait_alu 0xfffd
	v_cndmask_b32_e64 v3, 0, 1, vcc_lo
	v_cmp_ne_u16_e32 vcc_lo, 0, v13
	v_lshrrev_b32_e32 v54, 16, v23
	v_or_b32_e32 v24, v24, v55
	v_and_b32_e32 v21, 0x7fff, v21
	s_wait_loadcnt 0x7
	v_lshrrev_b32_e32 v57, 16, v26
	s_wait_alu 0xfffd
	v_add_co_ci_u32_e64 v2, null, v2, v4, vcc_lo
	;; [unrolled: 46-line block ×3, first 2 shown]
	v_cmp_ne_u16_e32 vcc_lo, 0, v22
	v_or_b32_e32 v31, v31, v62
	v_and_b32_e32 v32, 0x7fff, v32
	v_or_b32_e32 v1, v1, v64
	s_wait_alu 0xfffd
	v_cndmask_b32_e64 v3, 0, 1, vcc_lo
	v_cmp_ne_u16_e32 vcc_lo, 0, v21
	v_and_b32_e32 v31, 0x7fff, v31
	v_and_b32_e32 v1, 0x7fff, v1
	s_wait_alu 0xfffd
	v_add_co_ci_u32_e64 v2, null, v2, v4, vcc_lo
	v_cmp_ne_u16_e32 vcc_lo, 0, v24
	s_wait_alu 0xfffd
	v_cndmask_b32_e64 v4, 0, 1, vcc_lo
	v_cmp_ne_u16_e32 vcc_lo, 0, v23
	s_wait_alu 0xfffd
	v_add_co_ci_u32_e64 v2, null, v2, v3, vcc_lo
	v_cmp_ne_u16_e32 vcc_lo, 0, v26
	s_wait_alu 0xfffd
	v_cndmask_b32_e64 v3, 0, 1, vcc_lo
	v_cmp_ne_u16_e32 vcc_lo, 0, v25
	;; [unrolled: 6-line block ×5, first 2 shown]
	s_wait_alu 0xfffd
	v_add_co_ci_u32_e64 v2, null, v2, v3, vcc_lo
	v_cmp_ne_u16_e32 vcc_lo, 0, v1
	s_wait_alu 0xfffd
	s_delay_alu instid0(VALU_DEP_2) | instskip(NEXT) | instid1(VALU_DEP_1)
	v_add_co_ci_u32_e64 v1, null, v2, v4, vcc_lo
	v_mov_b32_dpp v2, v1 quad_perm:[1,0,3,2] row_mask:0xf bank_mask:0xf
	s_delay_alu instid0(VALU_DEP_1) | instskip(NEXT) | instid1(VALU_DEP_1)
	v_add_nc_u32_e32 v1, v1, v2
	v_mov_b32_dpp v2, v1 quad_perm:[2,3,0,1] row_mask:0xf bank_mask:0xf
	s_delay_alu instid0(VALU_DEP_1) | instskip(NEXT) | instid1(VALU_DEP_1)
	v_add_nc_u32_e32 v1, v1, v2
	v_mov_b32_dpp v2, v1 row_ror:4 row_mask:0xf bank_mask:0xf
	s_delay_alu instid0(VALU_DEP_1) | instskip(NEXT) | instid1(VALU_DEP_1)
	v_add_nc_u32_e32 v1, v1, v2
	v_mov_b32_dpp v2, v1 row_ror:8 row_mask:0xf bank_mask:0xf
	s_delay_alu instid0(VALU_DEP_1)
	v_add_nc_u32_e32 v1, v1, v2
	ds_swizzle_b32 v2, v1 offset:swizzle(BROADCAST,32,15)
	s_wait_dscnt 0x0
	v_dual_mov_b32 v2, 0 :: v_dual_add_nc_u32 v1, v1, v2
	ds_bpermute_b32 v1, v2, v1 offset:124
	v_mbcnt_lo_u32_b32 v2, -1, 0
	s_delay_alu instid0(VALU_DEP_1)
	v_cmpx_eq_u32_e32 0, v2
	s_cbranch_execz .LBB658_19
; %bb.18:
	v_lshrrev_b32_e32 v3, 3, v0
	s_delay_alu instid0(VALU_DEP_1)
	v_and_b32_e32 v3, 28, v3
	s_wait_dscnt 0x0
	ds_store_b32 v3, v1 offset:128
.LBB658_19:
	s_or_b32 exec_lo, exec_lo, s3
	s_delay_alu instid0(SALU_CYCLE_1)
	s_mov_b32 s3, exec_lo
	s_wait_dscnt 0x0
	s_barrier_signal -1
	s_barrier_wait -1
	global_inv scope:SCOPE_SE
	v_cmpx_gt_u32_e32 32, v0
	s_cbranch_execz .LBB658_21
; %bb.20:
	v_and_b32_e32 v1, 7, v2
	s_delay_alu instid0(VALU_DEP_1)
	v_lshlrev_b32_e32 v3, 2, v1
	v_cmp_ne_u32_e32 vcc_lo, 7, v1
	ds_load_b32 v3, v3 offset:128
	s_wait_alu 0xfffd
	v_add_co_ci_u32_e64 v4, null, 0, v2, vcc_lo
	v_cmp_gt_u32_e32 vcc_lo, 6, v1
	s_delay_alu instid0(VALU_DEP_2) | instskip(SKIP_2) | instid1(VALU_DEP_1)
	v_lshlrev_b32_e32 v4, 2, v4
	s_wait_alu 0xfffd
	v_cndmask_b32_e64 v1, 0, 2, vcc_lo
	v_add_lshl_u32 v1, v1, v2, 2
	v_lshlrev_b32_e32 v2, 2, v2
	s_delay_alu instid0(VALU_DEP_1)
	v_or_b32_e32 v2, 16, v2
	s_wait_dscnt 0x0
	ds_bpermute_b32 v4, v4, v3
	s_wait_dscnt 0x0
	v_add_nc_u32_e32 v3, v4, v3
	ds_bpermute_b32 v1, v1, v3
	s_wait_dscnt 0x0
	v_add_nc_u32_e32 v1, v1, v3
	;; [unrolled: 3-line block ×3, first 2 shown]
.LBB658_21:
	s_or_b32 exec_lo, exec_lo, s3
	s_mov_b32 s3, 0
	s_branch .LBB658_297
.LBB658_22:
	s_mov_b32 s6, -1
.LBB658_23:
	s_mov_b32 s2, 0
                                        ; implicit-def: $vgpr1
	s_and_b32 vcc_lo, exec_lo, s6
	s_cbranch_vccz .LBB658_11
.LBB658_24:
	s_cmp_eq_u32 s44, 64
	s_cbranch_scc0 .LBB658_33
; %bb.25:
	s_mov_b32 s35, 0
	s_lshl_b32 s4, s34, 14
	s_mov_b32 s5, s35
	s_lshr_b64 s[2:3], s[36:37], 14
	s_wait_alu 0xfffe
	s_lshl_b64 s[6:7], s[4:5], 2
	s_cmp_lg_u64 s[2:3], s[34:35]
	s_add_nc_u64 s[2:3], s[40:41], s[6:7]
	s_cbranch_scc0 .LBB658_376
; %bb.26:
	v_lshlrev_b32_e32 v1, 2, v0
	s_mov_b32 s5, exec_lo
	s_clause 0x1f
	global_load_b32 v2, v1, s[2:3]
	global_load_b32 v3, v1, s[2:3] offset:1024
	global_load_b32 v4, v1, s[2:3] offset:2048
	;; [unrolled: 1-line block ×31, first 2 shown]
	s_clause 0x1f
	global_load_b32 v34, v1, s[2:3] offset:32768
	global_load_b32 v35, v1, s[2:3] offset:33792
	;; [unrolled: 1-line block ×32, first 2 shown]
	s_wait_loadcnt 0x3e
	v_lshrrev_b32_e32 v65, 16, v2
	v_lshrrev_b32_e32 v66, 16, v3
	s_wait_loadcnt 0x3d
	v_lshrrev_b32_e32 v67, 16, v4
	s_wait_loadcnt 0x3c
	;; [unrolled: 2-line block ×3, first 2 shown]
	v_lshrrev_b32_e32 v69, 16, v6
	v_or_b32_e32 v2, v2, v65
	v_or_b32_e32 v3, v3, v66
	;; [unrolled: 1-line block ×3, first 2 shown]
	s_wait_loadcnt 0x39
	v_lshrrev_b32_e32 v71, 16, v8
	v_or_b32_e32 v6, v6, v69
	v_and_b32_e32 v2, 0x7fff, v2
	v_and_b32_e32 v3, 0x7fff, v3
	;; [unrolled: 1-line block ×3, first 2 shown]
	v_or_b32_e32 v5, v5, v68
	v_and_b32_e32 v6, 0x7fff, v6
	v_cmp_ne_u16_e32 vcc_lo, 0, v2
	v_lshrrev_b32_e32 v70, 16, v7
	v_or_b32_e32 v8, v8, v71
	v_and_b32_e32 v5, 0x7fff, v5
	s_wait_loadcnt 0x37
	v_lshrrev_b32_e32 v73, 16, v10
	s_wait_alu 0xfffd
	v_cndmask_b32_e64 v2, 0, 1, vcc_lo
	v_cmp_ne_u16_e32 vcc_lo, 0, v4
	v_or_b32_e32 v7, v7, v70
	v_and_b32_e32 v8, 0x7fff, v8
	v_lshrrev_b32_e32 v72, 16, v9
	v_or_b32_e32 v10, v10, v73
	s_wait_alu 0xfffd
	v_cndmask_b32_e64 v4, 0, 1, vcc_lo
	v_cmp_ne_u16_e32 vcc_lo, 0, v3
	v_and_b32_e32 v7, 0x7fff, v7
	s_wait_loadcnt 0x35
	v_lshrrev_b32_e32 v75, 16, v12
	v_or_b32_e32 v9, v9, v72
	v_and_b32_e32 v10, 0x7fff, v10
	s_wait_alu 0xfffd
	v_add_co_ci_u32_e64 v2, null, 0, v2, vcc_lo
	v_cmp_ne_u16_e32 vcc_lo, 0, v6
	v_lshrrev_b32_e32 v74, 16, v11
	v_or_b32_e32 v12, v12, v75
	v_and_b32_e32 v9, 0x7fff, v9
	s_wait_loadcnt 0x33
	v_lshrrev_b32_e32 v77, 16, v14
	s_wait_alu 0xfffd
	v_cndmask_b32_e64 v3, 0, 1, vcc_lo
	v_cmp_ne_u16_e32 vcc_lo, 0, v5
	v_or_b32_e32 v11, v11, v74
	v_and_b32_e32 v12, 0x7fff, v12
	v_lshrrev_b32_e32 v76, 16, v13
	v_or_b32_e32 v14, v14, v77
	s_wait_alu 0xfffd
	v_add_co_ci_u32_e64 v2, null, v2, v4, vcc_lo
	v_cmp_ne_u16_e32 vcc_lo, 0, v8
	v_and_b32_e32 v11, 0x7fff, v11
	s_wait_loadcnt 0x31
	v_lshrrev_b32_e32 v79, 16, v16
	v_or_b32_e32 v13, v13, v76
	v_and_b32_e32 v14, 0x7fff, v14
	s_wait_alu 0xfffd
	v_cndmask_b32_e64 v4, 0, 1, vcc_lo
	v_cmp_ne_u16_e32 vcc_lo, 0, v7
	v_lshrrev_b32_e32 v78, 16, v15
	v_or_b32_e32 v16, v16, v79
	v_and_b32_e32 v13, 0x7fff, v13
	s_wait_loadcnt 0x2f
	v_lshrrev_b32_e32 v81, 16, v18
	s_wait_alu 0xfffd
	v_add_co_ci_u32_e64 v2, null, v2, v3, vcc_lo
	v_cmp_ne_u16_e32 vcc_lo, 0, v10
	v_or_b32_e32 v15, v15, v78
	v_and_b32_e32 v16, 0x7fff, v16
	v_lshrrev_b32_e32 v80, 16, v17
	v_or_b32_e32 v18, v18, v81
	s_wait_alu 0xfffd
	v_cndmask_b32_e64 v3, 0, 1, vcc_lo
	v_cmp_ne_u16_e32 vcc_lo, 0, v9
	v_and_b32_e32 v15, 0x7fff, v15
	s_wait_loadcnt 0x2d
	v_lshrrev_b32_e32 v83, 16, v20
	v_or_b32_e32 v17, v17, v80
	v_and_b32_e32 v18, 0x7fff, v18
	s_wait_alu 0xfffd
	v_add_co_ci_u32_e64 v2, null, v2, v4, vcc_lo
	v_cmp_ne_u16_e32 vcc_lo, 0, v12
	v_lshrrev_b32_e32 v82, 16, v19
	v_or_b32_e32 v20, v20, v83
	v_and_b32_e32 v17, 0x7fff, v17
	s_wait_loadcnt 0x2b
	v_lshrrev_b32_e32 v85, 16, v22
	s_wait_alu 0xfffd
	v_cndmask_b32_e64 v4, 0, 1, vcc_lo
	v_cmp_ne_u16_e32 vcc_lo, 0, v11
	v_or_b32_e32 v19, v19, v82
	v_and_b32_e32 v20, 0x7fff, v20
	v_lshrrev_b32_e32 v84, 16, v21
	v_or_b32_e32 v22, v22, v85
	s_wait_alu 0xfffd
	v_add_co_ci_u32_e64 v2, null, v2, v3, vcc_lo
	v_cmp_ne_u16_e32 vcc_lo, 0, v14
	v_and_b32_e32 v19, 0x7fff, v19
	s_wait_loadcnt 0x29
	v_lshrrev_b32_e32 v87, 16, v24
	v_or_b32_e32 v21, v21, v84
	v_and_b32_e32 v22, 0x7fff, v22
	s_wait_alu 0xfffd
	v_cndmask_b32_e64 v3, 0, 1, vcc_lo
	v_cmp_ne_u16_e32 vcc_lo, 0, v13
	v_lshrrev_b32_e32 v86, 16, v23
	v_or_b32_e32 v24, v24, v87
	v_and_b32_e32 v21, 0x7fff, v21
	s_wait_loadcnt 0x27
	v_lshrrev_b32_e32 v89, 16, v26
	s_wait_alu 0xfffd
	v_add_co_ci_u32_e64 v2, null, v2, v4, vcc_lo
	;; [unrolled: 46-line block ×7, first 2 shown]
	v_cmp_ne_u16_e32 vcc_lo, 0, v46
	v_or_b32_e32 v63, v63, v126
	v_and_b32_e32 v64, 0x7fff, v64
	v_or_b32_e32 v1, v1, v128
	s_wait_alu 0xfffd
	v_cndmask_b32_e64 v3, 0, 1, vcc_lo
	v_cmp_ne_u16_e32 vcc_lo, 0, v45
	v_and_b32_e32 v63, 0x7fff, v63
	v_and_b32_e32 v1, 0x7fff, v1
	s_wait_alu 0xfffd
	v_add_co_ci_u32_e64 v2, null, v2, v4, vcc_lo
	v_cmp_ne_u16_e32 vcc_lo, 0, v48
	s_wait_alu 0xfffd
	v_cndmask_b32_e64 v4, 0, 1, vcc_lo
	v_cmp_ne_u16_e32 vcc_lo, 0, v47
	s_wait_alu 0xfffd
	v_add_co_ci_u32_e64 v2, null, v2, v3, vcc_lo
	v_cmp_ne_u16_e32 vcc_lo, 0, v50
	s_wait_alu 0xfffd
	v_cndmask_b32_e64 v3, 0, 1, vcc_lo
	v_cmp_ne_u16_e32 vcc_lo, 0, v49
	;; [unrolled: 6-line block ×9, first 2 shown]
	s_wait_alu 0xfffd
	v_add_co_ci_u32_e64 v2, null, v2, v3, vcc_lo
	v_cmp_ne_u16_e32 vcc_lo, 0, v1
	s_wait_alu 0xfffd
	s_delay_alu instid0(VALU_DEP_2) | instskip(NEXT) | instid1(VALU_DEP_1)
	v_add_co_ci_u32_e64 v1, null, v2, v4, vcc_lo
	v_mov_b32_dpp v2, v1 quad_perm:[1,0,3,2] row_mask:0xf bank_mask:0xf
	s_delay_alu instid0(VALU_DEP_1) | instskip(NEXT) | instid1(VALU_DEP_1)
	v_add_nc_u32_e32 v1, v1, v2
	v_mov_b32_dpp v2, v1 quad_perm:[2,3,0,1] row_mask:0xf bank_mask:0xf
	s_delay_alu instid0(VALU_DEP_1) | instskip(NEXT) | instid1(VALU_DEP_1)
	v_add_nc_u32_e32 v1, v1, v2
	v_mov_b32_dpp v2, v1 row_ror:4 row_mask:0xf bank_mask:0xf
	s_delay_alu instid0(VALU_DEP_1) | instskip(NEXT) | instid1(VALU_DEP_1)
	v_add_nc_u32_e32 v1, v1, v2
	v_mov_b32_dpp v2, v1 row_ror:8 row_mask:0xf bank_mask:0xf
	s_delay_alu instid0(VALU_DEP_1)
	v_add_nc_u32_e32 v1, v1, v2
	ds_swizzle_b32 v2, v1 offset:swizzle(BROADCAST,32,15)
	s_wait_dscnt 0x0
	v_dual_mov_b32 v2, 0 :: v_dual_add_nc_u32 v1, v1, v2
	ds_bpermute_b32 v1, v2, v1 offset:124
	v_mbcnt_lo_u32_b32 v2, -1, 0
	s_delay_alu instid0(VALU_DEP_1)
	v_cmpx_eq_u32_e32 0, v2
	s_cbranch_execz .LBB658_28
; %bb.27:
	v_lshrrev_b32_e32 v3, 3, v0
	s_delay_alu instid0(VALU_DEP_1)
	v_and_b32_e32 v3, 28, v3
	s_wait_dscnt 0x0
	ds_store_b32 v3, v1 offset:192
.LBB658_28:
	s_wait_alu 0xfffe
	s_or_b32 exec_lo, exec_lo, s5
	s_delay_alu instid0(SALU_CYCLE_1)
	s_mov_b32 s5, exec_lo
	s_wait_dscnt 0x0
	s_barrier_signal -1
	s_barrier_wait -1
	global_inv scope:SCOPE_SE
	v_cmpx_gt_u32_e32 32, v0
	s_cbranch_execz .LBB658_30
; %bb.29:
	v_and_b32_e32 v1, 7, v2
	s_delay_alu instid0(VALU_DEP_1)
	v_lshlrev_b32_e32 v3, 2, v1
	v_cmp_ne_u32_e32 vcc_lo, 7, v1
	ds_load_b32 v3, v3 offset:192
	s_wait_alu 0xfffd
	v_add_co_ci_u32_e64 v4, null, 0, v2, vcc_lo
	v_cmp_gt_u32_e32 vcc_lo, 6, v1
	s_delay_alu instid0(VALU_DEP_2) | instskip(SKIP_2) | instid1(VALU_DEP_1)
	v_lshlrev_b32_e32 v4, 2, v4
	s_wait_alu 0xfffd
	v_cndmask_b32_e64 v1, 0, 2, vcc_lo
	v_add_lshl_u32 v1, v1, v2, 2
	v_lshlrev_b32_e32 v2, 2, v2
	s_delay_alu instid0(VALU_DEP_1)
	v_or_b32_e32 v2, 16, v2
	s_wait_dscnt 0x0
	ds_bpermute_b32 v4, v4, v3
	s_wait_dscnt 0x0
	v_add_nc_u32_e32 v3, v4, v3
	ds_bpermute_b32 v1, v1, v3
	s_wait_dscnt 0x0
	v_add_nc_u32_e32 v1, v1, v3
	;; [unrolled: 3-line block ×3, first 2 shown]
.LBB658_30:
	s_wait_alu 0xfffe
	s_or_b32 exec_lo, exec_lo, s5
	s_mov_b32 s5, 0
	s_branch .LBB658_377
.LBB658_31:
                                        ; implicit-def: $vgpr1
	s_cbranch_execz .LBB658_512
	s_branch .LBB658_368
.LBB658_32:
                                        ; implicit-def: $vgpr1
	s_branch .LBB658_512
.LBB658_33:
                                        ; implicit-def: $vgpr1
	s_branch .LBB658_512
.LBB658_34:
                                        ; implicit-def: $vgpr1
	s_cbranch_execz .LBB658_10
; %bb.35:
	s_sub_co_i32 s4, s36, s4
	s_mov_b32 s5, exec_lo
                                        ; implicit-def: $vgpr1
	v_cmpx_gt_u32_e64 s4, v0
	s_cbranch_execz .LBB658_37
; %bb.36:
	v_lshlrev_b32_e32 v1, 2, v0
	global_load_b32 v1, v1, s[2:3]
	s_wait_loadcnt 0x0
	v_lshrrev_b32_e32 v2, 16, v1
	s_delay_alu instid0(VALU_DEP_1) | instskip(NEXT) | instid1(VALU_DEP_1)
	v_or_b32_e32 v1, v1, v2
	v_and_b32_e32 v1, 0x7fff, v1
	s_delay_alu instid0(VALU_DEP_1)
	v_cmp_ne_u16_e32 vcc_lo, 0, v1
	v_cndmask_b32_e64 v1, 0, 1, vcc_lo
.LBB658_37:
	s_or_b32 exec_lo, exec_lo, s5
	v_or_b32_e32 v3, 0x100, v0
	v_mov_b32_e32 v2, 0
	s_delay_alu instid0(VALU_DEP_2)
	v_cmp_gt_u32_e32 vcc_lo, s4, v3
	v_mov_b32_e32 v3, 0
	s_and_saveexec_b32 s5, vcc_lo
	s_cbranch_execz .LBB658_39
; %bb.38:
	v_lshlrev_b32_e32 v3, 2, v0
	global_load_b32 v3, v3, s[2:3] offset:1024
	s_wait_loadcnt 0x0
	v_lshrrev_b32_e32 v4, 16, v3
	s_delay_alu instid0(VALU_DEP_1) | instskip(NEXT) | instid1(VALU_DEP_1)
	v_or_b32_e32 v3, v3, v4
	v_and_b32_e32 v3, 0x7fff, v3
	s_delay_alu instid0(VALU_DEP_1)
	v_cmp_ne_u16_e32 vcc_lo, 0, v3
	s_wait_alu 0xfffd
	v_cndmask_b32_e64 v3, 0, 1, vcc_lo
.LBB658_39:
	s_wait_alu 0xfffe
	s_or_b32 exec_lo, exec_lo, s5
	v_or_b32_e32 v4, 0x200, v0
	s_mov_b32 s5, exec_lo
	s_delay_alu instid0(VALU_DEP_1)
	v_cmpx_gt_u32_e64 s4, v4
	s_cbranch_execz .LBB658_41
; %bb.40:
	v_lshlrev_b32_e32 v2, 2, v0
	global_load_b32 v2, v2, s[2:3] offset:2048
	s_wait_loadcnt 0x0
	v_lshrrev_b32_e32 v4, 16, v2
	s_delay_alu instid0(VALU_DEP_1) | instskip(NEXT) | instid1(VALU_DEP_1)
	v_or_b32_e32 v2, v2, v4
	v_and_b32_e32 v2, 0x7fff, v2
	s_delay_alu instid0(VALU_DEP_1)
	v_cmp_ne_u16_e32 vcc_lo, 0, v2
	s_wait_alu 0xfffd
	v_cndmask_b32_e64 v2, 0, 1, vcc_lo
.LBB658_41:
	s_wait_alu 0xfffe
	s_or_b32 exec_lo, exec_lo, s5
	v_or_b32_e32 v5, 0x300, v0
	v_mov_b32_e32 v4, 0
	s_delay_alu instid0(VALU_DEP_2)
	v_cmp_gt_u32_e32 vcc_lo, s4, v5
	v_mov_b32_e32 v5, 0
	s_and_saveexec_b32 s5, vcc_lo
	s_cbranch_execz .LBB658_43
; %bb.42:
	v_lshlrev_b32_e32 v5, 2, v0
	global_load_b32 v5, v5, s[2:3] offset:3072
	s_wait_loadcnt 0x0
	v_lshrrev_b32_e32 v6, 16, v5
	s_delay_alu instid0(VALU_DEP_1) | instskip(NEXT) | instid1(VALU_DEP_1)
	v_or_b32_e32 v5, v5, v6
	v_and_b32_e32 v5, 0x7fff, v5
	s_delay_alu instid0(VALU_DEP_1)
	v_cmp_ne_u16_e32 vcc_lo, 0, v5
	s_wait_alu 0xfffd
	v_cndmask_b32_e64 v5, 0, 1, vcc_lo
.LBB658_43:
	s_wait_alu 0xfffe
	s_or_b32 exec_lo, exec_lo, s5
	v_or_b32_e32 v6, 0x400, v0
	s_mov_b32 s5, exec_lo
	s_delay_alu instid0(VALU_DEP_1)
	v_cmpx_gt_u32_e64 s4, v6
	s_cbranch_execz .LBB658_45
; %bb.44:
	v_lshlrev_b32_e32 v4, 2, v0
	global_load_b32 v4, v4, s[2:3] offset:4096
	s_wait_loadcnt 0x0
	v_lshrrev_b32_e32 v6, 16, v4
	s_delay_alu instid0(VALU_DEP_1) | instskip(NEXT) | instid1(VALU_DEP_1)
	v_or_b32_e32 v4, v4, v6
	v_and_b32_e32 v4, 0x7fff, v4
	s_delay_alu instid0(VALU_DEP_1)
	v_cmp_ne_u16_e32 vcc_lo, 0, v4
	s_wait_alu 0xfffd
	v_cndmask_b32_e64 v4, 0, 1, vcc_lo
.LBB658_45:
	s_wait_alu 0xfffe
	;; [unrolled: 42-line block ×63, first 2 shown]
	s_or_b32 exec_lo, exec_lo, s5
	v_or_b32_e32 v128, 0x7f00, v0
	s_delay_alu instid0(VALU_DEP_1)
	v_cmp_gt_u32_e32 vcc_lo, s4, v128
	v_mov_b32_e32 v128, 0
	s_and_saveexec_b32 s5, vcc_lo
	s_cbranch_execz .LBB658_291
; %bb.290:
	v_lshlrev_b32_e32 v128, 2, v0
	global_load_b32 v128, v128, s[2:3] offset:130048
	s_wait_loadcnt 0x0
	v_lshrrev_b32_e32 v129, 16, v128
	s_delay_alu instid0(VALU_DEP_1) | instskip(NEXT) | instid1(VALU_DEP_1)
	v_or_b32_e32 v128, v128, v129
	v_and_b32_e32 v128, 0x7fff, v128
	s_delay_alu instid0(VALU_DEP_1) | instskip(SKIP_1) | instid1(VALU_DEP_1)
	v_cmp_ne_u16_e64 vcc_lo, 0, v128
	s_wait_alu 0xfffd
	v_cndmask_b32_e64 v128, 0, 1, vcc_lo
.LBB658_291:
	s_wait_alu 0xfffe
	s_or_b32 exec_lo, exec_lo, s5
	v_add_nc_u32_e32 v1, v3, v1
	s_min_u32 s2, s4, 0x100
	s_mov_b32 s3, exec_lo
	s_delay_alu instid0(VALU_DEP_1) | instskip(SKIP_1) | instid1(VALU_DEP_2)
	v_add3_u32 v1, v1, v2, v5
	v_mbcnt_lo_u32_b32 v2, -1, 0
	v_add3_u32 v1, v1, v4, v7
	s_delay_alu instid0(VALU_DEP_2) | instskip(SKIP_1) | instid1(VALU_DEP_3)
	v_cmp_ne_u32_e32 vcc_lo, 31, v2
	v_add_nc_u32_e32 v5, 1, v2
	v_add3_u32 v1, v1, v6, v9
	s_wait_alu 0xfffd
	v_add_co_ci_u32_e64 v3, null, 0, v2, vcc_lo
	v_cmp_gt_u32_e32 vcc_lo, 30, v2
	s_delay_alu instid0(VALU_DEP_3) | instskip(NEXT) | instid1(VALU_DEP_3)
	v_add3_u32 v1, v1, v8, v11
	v_lshlrev_b32_e32 v3, 2, v3
	s_wait_alu 0xfffd
	v_cndmask_b32_e64 v6, 0, 2, vcc_lo
	s_delay_alu instid0(VALU_DEP_3) | instskip(NEXT) | instid1(VALU_DEP_1)
	v_add3_u32 v1, v1, v10, v13
	v_add3_u32 v1, v1, v12, v15
	s_delay_alu instid0(VALU_DEP_1) | instskip(NEXT) | instid1(VALU_DEP_1)
	v_add3_u32 v1, v1, v14, v17
	v_add3_u32 v1, v1, v16, v19
	s_delay_alu instid0(VALU_DEP_1) | instskip(NEXT) | instid1(VALU_DEP_1)
	;; [unrolled: 3-line block ×28, first 2 shown]
	v_add3_u32 v1, v1, v122, v125
	v_add3_u32 v1, v1, v124, v127
	s_delay_alu instid0(VALU_DEP_1) | instskip(SKIP_2) | instid1(VALU_DEP_1)
	v_add3_u32 v1, v1, v126, v128
	ds_bpermute_b32 v3, v3, v1
	v_and_b32_e32 v4, 0xe0, v0
	v_sub_nc_u32_e64 v4, s2, v4 clamp
	s_delay_alu instid0(VALU_DEP_1)
	v_cmp_lt_u32_e32 vcc_lo, v5, v4
	v_add_lshl_u32 v5, v6, v2, 2
	s_wait_dscnt 0x0
	s_wait_alu 0xfffd
	v_cndmask_b32_e32 v3, 0, v3, vcc_lo
	v_cmp_gt_u32_e32 vcc_lo, 28, v2
	s_delay_alu instid0(VALU_DEP_2) | instskip(SKIP_4) | instid1(VALU_DEP_1)
	v_add_nc_u32_e32 v1, v3, v1
	s_wait_alu 0xfffd
	v_cndmask_b32_e64 v6, 0, 4, vcc_lo
	ds_bpermute_b32 v3, v5, v1
	v_add_nc_u32_e32 v5, 2, v2
	v_cmp_lt_u32_e32 vcc_lo, v5, v4
	v_add_lshl_u32 v5, v6, v2, 2
	s_wait_dscnt 0x0
	s_wait_alu 0xfffd
	v_cndmask_b32_e32 v3, 0, v3, vcc_lo
	v_cmp_gt_u32_e32 vcc_lo, 24, v2
	s_delay_alu instid0(VALU_DEP_2) | instskip(SKIP_4) | instid1(VALU_DEP_1)
	v_add_nc_u32_e32 v1, v1, v3
	s_wait_alu 0xfffd
	v_cndmask_b32_e64 v6, 0, 8, vcc_lo
	ds_bpermute_b32 v3, v5, v1
	v_add_nc_u32_e32 v5, 4, v2
	v_cmp_lt_u32_e32 vcc_lo, v5, v4
	v_add_lshl_u32 v5, v6, v2, 2
	s_wait_dscnt 0x0
	s_wait_alu 0xfffd
	v_dual_cndmask_b32 v3, 0, v3 :: v_dual_add_nc_u32 v6, 8, v2
	s_delay_alu instid0(VALU_DEP_1) | instskip(NEXT) | instid1(VALU_DEP_2)
	v_cmp_lt_u32_e32 vcc_lo, v6, v4
	v_add_nc_u32_e32 v1, v1, v3
	v_lshlrev_b32_e32 v3, 2, v2
	ds_bpermute_b32 v5, v5, v1
	v_or_b32_e32 v6, 64, v3
	s_wait_dscnt 0x0
	s_wait_alu 0xfffd
	v_cndmask_b32_e32 v5, 0, v5, vcc_lo
	s_delay_alu instid0(VALU_DEP_1) | instskip(SKIP_2) | instid1(VALU_DEP_1)
	v_add_nc_u32_e32 v1, v1, v5
	ds_bpermute_b32 v5, v6, v1
	v_add_nc_u32_e32 v6, 16, v2
	v_cmp_lt_u32_e32 vcc_lo, v6, v4
	s_wait_dscnt 0x0
	s_wait_alu 0xfffd
	v_cndmask_b32_e32 v4, 0, v5, vcc_lo
	s_delay_alu instid0(VALU_DEP_1)
	v_add_nc_u32_e32 v1, v1, v4
	v_cmpx_eq_u32_e32 0, v2
; %bb.292:
	v_lshrrev_b32_e32 v4, 3, v0
	s_delay_alu instid0(VALU_DEP_1)
	v_and_b32_e32 v4, 28, v4
	ds_store_b32 v4, v1 offset:256
; %bb.293:
	s_or_b32 exec_lo, exec_lo, s3
	s_delay_alu instid0(SALU_CYCLE_1)
	s_mov_b32 s3, exec_lo
	s_wait_loadcnt_dscnt 0x0
	s_barrier_signal -1
	s_barrier_wait -1
	global_inv scope:SCOPE_SE
	v_cmpx_gt_u32_e32 8, v0
	s_cbranch_execz .LBB658_295
; %bb.294:
	ds_load_b32 v1, v3 offset:256
	v_and_b32_e32 v4, 7, v2
	s_add_co_i32 s2, s2, 31
	s_wait_alu 0xfffe
	s_lshr_b32 s2, s2, 5
	s_delay_alu instid0(VALU_DEP_1) | instskip(SKIP_4) | instid1(VALU_DEP_2)
	v_cmp_ne_u32_e32 vcc_lo, 7, v4
	v_add_nc_u32_e32 v6, 1, v4
	s_wait_alu 0xfffd
	v_add_co_ci_u32_e64 v5, null, 0, v2, vcc_lo
	v_cmp_gt_u32_e32 vcc_lo, 6, v4
	v_lshlrev_b32_e32 v5, 2, v5
	s_wait_alu 0xfffd
	v_cndmask_b32_e64 v7, 0, 2, vcc_lo
	s_wait_alu 0xfffe
	v_cmp_gt_u32_e32 vcc_lo, s2, v6
	s_wait_dscnt 0x0
	ds_bpermute_b32 v5, v5, v1
	v_add_lshl_u32 v2, v7, v2, 2
	s_wait_dscnt 0x0
	s_wait_alu 0xfffd
	v_cndmask_b32_e32 v5, 0, v5, vcc_lo
	s_delay_alu instid0(VALU_DEP_1)
	v_add_nc_u32_e32 v1, v5, v1
	v_add_nc_u32_e32 v5, 2, v4
	ds_bpermute_b32 v2, v2, v1
	v_cmp_gt_u32_e32 vcc_lo, s2, v5
	s_wait_dscnt 0x0
	s_wait_alu 0xfffd
	v_cndmask_b32_e32 v2, 0, v2, vcc_lo
	s_delay_alu instid0(VALU_DEP_1)
	v_add_nc_u32_e32 v1, v1, v2
	v_or_b32_e32 v2, 16, v3
	v_add_nc_u32_e32 v3, 4, v4
	ds_bpermute_b32 v2, v2, v1
	v_cmp_gt_u32_e32 vcc_lo, s2, v3
	s_wait_dscnt 0x0
	s_wait_alu 0xfffd
	v_cndmask_b32_e32 v2, 0, v2, vcc_lo
	s_delay_alu instid0(VALU_DEP_1)
	v_add_nc_u32_e32 v1, v1, v2
.LBB658_295:
	s_wait_alu 0xfffe
	s_or_b32 exec_lo, exec_lo, s3
	v_cmp_eq_u32_e64 s2, 0, v0
	s_and_b32 vcc_lo, exec_lo, s6
	s_wait_alu 0xfffe
	s_cbranch_vccnz .LBB658_24
	s_branch .LBB658_11
.LBB658_296:
	s_mov_b32 s3, -1
                                        ; implicit-def: $vgpr1
.LBB658_297:
	s_delay_alu instid0(SALU_CYCLE_1)
	s_and_b32 vcc_lo, exec_lo, s3
	s_wait_alu 0xfffe
	s_cbranch_vccz .LBB658_367
; %bb.298:
	v_mov_b32_e32 v1, 0
	s_sub_co_i32 s45, s36, s2
	s_delay_alu instid0(SALU_CYCLE_1) | instskip(NEXT) | instid1(VALU_DEP_2)
	v_cmp_gt_u32_e32 vcc_lo, s45, v0
	v_dual_mov_b32 v2, v1 :: v_dual_mov_b32 v3, v1
	v_dual_mov_b32 v4, v1 :: v_dual_mov_b32 v5, v1
	;; [unrolled: 1-line block ×15, first 2 shown]
	v_mov_b32_e32 v32, v1
	s_and_saveexec_b32 s2, vcc_lo
	s_cbranch_execz .LBB658_300
; %bb.299:
	v_dual_mov_b32 v3, v1 :: v_dual_lshlrev_b32 v2, 2, v0
	v_dual_mov_b32 v30, v1 :: v_dual_mov_b32 v33, v1
	v_dual_mov_b32 v4, v1 :: v_dual_mov_b32 v5, v1
	global_load_b32 v2, v2, s[42:43]
	v_dual_mov_b32 v6, v1 :: v_dual_mov_b32 v7, v1
	v_dual_mov_b32 v8, v1 :: v_dual_mov_b32 v9, v1
	;; [unrolled: 1-line block ×9, first 2 shown]
	v_mov_b32_e32 v24, v1
	v_dual_mov_b32 v26, v1 :: v_dual_mov_b32 v27, v1
	v_dual_mov_b32 v28, v1 :: v_dual_mov_b32 v29, v1
	;; [unrolled: 1-line block ×3, first 2 shown]
	s_wait_loadcnt 0x0
	v_lshrrev_b32_e32 v25, 16, v2
	s_delay_alu instid0(VALU_DEP_1) | instskip(NEXT) | instid1(VALU_DEP_1)
	v_or_b32_e32 v2, v2, v25
	v_dual_mov_b32 v25, v1 :: v_dual_and_b32 v2, 0x7fff, v2
	s_delay_alu instid0(VALU_DEP_1) | instskip(SKIP_2) | instid1(VALU_DEP_1)
	v_cmp_ne_u16_e32 vcc_lo, 0, v2
	s_wait_alu 0xfffd
	v_cndmask_b32_e64 v2, 0, 1, vcc_lo
	v_mov_b32_e32 v1, v2
	v_mov_b32_e32 v2, v3
	v_mov_b32_e32 v3, v4
	v_mov_b32_e32 v4, v5
	v_mov_b32_e32 v5, v6
	v_mov_b32_e32 v6, v7
	v_mov_b32_e32 v7, v8
	v_mov_b32_e32 v8, v9
	v_mov_b32_e32 v9, v10
	v_mov_b32_e32 v10, v11
	v_mov_b32_e32 v11, v12
	v_mov_b32_e32 v12, v13
	v_mov_b32_e32 v13, v14
	v_mov_b32_e32 v14, v15
	v_mov_b32_e32 v15, v16
	v_mov_b32_e32 v16, v17
	v_mov_b32_e32 v17, v18
	v_mov_b32_e32 v18, v19
	v_mov_b32_e32 v19, v20
	v_mov_b32_e32 v20, v21
	v_mov_b32_e32 v21, v22
	v_mov_b32_e32 v22, v23
	v_mov_b32_e32 v23, v24
	v_mov_b32_e32 v24, v25
	v_mov_b32_e32 v25, v26
	v_mov_b32_e32 v26, v27
	v_mov_b32_e32 v27, v28
	v_mov_b32_e32 v28, v29
	v_mov_b32_e32 v29, v30
	v_mov_b32_e32 v30, v31
	v_mov_b32_e32 v31, v32
	v_mov_b32_e32 v32, v33
.LBB658_300:
	s_or_b32 exec_lo, exec_lo, s2
	v_or_b32_e32 v33, 0x100, v0
	s_delay_alu instid0(VALU_DEP_1)
	v_cmp_gt_u32_e32 vcc_lo, s45, v33
	s_and_saveexec_b32 s3, vcc_lo
	s_cbranch_execz .LBB658_302
; %bb.301:
	v_lshlrev_b32_e32 v2, 2, v0
	global_load_b32 v2, v2, s[42:43] offset:1024
	s_wait_loadcnt 0x0
	v_lshrrev_b32_e32 v33, 16, v2
	s_delay_alu instid0(VALU_DEP_1) | instskip(NEXT) | instid1(VALU_DEP_1)
	v_or_b32_e32 v2, v2, v33
	v_and_b32_e32 v2, 0x7fff, v2
	s_delay_alu instid0(VALU_DEP_1) | instskip(NEXT) | instid1(VALU_DEP_1)
	v_cmp_ne_u16_e64 s2, 0, v2
	v_cndmask_b32_e64 v2, 0, 1, s2
.LBB658_302:
	s_or_b32 exec_lo, exec_lo, s3
	v_or_b32_e32 v33, 0x200, v0
	s_delay_alu instid0(VALU_DEP_1)
	v_cmp_gt_u32_e64 s2, s45, v33
	s_and_saveexec_b32 s4, s2
	s_cbranch_execz .LBB658_304
; %bb.303:
	v_lshlrev_b32_e32 v3, 2, v0
	global_load_b32 v3, v3, s[42:43] offset:2048
	s_wait_loadcnt 0x0
	v_lshrrev_b32_e32 v33, 16, v3
	s_delay_alu instid0(VALU_DEP_1) | instskip(NEXT) | instid1(VALU_DEP_1)
	v_or_b32_e32 v3, v3, v33
	v_and_b32_e32 v3, 0x7fff, v3
	s_delay_alu instid0(VALU_DEP_1) | instskip(SKIP_1) | instid1(VALU_DEP_1)
	v_cmp_ne_u16_e64 s3, 0, v3
	s_wait_alu 0xf1ff
	v_cndmask_b32_e64 v3, 0, 1, s3
.LBB658_304:
	s_or_b32 exec_lo, exec_lo, s4
	v_or_b32_e32 v33, 0x300, v0
	s_delay_alu instid0(VALU_DEP_1)
	v_cmp_gt_u32_e64 s3, s45, v33
	s_and_saveexec_b32 s5, s3
	s_cbranch_execz .LBB658_306
; %bb.305:
	v_lshlrev_b32_e32 v4, 2, v0
	global_load_b32 v4, v4, s[42:43] offset:3072
	s_wait_loadcnt 0x0
	v_lshrrev_b32_e32 v33, 16, v4
	s_delay_alu instid0(VALU_DEP_1) | instskip(NEXT) | instid1(VALU_DEP_1)
	v_or_b32_e32 v4, v4, v33
	v_and_b32_e32 v4, 0x7fff, v4
	s_delay_alu instid0(VALU_DEP_1) | instskip(NEXT) | instid1(VALU_DEP_1)
	v_cmp_ne_u16_e64 s4, 0, v4
	v_cndmask_b32_e64 v4, 0, 1, s4
.LBB658_306:
	s_or_b32 exec_lo, exec_lo, s5
	v_or_b32_e32 v33, 0x400, v0
	s_delay_alu instid0(VALU_DEP_1)
	v_cmp_gt_u32_e64 s4, s45, v33
	s_and_saveexec_b32 s6, s4
	s_cbranch_execz .LBB658_308
; %bb.307:
	v_lshlrev_b32_e32 v5, 2, v0
	global_load_b32 v5, v5, s[42:43] offset:4096
	s_wait_loadcnt 0x0
	v_lshrrev_b32_e32 v33, 16, v5
	s_delay_alu instid0(VALU_DEP_1) | instskip(NEXT) | instid1(VALU_DEP_1)
	v_or_b32_e32 v5, v5, v33
	v_and_b32_e32 v5, 0x7fff, v5
	s_delay_alu instid0(VALU_DEP_1) | instskip(SKIP_1) | instid1(VALU_DEP_1)
	v_cmp_ne_u16_e64 s5, 0, v5
	s_wait_alu 0xf1ff
	v_cndmask_b32_e64 v5, 0, 1, s5
.LBB658_308:
	s_or_b32 exec_lo, exec_lo, s6
	v_or_b32_e32 v33, 0x500, v0
	s_delay_alu instid0(VALU_DEP_1)
	v_cmp_gt_u32_e64 s5, s45, v33
	s_and_saveexec_b32 s7, s5
	;; [unrolled: 37-line block ×15, first 2 shown]
	s_cbranch_execz .LBB658_362
; %bb.361:
	v_lshlrev_b32_e32 v32, 2, v0
	global_load_b32 v32, v32, s[42:43] offset:31744
	s_wait_loadcnt 0x0
	v_lshrrev_b32_e32 v33, 16, v32
	s_delay_alu instid0(VALU_DEP_1) | instskip(NEXT) | instid1(VALU_DEP_1)
	v_or_b32_e32 v32, v32, v33
	v_and_b32_e32 v32, 0x7fff, v32
	s_delay_alu instid0(VALU_DEP_1) | instskip(NEXT) | instid1(VALU_DEP_1)
	v_cmp_ne_u16_e64 s33, 0, v32
	v_cndmask_b32_e64 v32, 0, 1, s33
.LBB658_362:
	s_or_b32 exec_lo, exec_lo, s46
	v_cndmask_b32_e32 v2, 0, v2, vcc_lo
	v_cndmask_b32_e64 v3, 0, v3, s2
	v_cndmask_b32_e64 v4, 0, v4, s3
	s_min_u32 s2, s45, 0x100
	s_mov_b32 s3, exec_lo
	v_add_nc_u32_e32 v1, v2, v1
	v_cndmask_b32_e64 v2, 0, v5, s4
	v_cndmask_b32_e64 v5, 0, v6, s5
	v_cndmask_b32_e64 v6, 0, v30, s29
	s_delay_alu instid0(VALU_DEP_4) | instskip(SKIP_3) | instid1(VALU_DEP_4)
	v_add3_u32 v1, v1, v3, v4
	v_cndmask_b32_e64 v3, 0, v7, s6
	v_cndmask_b32_e64 v4, 0, v8, s7
	;; [unrolled: 1-line block ×3, first 2 shown]
	v_add3_u32 v1, v1, v2, v5
	v_cndmask_b32_e64 v2, 0, v9, s8
	v_cndmask_b32_e64 v5, 0, v10, s9
	s_delay_alu instid0(VALU_DEP_3) | instskip(SKIP_2) | instid1(VALU_DEP_3)
	v_add3_u32 v1, v1, v3, v4
	v_cndmask_b32_e64 v3, 0, v11, s10
	v_cndmask_b32_e64 v4, 0, v12, s11
	v_add3_u32 v1, v1, v2, v5
	v_cndmask_b32_e64 v2, 0, v13, s12
	v_cndmask_b32_e64 v5, 0, v14, s13
	s_delay_alu instid0(VALU_DEP_3) | instskip(SKIP_2) | instid1(VALU_DEP_3)
	v_add3_u32 v1, v1, v3, v4
	v_cndmask_b32_e64 v3, 0, v15, s14
	v_cndmask_b32_e64 v4, 0, v16, s15
	;; [unrolled: 7-line block ×5, first 2 shown]
	v_add3_u32 v1, v1, v2, v5
	v_mbcnt_lo_u32_b32 v2, -1, 0
	v_cndmask_b32_e64 v5, 0, v29, s28
	s_delay_alu instid0(VALU_DEP_3) | instskip(NEXT) | instid1(VALU_DEP_3)
	v_add3_u32 v1, v1, v3, v4
	v_cmp_ne_u32_e32 vcc_lo, 31, v2
	v_cndmask_b32_e64 v3, 0, v32, s31
	s_delay_alu instid0(VALU_DEP_3)
	v_add3_u32 v1, v1, v5, v6
	s_wait_alu 0xfffd
	v_add_co_ci_u32_e64 v4, null, 0, v2, vcc_lo
	v_add_nc_u32_e32 v5, 1, v2
	v_cmp_gt_u32_e32 vcc_lo, 30, v2
	v_add3_u32 v1, v1, v7, v3
	s_delay_alu instid0(VALU_DEP_4)
	v_lshlrev_b32_e32 v4, 2, v4
	s_wait_alu 0xfffd
	v_cndmask_b32_e64 v6, 0, 2, vcc_lo
	ds_bpermute_b32 v3, v4, v1
	v_and_b32_e32 v4, 0xe0, v0
	s_wait_alu 0xfffe
	s_delay_alu instid0(VALU_DEP_1) | instskip(NEXT) | instid1(VALU_DEP_1)
	v_sub_nc_u32_e64 v4, s2, v4 clamp
	v_cmp_lt_u32_e32 vcc_lo, v5, v4
	v_add_lshl_u32 v5, v6, v2, 2
	s_wait_dscnt 0x0
	s_wait_alu 0xfffd
	v_cndmask_b32_e32 v3, 0, v3, vcc_lo
	v_cmp_gt_u32_e32 vcc_lo, 28, v2
	s_delay_alu instid0(VALU_DEP_2) | instskip(SKIP_4) | instid1(VALU_DEP_1)
	v_add_nc_u32_e32 v1, v1, v3
	s_wait_alu 0xfffd
	v_cndmask_b32_e64 v6, 0, 4, vcc_lo
	ds_bpermute_b32 v3, v5, v1
	v_add_nc_u32_e32 v5, 2, v2
	v_cmp_lt_u32_e32 vcc_lo, v5, v4
	v_add_lshl_u32 v5, v6, v2, 2
	s_wait_dscnt 0x0
	s_wait_alu 0xfffd
	v_cndmask_b32_e32 v3, 0, v3, vcc_lo
	v_cmp_gt_u32_e32 vcc_lo, 24, v2
	s_delay_alu instid0(VALU_DEP_2) | instskip(SKIP_4) | instid1(VALU_DEP_1)
	v_add_nc_u32_e32 v1, v1, v3
	s_wait_alu 0xfffd
	v_cndmask_b32_e64 v6, 0, 8, vcc_lo
	ds_bpermute_b32 v3, v5, v1
	v_add_nc_u32_e32 v5, 4, v2
	v_cmp_lt_u32_e32 vcc_lo, v5, v4
	v_add_lshl_u32 v5, v6, v2, 2
	s_wait_dscnt 0x0
	s_wait_alu 0xfffd
	v_cndmask_b32_e32 v3, 0, v3, vcc_lo
	s_delay_alu instid0(VALU_DEP_1) | instskip(SKIP_3) | instid1(VALU_DEP_1)
	v_add_nc_u32_e32 v1, v1, v3
	v_lshlrev_b32_e32 v3, 2, v2
	ds_bpermute_b32 v5, v5, v1
	v_add_nc_u32_e32 v6, 8, v2
	v_cmp_lt_u32_e32 vcc_lo, v6, v4
	v_or_b32_e32 v6, 64, v3
	s_wait_dscnt 0x0
	s_wait_alu 0xfffd
	v_cndmask_b32_e32 v5, 0, v5, vcc_lo
	s_delay_alu instid0(VALU_DEP_1) | instskip(SKIP_2) | instid1(VALU_DEP_1)
	v_add_nc_u32_e32 v1, v1, v5
	ds_bpermute_b32 v5, v6, v1
	v_add_nc_u32_e32 v6, 16, v2
	v_cmp_lt_u32_e32 vcc_lo, v6, v4
	s_wait_dscnt 0x0
	s_wait_alu 0xfffd
	v_cndmask_b32_e32 v4, 0, v5, vcc_lo
	s_delay_alu instid0(VALU_DEP_1)
	v_add_nc_u32_e32 v1, v1, v4
	v_cmpx_eq_u32_e32 0, v2
; %bb.363:
	v_lshrrev_b32_e32 v4, 3, v0
	s_delay_alu instid0(VALU_DEP_1)
	v_and_b32_e32 v4, 28, v4
	ds_store_b32 v4, v1 offset:256
; %bb.364:
	s_or_b32 exec_lo, exec_lo, s3
	s_delay_alu instid0(SALU_CYCLE_1)
	s_mov_b32 s3, exec_lo
	s_wait_loadcnt_dscnt 0x0
	s_barrier_signal -1
	s_barrier_wait -1
	global_inv scope:SCOPE_SE
	v_cmpx_gt_u32_e32 8, v0
	s_cbranch_execz .LBB658_366
; %bb.365:
	ds_load_b32 v1, v3 offset:256
	v_and_b32_e32 v4, 7, v2
	s_add_co_i32 s2, s2, 31
	s_wait_alu 0xfffe
	s_lshr_b32 s2, s2, 5
	s_delay_alu instid0(VALU_DEP_1) | instskip(SKIP_4) | instid1(VALU_DEP_2)
	v_cmp_ne_u32_e32 vcc_lo, 7, v4
	v_add_nc_u32_e32 v6, 1, v4
	s_wait_alu 0xfffd
	v_add_co_ci_u32_e64 v5, null, 0, v2, vcc_lo
	v_cmp_gt_u32_e32 vcc_lo, 6, v4
	v_lshlrev_b32_e32 v5, 2, v5
	s_wait_alu 0xfffd
	v_cndmask_b32_e64 v7, 0, 2, vcc_lo
	s_wait_alu 0xfffe
	v_cmp_gt_u32_e32 vcc_lo, s2, v6
	s_wait_dscnt 0x0
	ds_bpermute_b32 v5, v5, v1
	v_add_lshl_u32 v2, v7, v2, 2
	s_wait_dscnt 0x0
	s_wait_alu 0xfffd
	v_cndmask_b32_e32 v5, 0, v5, vcc_lo
	s_delay_alu instid0(VALU_DEP_1)
	v_add_nc_u32_e32 v1, v5, v1
	v_add_nc_u32_e32 v5, 2, v4
	ds_bpermute_b32 v2, v2, v1
	v_cmp_gt_u32_e32 vcc_lo, s2, v5
	s_wait_dscnt 0x0
	s_wait_alu 0xfffd
	v_cndmask_b32_e32 v2, 0, v2, vcc_lo
	s_delay_alu instid0(VALU_DEP_1)
	v_add_nc_u32_e32 v1, v1, v2
	v_or_b32_e32 v2, 16, v3
	v_add_nc_u32_e32 v3, 4, v4
	ds_bpermute_b32 v2, v2, v1
	v_cmp_gt_u32_e32 vcc_lo, s2, v3
	s_wait_dscnt 0x0
	s_wait_alu 0xfffd
	v_cndmask_b32_e32 v2, 0, v2, vcc_lo
	s_delay_alu instid0(VALU_DEP_1)
	v_add_nc_u32_e32 v1, v1, v2
.LBB658_366:
	s_wait_alu 0xfffe
	s_or_b32 exec_lo, exec_lo, s3
.LBB658_367:
	v_cmp_eq_u32_e64 s2, 0, v0
	s_branch .LBB658_512
.LBB658_368:
	s_cmp_eq_u32 s44, 16
	s_cbranch_scc0 .LBB658_375
; %bb.369:
	s_mov_b32 s35, 0
	s_lshl_b32 s2, s34, 12
	s_mov_b32 s3, s35
	s_lshr_b64 s[4:5], s[36:37], 12
	s_lshl_b64 s[6:7], s[2:3], 2
	s_cmp_lg_u64 s[4:5], s[34:35]
	s_add_nc_u64 s[16:17], s[40:41], s[6:7]
	s_cbranch_scc0 .LBB658_533
; %bb.370:
	v_lshlrev_b32_e32 v1, 2, v0
	s_mov_b32 s3, exec_lo
	s_clause 0xf
	global_load_b32 v2, v1, s[16:17]
	global_load_b32 v3, v1, s[16:17] offset:1024
	global_load_b32 v4, v1, s[16:17] offset:2048
	;; [unrolled: 1-line block ×15, first 2 shown]
	s_wait_loadcnt 0xf
	v_lshrrev_b32_e32 v17, 16, v2
	s_wait_loadcnt 0xe
	v_lshrrev_b32_e32 v18, 16, v3
	;; [unrolled: 2-line block ×5, first 2 shown]
	v_or_b32_e32 v2, v2, v17
	v_or_b32_e32 v3, v3, v18
	v_or_b32_e32 v4, v4, v19
	s_wait_loadcnt 0x9
	v_lshrrev_b32_e32 v23, 16, v8
	v_or_b32_e32 v6, v6, v21
	v_and_b32_e32 v2, 0x7fff, v2
	v_and_b32_e32 v3, 0x7fff, v3
	;; [unrolled: 1-line block ×3, first 2 shown]
	v_or_b32_e32 v5, v5, v20
	v_and_b32_e32 v6, 0x7fff, v6
	v_cmp_ne_u16_e32 vcc_lo, 0, v2
	v_lshrrev_b32_e32 v22, 16, v7
	v_or_b32_e32 v8, v8, v23
	v_and_b32_e32 v5, 0x7fff, v5
	s_wait_loadcnt 0x7
	v_lshrrev_b32_e32 v25, 16, v10
	v_cndmask_b32_e64 v2, 0, 1, vcc_lo
	v_cmp_ne_u16_e32 vcc_lo, 0, v4
	v_or_b32_e32 v7, v7, v22
	v_and_b32_e32 v8, 0x7fff, v8
	v_lshrrev_b32_e32 v24, 16, v9
	v_or_b32_e32 v10, v10, v25
	s_wait_alu 0xfffd
	v_cndmask_b32_e64 v4, 0, 1, vcc_lo
	v_cmp_ne_u16_e32 vcc_lo, 0, v3
	v_and_b32_e32 v7, 0x7fff, v7
	s_wait_loadcnt 0x5
	v_lshrrev_b32_e32 v27, 16, v12
	v_or_b32_e32 v9, v9, v24
	v_and_b32_e32 v10, 0x7fff, v10
	s_wait_alu 0xfffd
	v_add_co_ci_u32_e64 v2, null, 0, v2, vcc_lo
	v_cmp_ne_u16_e32 vcc_lo, 0, v6
	v_lshrrev_b32_e32 v26, 16, v11
	v_or_b32_e32 v12, v12, v27
	v_and_b32_e32 v9, 0x7fff, v9
	s_wait_loadcnt 0x3
	v_lshrrev_b32_e32 v29, 16, v14
	s_wait_alu 0xfffd
	v_cndmask_b32_e64 v3, 0, 1, vcc_lo
	v_cmp_ne_u16_e32 vcc_lo, 0, v5
	v_or_b32_e32 v11, v11, v26
	v_and_b32_e32 v12, 0x7fff, v12
	v_lshrrev_b32_e32 v28, 16, v13
	v_or_b32_e32 v14, v14, v29
	s_wait_alu 0xfffd
	v_add_co_ci_u32_e64 v2, null, v2, v4, vcc_lo
	v_cmp_ne_u16_e32 vcc_lo, 0, v8
	v_and_b32_e32 v11, 0x7fff, v11
	s_wait_loadcnt 0x1
	v_lshrrev_b32_e32 v31, 16, v16
	v_or_b32_e32 v13, v13, v28
	v_and_b32_e32 v14, 0x7fff, v14
	s_wait_alu 0xfffd
	v_cndmask_b32_e64 v4, 0, 1, vcc_lo
	v_cmp_ne_u16_e32 vcc_lo, 0, v7
	v_lshrrev_b32_e32 v30, 16, v15
	v_or_b32_e32 v16, v16, v31
	v_and_b32_e32 v13, 0x7fff, v13
	s_wait_loadcnt 0x0
	v_lshrrev_b32_e32 v32, 16, v1
	s_wait_alu 0xfffd
	v_add_co_ci_u32_e64 v2, null, v2, v3, vcc_lo
	v_cmp_ne_u16_e32 vcc_lo, 0, v10
	v_or_b32_e32 v15, v15, v30
	v_and_b32_e32 v16, 0x7fff, v16
	v_or_b32_e32 v1, v1, v32
	s_wait_alu 0xfffd
	v_cndmask_b32_e64 v3, 0, 1, vcc_lo
	v_cmp_ne_u16_e32 vcc_lo, 0, v9
	v_and_b32_e32 v15, 0x7fff, v15
	v_and_b32_e32 v1, 0x7fff, v1
	s_wait_alu 0xfffd
	v_add_co_ci_u32_e64 v2, null, v2, v4, vcc_lo
	v_cmp_ne_u16_e32 vcc_lo, 0, v12
	s_wait_alu 0xfffd
	v_cndmask_b32_e64 v4, 0, 1, vcc_lo
	v_cmp_ne_u16_e32 vcc_lo, 0, v11
	s_wait_alu 0xfffd
	v_add_co_ci_u32_e64 v2, null, v2, v3, vcc_lo
	v_cmp_ne_u16_e32 vcc_lo, 0, v14
	s_wait_alu 0xfffd
	v_cndmask_b32_e64 v3, 0, 1, vcc_lo
	v_cmp_ne_u16_e32 vcc_lo, 0, v13
	;; [unrolled: 6-line block ×3, first 2 shown]
	s_wait_alu 0xfffd
	v_add_co_ci_u32_e64 v2, null, v2, v3, vcc_lo
	v_cmp_ne_u16_e32 vcc_lo, 0, v1
	s_wait_alu 0xfffd
	s_delay_alu instid0(VALU_DEP_2) | instskip(NEXT) | instid1(VALU_DEP_1)
	v_add_co_ci_u32_e64 v1, null, v2, v4, vcc_lo
	v_mov_b32_dpp v2, v1 quad_perm:[1,0,3,2] row_mask:0xf bank_mask:0xf
	s_delay_alu instid0(VALU_DEP_1) | instskip(NEXT) | instid1(VALU_DEP_1)
	v_add_nc_u32_e32 v1, v1, v2
	v_mov_b32_dpp v2, v1 quad_perm:[2,3,0,1] row_mask:0xf bank_mask:0xf
	s_delay_alu instid0(VALU_DEP_1) | instskip(NEXT) | instid1(VALU_DEP_1)
	v_add_nc_u32_e32 v1, v1, v2
	v_mov_b32_dpp v2, v1 row_ror:4 row_mask:0xf bank_mask:0xf
	s_delay_alu instid0(VALU_DEP_1) | instskip(NEXT) | instid1(VALU_DEP_1)
	v_add_nc_u32_e32 v1, v1, v2
	v_mov_b32_dpp v2, v1 row_ror:8 row_mask:0xf bank_mask:0xf
	s_delay_alu instid0(VALU_DEP_1)
	v_add_nc_u32_e32 v1, v1, v2
	ds_swizzle_b32 v2, v1 offset:swizzle(BROADCAST,32,15)
	s_wait_dscnt 0x0
	v_dual_mov_b32 v2, 0 :: v_dual_add_nc_u32 v1, v1, v2
	ds_bpermute_b32 v1, v2, v1 offset:124
	v_mbcnt_lo_u32_b32 v2, -1, 0
	s_delay_alu instid0(VALU_DEP_1)
	v_cmpx_eq_u32_e32 0, v2
	s_cbranch_execz .LBB658_372
; %bb.371:
	v_lshrrev_b32_e32 v3, 3, v0
	s_delay_alu instid0(VALU_DEP_1)
	v_and_b32_e32 v3, 28, v3
	s_wait_dscnt 0x0
	ds_store_b32 v3, v1 offset:32
.LBB658_372:
	s_or_b32 exec_lo, exec_lo, s3
	s_delay_alu instid0(SALU_CYCLE_1)
	s_mov_b32 s3, exec_lo
	s_wait_dscnt 0x0
	s_barrier_signal -1
	s_barrier_wait -1
	global_inv scope:SCOPE_SE
	v_cmpx_gt_u32_e32 32, v0
	s_cbranch_execz .LBB658_374
; %bb.373:
	v_and_b32_e32 v1, 7, v2
	s_delay_alu instid0(VALU_DEP_1)
	v_lshlrev_b32_e32 v3, 2, v1
	v_cmp_ne_u32_e32 vcc_lo, 7, v1
	ds_load_b32 v3, v3 offset:32
	s_wait_alu 0xfffd
	v_add_co_ci_u32_e64 v4, null, 0, v2, vcc_lo
	v_cmp_gt_u32_e32 vcc_lo, 6, v1
	s_delay_alu instid0(VALU_DEP_2) | instskip(SKIP_2) | instid1(VALU_DEP_1)
	v_lshlrev_b32_e32 v4, 2, v4
	s_wait_alu 0xfffd
	v_cndmask_b32_e64 v1, 0, 2, vcc_lo
	v_add_lshl_u32 v1, v1, v2, 2
	v_lshlrev_b32_e32 v2, 2, v2
	s_delay_alu instid0(VALU_DEP_1)
	v_or_b32_e32 v2, 16, v2
	s_wait_dscnt 0x0
	ds_bpermute_b32 v4, v4, v3
	s_wait_dscnt 0x0
	v_add_nc_u32_e32 v3, v4, v3
	ds_bpermute_b32 v1, v1, v3
	s_wait_dscnt 0x0
	v_add_nc_u32_e32 v1, v1, v3
	;; [unrolled: 3-line block ×3, first 2 shown]
.LBB658_374:
	s_or_b32 exec_lo, exec_lo, s3
	s_mov_b32 s3, 0
	s_branch .LBB658_534
.LBB658_375:
                                        ; implicit-def: $vgpr1
	s_branch .LBB658_623
.LBB658_376:
	s_mov_b32 s5, -1
                                        ; implicit-def: $vgpr1
.LBB658_377:
	s_wait_alu 0xfffe
	s_and_b32 vcc_lo, exec_lo, s5
	s_wait_alu 0xfffe
	s_cbranch_vccz .LBB658_511
; %bb.378:
	s_sub_co_i32 s4, s36, s4
	s_mov_b32 s5, exec_lo
                                        ; implicit-def: $vgpr1
	s_wait_alu 0xfffe
	v_cmpx_gt_u32_e64 s4, v0
	s_cbranch_execz .LBB658_380
; %bb.379:
	v_lshlrev_b32_e32 v1, 2, v0
	global_load_b32 v1, v1, s[2:3]
	s_wait_loadcnt 0x0
	v_lshrrev_b32_e32 v2, 16, v1
	s_delay_alu instid0(VALU_DEP_1) | instskip(NEXT) | instid1(VALU_DEP_1)
	v_or_b32_e32 v1, v1, v2
	v_and_b32_e32 v1, 0x7fff, v1
	s_delay_alu instid0(VALU_DEP_1)
	v_cmp_ne_u16_e32 vcc_lo, 0, v1
	s_wait_alu 0xfffd
	v_cndmask_b32_e64 v1, 0, 1, vcc_lo
.LBB658_380:
	s_or_b32 exec_lo, exec_lo, s5
	v_or_b32_e32 v3, 0x100, v0
	v_mov_b32_e32 v2, 0
	s_delay_alu instid0(VALU_DEP_2)
	v_cmp_gt_u32_e32 vcc_lo, s4, v3
	v_mov_b32_e32 v3, 0
	s_and_saveexec_b32 s5, vcc_lo
	s_cbranch_execz .LBB658_382
; %bb.381:
	v_lshlrev_b32_e32 v3, 2, v0
	global_load_b32 v3, v3, s[2:3] offset:1024
	s_wait_loadcnt 0x0
	v_lshrrev_b32_e32 v4, 16, v3
	s_delay_alu instid0(VALU_DEP_1) | instskip(NEXT) | instid1(VALU_DEP_1)
	v_or_b32_e32 v3, v3, v4
	v_and_b32_e32 v3, 0x7fff, v3
	s_delay_alu instid0(VALU_DEP_1)
	v_cmp_ne_u16_e32 vcc_lo, 0, v3
	s_wait_alu 0xfffd
	v_cndmask_b32_e64 v3, 0, 1, vcc_lo
.LBB658_382:
	s_wait_alu 0xfffe
	s_or_b32 exec_lo, exec_lo, s5
	v_or_b32_e32 v4, 0x200, v0
	s_mov_b32 s5, exec_lo
	s_delay_alu instid0(VALU_DEP_1)
	v_cmpx_gt_u32_e64 s4, v4
	s_cbranch_execz .LBB658_384
; %bb.383:
	v_lshlrev_b32_e32 v2, 2, v0
	global_load_b32 v2, v2, s[2:3] offset:2048
	s_wait_loadcnt 0x0
	v_lshrrev_b32_e32 v4, 16, v2
	s_delay_alu instid0(VALU_DEP_1) | instskip(NEXT) | instid1(VALU_DEP_1)
	v_or_b32_e32 v2, v2, v4
	v_and_b32_e32 v2, 0x7fff, v2
	s_delay_alu instid0(VALU_DEP_1)
	v_cmp_ne_u16_e32 vcc_lo, 0, v2
	s_wait_alu 0xfffd
	v_cndmask_b32_e64 v2, 0, 1, vcc_lo
.LBB658_384:
	s_wait_alu 0xfffe
	s_or_b32 exec_lo, exec_lo, s5
	v_or_b32_e32 v5, 0x300, v0
	v_mov_b32_e32 v4, 0
	s_delay_alu instid0(VALU_DEP_2)
	v_cmp_gt_u32_e32 vcc_lo, s4, v5
	v_mov_b32_e32 v5, 0
	s_and_saveexec_b32 s5, vcc_lo
	s_cbranch_execz .LBB658_386
; %bb.385:
	v_lshlrev_b32_e32 v5, 2, v0
	global_load_b32 v5, v5, s[2:3] offset:3072
	s_wait_loadcnt 0x0
	v_lshrrev_b32_e32 v6, 16, v5
	s_delay_alu instid0(VALU_DEP_1) | instskip(NEXT) | instid1(VALU_DEP_1)
	v_or_b32_e32 v5, v5, v6
	v_and_b32_e32 v5, 0x7fff, v5
	s_delay_alu instid0(VALU_DEP_1)
	v_cmp_ne_u16_e32 vcc_lo, 0, v5
	s_wait_alu 0xfffd
	v_cndmask_b32_e64 v5, 0, 1, vcc_lo
.LBB658_386:
	s_wait_alu 0xfffe
	s_or_b32 exec_lo, exec_lo, s5
	v_or_b32_e32 v6, 0x400, v0
	s_mov_b32 s5, exec_lo
	s_delay_alu instid0(VALU_DEP_1)
	v_cmpx_gt_u32_e64 s4, v6
	s_cbranch_execz .LBB658_388
; %bb.387:
	v_lshlrev_b32_e32 v4, 2, v0
	global_load_b32 v4, v4, s[2:3] offset:4096
	s_wait_loadcnt 0x0
	v_lshrrev_b32_e32 v6, 16, v4
	s_delay_alu instid0(VALU_DEP_1) | instskip(NEXT) | instid1(VALU_DEP_1)
	v_or_b32_e32 v4, v4, v6
	v_and_b32_e32 v4, 0x7fff, v4
	s_delay_alu instid0(VALU_DEP_1)
	v_cmp_ne_u16_e32 vcc_lo, 0, v4
	s_wait_alu 0xfffd
	v_cndmask_b32_e64 v4, 0, 1, vcc_lo
.LBB658_388:
	s_wait_alu 0xfffe
	;; [unrolled: 42-line block ×31, first 2 shown]
	s_or_b32 exec_lo, exec_lo, s5
	v_or_b32_e32 v64, 0x3f00, v0
	s_delay_alu instid0(VALU_DEP_1)
	v_cmp_gt_u32_e32 vcc_lo, s4, v64
	v_mov_b32_e32 v64, 0
	s_and_saveexec_b32 s5, vcc_lo
	s_cbranch_execz .LBB658_506
; %bb.505:
	v_lshlrev_b32_e32 v64, 2, v0
	global_load_b32 v64, v64, s[2:3] offset:64512
	s_wait_loadcnt 0x0
	v_lshrrev_b32_e32 v65, 16, v64
	s_delay_alu instid0(VALU_DEP_1) | instskip(NEXT) | instid1(VALU_DEP_1)
	v_or_b32_e32 v64, v64, v65
	v_and_b32_e32 v64, 0x7fff, v64
	s_delay_alu instid0(VALU_DEP_1)
	v_cmp_ne_u16_e32 vcc_lo, 0, v64
	s_wait_alu 0xfffd
	v_cndmask_b32_e64 v64, 0, 1, vcc_lo
.LBB658_506:
	s_wait_alu 0xfffe
	s_or_b32 exec_lo, exec_lo, s5
	v_add_nc_u32_e32 v1, v3, v1
	s_min_u32 s2, s4, 0x100
	s_mov_b32 s3, exec_lo
	s_delay_alu instid0(VALU_DEP_1) | instskip(SKIP_1) | instid1(VALU_DEP_2)
	v_add3_u32 v1, v1, v2, v5
	v_mbcnt_lo_u32_b32 v2, -1, 0
	v_add3_u32 v1, v1, v4, v7
	s_delay_alu instid0(VALU_DEP_2) | instskip(SKIP_1) | instid1(VALU_DEP_3)
	v_cmp_ne_u32_e32 vcc_lo, 31, v2
	v_add_nc_u32_e32 v5, 1, v2
	v_add3_u32 v1, v1, v6, v9
	s_wait_alu 0xfffd
	v_add_co_ci_u32_e64 v3, null, 0, v2, vcc_lo
	v_cmp_gt_u32_e32 vcc_lo, 30, v2
	s_delay_alu instid0(VALU_DEP_3) | instskip(NEXT) | instid1(VALU_DEP_3)
	v_add3_u32 v1, v1, v8, v11
	v_lshlrev_b32_e32 v3, 2, v3
	s_wait_alu 0xfffd
	v_cndmask_b32_e64 v6, 0, 2, vcc_lo
	s_delay_alu instid0(VALU_DEP_3) | instskip(NEXT) | instid1(VALU_DEP_1)
	v_add3_u32 v1, v1, v10, v13
	v_add3_u32 v1, v1, v12, v15
	s_delay_alu instid0(VALU_DEP_1) | instskip(NEXT) | instid1(VALU_DEP_1)
	v_add3_u32 v1, v1, v14, v17
	v_add3_u32 v1, v1, v16, v19
	s_delay_alu instid0(VALU_DEP_1) | instskip(NEXT) | instid1(VALU_DEP_1)
	;; [unrolled: 3-line block ×12, first 2 shown]
	v_add3_u32 v1, v1, v58, v61
	v_add3_u32 v1, v1, v60, v63
	s_delay_alu instid0(VALU_DEP_1) | instskip(SKIP_3) | instid1(VALU_DEP_1)
	v_add3_u32 v1, v1, v62, v64
	ds_bpermute_b32 v3, v3, v1
	v_and_b32_e32 v4, 0xe0, v0
	s_wait_alu 0xfffe
	v_sub_nc_u32_e64 v4, s2, v4 clamp
	s_delay_alu instid0(VALU_DEP_1)
	v_cmp_lt_u32_e32 vcc_lo, v5, v4
	v_add_lshl_u32 v5, v6, v2, 2
	s_wait_dscnt 0x0
	s_wait_alu 0xfffd
	v_cndmask_b32_e32 v3, 0, v3, vcc_lo
	v_cmp_gt_u32_e32 vcc_lo, 28, v2
	s_delay_alu instid0(VALU_DEP_2) | instskip(SKIP_4) | instid1(VALU_DEP_1)
	v_add_nc_u32_e32 v1, v3, v1
	s_wait_alu 0xfffd
	v_cndmask_b32_e64 v6, 0, 4, vcc_lo
	ds_bpermute_b32 v3, v5, v1
	v_add_nc_u32_e32 v5, 2, v2
	v_cmp_lt_u32_e32 vcc_lo, v5, v4
	v_add_lshl_u32 v5, v6, v2, 2
	s_wait_dscnt 0x0
	s_wait_alu 0xfffd
	v_cndmask_b32_e32 v3, 0, v3, vcc_lo
	v_cmp_gt_u32_e32 vcc_lo, 24, v2
	s_delay_alu instid0(VALU_DEP_2) | instskip(SKIP_4) | instid1(VALU_DEP_1)
	v_add_nc_u32_e32 v1, v1, v3
	s_wait_alu 0xfffd
	v_cndmask_b32_e64 v6, 0, 8, vcc_lo
	ds_bpermute_b32 v3, v5, v1
	v_add_nc_u32_e32 v5, 4, v2
	v_cmp_lt_u32_e32 vcc_lo, v5, v4
	v_add_lshl_u32 v5, v6, v2, 2
	s_wait_dscnt 0x0
	s_wait_alu 0xfffd
	v_dual_cndmask_b32 v3, 0, v3 :: v_dual_add_nc_u32 v6, 8, v2
	s_delay_alu instid0(VALU_DEP_1) | instskip(NEXT) | instid1(VALU_DEP_2)
	v_cmp_lt_u32_e32 vcc_lo, v6, v4
	v_add_nc_u32_e32 v1, v1, v3
	v_lshlrev_b32_e32 v3, 2, v2
	ds_bpermute_b32 v5, v5, v1
	v_or_b32_e32 v6, 64, v3
	s_wait_dscnt 0x0
	s_wait_alu 0xfffd
	v_cndmask_b32_e32 v5, 0, v5, vcc_lo
	s_delay_alu instid0(VALU_DEP_1) | instskip(SKIP_2) | instid1(VALU_DEP_1)
	v_add_nc_u32_e32 v1, v1, v5
	ds_bpermute_b32 v5, v6, v1
	v_add_nc_u32_e32 v6, 16, v2
	v_cmp_lt_u32_e32 vcc_lo, v6, v4
	s_wait_dscnt 0x0
	s_wait_alu 0xfffd
	v_cndmask_b32_e32 v4, 0, v5, vcc_lo
	s_delay_alu instid0(VALU_DEP_1)
	v_add_nc_u32_e32 v1, v1, v4
	v_cmpx_eq_u32_e32 0, v2
; %bb.507:
	v_lshrrev_b32_e32 v4, 3, v0
	s_delay_alu instid0(VALU_DEP_1)
	v_and_b32_e32 v4, 28, v4
	ds_store_b32 v4, v1 offset:256
; %bb.508:
	s_or_b32 exec_lo, exec_lo, s3
	s_delay_alu instid0(SALU_CYCLE_1)
	s_mov_b32 s3, exec_lo
	s_wait_loadcnt_dscnt 0x0
	s_barrier_signal -1
	s_barrier_wait -1
	global_inv scope:SCOPE_SE
	v_cmpx_gt_u32_e32 8, v0
	s_cbranch_execz .LBB658_510
; %bb.509:
	ds_load_b32 v1, v3 offset:256
	v_and_b32_e32 v4, 7, v2
	s_add_co_i32 s2, s2, 31
	s_wait_alu 0xfffe
	s_lshr_b32 s2, s2, 5
	s_delay_alu instid0(VALU_DEP_1) | instskip(SKIP_4) | instid1(VALU_DEP_2)
	v_cmp_ne_u32_e32 vcc_lo, 7, v4
	v_add_nc_u32_e32 v6, 1, v4
	s_wait_alu 0xfffd
	v_add_co_ci_u32_e64 v5, null, 0, v2, vcc_lo
	v_cmp_gt_u32_e32 vcc_lo, 6, v4
	v_lshlrev_b32_e32 v5, 2, v5
	s_wait_alu 0xfffd
	v_cndmask_b32_e64 v7, 0, 2, vcc_lo
	s_wait_alu 0xfffe
	v_cmp_gt_u32_e32 vcc_lo, s2, v6
	s_wait_dscnt 0x0
	ds_bpermute_b32 v5, v5, v1
	v_add_lshl_u32 v2, v7, v2, 2
	s_wait_dscnt 0x0
	s_wait_alu 0xfffd
	v_cndmask_b32_e32 v5, 0, v5, vcc_lo
	s_delay_alu instid0(VALU_DEP_1)
	v_add_nc_u32_e32 v1, v5, v1
	v_add_nc_u32_e32 v5, 2, v4
	ds_bpermute_b32 v2, v2, v1
	v_cmp_gt_u32_e32 vcc_lo, s2, v5
	s_wait_dscnt 0x0
	s_wait_alu 0xfffd
	v_cndmask_b32_e32 v2, 0, v2, vcc_lo
	s_delay_alu instid0(VALU_DEP_1)
	v_add_nc_u32_e32 v1, v1, v2
	v_or_b32_e32 v2, 16, v3
	v_add_nc_u32_e32 v3, 4, v4
	ds_bpermute_b32 v2, v2, v1
	v_cmp_gt_u32_e32 vcc_lo, s2, v3
	s_wait_dscnt 0x0
	s_wait_alu 0xfffd
	v_cndmask_b32_e32 v2, 0, v2, vcc_lo
	s_delay_alu instid0(VALU_DEP_1)
	v_add_nc_u32_e32 v1, v1, v2
.LBB658_510:
	s_wait_alu 0xfffe
	s_or_b32 exec_lo, exec_lo, s3
.LBB658_511:
	v_cmp_eq_u32_e64 s2, 0, v0
.LBB658_512:
	s_branch .LBB658_623
.LBB658_513:
	s_cmp_gt_i32 s44, 3
	s_cbranch_scc0 .LBB658_522
; %bb.514:
	s_cmp_gt_i32 s44, 7
	s_cbranch_scc0 .LBB658_523
; %bb.515:
	s_cmp_eq_u32 s44, 8
	s_cbranch_scc0 .LBB658_531
; %bb.516:
	s_mov_b32 s35, 0
	s_lshl_b32 s2, s34, 11
	s_mov_b32 s3, s35
	s_lshr_b64 s[4:5], s[36:37], 11
	s_lshl_b64 s[6:7], s[2:3], 2
	s_cmp_lg_u64 s[4:5], s[34:35]
	s_add_nc_u64 s[8:9], s[40:41], s[6:7]
	s_cbranch_scc0 .LBB658_573
; %bb.517:
	v_lshlrev_b32_e32 v1, 2, v0
	s_mov_b32 s3, exec_lo
	s_clause 0x7
	global_load_b32 v2, v1, s[8:9]
	global_load_b32 v3, v1, s[8:9] offset:1024
	global_load_b32 v4, v1, s[8:9] offset:2048
	;; [unrolled: 1-line block ×7, first 2 shown]
	s_wait_loadcnt 0x7
	v_lshrrev_b32_e32 v9, 16, v2
	s_wait_loadcnt 0x6
	v_lshrrev_b32_e32 v10, 16, v3
	;; [unrolled: 2-line block ×5, first 2 shown]
	v_or_b32_e32 v2, v2, v9
	v_or_b32_e32 v3, v3, v10
	;; [unrolled: 1-line block ×3, first 2 shown]
	s_wait_loadcnt 0x1
	v_lshrrev_b32_e32 v15, 16, v8
	v_or_b32_e32 v6, v6, v13
	v_and_b32_e32 v2, 0x7fff, v2
	v_and_b32_e32 v3, 0x7fff, v3
	;; [unrolled: 1-line block ×3, first 2 shown]
	v_or_b32_e32 v5, v5, v12
	v_and_b32_e32 v6, 0x7fff, v6
	v_cmp_ne_u16_e32 vcc_lo, 0, v2
	v_lshrrev_b32_e32 v14, 16, v7
	v_or_b32_e32 v8, v8, v15
	v_and_b32_e32 v5, 0x7fff, v5
	s_wait_loadcnt 0x0
	v_lshrrev_b32_e32 v16, 16, v1
	v_cndmask_b32_e64 v2, 0, 1, vcc_lo
	v_cmp_ne_u16_e32 vcc_lo, 0, v4
	v_or_b32_e32 v7, v7, v14
	v_and_b32_e32 v8, 0x7fff, v8
	v_or_b32_e32 v1, v1, v16
	s_wait_alu 0xfffd
	v_cndmask_b32_e64 v4, 0, 1, vcc_lo
	v_cmp_ne_u16_e32 vcc_lo, 0, v3
	v_and_b32_e32 v7, 0x7fff, v7
	v_and_b32_e32 v1, 0x7fff, v1
	s_wait_alu 0xfffd
	v_add_co_ci_u32_e64 v2, null, 0, v2, vcc_lo
	v_cmp_ne_u16_e32 vcc_lo, 0, v6
	s_wait_alu 0xfffd
	v_cndmask_b32_e64 v3, 0, 1, vcc_lo
	v_cmp_ne_u16_e32 vcc_lo, 0, v5
	s_wait_alu 0xfffd
	v_add_co_ci_u32_e64 v2, null, v2, v4, vcc_lo
	v_cmp_ne_u16_e32 vcc_lo, 0, v8
	s_wait_alu 0xfffd
	v_cndmask_b32_e64 v4, 0, 1, vcc_lo
	v_cmp_ne_u16_e32 vcc_lo, 0, v7
	s_wait_alu 0xfffd
	v_add_co_ci_u32_e64 v2, null, v2, v3, vcc_lo
	v_cmp_ne_u16_e32 vcc_lo, 0, v1
	s_wait_alu 0xfffd
	s_delay_alu instid0(VALU_DEP_2) | instskip(NEXT) | instid1(VALU_DEP_1)
	v_add_co_ci_u32_e64 v1, null, v2, v4, vcc_lo
	v_mov_b32_dpp v2, v1 quad_perm:[1,0,3,2] row_mask:0xf bank_mask:0xf
	s_delay_alu instid0(VALU_DEP_1) | instskip(NEXT) | instid1(VALU_DEP_1)
	v_add_nc_u32_e32 v1, v1, v2
	v_mov_b32_dpp v2, v1 quad_perm:[2,3,0,1] row_mask:0xf bank_mask:0xf
	s_delay_alu instid0(VALU_DEP_1) | instskip(NEXT) | instid1(VALU_DEP_1)
	v_add_nc_u32_e32 v1, v1, v2
	v_mov_b32_dpp v2, v1 row_ror:4 row_mask:0xf bank_mask:0xf
	s_delay_alu instid0(VALU_DEP_1) | instskip(NEXT) | instid1(VALU_DEP_1)
	v_add_nc_u32_e32 v1, v1, v2
	v_mov_b32_dpp v2, v1 row_ror:8 row_mask:0xf bank_mask:0xf
	s_delay_alu instid0(VALU_DEP_1)
	v_add_nc_u32_e32 v1, v1, v2
	ds_swizzle_b32 v2, v1 offset:swizzle(BROADCAST,32,15)
	s_wait_dscnt 0x0
	v_dual_mov_b32 v2, 0 :: v_dual_add_nc_u32 v1, v1, v2
	ds_bpermute_b32 v1, v2, v1 offset:124
	v_mbcnt_lo_u32_b32 v2, -1, 0
	s_delay_alu instid0(VALU_DEP_1)
	v_cmpx_eq_u32_e32 0, v2
	s_cbranch_execz .LBB658_519
; %bb.518:
	v_lshrrev_b32_e32 v3, 3, v0
	s_delay_alu instid0(VALU_DEP_1)
	v_and_b32_e32 v3, 28, v3
	s_wait_dscnt 0x0
	ds_store_b32 v3, v1 offset:224
.LBB658_519:
	s_or_b32 exec_lo, exec_lo, s3
	s_delay_alu instid0(SALU_CYCLE_1)
	s_mov_b32 s3, exec_lo
	s_wait_dscnt 0x0
	s_barrier_signal -1
	s_barrier_wait -1
	global_inv scope:SCOPE_SE
	v_cmpx_gt_u32_e32 32, v0
	s_cbranch_execz .LBB658_521
; %bb.520:
	v_lshl_or_b32 v1, v2, 2, 0xe0
	v_and_b32_e32 v3, 7, v2
	ds_load_b32 v1, v1
	v_cmp_ne_u32_e32 vcc_lo, 7, v3
	s_wait_alu 0xfffd
	v_add_co_ci_u32_e64 v4, null, 0, v2, vcc_lo
	v_cmp_gt_u32_e32 vcc_lo, 6, v3
	s_delay_alu instid0(VALU_DEP_2) | instskip(SKIP_2) | instid1(VALU_DEP_1)
	v_lshlrev_b32_e32 v4, 2, v4
	s_wait_alu 0xfffd
	v_cndmask_b32_e64 v3, 0, 2, vcc_lo
	v_add_lshl_u32 v3, v3, v2, 2
	v_lshlrev_b32_e32 v2, 2, v2
	s_wait_dscnt 0x0
	ds_bpermute_b32 v4, v4, v1
	v_or_b32_e32 v2, 16, v2
	s_wait_dscnt 0x0
	v_add_nc_u32_e32 v1, v4, v1
	ds_bpermute_b32 v3, v3, v1
	s_wait_dscnt 0x0
	v_add_nc_u32_e32 v1, v3, v1
	ds_bpermute_b32 v2, v2, v1
	s_wait_dscnt 0x0
	v_add_nc_u32_e32 v1, v2, v1
.LBB658_521:
	s_or_b32 exec_lo, exec_lo, s3
	s_mov_b32 s3, 0
	s_branch .LBB658_574
.LBB658_522:
                                        ; implicit-def: $vgpr1
	s_cbranch_execnz .LBB658_614
	s_branch .LBB658_623
.LBB658_523:
                                        ; implicit-def: $vgpr1
	s_cbranch_execz .LBB658_597
; %bb.524:
	s_cmp_eq_u32 s44, 4
	s_cbranch_scc0 .LBB658_532
; %bb.525:
	s_mov_b32 s35, 0
	s_lshl_b32 s2, s34, 10
	s_mov_b32 s3, s35
	s_lshr_b64 s[4:5], s[36:37], 10
	s_lshl_b64 s[6:7], s[2:3], 2
	s_cmp_lg_u64 s[4:5], s[34:35]
	s_add_nc_u64 s[4:5], s[40:41], s[6:7]
	s_cbranch_scc0 .LBB658_598
; %bb.526:
	v_lshlrev_b32_e32 v1, 2, v0
	s_mov_b32 s3, exec_lo
	s_clause 0x3
	global_load_b32 v2, v1, s[4:5]
	global_load_b32 v3, v1, s[4:5] offset:2048
	global_load_b32 v4, v1, s[4:5] offset:1024
	;; [unrolled: 1-line block ×3, first 2 shown]
	s_wait_loadcnt 0x3
	v_lshrrev_b32_e32 v5, 16, v2
	s_wait_loadcnt 0x2
	v_lshrrev_b32_e32 v6, 16, v3
	;; [unrolled: 2-line block ×4, first 2 shown]
	v_or_b32_e32 v2, v2, v5
	v_or_b32_e32 v3, v3, v6
	;; [unrolled: 1-line block ×3, first 2 shown]
	s_delay_alu instid0(VALU_DEP_4) | instskip(NEXT) | instid1(VALU_DEP_4)
	v_or_b32_e32 v1, v1, v8
	v_and_b32_e32 v2, 0x7fff, v2
	s_delay_alu instid0(VALU_DEP_4) | instskip(NEXT) | instid1(VALU_DEP_4)
	v_and_b32_e32 v3, 0x7fff, v3
	v_and_b32_e32 v4, 0x7fff, v4
	s_delay_alu instid0(VALU_DEP_4) | instskip(NEXT) | instid1(VALU_DEP_4)
	v_and_b32_e32 v1, 0x7fff, v1
	v_cmp_ne_u16_e32 vcc_lo, 0, v2
	v_cndmask_b32_e64 v2, 0, 1, vcc_lo
	v_cmp_ne_u16_e32 vcc_lo, 0, v3
	s_wait_alu 0xfffd
	v_cndmask_b32_e64 v3, 0, 1, vcc_lo
	v_cmp_ne_u16_e32 vcc_lo, 0, v4
	s_wait_alu 0xfffd
	v_add_co_ci_u32_e64 v2, null, 0, v2, vcc_lo
	v_cmp_ne_u16_e32 vcc_lo, 0, v1
	s_wait_alu 0xfffd
	s_delay_alu instid0(VALU_DEP_2) | instskip(NEXT) | instid1(VALU_DEP_1)
	v_add_co_ci_u32_e64 v1, null, v2, v3, vcc_lo
	v_mov_b32_dpp v2, v1 quad_perm:[1,0,3,2] row_mask:0xf bank_mask:0xf
	s_delay_alu instid0(VALU_DEP_1) | instskip(NEXT) | instid1(VALU_DEP_1)
	v_add_nc_u32_e32 v1, v1, v2
	v_mov_b32_dpp v2, v1 quad_perm:[2,3,0,1] row_mask:0xf bank_mask:0xf
	s_delay_alu instid0(VALU_DEP_1) | instskip(NEXT) | instid1(VALU_DEP_1)
	v_add_nc_u32_e32 v1, v1, v2
	v_mov_b32_dpp v2, v1 row_ror:4 row_mask:0xf bank_mask:0xf
	s_delay_alu instid0(VALU_DEP_1) | instskip(NEXT) | instid1(VALU_DEP_1)
	v_add_nc_u32_e32 v1, v1, v2
	v_mov_b32_dpp v2, v1 row_ror:8 row_mask:0xf bank_mask:0xf
	s_delay_alu instid0(VALU_DEP_1)
	v_add_nc_u32_e32 v1, v1, v2
	ds_swizzle_b32 v2, v1 offset:swizzle(BROADCAST,32,15)
	s_wait_dscnt 0x0
	v_dual_mov_b32 v2, 0 :: v_dual_add_nc_u32 v1, v1, v2
	ds_bpermute_b32 v1, v2, v1 offset:124
	v_mbcnt_lo_u32_b32 v2, -1, 0
	s_delay_alu instid0(VALU_DEP_1)
	v_cmpx_eq_u32_e32 0, v2
	s_cbranch_execz .LBB658_528
; %bb.527:
	v_lshrrev_b32_e32 v3, 3, v0
	s_delay_alu instid0(VALU_DEP_1)
	v_and_b32_e32 v3, 28, v3
	s_wait_dscnt 0x0
	ds_store_b32 v3, v1 offset:160
.LBB658_528:
	s_or_b32 exec_lo, exec_lo, s3
	s_delay_alu instid0(SALU_CYCLE_1)
	s_mov_b32 s3, exec_lo
	s_wait_dscnt 0x0
	s_barrier_signal -1
	s_barrier_wait -1
	global_inv scope:SCOPE_SE
	v_cmpx_gt_u32_e32 32, v0
	s_cbranch_execz .LBB658_530
; %bb.529:
	v_and_b32_e32 v1, 7, v2
	s_delay_alu instid0(VALU_DEP_1)
	v_lshlrev_b32_e32 v3, 2, v1
	v_cmp_ne_u32_e32 vcc_lo, 7, v1
	ds_load_b32 v3, v3 offset:160
	s_wait_alu 0xfffd
	v_add_co_ci_u32_e64 v4, null, 0, v2, vcc_lo
	v_cmp_gt_u32_e32 vcc_lo, 6, v1
	s_delay_alu instid0(VALU_DEP_2) | instskip(SKIP_2) | instid1(VALU_DEP_1)
	v_lshlrev_b32_e32 v4, 2, v4
	s_wait_alu 0xfffd
	v_cndmask_b32_e64 v1, 0, 2, vcc_lo
	v_add_lshl_u32 v1, v1, v2, 2
	v_lshlrev_b32_e32 v2, 2, v2
	s_delay_alu instid0(VALU_DEP_1)
	v_or_b32_e32 v2, 16, v2
	s_wait_dscnt 0x0
	ds_bpermute_b32 v4, v4, v3
	s_wait_dscnt 0x0
	v_add_nc_u32_e32 v3, v4, v3
	ds_bpermute_b32 v1, v1, v3
	s_wait_dscnt 0x0
	v_add_nc_u32_e32 v1, v1, v3
	;; [unrolled: 3-line block ×3, first 2 shown]
.LBB658_530:
	s_or_b32 exec_lo, exec_lo, s3
	s_mov_b32 s3, 0
	s_branch .LBB658_599
.LBB658_531:
                                        ; implicit-def: $vgpr1
	s_branch .LBB658_597
.LBB658_532:
                                        ; implicit-def: $vgpr1
	s_branch .LBB658_623
.LBB658_533:
	s_mov_b32 s3, -1
                                        ; implicit-def: $vgpr1
.LBB658_534:
	s_delay_alu instid0(SALU_CYCLE_1)
	s_and_b32 vcc_lo, exec_lo, s3
	s_wait_alu 0xfffe
	s_cbranch_vccz .LBB658_572
; %bb.535:
	v_mov_b32_e32 v1, 0
	s_sub_co_i32 s18, s36, s2
	s_mov_b32 s2, exec_lo
	s_delay_alu instid0(VALU_DEP_1)
	v_dual_mov_b32 v2, v1 :: v_dual_mov_b32 v3, v1
	v_dual_mov_b32 v4, v1 :: v_dual_mov_b32 v5, v1
	;; [unrolled: 1-line block ×7, first 2 shown]
	v_mov_b32_e32 v16, v1
	v_cmpx_gt_u32_e64 s18, v0
	s_cbranch_execz .LBB658_537
; %bb.536:
	v_dual_mov_b32 v3, v1 :: v_dual_lshlrev_b32 v2, 2, v0
	v_dual_mov_b32 v14, v1 :: v_dual_mov_b32 v17, v1
	v_mov_b32_e32 v4, v1
	global_load_b32 v2, v2, s[16:17]
	v_dual_mov_b32 v6, v1 :: v_dual_mov_b32 v7, v1
	v_dual_mov_b32 v8, v1 :: v_dual_mov_b32 v9, v1
	;; [unrolled: 1-line block ×5, first 2 shown]
	s_wait_loadcnt 0x0
	v_lshrrev_b32_e32 v5, 16, v2
	s_delay_alu instid0(VALU_DEP_1) | instskip(NEXT) | instid1(VALU_DEP_1)
	v_or_b32_e32 v2, v2, v5
	v_dual_mov_b32 v5, v1 :: v_dual_and_b32 v2, 0x7fff, v2
	s_delay_alu instid0(VALU_DEP_1) | instskip(SKIP_2) | instid1(VALU_DEP_1)
	v_cmp_ne_u16_e32 vcc_lo, 0, v2
	s_wait_alu 0xfffd
	v_cndmask_b32_e64 v2, 0, 1, vcc_lo
	v_and_b32_e32 v2, 0xffff, v2
	s_delay_alu instid0(VALU_DEP_1)
	v_mov_b32_e32 v1, v2
	v_mov_b32_e32 v2, v3
	v_mov_b32_e32 v3, v4
	v_mov_b32_e32 v4, v5
	v_mov_b32_e32 v5, v6
	v_mov_b32_e32 v6, v7
	v_mov_b32_e32 v7, v8
	v_mov_b32_e32 v8, v9
	v_mov_b32_e32 v9, v10
	v_mov_b32_e32 v10, v11
	v_mov_b32_e32 v11, v12
	v_mov_b32_e32 v12, v13
	v_mov_b32_e32 v13, v14
	v_mov_b32_e32 v14, v15
	v_mov_b32_e32 v15, v16
	v_mov_b32_e32 v16, v17
.LBB658_537:
	s_or_b32 exec_lo, exec_lo, s2
	v_or_b32_e32 v17, 0x100, v0
	s_delay_alu instid0(VALU_DEP_1)
	v_cmp_gt_u32_e32 vcc_lo, s18, v17
	s_and_saveexec_b32 s3, vcc_lo
	s_cbranch_execz .LBB658_539
; %bb.538:
	v_lshlrev_b32_e32 v2, 2, v0
	global_load_b32 v2, v2, s[16:17] offset:1024
	s_wait_loadcnt 0x0
	v_lshrrev_b32_e32 v17, 16, v2
	s_delay_alu instid0(VALU_DEP_1) | instskip(NEXT) | instid1(VALU_DEP_1)
	v_or_b32_e32 v2, v2, v17
	v_and_b32_e32 v2, 0x7fff, v2
	s_delay_alu instid0(VALU_DEP_1) | instskip(NEXT) | instid1(VALU_DEP_1)
	v_cmp_ne_u16_e64 s2, 0, v2
	v_cndmask_b32_e64 v2, 0, 1, s2
.LBB658_539:
	s_or_b32 exec_lo, exec_lo, s3
	v_or_b32_e32 v17, 0x200, v0
	s_delay_alu instid0(VALU_DEP_1)
	v_cmp_gt_u32_e64 s2, s18, v17
	s_and_saveexec_b32 s4, s2
	s_cbranch_execz .LBB658_541
; %bb.540:
	v_lshlrev_b32_e32 v3, 2, v0
	global_load_b32 v3, v3, s[16:17] offset:2048
	s_wait_loadcnt 0x0
	v_lshrrev_b32_e32 v17, 16, v3
	s_delay_alu instid0(VALU_DEP_1) | instskip(NEXT) | instid1(VALU_DEP_1)
	v_or_b32_e32 v3, v3, v17
	v_and_b32_e32 v3, 0x7fff, v3
	s_delay_alu instid0(VALU_DEP_1) | instskip(SKIP_1) | instid1(VALU_DEP_1)
	v_cmp_ne_u16_e64 s3, 0, v3
	s_wait_alu 0xf1ff
	v_cndmask_b32_e64 v3, 0, 1, s3
.LBB658_541:
	s_or_b32 exec_lo, exec_lo, s4
	v_or_b32_e32 v17, 0x300, v0
	s_delay_alu instid0(VALU_DEP_1)
	v_cmp_gt_u32_e64 s3, s18, v17
	s_and_saveexec_b32 s5, s3
	s_cbranch_execz .LBB658_543
; %bb.542:
	v_lshlrev_b32_e32 v4, 2, v0
	global_load_b32 v4, v4, s[16:17] offset:3072
	s_wait_loadcnt 0x0
	v_lshrrev_b32_e32 v17, 16, v4
	s_delay_alu instid0(VALU_DEP_1) | instskip(NEXT) | instid1(VALU_DEP_1)
	v_or_b32_e32 v4, v4, v17
	v_and_b32_e32 v4, 0x7fff, v4
	s_delay_alu instid0(VALU_DEP_1) | instskip(NEXT) | instid1(VALU_DEP_1)
	v_cmp_ne_u16_e64 s4, 0, v4
	v_cndmask_b32_e64 v4, 0, 1, s4
.LBB658_543:
	s_or_b32 exec_lo, exec_lo, s5
	v_or_b32_e32 v17, 0x400, v0
	s_delay_alu instid0(VALU_DEP_1)
	v_cmp_gt_u32_e64 s4, s18, v17
	s_and_saveexec_b32 s6, s4
	s_cbranch_execz .LBB658_545
; %bb.544:
	v_lshlrev_b32_e32 v5, 2, v0
	global_load_b32 v5, v5, s[16:17] offset:4096
	s_wait_loadcnt 0x0
	v_lshrrev_b32_e32 v17, 16, v5
	s_delay_alu instid0(VALU_DEP_1) | instskip(NEXT) | instid1(VALU_DEP_1)
	v_or_b32_e32 v5, v5, v17
	v_and_b32_e32 v5, 0x7fff, v5
	s_delay_alu instid0(VALU_DEP_1) | instskip(SKIP_1) | instid1(VALU_DEP_1)
	v_cmp_ne_u16_e64 s5, 0, v5
	s_wait_alu 0xf1ff
	v_cndmask_b32_e64 v5, 0, 1, s5
.LBB658_545:
	s_or_b32 exec_lo, exec_lo, s6
	v_or_b32_e32 v17, 0x500, v0
	s_delay_alu instid0(VALU_DEP_1)
	v_cmp_gt_u32_e64 s5, s18, v17
	s_and_saveexec_b32 s7, s5
	;; [unrolled: 37-line block ×6, first 2 shown]
	s_cbranch_execz .LBB658_563
; %bb.562:
	v_lshlrev_b32_e32 v14, 2, v0
	global_load_b32 v14, v14, s[16:17] offset:13312
	s_wait_loadcnt 0x0
	v_lshrrev_b32_e32 v17, 16, v14
	s_delay_alu instid0(VALU_DEP_1) | instskip(NEXT) | instid1(VALU_DEP_1)
	v_or_b32_e32 v14, v14, v17
	v_and_b32_e32 v14, 0x7fff, v14
	s_delay_alu instid0(VALU_DEP_1) | instskip(NEXT) | instid1(VALU_DEP_1)
	v_cmp_ne_u16_e64 s14, 0, v14
	v_cndmask_b32_e64 v14, 0, 1, s14
.LBB658_563:
	s_or_b32 exec_lo, exec_lo, s15
	v_or_b32_e32 v17, 0xe00, v0
	s_delay_alu instid0(VALU_DEP_1)
	v_cmp_gt_u32_e64 s14, s18, v17
	s_and_saveexec_b32 s19, s14
	s_cbranch_execz .LBB658_565
; %bb.564:
	v_lshlrev_b32_e32 v15, 2, v0
	global_load_b32 v15, v15, s[16:17] offset:14336
	s_wait_loadcnt 0x0
	v_lshrrev_b32_e32 v17, 16, v15
	s_delay_alu instid0(VALU_DEP_1) | instskip(NEXT) | instid1(VALU_DEP_1)
	v_or_b32_e32 v15, v15, v17
	v_and_b32_e32 v15, 0x7fff, v15
	s_delay_alu instid0(VALU_DEP_1) | instskip(SKIP_1) | instid1(VALU_DEP_1)
	v_cmp_ne_u16_e64 s15, 0, v15
	s_wait_alu 0xf1ff
	v_cndmask_b32_e64 v15, 0, 1, s15
.LBB658_565:
	s_wait_alu 0xfffe
	s_or_b32 exec_lo, exec_lo, s19
	v_or_b32_e32 v17, 0xf00, v0
	s_delay_alu instid0(VALU_DEP_1)
	v_cmp_gt_u32_e64 s15, s18, v17
	s_and_saveexec_b32 s19, s15
	s_cbranch_execz .LBB658_567
; %bb.566:
	v_lshlrev_b32_e32 v16, 2, v0
	global_load_b32 v16, v16, s[16:17] offset:15360
	s_wait_loadcnt 0x0
	v_lshrrev_b32_e32 v17, 16, v16
	s_delay_alu instid0(VALU_DEP_1) | instskip(NEXT) | instid1(VALU_DEP_1)
	v_or_b32_e32 v16, v16, v17
	v_and_b32_e32 v16, 0x7fff, v16
	s_delay_alu instid0(VALU_DEP_1) | instskip(NEXT) | instid1(VALU_DEP_1)
	v_cmp_ne_u16_e64 s16, 0, v16
	v_cndmask_b32_e64 v16, 0, 1, s16
.LBB658_567:
	s_wait_alu 0xfffe
	s_or_b32 exec_lo, exec_lo, s19
	v_cndmask_b32_e32 v2, 0, v2, vcc_lo
	v_cndmask_b32_e64 v3, 0, v3, s2
	v_cndmask_b32_e64 v4, 0, v4, s3
	s_min_u32 s2, s18, 0x100
	s_mov_b32 s3, exec_lo
	v_add_nc_u32_e32 v1, v2, v1
	v_cndmask_b32_e64 v2, 0, v5, s4
	v_cndmask_b32_e64 v5, 0, v6, s5
	;; [unrolled: 1-line block ×3, first 2 shown]
	s_delay_alu instid0(VALU_DEP_4) | instskip(SKIP_3) | instid1(VALU_DEP_4)
	v_add3_u32 v1, v1, v3, v4
	v_cndmask_b32_e64 v3, 0, v7, s6
	v_cndmask_b32_e64 v4, 0, v8, s7
	;; [unrolled: 1-line block ×3, first 2 shown]
	v_add3_u32 v1, v1, v2, v5
	v_cndmask_b32_e64 v2, 0, v9, s8
	v_cndmask_b32_e64 v5, 0, v10, s9
	s_delay_alu instid0(VALU_DEP_3) | instskip(SKIP_2) | instid1(VALU_DEP_3)
	v_add3_u32 v1, v1, v3, v4
	v_cndmask_b32_e64 v3, 0, v11, s10
	v_cndmask_b32_e64 v4, 0, v12, s11
	v_add3_u32 v1, v1, v2, v5
	v_mbcnt_lo_u32_b32 v2, -1, 0
	v_cndmask_b32_e64 v5, 0, v13, s12
	s_delay_alu instid0(VALU_DEP_3) | instskip(NEXT) | instid1(VALU_DEP_3)
	v_add3_u32 v1, v1, v3, v4
	v_cmp_ne_u32_e32 vcc_lo, 31, v2
	v_cndmask_b32_e64 v3, 0, v16, s15
	s_delay_alu instid0(VALU_DEP_3)
	v_add3_u32 v1, v1, v5, v6
	s_wait_alu 0xfffd
	v_add_co_ci_u32_e64 v4, null, 0, v2, vcc_lo
	v_add_nc_u32_e32 v5, 1, v2
	v_cmp_gt_u32_e32 vcc_lo, 30, v2
	v_add3_u32 v1, v1, v7, v3
	s_delay_alu instid0(VALU_DEP_4)
	v_lshlrev_b32_e32 v4, 2, v4
	s_wait_alu 0xfffd
	v_cndmask_b32_e64 v6, 0, 2, vcc_lo
	ds_bpermute_b32 v3, v4, v1
	v_and_b32_e32 v4, 0xe0, v0
	s_wait_alu 0xfffe
	s_delay_alu instid0(VALU_DEP_1) | instskip(NEXT) | instid1(VALU_DEP_1)
	v_sub_nc_u32_e64 v4, s2, v4 clamp
	v_cmp_lt_u32_e32 vcc_lo, v5, v4
	v_add_lshl_u32 v5, v6, v2, 2
	s_wait_dscnt 0x0
	s_wait_alu 0xfffd
	v_cndmask_b32_e32 v3, 0, v3, vcc_lo
	v_cmp_gt_u32_e32 vcc_lo, 28, v2
	s_delay_alu instid0(VALU_DEP_2) | instskip(SKIP_4) | instid1(VALU_DEP_1)
	v_add_nc_u32_e32 v1, v1, v3
	s_wait_alu 0xfffd
	v_cndmask_b32_e64 v6, 0, 4, vcc_lo
	ds_bpermute_b32 v3, v5, v1
	v_add_nc_u32_e32 v5, 2, v2
	v_cmp_lt_u32_e32 vcc_lo, v5, v4
	v_add_lshl_u32 v5, v6, v2, 2
	s_wait_dscnt 0x0
	s_wait_alu 0xfffd
	v_cndmask_b32_e32 v3, 0, v3, vcc_lo
	v_cmp_gt_u32_e32 vcc_lo, 24, v2
	s_delay_alu instid0(VALU_DEP_2) | instskip(SKIP_4) | instid1(VALU_DEP_1)
	v_add_nc_u32_e32 v1, v1, v3
	s_wait_alu 0xfffd
	v_cndmask_b32_e64 v6, 0, 8, vcc_lo
	ds_bpermute_b32 v3, v5, v1
	v_add_nc_u32_e32 v5, 4, v2
	v_cmp_lt_u32_e32 vcc_lo, v5, v4
	v_add_lshl_u32 v5, v6, v2, 2
	s_wait_dscnt 0x0
	s_wait_alu 0xfffd
	v_cndmask_b32_e32 v3, 0, v3, vcc_lo
	s_delay_alu instid0(VALU_DEP_1) | instskip(SKIP_3) | instid1(VALU_DEP_1)
	v_add_nc_u32_e32 v1, v1, v3
	v_lshlrev_b32_e32 v3, 2, v2
	ds_bpermute_b32 v5, v5, v1
	v_add_nc_u32_e32 v6, 8, v2
	v_cmp_lt_u32_e32 vcc_lo, v6, v4
	v_or_b32_e32 v6, 64, v3
	s_wait_dscnt 0x0
	s_wait_alu 0xfffd
	v_cndmask_b32_e32 v5, 0, v5, vcc_lo
	s_delay_alu instid0(VALU_DEP_1) | instskip(SKIP_2) | instid1(VALU_DEP_1)
	v_add_nc_u32_e32 v1, v1, v5
	ds_bpermute_b32 v5, v6, v1
	v_add_nc_u32_e32 v6, 16, v2
	v_cmp_lt_u32_e32 vcc_lo, v6, v4
	s_wait_dscnt 0x0
	s_wait_alu 0xfffd
	v_cndmask_b32_e32 v4, 0, v5, vcc_lo
	s_delay_alu instid0(VALU_DEP_1)
	v_add_nc_u32_e32 v1, v1, v4
	v_cmpx_eq_u32_e32 0, v2
; %bb.568:
	v_lshrrev_b32_e32 v4, 3, v0
	s_delay_alu instid0(VALU_DEP_1)
	v_and_b32_e32 v4, 28, v4
	ds_store_b32 v4, v1 offset:256
; %bb.569:
	s_or_b32 exec_lo, exec_lo, s3
	s_delay_alu instid0(SALU_CYCLE_1)
	s_mov_b32 s3, exec_lo
	s_wait_loadcnt_dscnt 0x0
	s_barrier_signal -1
	s_barrier_wait -1
	global_inv scope:SCOPE_SE
	v_cmpx_gt_u32_e32 8, v0
	s_cbranch_execz .LBB658_571
; %bb.570:
	ds_load_b32 v1, v3 offset:256
	v_and_b32_e32 v4, 7, v2
	s_add_co_i32 s2, s2, 31
	s_wait_alu 0xfffe
	s_lshr_b32 s2, s2, 5
	s_delay_alu instid0(VALU_DEP_1) | instskip(SKIP_4) | instid1(VALU_DEP_2)
	v_cmp_ne_u32_e32 vcc_lo, 7, v4
	v_add_nc_u32_e32 v6, 1, v4
	s_wait_alu 0xfffd
	v_add_co_ci_u32_e64 v5, null, 0, v2, vcc_lo
	v_cmp_gt_u32_e32 vcc_lo, 6, v4
	v_lshlrev_b32_e32 v5, 2, v5
	s_wait_alu 0xfffd
	v_cndmask_b32_e64 v7, 0, 2, vcc_lo
	s_wait_alu 0xfffe
	v_cmp_gt_u32_e32 vcc_lo, s2, v6
	s_wait_dscnt 0x0
	ds_bpermute_b32 v5, v5, v1
	v_add_lshl_u32 v2, v7, v2, 2
	s_wait_dscnt 0x0
	s_wait_alu 0xfffd
	v_cndmask_b32_e32 v5, 0, v5, vcc_lo
	s_delay_alu instid0(VALU_DEP_1)
	v_add_nc_u32_e32 v1, v5, v1
	v_add_nc_u32_e32 v5, 2, v4
	ds_bpermute_b32 v2, v2, v1
	v_cmp_gt_u32_e32 vcc_lo, s2, v5
	s_wait_dscnt 0x0
	s_wait_alu 0xfffd
	v_cndmask_b32_e32 v2, 0, v2, vcc_lo
	s_delay_alu instid0(VALU_DEP_1)
	v_add_nc_u32_e32 v1, v1, v2
	v_or_b32_e32 v2, 16, v3
	v_add_nc_u32_e32 v3, 4, v4
	ds_bpermute_b32 v2, v2, v1
	v_cmp_gt_u32_e32 vcc_lo, s2, v3
	s_wait_dscnt 0x0
	s_wait_alu 0xfffd
	v_cndmask_b32_e32 v2, 0, v2, vcc_lo
	s_delay_alu instid0(VALU_DEP_1)
	v_add_nc_u32_e32 v1, v1, v2
.LBB658_571:
	s_wait_alu 0xfffe
	s_or_b32 exec_lo, exec_lo, s3
.LBB658_572:
	v_cmp_eq_u32_e64 s2, 0, v0
	s_branch .LBB658_623
.LBB658_573:
	s_mov_b32 s3, -1
                                        ; implicit-def: $vgpr1
.LBB658_574:
	s_delay_alu instid0(SALU_CYCLE_1)
	s_and_b32 vcc_lo, exec_lo, s3
	s_wait_alu 0xfffe
	s_cbranch_vccz .LBB658_596
; %bb.575:
	v_mov_b32_e32 v1, 0
	s_sub_co_i32 s10, s36, s2
	s_mov_b32 s2, exec_lo
	s_delay_alu instid0(VALU_DEP_1)
	v_dual_mov_b32 v2, v1 :: v_dual_mov_b32 v3, v1
	v_dual_mov_b32 v4, v1 :: v_dual_mov_b32 v5, v1
	;; [unrolled: 1-line block ×3, first 2 shown]
	v_mov_b32_e32 v8, v1
	v_cmpx_gt_u32_e64 s10, v0
	s_cbranch_execz .LBB658_577
; %bb.576:
	v_lshlrev_b32_e32 v2, 2, v0
	v_dual_mov_b32 v6, v1 :: v_dual_mov_b32 v9, v1
	v_dual_mov_b32 v4, v1 :: v_dual_mov_b32 v7, v1
	global_load_b32 v2, v2, s[8:9]
	v_dual_mov_b32 v8, v1 :: v_dual_mov_b32 v5, v1
	s_wait_loadcnt 0x0
	v_lshrrev_b32_e32 v3, 16, v2
	s_delay_alu instid0(VALU_DEP_1) | instskip(NEXT) | instid1(VALU_DEP_1)
	v_or_b32_e32 v2, v2, v3
	v_dual_mov_b32 v3, v1 :: v_dual_and_b32 v2, 0x7fff, v2
	s_delay_alu instid0(VALU_DEP_1) | instskip(SKIP_2) | instid1(VALU_DEP_1)
	v_cmp_ne_u16_e32 vcc_lo, 0, v2
	s_wait_alu 0xfffd
	v_cndmask_b32_e64 v2, 0, 1, vcc_lo
	v_and_b32_e32 v2, 0xffff, v2
	s_delay_alu instid0(VALU_DEP_1)
	v_mov_b32_e32 v1, v2
	v_mov_b32_e32 v2, v3
	v_mov_b32_e32 v3, v4
	v_mov_b32_e32 v4, v5
	v_mov_b32_e32 v5, v6
	v_mov_b32_e32 v6, v7
	v_mov_b32_e32 v7, v8
	v_mov_b32_e32 v8, v9
.LBB658_577:
	s_or_b32 exec_lo, exec_lo, s2
	v_or_b32_e32 v9, 0x100, v0
	s_delay_alu instid0(VALU_DEP_1)
	v_cmp_gt_u32_e32 vcc_lo, s10, v9
	s_and_saveexec_b32 s3, vcc_lo
	s_cbranch_execz .LBB658_579
; %bb.578:
	v_lshlrev_b32_e32 v2, 2, v0
	global_load_b32 v2, v2, s[8:9] offset:1024
	s_wait_loadcnt 0x0
	v_lshrrev_b32_e32 v9, 16, v2
	s_delay_alu instid0(VALU_DEP_1) | instskip(NEXT) | instid1(VALU_DEP_1)
	v_or_b32_e32 v2, v2, v9
	v_and_b32_e32 v2, 0x7fff, v2
	s_delay_alu instid0(VALU_DEP_1) | instskip(NEXT) | instid1(VALU_DEP_1)
	v_cmp_ne_u16_e64 s2, 0, v2
	v_cndmask_b32_e64 v2, 0, 1, s2
.LBB658_579:
	s_or_b32 exec_lo, exec_lo, s3
	v_or_b32_e32 v9, 0x200, v0
	s_delay_alu instid0(VALU_DEP_1)
	v_cmp_gt_u32_e64 s2, s10, v9
	s_and_saveexec_b32 s4, s2
	s_cbranch_execz .LBB658_581
; %bb.580:
	v_lshlrev_b32_e32 v3, 2, v0
	global_load_b32 v3, v3, s[8:9] offset:2048
	s_wait_loadcnt 0x0
	v_lshrrev_b32_e32 v9, 16, v3
	s_delay_alu instid0(VALU_DEP_1) | instskip(NEXT) | instid1(VALU_DEP_1)
	v_or_b32_e32 v3, v3, v9
	v_and_b32_e32 v3, 0x7fff, v3
	s_delay_alu instid0(VALU_DEP_1) | instskip(SKIP_1) | instid1(VALU_DEP_1)
	v_cmp_ne_u16_e64 s3, 0, v3
	s_wait_alu 0xf1ff
	v_cndmask_b32_e64 v3, 0, 1, s3
.LBB658_581:
	s_or_b32 exec_lo, exec_lo, s4
	v_or_b32_e32 v9, 0x300, v0
	s_delay_alu instid0(VALU_DEP_1)
	v_cmp_gt_u32_e64 s3, s10, v9
	s_and_saveexec_b32 s5, s3
	s_cbranch_execz .LBB658_583
; %bb.582:
	v_lshlrev_b32_e32 v4, 2, v0
	global_load_b32 v4, v4, s[8:9] offset:3072
	s_wait_loadcnt 0x0
	v_lshrrev_b32_e32 v9, 16, v4
	s_delay_alu instid0(VALU_DEP_1) | instskip(NEXT) | instid1(VALU_DEP_1)
	v_or_b32_e32 v4, v4, v9
	v_and_b32_e32 v4, 0x7fff, v4
	s_delay_alu instid0(VALU_DEP_1) | instskip(NEXT) | instid1(VALU_DEP_1)
	v_cmp_ne_u16_e64 s4, 0, v4
	v_cndmask_b32_e64 v4, 0, 1, s4
.LBB658_583:
	s_or_b32 exec_lo, exec_lo, s5
	v_or_b32_e32 v9, 0x400, v0
	s_delay_alu instid0(VALU_DEP_1)
	v_cmp_gt_u32_e64 s4, s10, v9
	s_and_saveexec_b32 s6, s4
	s_cbranch_execz .LBB658_585
; %bb.584:
	v_lshlrev_b32_e32 v5, 2, v0
	global_load_b32 v5, v5, s[8:9] offset:4096
	s_wait_loadcnt 0x0
	v_lshrrev_b32_e32 v9, 16, v5
	s_delay_alu instid0(VALU_DEP_1) | instskip(NEXT) | instid1(VALU_DEP_1)
	v_or_b32_e32 v5, v5, v9
	v_and_b32_e32 v5, 0x7fff, v5
	s_delay_alu instid0(VALU_DEP_1) | instskip(SKIP_1) | instid1(VALU_DEP_1)
	v_cmp_ne_u16_e64 s5, 0, v5
	s_wait_alu 0xf1ff
	v_cndmask_b32_e64 v5, 0, 1, s5
.LBB658_585:
	s_or_b32 exec_lo, exec_lo, s6
	v_or_b32_e32 v9, 0x500, v0
	s_delay_alu instid0(VALU_DEP_1)
	v_cmp_gt_u32_e64 s5, s10, v9
	s_and_saveexec_b32 s7, s5
	s_cbranch_execz .LBB658_587
; %bb.586:
	v_lshlrev_b32_e32 v6, 2, v0
	global_load_b32 v6, v6, s[8:9] offset:5120
	s_wait_loadcnt 0x0
	v_lshrrev_b32_e32 v9, 16, v6
	s_delay_alu instid0(VALU_DEP_1) | instskip(NEXT) | instid1(VALU_DEP_1)
	v_or_b32_e32 v6, v6, v9
	v_and_b32_e32 v6, 0x7fff, v6
	s_delay_alu instid0(VALU_DEP_1) | instskip(NEXT) | instid1(VALU_DEP_1)
	v_cmp_ne_u16_e64 s6, 0, v6
	v_cndmask_b32_e64 v6, 0, 1, s6
.LBB658_587:
	s_or_b32 exec_lo, exec_lo, s7
	v_or_b32_e32 v9, 0x600, v0
	s_delay_alu instid0(VALU_DEP_1)
	v_cmp_gt_u32_e64 s6, s10, v9
	s_and_saveexec_b32 s11, s6
	s_cbranch_execz .LBB658_589
; %bb.588:
	v_lshlrev_b32_e32 v7, 2, v0
	global_load_b32 v7, v7, s[8:9] offset:6144
	s_wait_loadcnt 0x0
	v_lshrrev_b32_e32 v9, 16, v7
	s_delay_alu instid0(VALU_DEP_1) | instskip(NEXT) | instid1(VALU_DEP_1)
	v_or_b32_e32 v7, v7, v9
	v_and_b32_e32 v7, 0x7fff, v7
	s_delay_alu instid0(VALU_DEP_1) | instskip(SKIP_1) | instid1(VALU_DEP_1)
	v_cmp_ne_u16_e64 s7, 0, v7
	s_wait_alu 0xf1ff
	v_cndmask_b32_e64 v7, 0, 1, s7
.LBB658_589:
	s_wait_alu 0xfffe
	s_or_b32 exec_lo, exec_lo, s11
	v_or_b32_e32 v9, 0x700, v0
	s_delay_alu instid0(VALU_DEP_1)
	v_cmp_gt_u32_e64 s7, s10, v9
	s_and_saveexec_b32 s11, s7
	s_cbranch_execz .LBB658_591
; %bb.590:
	v_lshlrev_b32_e32 v8, 2, v0
	global_load_b32 v8, v8, s[8:9] offset:7168
	s_wait_loadcnt 0x0
	v_lshrrev_b32_e32 v9, 16, v8
	s_delay_alu instid0(VALU_DEP_1) | instskip(NEXT) | instid1(VALU_DEP_1)
	v_or_b32_e32 v8, v8, v9
	v_and_b32_e32 v8, 0x7fff, v8
	s_delay_alu instid0(VALU_DEP_1) | instskip(NEXT) | instid1(VALU_DEP_1)
	v_cmp_ne_u16_e64 s8, 0, v8
	v_cndmask_b32_e64 v8, 0, 1, s8
.LBB658_591:
	s_wait_alu 0xfffe
	s_or_b32 exec_lo, exec_lo, s11
	v_cndmask_b32_e32 v2, 0, v2, vcc_lo
	v_cndmask_b32_e64 v3, 0, v3, s2
	v_cndmask_b32_e64 v4, 0, v4, s3
	;; [unrolled: 1-line block ×4, first 2 shown]
	v_add_nc_u32_e32 v1, v2, v1
	v_mbcnt_lo_u32_b32 v2, -1, 0
	v_cndmask_b32_e64 v7, 0, v7, s6
	s_min_u32 s2, s10, 0x100
	s_mov_b32 s3, exec_lo
	v_add3_u32 v1, v1, v3, v4
	v_cmp_ne_u32_e32 vcc_lo, 31, v2
	v_cndmask_b32_e64 v3, 0, v8, s7
	s_delay_alu instid0(VALU_DEP_3)
	v_add3_u32 v1, v1, v5, v6
	s_wait_alu 0xfffd
	v_add_co_ci_u32_e64 v4, null, 0, v2, vcc_lo
	v_add_nc_u32_e32 v5, 1, v2
	v_cmp_gt_u32_e32 vcc_lo, 30, v2
	v_add3_u32 v1, v1, v7, v3
	s_delay_alu instid0(VALU_DEP_4)
	v_lshlrev_b32_e32 v4, 2, v4
	s_wait_alu 0xfffd
	v_cndmask_b32_e64 v6, 0, 2, vcc_lo
	ds_bpermute_b32 v3, v4, v1
	v_and_b32_e32 v4, 0xe0, v0
	s_wait_alu 0xfffe
	s_delay_alu instid0(VALU_DEP_1) | instskip(NEXT) | instid1(VALU_DEP_1)
	v_sub_nc_u32_e64 v4, s2, v4 clamp
	v_cmp_lt_u32_e32 vcc_lo, v5, v4
	v_add_lshl_u32 v5, v6, v2, 2
	s_wait_dscnt 0x0
	s_wait_alu 0xfffd
	v_cndmask_b32_e32 v3, 0, v3, vcc_lo
	v_cmp_gt_u32_e32 vcc_lo, 28, v2
	s_delay_alu instid0(VALU_DEP_2) | instskip(SKIP_4) | instid1(VALU_DEP_1)
	v_add_nc_u32_e32 v1, v1, v3
	s_wait_alu 0xfffd
	v_cndmask_b32_e64 v6, 0, 4, vcc_lo
	ds_bpermute_b32 v3, v5, v1
	v_add_nc_u32_e32 v5, 2, v2
	v_cmp_lt_u32_e32 vcc_lo, v5, v4
	v_add_lshl_u32 v5, v6, v2, 2
	s_wait_dscnt 0x0
	s_wait_alu 0xfffd
	v_cndmask_b32_e32 v3, 0, v3, vcc_lo
	v_cmp_gt_u32_e32 vcc_lo, 24, v2
	s_delay_alu instid0(VALU_DEP_2) | instskip(SKIP_4) | instid1(VALU_DEP_1)
	v_add_nc_u32_e32 v1, v1, v3
	s_wait_alu 0xfffd
	v_cndmask_b32_e64 v6, 0, 8, vcc_lo
	ds_bpermute_b32 v3, v5, v1
	v_add_nc_u32_e32 v5, 4, v2
	v_cmp_lt_u32_e32 vcc_lo, v5, v4
	v_add_lshl_u32 v5, v6, v2, 2
	s_wait_dscnt 0x0
	s_wait_alu 0xfffd
	v_cndmask_b32_e32 v3, 0, v3, vcc_lo
	s_delay_alu instid0(VALU_DEP_1) | instskip(SKIP_3) | instid1(VALU_DEP_1)
	v_add_nc_u32_e32 v1, v1, v3
	v_lshlrev_b32_e32 v3, 2, v2
	ds_bpermute_b32 v5, v5, v1
	v_add_nc_u32_e32 v6, 8, v2
	v_cmp_lt_u32_e32 vcc_lo, v6, v4
	v_or_b32_e32 v6, 64, v3
	s_wait_dscnt 0x0
	s_wait_alu 0xfffd
	v_cndmask_b32_e32 v5, 0, v5, vcc_lo
	s_delay_alu instid0(VALU_DEP_1) | instskip(SKIP_2) | instid1(VALU_DEP_1)
	v_add_nc_u32_e32 v1, v1, v5
	ds_bpermute_b32 v5, v6, v1
	v_add_nc_u32_e32 v6, 16, v2
	v_cmp_lt_u32_e32 vcc_lo, v6, v4
	s_wait_dscnt 0x0
	s_wait_alu 0xfffd
	v_cndmask_b32_e32 v4, 0, v5, vcc_lo
	s_delay_alu instid0(VALU_DEP_1)
	v_add_nc_u32_e32 v1, v1, v4
	v_cmpx_eq_u32_e32 0, v2
; %bb.592:
	v_lshrrev_b32_e32 v4, 3, v0
	s_delay_alu instid0(VALU_DEP_1)
	v_and_b32_e32 v4, 28, v4
	ds_store_b32 v4, v1 offset:256
; %bb.593:
	s_or_b32 exec_lo, exec_lo, s3
	s_delay_alu instid0(SALU_CYCLE_1)
	s_mov_b32 s3, exec_lo
	s_wait_loadcnt_dscnt 0x0
	s_barrier_signal -1
	s_barrier_wait -1
	global_inv scope:SCOPE_SE
	v_cmpx_gt_u32_e32 8, v0
	s_cbranch_execz .LBB658_595
; %bb.594:
	ds_load_b32 v1, v3 offset:256
	v_and_b32_e32 v4, 7, v2
	s_add_co_i32 s2, s2, 31
	s_wait_alu 0xfffe
	s_lshr_b32 s2, s2, 5
	s_delay_alu instid0(VALU_DEP_1) | instskip(SKIP_4) | instid1(VALU_DEP_2)
	v_cmp_ne_u32_e32 vcc_lo, 7, v4
	v_add_nc_u32_e32 v6, 1, v4
	s_wait_alu 0xfffd
	v_add_co_ci_u32_e64 v5, null, 0, v2, vcc_lo
	v_cmp_gt_u32_e32 vcc_lo, 6, v4
	v_lshlrev_b32_e32 v5, 2, v5
	s_wait_alu 0xfffd
	v_cndmask_b32_e64 v7, 0, 2, vcc_lo
	s_wait_alu 0xfffe
	v_cmp_gt_u32_e32 vcc_lo, s2, v6
	s_wait_dscnt 0x0
	ds_bpermute_b32 v5, v5, v1
	v_add_lshl_u32 v2, v7, v2, 2
	s_wait_dscnt 0x0
	s_wait_alu 0xfffd
	v_cndmask_b32_e32 v5, 0, v5, vcc_lo
	s_delay_alu instid0(VALU_DEP_1)
	v_add_nc_u32_e32 v1, v5, v1
	v_add_nc_u32_e32 v5, 2, v4
	ds_bpermute_b32 v2, v2, v1
	v_cmp_gt_u32_e32 vcc_lo, s2, v5
	s_wait_dscnt 0x0
	s_wait_alu 0xfffd
	v_cndmask_b32_e32 v2, 0, v2, vcc_lo
	s_delay_alu instid0(VALU_DEP_1)
	v_add_nc_u32_e32 v1, v1, v2
	v_or_b32_e32 v2, 16, v3
	v_add_nc_u32_e32 v3, 4, v4
	ds_bpermute_b32 v2, v2, v1
	v_cmp_gt_u32_e32 vcc_lo, s2, v3
	s_wait_dscnt 0x0
	s_wait_alu 0xfffd
	v_cndmask_b32_e32 v2, 0, v2, vcc_lo
	s_delay_alu instid0(VALU_DEP_1)
	v_add_nc_u32_e32 v1, v1, v2
.LBB658_595:
	s_wait_alu 0xfffe
	s_or_b32 exec_lo, exec_lo, s3
.LBB658_596:
	v_cmp_eq_u32_e64 s2, 0, v0
.LBB658_597:
	s_branch .LBB658_623
.LBB658_598:
	s_mov_b32 s3, -1
                                        ; implicit-def: $vgpr1
.LBB658_599:
	s_delay_alu instid0(SALU_CYCLE_1)
	s_and_b32 vcc_lo, exec_lo, s3
	s_wait_alu 0xfffe
	s_cbranch_vccz .LBB658_613
; %bb.600:
	v_mov_b32_e32 v1, 0
	s_sub_co_i32 s6, s36, s2
	s_mov_b32 s2, exec_lo
	s_delay_alu instid0(VALU_DEP_1)
	v_dual_mov_b32 v2, v1 :: v_dual_mov_b32 v3, v1
	v_mov_b32_e32 v4, v1
	v_cmpx_gt_u32_e64 s6, v0
	s_cbranch_execz .LBB658_602
; %bb.601:
	v_lshlrev_b32_e32 v2, 2, v0
	v_dual_mov_b32 v4, v1 :: v_dual_mov_b32 v5, v1
	global_load_b32 v2, v2, s[4:5]
	s_wait_loadcnt 0x0
	v_lshrrev_b32_e32 v3, 16, v2
	s_delay_alu instid0(VALU_DEP_1) | instskip(NEXT) | instid1(VALU_DEP_1)
	v_or_b32_e32 v2, v2, v3
	v_dual_mov_b32 v3, v1 :: v_dual_and_b32 v2, 0x7fff, v2
	s_delay_alu instid0(VALU_DEP_1) | instskip(SKIP_2) | instid1(VALU_DEP_1)
	v_cmp_ne_u16_e32 vcc_lo, 0, v2
	s_wait_alu 0xfffd
	v_cndmask_b32_e64 v2, 0, 1, vcc_lo
	v_and_b32_e32 v2, 0xffff, v2
	s_delay_alu instid0(VALU_DEP_1)
	v_mov_b32_e32 v1, v2
	v_mov_b32_e32 v2, v3
	;; [unrolled: 1-line block ×4, first 2 shown]
.LBB658_602:
	s_or_b32 exec_lo, exec_lo, s2
	v_or_b32_e32 v5, 0x100, v0
	s_delay_alu instid0(VALU_DEP_1)
	v_cmp_gt_u32_e32 vcc_lo, s6, v5
	s_and_saveexec_b32 s3, vcc_lo
	s_cbranch_execz .LBB658_604
; %bb.603:
	v_lshlrev_b32_e32 v2, 2, v0
	global_load_b32 v2, v2, s[4:5] offset:1024
	s_wait_loadcnt 0x0
	v_lshrrev_b32_e32 v5, 16, v2
	s_delay_alu instid0(VALU_DEP_1) | instskip(NEXT) | instid1(VALU_DEP_1)
	v_or_b32_e32 v2, v2, v5
	v_and_b32_e32 v2, 0x7fff, v2
	s_delay_alu instid0(VALU_DEP_1) | instskip(NEXT) | instid1(VALU_DEP_1)
	v_cmp_ne_u16_e64 s2, 0, v2
	v_cndmask_b32_e64 v2, 0, 1, s2
.LBB658_604:
	s_or_b32 exec_lo, exec_lo, s3
	v_or_b32_e32 v5, 0x200, v0
	s_delay_alu instid0(VALU_DEP_1)
	v_cmp_gt_u32_e64 s2, s6, v5
	s_and_saveexec_b32 s7, s2
	s_cbranch_execz .LBB658_606
; %bb.605:
	v_lshlrev_b32_e32 v3, 2, v0
	global_load_b32 v3, v3, s[4:5] offset:2048
	s_wait_loadcnt 0x0
	v_lshrrev_b32_e32 v5, 16, v3
	s_delay_alu instid0(VALU_DEP_1) | instskip(NEXT) | instid1(VALU_DEP_1)
	v_or_b32_e32 v3, v3, v5
	v_and_b32_e32 v3, 0x7fff, v3
	s_delay_alu instid0(VALU_DEP_1) | instskip(SKIP_1) | instid1(VALU_DEP_1)
	v_cmp_ne_u16_e64 s3, 0, v3
	s_wait_alu 0xf1ff
	v_cndmask_b32_e64 v3, 0, 1, s3
.LBB658_606:
	s_wait_alu 0xfffe
	s_or_b32 exec_lo, exec_lo, s7
	v_or_b32_e32 v5, 0x300, v0
	s_delay_alu instid0(VALU_DEP_1)
	v_cmp_gt_u32_e64 s3, s6, v5
	s_and_saveexec_b32 s7, s3
	s_cbranch_execz .LBB658_608
; %bb.607:
	v_lshlrev_b32_e32 v4, 2, v0
	global_load_b32 v4, v4, s[4:5] offset:3072
	s_wait_loadcnt 0x0
	v_lshrrev_b32_e32 v5, 16, v4
	s_delay_alu instid0(VALU_DEP_1) | instskip(NEXT) | instid1(VALU_DEP_1)
	v_or_b32_e32 v4, v4, v5
	v_and_b32_e32 v4, 0x7fff, v4
	s_delay_alu instid0(VALU_DEP_1) | instskip(NEXT) | instid1(VALU_DEP_1)
	v_cmp_ne_u16_e64 s4, 0, v4
	v_cndmask_b32_e64 v4, 0, 1, s4
.LBB658_608:
	s_wait_alu 0xfffe
	s_or_b32 exec_lo, exec_lo, s7
	v_cndmask_b32_e32 v5, 0, v2, vcc_lo
	v_mbcnt_lo_u32_b32 v2, -1, 0
	v_cndmask_b32_e64 v3, 0, v3, s2
	v_cndmask_b32_e64 v4, 0, v4, s3
	s_min_u32 s2, s6, 0x100
	v_add_nc_u32_e32 v1, v5, v1
	v_cmp_ne_u32_e32 vcc_lo, 31, v2
	s_mov_b32 s3, exec_lo
	s_delay_alu instid0(VALU_DEP_2) | instskip(SKIP_4) | instid1(VALU_DEP_3)
	v_add3_u32 v1, v1, v3, v4
	s_wait_alu 0xfffd
	v_add_co_ci_u32_e64 v5, null, 0, v2, vcc_lo
	v_and_b32_e32 v4, 0xe0, v0
	v_cmp_gt_u32_e32 vcc_lo, 30, v2
	v_lshlrev_b32_e32 v3, 2, v5
	v_add_nc_u32_e32 v5, 1, v2
	s_wait_alu 0xfffe
	v_sub_nc_u32_e64 v4, s2, v4 clamp
	s_wait_alu 0xfffd
	v_cndmask_b32_e64 v6, 0, 2, vcc_lo
	ds_bpermute_b32 v3, v3, v1
	v_cmp_lt_u32_e32 vcc_lo, v5, v4
	v_add_lshl_u32 v5, v6, v2, 2
	s_wait_dscnt 0x0
	s_wait_alu 0xfffd
	v_cndmask_b32_e32 v3, 0, v3, vcc_lo
	v_cmp_gt_u32_e32 vcc_lo, 28, v2
	s_delay_alu instid0(VALU_DEP_2) | instskip(SKIP_4) | instid1(VALU_DEP_1)
	v_add_nc_u32_e32 v1, v3, v1
	s_wait_alu 0xfffd
	v_cndmask_b32_e64 v6, 0, 4, vcc_lo
	ds_bpermute_b32 v3, v5, v1
	v_add_nc_u32_e32 v5, 2, v2
	v_cmp_lt_u32_e32 vcc_lo, v5, v4
	v_add_lshl_u32 v5, v6, v2, 2
	s_wait_dscnt 0x0
	s_wait_alu 0xfffd
	v_cndmask_b32_e32 v3, 0, v3, vcc_lo
	v_cmp_gt_u32_e32 vcc_lo, 24, v2
	s_delay_alu instid0(VALU_DEP_2) | instskip(SKIP_4) | instid1(VALU_DEP_1)
	v_add_nc_u32_e32 v1, v1, v3
	s_wait_alu 0xfffd
	v_cndmask_b32_e64 v6, 0, 8, vcc_lo
	ds_bpermute_b32 v3, v5, v1
	v_add_nc_u32_e32 v5, 4, v2
	v_cmp_lt_u32_e32 vcc_lo, v5, v4
	v_add_lshl_u32 v5, v6, v2, 2
	s_wait_dscnt 0x0
	s_wait_alu 0xfffd
	v_dual_cndmask_b32 v3, 0, v3 :: v_dual_add_nc_u32 v6, 8, v2
	s_delay_alu instid0(VALU_DEP_1) | instskip(NEXT) | instid1(VALU_DEP_2)
	v_cmp_lt_u32_e32 vcc_lo, v6, v4
	v_add_nc_u32_e32 v1, v1, v3
	v_lshlrev_b32_e32 v3, 2, v2
	ds_bpermute_b32 v5, v5, v1
	v_or_b32_e32 v6, 64, v3
	s_wait_dscnt 0x0
	s_wait_alu 0xfffd
	v_cndmask_b32_e32 v5, 0, v5, vcc_lo
	s_delay_alu instid0(VALU_DEP_1) | instskip(SKIP_2) | instid1(VALU_DEP_1)
	v_add_nc_u32_e32 v1, v1, v5
	ds_bpermute_b32 v5, v6, v1
	v_add_nc_u32_e32 v6, 16, v2
	v_cmp_lt_u32_e32 vcc_lo, v6, v4
	s_wait_dscnt 0x0
	s_wait_alu 0xfffd
	v_cndmask_b32_e32 v4, 0, v5, vcc_lo
	s_delay_alu instid0(VALU_DEP_1)
	v_add_nc_u32_e32 v1, v1, v4
	v_cmpx_eq_u32_e32 0, v2
; %bb.609:
	v_lshrrev_b32_e32 v4, 3, v0
	s_delay_alu instid0(VALU_DEP_1)
	v_and_b32_e32 v4, 28, v4
	ds_store_b32 v4, v1 offset:256
; %bb.610:
	s_or_b32 exec_lo, exec_lo, s3
	s_delay_alu instid0(SALU_CYCLE_1)
	s_mov_b32 s3, exec_lo
	s_wait_loadcnt_dscnt 0x0
	s_barrier_signal -1
	s_barrier_wait -1
	global_inv scope:SCOPE_SE
	v_cmpx_gt_u32_e32 8, v0
	s_cbranch_execz .LBB658_612
; %bb.611:
	ds_load_b32 v1, v3 offset:256
	v_and_b32_e32 v4, 7, v2
	s_add_co_i32 s2, s2, 31
	s_wait_alu 0xfffe
	s_lshr_b32 s2, s2, 5
	s_delay_alu instid0(VALU_DEP_1) | instskip(SKIP_4) | instid1(VALU_DEP_2)
	v_cmp_ne_u32_e32 vcc_lo, 7, v4
	v_add_nc_u32_e32 v6, 1, v4
	s_wait_alu 0xfffd
	v_add_co_ci_u32_e64 v5, null, 0, v2, vcc_lo
	v_cmp_gt_u32_e32 vcc_lo, 6, v4
	v_lshlrev_b32_e32 v5, 2, v5
	s_wait_alu 0xfffd
	v_cndmask_b32_e64 v7, 0, 2, vcc_lo
	s_wait_alu 0xfffe
	v_cmp_gt_u32_e32 vcc_lo, s2, v6
	s_wait_dscnt 0x0
	ds_bpermute_b32 v5, v5, v1
	v_add_lshl_u32 v2, v7, v2, 2
	s_wait_dscnt 0x0
	s_wait_alu 0xfffd
	v_cndmask_b32_e32 v5, 0, v5, vcc_lo
	s_delay_alu instid0(VALU_DEP_1)
	v_add_nc_u32_e32 v1, v5, v1
	v_add_nc_u32_e32 v5, 2, v4
	ds_bpermute_b32 v2, v2, v1
	v_cmp_gt_u32_e32 vcc_lo, s2, v5
	s_wait_dscnt 0x0
	s_wait_alu 0xfffd
	v_cndmask_b32_e32 v2, 0, v2, vcc_lo
	s_delay_alu instid0(VALU_DEP_1)
	v_add_nc_u32_e32 v1, v1, v2
	v_or_b32_e32 v2, 16, v3
	v_add_nc_u32_e32 v3, 4, v4
	ds_bpermute_b32 v2, v2, v1
	v_cmp_gt_u32_e32 vcc_lo, s2, v3
	s_wait_dscnt 0x0
	s_wait_alu 0xfffd
	v_cndmask_b32_e32 v2, 0, v2, vcc_lo
	s_delay_alu instid0(VALU_DEP_1)
	v_add_nc_u32_e32 v1, v1, v2
.LBB658_612:
	s_wait_alu 0xfffe
	s_or_b32 exec_lo, exec_lo, s3
.LBB658_613:
	v_cmp_eq_u32_e64 s2, 0, v0
	s_branch .LBB658_623
.LBB658_614:
	s_cmp_gt_i32 s44, 1
	s_cbranch_scc0 .LBB658_622
; %bb.615:
	s_cmp_eq_u32 s44, 2
	s_cbranch_scc0 .LBB658_626
; %bb.616:
	s_mov_b32 s35, 0
	s_lshl_b32 s4, s34, 9
	s_mov_b32 s5, s35
	s_lshr_b64 s[2:3], s[36:37], 9
	s_lshl_b64 s[6:7], s[4:5], 2
	s_cmp_lg_u64 s[2:3], s[34:35]
	s_add_nc_u64 s[2:3], s[40:41], s[6:7]
	s_cbranch_scc0 .LBB658_627
; %bb.617:
	v_lshlrev_b32_e32 v1, 2, v0
	s_mov_b32 s5, exec_lo
	s_clause 0x1
	global_load_b32 v2, v1, s[2:3]
	global_load_b32 v1, v1, s[2:3] offset:1024
	s_wait_loadcnt 0x1
	v_lshrrev_b32_e32 v3, 16, v2
	s_wait_loadcnt 0x0
	v_lshrrev_b32_e32 v4, 16, v1
	s_delay_alu instid0(VALU_DEP_2) | instskip(NEXT) | instid1(VALU_DEP_2)
	v_or_b32_e32 v2, v2, v3
	v_or_b32_e32 v1, v1, v4
	s_delay_alu instid0(VALU_DEP_2) | instskip(NEXT) | instid1(VALU_DEP_2)
	v_and_b32_e32 v2, 0x7fff, v2
	v_and_b32_e32 v1, 0x7fff, v1
	s_delay_alu instid0(VALU_DEP_2) | instskip(SKIP_1) | instid1(VALU_DEP_3)
	v_cmp_ne_u16_e32 vcc_lo, 0, v2
	v_cndmask_b32_e64 v2, 0, 1, vcc_lo
	v_cmp_ne_u16_e32 vcc_lo, 0, v1
	s_wait_alu 0xfffd
	s_delay_alu instid0(VALU_DEP_2) | instskip(NEXT) | instid1(VALU_DEP_1)
	v_add_co_ci_u32_e64 v1, null, 0, v2, vcc_lo
	v_mov_b32_dpp v1, v1 quad_perm:[1,0,3,2] row_mask:0xf bank_mask:0xf
	s_delay_alu instid0(VALU_DEP_1) | instskip(NEXT) | instid1(VALU_DEP_1)
	v_add_co_ci_u32_e64 v1, null, v1, v2, vcc_lo
	v_mov_b32_dpp v2, v1 quad_perm:[2,3,0,1] row_mask:0xf bank_mask:0xf
	s_delay_alu instid0(VALU_DEP_1) | instskip(NEXT) | instid1(VALU_DEP_1)
	v_add_nc_u32_e32 v1, v1, v2
	v_mov_b32_dpp v2, v1 row_ror:4 row_mask:0xf bank_mask:0xf
	s_delay_alu instid0(VALU_DEP_1) | instskip(NEXT) | instid1(VALU_DEP_1)
	v_add_nc_u32_e32 v1, v1, v2
	v_mov_b32_dpp v2, v1 row_ror:8 row_mask:0xf bank_mask:0xf
	s_delay_alu instid0(VALU_DEP_1)
	v_add_nc_u32_e32 v1, v1, v2
	ds_swizzle_b32 v2, v1 offset:swizzle(BROADCAST,32,15)
	s_wait_dscnt 0x0
	v_dual_mov_b32 v2, 0 :: v_dual_add_nc_u32 v1, v1, v2
	ds_bpermute_b32 v1, v2, v1 offset:124
	v_mbcnt_lo_u32_b32 v2, -1, 0
	s_delay_alu instid0(VALU_DEP_1)
	v_cmpx_eq_u32_e32 0, v2
	s_cbranch_execz .LBB658_619
; %bb.618:
	v_lshrrev_b32_e32 v3, 3, v0
	s_delay_alu instid0(VALU_DEP_1)
	v_and_b32_e32 v3, 28, v3
	s_wait_dscnt 0x0
	ds_store_b32 v3, v1 offset:96
.LBB658_619:
	s_or_b32 exec_lo, exec_lo, s5
	s_delay_alu instid0(SALU_CYCLE_1)
	s_mov_b32 s5, exec_lo
	s_wait_dscnt 0x0
	s_barrier_signal -1
	s_barrier_wait -1
	global_inv scope:SCOPE_SE
	v_cmpx_gt_u32_e32 32, v0
	s_cbranch_execz .LBB658_621
; %bb.620:
	v_lshl_or_b32 v1, v2, 2, 0x60
	v_and_b32_e32 v3, 7, v2
	ds_load_b32 v1, v1
	v_cmp_ne_u32_e32 vcc_lo, 7, v3
	s_wait_alu 0xfffd
	v_add_co_ci_u32_e64 v4, null, 0, v2, vcc_lo
	v_cmp_gt_u32_e32 vcc_lo, 6, v3
	s_delay_alu instid0(VALU_DEP_2) | instskip(SKIP_2) | instid1(VALU_DEP_1)
	v_lshlrev_b32_e32 v4, 2, v4
	s_wait_alu 0xfffd
	v_cndmask_b32_e64 v3, 0, 2, vcc_lo
	v_add_lshl_u32 v3, v3, v2, 2
	v_lshlrev_b32_e32 v2, 2, v2
	s_wait_dscnt 0x0
	ds_bpermute_b32 v4, v4, v1
	v_or_b32_e32 v2, 16, v2
	s_wait_dscnt 0x0
	v_add_nc_u32_e32 v1, v4, v1
	ds_bpermute_b32 v3, v3, v1
	s_wait_dscnt 0x0
	v_add_nc_u32_e32 v1, v3, v1
	ds_bpermute_b32 v2, v2, v1
	s_wait_dscnt 0x0
	v_add_nc_u32_e32 v1, v2, v1
.LBB658_621:
	s_or_b32 exec_lo, exec_lo, s5
	s_mov_b32 s5, 0
	s_branch .LBB658_628
.LBB658_622:
                                        ; implicit-def: $vgpr1
	s_cbranch_execnz .LBB658_639
.LBB658_623:
	s_delay_alu instid0(VALU_DEP_1)
	s_and_saveexec_b32 s3, s2
	s_cbranch_execz .LBB658_625
.LBB658_624:
	s_load_b32 s2, s[0:1], 0x28
	s_lshl_b64 s[0:1], s[34:35], 2
	s_cmp_lg_u64 s[36:37], 0
	s_add_nc_u64 s[0:1], s[38:39], s[0:1]
	s_cselect_b32 vcc_lo, -1, 0
	s_wait_alu 0xfffe
	v_dual_cndmask_b32 v0, 0, v1 :: v_dual_mov_b32 v1, 0
	s_wait_kmcnt 0x0
	s_delay_alu instid0(VALU_DEP_1)
	v_add_nc_u32_e32 v0, s2, v0
	global_store_b32 v1, v0, s[0:1]
.LBB658_625:
	s_nop 0
	s_sendmsg sendmsg(MSG_DEALLOC_VGPRS)
	s_endpgm
.LBB658_626:
                                        ; implicit-def: $vgpr1
	s_branch .LBB658_623
.LBB658_627:
	s_mov_b32 s5, -1
                                        ; implicit-def: $vgpr1
.LBB658_628:
	s_delay_alu instid0(SALU_CYCLE_1)
	s_and_b32 vcc_lo, exec_lo, s5
	s_wait_alu 0xfffe
	s_cbranch_vccz .LBB658_638
; %bb.629:
	v_mov_b32_e32 v1, 0
	s_sub_co_i32 s4, s36, s4
	s_mov_b32 s5, exec_lo
	s_delay_alu instid0(VALU_DEP_1)
	v_mov_b32_e32 v2, v1
	v_cmpx_gt_u32_e64 s4, v0
	s_cbranch_execz .LBB658_631
; %bb.630:
	v_lshlrev_b32_e32 v2, 2, v0
	global_load_b32 v2, v2, s[2:3]
	s_wait_loadcnt 0x0
	v_lshrrev_b32_e32 v3, 16, v2
	s_delay_alu instid0(VALU_DEP_1) | instskip(NEXT) | instid1(VALU_DEP_1)
	v_or_b32_e32 v2, v2, v3
	v_dual_mov_b32 v3, v1 :: v_dual_and_b32 v2, 0x7fff, v2
	s_delay_alu instid0(VALU_DEP_1) | instskip(SKIP_2) | instid1(VALU_DEP_1)
	v_cmp_ne_u16_e32 vcc_lo, 0, v2
	s_wait_alu 0xfffd
	v_cndmask_b32_e64 v2, 0, 1, vcc_lo
	v_and_b32_e32 v2, 0xffff, v2
	s_delay_alu instid0(VALU_DEP_1)
	v_mov_b32_e32 v1, v2
	v_mov_b32_e32 v2, v3
.LBB658_631:
	s_or_b32 exec_lo, exec_lo, s5
	v_or_b32_e32 v3, 0x100, v0
	s_delay_alu instid0(VALU_DEP_1)
	v_cmp_gt_u32_e32 vcc_lo, s4, v3
	s_and_saveexec_b32 s5, vcc_lo
	s_cbranch_execz .LBB658_633
; %bb.632:
	v_lshlrev_b32_e32 v2, 2, v0
	global_load_b32 v2, v2, s[2:3] offset:1024
	s_wait_loadcnt 0x0
	v_lshrrev_b32_e32 v3, 16, v2
	s_delay_alu instid0(VALU_DEP_1) | instskip(NEXT) | instid1(VALU_DEP_1)
	v_or_b32_e32 v2, v2, v3
	v_and_b32_e32 v2, 0x7fff, v2
	s_delay_alu instid0(VALU_DEP_1) | instskip(NEXT) | instid1(VALU_DEP_1)
	v_cmp_ne_u16_e64 s2, 0, v2
	v_cndmask_b32_e64 v2, 0, 1, s2
.LBB658_633:
	s_wait_alu 0xfffe
	s_or_b32 exec_lo, exec_lo, s5
	v_mbcnt_lo_u32_b32 v3, -1, 0
	s_delay_alu instid0(VALU_DEP_2) | instskip(SKIP_2) | instid1(VALU_DEP_2)
	v_cndmask_b32_e32 v2, 0, v2, vcc_lo
	s_min_u32 s2, s4, 0x100
	s_mov_b32 s3, exec_lo
	v_cmp_ne_u32_e32 vcc_lo, 31, v3
	v_add_nc_u32_e32 v5, 1, v3
	v_add_nc_u32_e32 v1, v2, v1
	s_wait_alu 0xfffd
	v_add_co_ci_u32_e64 v4, null, 0, v3, vcc_lo
	v_cmp_gt_u32_e32 vcc_lo, 30, v3
	s_delay_alu instid0(VALU_DEP_2)
	v_lshlrev_b32_e32 v2, 2, v4
	v_and_b32_e32 v4, 0xe0, v0
	s_wait_alu 0xfffd
	v_cndmask_b32_e64 v6, 0, 2, vcc_lo
	ds_bpermute_b32 v2, v2, v1
	s_wait_alu 0xfffe
	v_sub_nc_u32_e64 v4, s2, v4 clamp
	s_delay_alu instid0(VALU_DEP_1)
	v_cmp_lt_u32_e32 vcc_lo, v5, v4
	v_add_lshl_u32 v5, v6, v3, 2
	s_wait_dscnt 0x0
	s_wait_alu 0xfffd
	v_cndmask_b32_e32 v2, 0, v2, vcc_lo
	v_cmp_gt_u32_e32 vcc_lo, 28, v3
	s_delay_alu instid0(VALU_DEP_2) | instskip(SKIP_4) | instid1(VALU_DEP_1)
	v_add_nc_u32_e32 v1, v2, v1
	s_wait_alu 0xfffd
	v_cndmask_b32_e64 v6, 0, 4, vcc_lo
	ds_bpermute_b32 v2, v5, v1
	v_add_nc_u32_e32 v5, 2, v3
	v_cmp_lt_u32_e32 vcc_lo, v5, v4
	v_add_lshl_u32 v5, v6, v3, 2
	s_wait_dscnt 0x0
	s_wait_alu 0xfffd
	v_cndmask_b32_e32 v2, 0, v2, vcc_lo
	v_cmp_gt_u32_e32 vcc_lo, 24, v3
	s_delay_alu instid0(VALU_DEP_2) | instskip(SKIP_4) | instid1(VALU_DEP_1)
	v_add_nc_u32_e32 v1, v1, v2
	s_wait_alu 0xfffd
	v_cndmask_b32_e64 v6, 0, 8, vcc_lo
	ds_bpermute_b32 v2, v5, v1
	v_add_nc_u32_e32 v5, 4, v3
	v_cmp_lt_u32_e32 vcc_lo, v5, v4
	v_add_lshl_u32 v5, v6, v3, 2
	v_add_nc_u32_e32 v6, 8, v3
	s_wait_dscnt 0x0
	s_wait_alu 0xfffd
	v_cndmask_b32_e32 v2, 0, v2, vcc_lo
	s_delay_alu instid0(VALU_DEP_2) | instskip(NEXT) | instid1(VALU_DEP_2)
	v_cmp_lt_u32_e32 vcc_lo, v6, v4
	v_add_nc_u32_e32 v1, v1, v2
	v_lshlrev_b32_e32 v2, 2, v3
	ds_bpermute_b32 v5, v5, v1
	v_or_b32_e32 v6, 64, v2
	s_wait_dscnt 0x0
	s_wait_alu 0xfffd
	v_cndmask_b32_e32 v5, 0, v5, vcc_lo
	s_delay_alu instid0(VALU_DEP_1) | instskip(SKIP_2) | instid1(VALU_DEP_1)
	v_add_nc_u32_e32 v1, v1, v5
	ds_bpermute_b32 v5, v6, v1
	v_add_nc_u32_e32 v6, 16, v3
	v_cmp_lt_u32_e32 vcc_lo, v6, v4
	s_wait_dscnt 0x0
	s_wait_alu 0xfffd
	v_cndmask_b32_e32 v4, 0, v5, vcc_lo
	s_delay_alu instid0(VALU_DEP_1)
	v_add_nc_u32_e32 v1, v1, v4
	v_cmpx_eq_u32_e32 0, v3
; %bb.634:
	v_lshrrev_b32_e32 v4, 3, v0
	s_delay_alu instid0(VALU_DEP_1)
	v_and_b32_e32 v4, 28, v4
	ds_store_b32 v4, v1 offset:256
; %bb.635:
	s_or_b32 exec_lo, exec_lo, s3
	s_delay_alu instid0(SALU_CYCLE_1)
	s_mov_b32 s3, exec_lo
	s_wait_loadcnt_dscnt 0x0
	s_barrier_signal -1
	s_barrier_wait -1
	global_inv scope:SCOPE_SE
	v_cmpx_gt_u32_e32 8, v0
	s_cbranch_execz .LBB658_637
; %bb.636:
	ds_load_b32 v1, v2 offset:256
	v_and_b32_e32 v4, 7, v3
	s_add_co_i32 s2, s2, 31
	v_or_b32_e32 v2, 16, v2
	s_wait_alu 0xfffe
	s_lshr_b32 s2, s2, 5
	v_cmp_ne_u32_e32 vcc_lo, 7, v4
	v_add_nc_u32_e32 v6, 1, v4
	s_wait_alu 0xfffd
	v_add_co_ci_u32_e64 v5, null, 0, v3, vcc_lo
	v_cmp_gt_u32_e32 vcc_lo, 6, v4
	s_delay_alu instid0(VALU_DEP_2)
	v_lshlrev_b32_e32 v5, 2, v5
	s_wait_alu 0xfffd
	v_cndmask_b32_e64 v7, 0, 2, vcc_lo
	s_wait_alu 0xfffe
	v_cmp_gt_u32_e32 vcc_lo, s2, v6
	s_wait_dscnt 0x0
	ds_bpermute_b32 v5, v5, v1
	v_add_lshl_u32 v3, v7, v3, 2
	s_wait_dscnt 0x0
	s_wait_alu 0xfffd
	v_cndmask_b32_e32 v5, 0, v5, vcc_lo
	s_delay_alu instid0(VALU_DEP_1)
	v_add_nc_u32_e32 v1, v5, v1
	v_add_nc_u32_e32 v5, 2, v4
	ds_bpermute_b32 v3, v3, v1
	v_cmp_gt_u32_e32 vcc_lo, s2, v5
	s_wait_dscnt 0x0
	s_wait_alu 0xfffd
	v_cndmask_b32_e32 v3, 0, v3, vcc_lo
	s_delay_alu instid0(VALU_DEP_1)
	v_add_nc_u32_e32 v1, v1, v3
	v_add_nc_u32_e32 v3, 4, v4
	ds_bpermute_b32 v2, v2, v1
	v_cmp_gt_u32_e32 vcc_lo, s2, v3
	s_wait_dscnt 0x0
	s_wait_alu 0xfffd
	v_cndmask_b32_e32 v2, 0, v2, vcc_lo
	s_delay_alu instid0(VALU_DEP_1)
	v_add_nc_u32_e32 v1, v1, v2
.LBB658_637:
	s_wait_alu 0xfffe
	s_or_b32 exec_lo, exec_lo, s3
.LBB658_638:
	v_cmp_eq_u32_e64 s2, 0, v0
	s_branch .LBB658_623
.LBB658_639:
	s_cmp_eq_u32 s44, 1
	s_cbranch_scc0 .LBB658_647
; %bb.640:
	s_mov_b32 s3, 0
	v_mbcnt_lo_u32_b32 v2, -1, 0
	s_lshr_b64 s[4:5], s[36:37], 8
	s_mov_b32 s35, s3
	s_lshl_b32 s2, s34, 8
	s_cmp_lg_u64 s[4:5], s[34:35]
	s_cbranch_scc0 .LBB658_648
; %bb.641:
	v_lshlrev_b32_e32 v1, 2, v0
	s_lshl_b64 s[4:5], s[2:3], 2
	s_delay_alu instid0(SALU_CYCLE_1) | instskip(SKIP_4) | instid1(VALU_DEP_1)
	s_add_nc_u64 s[4:5], s[40:41], s[4:5]
	global_load_b32 v1, v1, s[4:5]
	s_mov_b32 s4, exec_lo
	s_wait_loadcnt 0x0
	v_lshrrev_b32_e32 v3, 16, v1
	v_or_b32_e32 v1, v1, v3
	s_delay_alu instid0(VALU_DEP_1) | instskip(NEXT) | instid1(VALU_DEP_1)
	v_and_b32_e32 v1, 0x7fff, v1
	v_cmp_ne_u16_e32 vcc_lo, 0, v1
	v_cndmask_b32_e64 v1, 0, 1, vcc_lo
	s_delay_alu instid0(VALU_DEP_1) | instskip(NEXT) | instid1(VALU_DEP_1)
	v_mov_b32_dpp v1, v1 quad_perm:[1,0,3,2] row_mask:0xf bank_mask:0xf
	v_add_co_ci_u32_e64 v3, null, 0, v1, vcc_lo
	s_delay_alu instid0(VALU_DEP_1) | instskip(NEXT) | instid1(VALU_DEP_1)
	v_mov_b32_dpp v3, v3 quad_perm:[2,3,0,1] row_mask:0xf bank_mask:0xf
	v_add_co_ci_u32_e64 v1, null, v3, v1, vcc_lo
	s_delay_alu instid0(VALU_DEP_1) | instskip(NEXT) | instid1(VALU_DEP_1)
	v_mov_b32_dpp v3, v1 row_ror:4 row_mask:0xf bank_mask:0xf
	v_add_nc_u32_e32 v1, v1, v3
	s_delay_alu instid0(VALU_DEP_1) | instskip(NEXT) | instid1(VALU_DEP_1)
	v_mov_b32_dpp v3, v1 row_ror:8 row_mask:0xf bank_mask:0xf
	v_add_nc_u32_e32 v1, v1, v3
	ds_swizzle_b32 v3, v1 offset:swizzle(BROADCAST,32,15)
	s_wait_dscnt 0x0
	v_add_nc_u32_e32 v1, v1, v3
	v_mov_b32_e32 v3, 0
	ds_bpermute_b32 v1, v3, v1 offset:124
	v_cmpx_eq_u32_e32 0, v2
	s_cbranch_execz .LBB658_643
; %bb.642:
	v_lshrrev_b32_e32 v3, 3, v0
	s_delay_alu instid0(VALU_DEP_1)
	v_and_b32_e32 v3, 28, v3
	s_wait_dscnt 0x0
	ds_store_b32 v3, v1 offset:64
.LBB658_643:
	s_or_b32 exec_lo, exec_lo, s4
	s_delay_alu instid0(SALU_CYCLE_1)
	s_mov_b32 s4, exec_lo
	s_wait_dscnt 0x0
	s_barrier_signal -1
	s_barrier_wait -1
	global_inv scope:SCOPE_SE
	v_cmpx_gt_u32_e32 32, v0
	s_cbranch_execz .LBB658_645
; %bb.644:
	v_and_b32_e32 v1, 7, v2
	s_delay_alu instid0(VALU_DEP_1)
	v_lshlrev_b32_e32 v3, 2, v1
	v_cmp_ne_u32_e32 vcc_lo, 7, v1
	ds_load_b32 v3, v3 offset:64
	s_wait_alu 0xfffd
	v_add_co_ci_u32_e64 v4, null, 0, v2, vcc_lo
	v_cmp_gt_u32_e32 vcc_lo, 6, v1
	s_delay_alu instid0(VALU_DEP_2) | instskip(SKIP_2) | instid1(VALU_DEP_1)
	v_lshlrev_b32_e32 v4, 2, v4
	s_wait_alu 0xfffd
	v_cndmask_b32_e64 v1, 0, 2, vcc_lo
	v_add_lshl_u32 v1, v1, v2, 2
	s_wait_dscnt 0x0
	ds_bpermute_b32 v4, v4, v3
	s_wait_dscnt 0x0
	v_add_nc_u32_e32 v3, v4, v3
	v_lshlrev_b32_e32 v4, 2, v2
	ds_bpermute_b32 v1, v1, v3
	s_wait_dscnt 0x0
	v_add_nc_u32_e32 v1, v1, v3
	v_or_b32_e32 v3, 16, v4
	ds_bpermute_b32 v3, v3, v1
	s_wait_dscnt 0x0
	v_add_nc_u32_e32 v1, v3, v1
.LBB658_645:
	s_or_b32 exec_lo, exec_lo, s4
.LBB658_646:
	v_cmp_eq_u32_e64 s2, 0, v0
	s_and_saveexec_b32 s3, s2
	s_cbranch_execnz .LBB658_624
	s_branch .LBB658_625
.LBB658_647:
                                        ; implicit-def: $vgpr1
                                        ; implicit-def: $sgpr34_sgpr35
	s_and_saveexec_b32 s3, s2
	s_cbranch_execz .LBB658_625
	s_branch .LBB658_624
.LBB658_648:
                                        ; implicit-def: $vgpr1
	s_cbranch_execz .LBB658_646
; %bb.649:
	s_sub_co_i32 s4, s36, s2
	s_mov_b32 s5, exec_lo
                                        ; implicit-def: $vgpr1
	v_cmpx_gt_u32_e64 s4, v0
	s_cbranch_execz .LBB658_651
; %bb.650:
	v_lshlrev_b32_e32 v1, 2, v0
	s_lshl_b64 s[2:3], s[2:3], 2
	s_delay_alu instid0(SALU_CYCLE_1) | instskip(SKIP_3) | instid1(VALU_DEP_1)
	s_add_nc_u64 s[2:3], s[40:41], s[2:3]
	global_load_b32 v1, v1, s[2:3]
	s_wait_loadcnt 0x0
	v_lshrrev_b32_e32 v3, 16, v1
	v_or_b32_e32 v1, v1, v3
	s_delay_alu instid0(VALU_DEP_1) | instskip(NEXT) | instid1(VALU_DEP_1)
	v_and_b32_e32 v1, 0x7fff, v1
	v_cmp_ne_u16_e32 vcc_lo, 0, v1
	v_cndmask_b32_e64 v1, 0, 1, vcc_lo
.LBB658_651:
	s_or_b32 exec_lo, exec_lo, s5
	v_cmp_ne_u32_e32 vcc_lo, 31, v2
	s_min_u32 s2, s4, 0x100
	v_add_nc_u32_e32 v5, 1, v2
	s_mov_b32 s3, exec_lo
	s_wait_alu 0xfffd
	v_add_co_ci_u32_e64 v3, null, 0, v2, vcc_lo
	v_cmp_gt_u32_e32 vcc_lo, 30, v2
	s_delay_alu instid0(VALU_DEP_2) | instskip(SKIP_4) | instid1(VALU_DEP_1)
	v_lshlrev_b32_e32 v3, 2, v3
	s_wait_alu 0xfffd
	v_cndmask_b32_e64 v6, 0, 2, vcc_lo
	ds_bpermute_b32 v3, v3, v1
	v_and_b32_e32 v4, 0xe0, v0
	v_sub_nc_u32_e64 v4, s2, v4 clamp
	s_delay_alu instid0(VALU_DEP_1)
	v_cmp_lt_u32_e32 vcc_lo, v5, v4
	v_add_lshl_u32 v5, v6, v2, 2
	s_wait_dscnt 0x0
	s_wait_alu 0xfffd
	v_cndmask_b32_e32 v3, 0, v3, vcc_lo
	v_cmp_gt_u32_e32 vcc_lo, 28, v2
	s_delay_alu instid0(VALU_DEP_2) | instskip(SKIP_4) | instid1(VALU_DEP_1)
	v_add_nc_u32_e32 v1, v3, v1
	s_wait_alu 0xfffd
	v_cndmask_b32_e64 v6, 0, 4, vcc_lo
	ds_bpermute_b32 v3, v5, v1
	v_add_nc_u32_e32 v5, 2, v2
	v_cmp_lt_u32_e32 vcc_lo, v5, v4
	v_add_lshl_u32 v5, v6, v2, 2
	s_wait_dscnt 0x0
	s_wait_alu 0xfffd
	v_cndmask_b32_e32 v3, 0, v3, vcc_lo
	v_cmp_gt_u32_e32 vcc_lo, 24, v2
	s_delay_alu instid0(VALU_DEP_2) | instskip(SKIP_4) | instid1(VALU_DEP_1)
	v_add_nc_u32_e32 v1, v1, v3
	s_wait_alu 0xfffd
	v_cndmask_b32_e64 v6, 0, 8, vcc_lo
	ds_bpermute_b32 v3, v5, v1
	v_add_nc_u32_e32 v5, 4, v2
	v_cmp_lt_u32_e32 vcc_lo, v5, v4
	v_add_lshl_u32 v5, v6, v2, 2
	s_wait_dscnt 0x0
	s_wait_alu 0xfffd
	v_dual_cndmask_b32 v3, 0, v3 :: v_dual_add_nc_u32 v6, 8, v2
	s_delay_alu instid0(VALU_DEP_1) | instskip(NEXT) | instid1(VALU_DEP_2)
	v_cmp_lt_u32_e32 vcc_lo, v6, v4
	v_add_nc_u32_e32 v1, v1, v3
	v_lshlrev_b32_e32 v3, 2, v2
	ds_bpermute_b32 v5, v5, v1
	v_or_b32_e32 v6, 64, v3
	s_wait_dscnt 0x0
	s_wait_alu 0xfffd
	v_cndmask_b32_e32 v5, 0, v5, vcc_lo
	s_delay_alu instid0(VALU_DEP_1) | instskip(SKIP_2) | instid1(VALU_DEP_1)
	v_add_nc_u32_e32 v1, v1, v5
	ds_bpermute_b32 v5, v6, v1
	v_add_nc_u32_e32 v6, 16, v2
	v_cmp_lt_u32_e32 vcc_lo, v6, v4
	s_wait_dscnt 0x0
	s_wait_alu 0xfffd
	v_cndmask_b32_e32 v4, 0, v5, vcc_lo
	s_delay_alu instid0(VALU_DEP_1)
	v_add_nc_u32_e32 v1, v1, v4
	v_cmpx_eq_u32_e32 0, v2
; %bb.652:
	v_lshrrev_b32_e32 v4, 3, v0
	s_delay_alu instid0(VALU_DEP_1)
	v_and_b32_e32 v4, 28, v4
	ds_store_b32 v4, v1 offset:256
; %bb.653:
	s_or_b32 exec_lo, exec_lo, s3
	s_delay_alu instid0(SALU_CYCLE_1)
	s_mov_b32 s3, exec_lo
	s_wait_loadcnt_dscnt 0x0
	s_barrier_signal -1
	s_barrier_wait -1
	global_inv scope:SCOPE_SE
	v_cmpx_gt_u32_e32 8, v0
	s_cbranch_execz .LBB658_655
; %bb.654:
	ds_load_b32 v1, v3 offset:256
	v_and_b32_e32 v4, 7, v2
	s_add_co_i32 s2, s2, 31
	s_wait_alu 0xfffe
	s_lshr_b32 s2, s2, 5
	s_delay_alu instid0(VALU_DEP_1) | instskip(SKIP_4) | instid1(VALU_DEP_2)
	v_cmp_ne_u32_e32 vcc_lo, 7, v4
	v_add_nc_u32_e32 v6, 1, v4
	s_wait_alu 0xfffd
	v_add_co_ci_u32_e64 v5, null, 0, v2, vcc_lo
	v_cmp_gt_u32_e32 vcc_lo, 6, v4
	v_lshlrev_b32_e32 v5, 2, v5
	s_wait_alu 0xfffd
	v_cndmask_b32_e64 v7, 0, 2, vcc_lo
	s_wait_alu 0xfffe
	v_cmp_gt_u32_e32 vcc_lo, s2, v6
	s_wait_dscnt 0x0
	ds_bpermute_b32 v5, v5, v1
	v_add_lshl_u32 v2, v7, v2, 2
	s_wait_dscnt 0x0
	s_wait_alu 0xfffd
	v_cndmask_b32_e32 v5, 0, v5, vcc_lo
	s_delay_alu instid0(VALU_DEP_1)
	v_add_nc_u32_e32 v1, v5, v1
	v_add_nc_u32_e32 v5, 2, v4
	ds_bpermute_b32 v2, v2, v1
	v_cmp_gt_u32_e32 vcc_lo, s2, v5
	s_wait_dscnt 0x0
	s_wait_alu 0xfffd
	v_cndmask_b32_e32 v2, 0, v2, vcc_lo
	s_delay_alu instid0(VALU_DEP_1)
	v_add_nc_u32_e32 v1, v1, v2
	v_or_b32_e32 v2, 16, v3
	v_add_nc_u32_e32 v3, 4, v4
	ds_bpermute_b32 v2, v2, v1
	v_cmp_gt_u32_e32 vcc_lo, s2, v3
	s_wait_dscnt 0x0
	s_wait_alu 0xfffd
	v_cndmask_b32_e32 v2, 0, v2, vcc_lo
	s_delay_alu instid0(VALU_DEP_1)
	v_add_nc_u32_e32 v1, v1, v2
.LBB658_655:
	s_wait_alu 0xfffe
	s_or_b32 exec_lo, exec_lo, s3
	v_cmp_eq_u32_e64 s2, 0, v0
	s_and_saveexec_b32 s3, s2
	s_cbranch_execnz .LBB658_624
	s_branch .LBB658_625
	.section	.rodata,"a",@progbits
	.p2align	6, 0x0
	.amdhsa_kernel _ZN7rocprim17ROCPRIM_400000_NS6detail17trampoline_kernelINS0_14default_configENS1_22reduce_config_selectorIbEEZNS1_11reduce_implILb1ES3_N6hipcub16HIPCUB_304000_NS22TransformInputIteratorIbN2at6native12_GLOBAL__N_19NonZeroOpIN3c107complexINSE_4HalfEEEEEPKSH_lEEPiiNS8_6detail34convert_binary_result_type_wrapperINS8_3SumESL_iEEEE10hipError_tPvRmT1_T2_T3_mT4_P12ihipStream_tbEUlT_E1_NS1_11comp_targetILNS1_3genE10ELNS1_11target_archE1201ELNS1_3gpuE5ELNS1_3repE0EEENS1_30default_config_static_selectorELNS0_4arch9wavefront6targetE0EEEvSU_
		.amdhsa_group_segment_fixed_size 288
		.amdhsa_private_segment_fixed_size 0
		.amdhsa_kernarg_size 48
		.amdhsa_user_sgpr_count 2
		.amdhsa_user_sgpr_dispatch_ptr 0
		.amdhsa_user_sgpr_queue_ptr 0
		.amdhsa_user_sgpr_kernarg_segment_ptr 1
		.amdhsa_user_sgpr_dispatch_id 0
		.amdhsa_user_sgpr_private_segment_size 0
		.amdhsa_wavefront_size32 1
		.amdhsa_uses_dynamic_stack 0
		.amdhsa_enable_private_segment 0
		.amdhsa_system_sgpr_workgroup_id_x 1
		.amdhsa_system_sgpr_workgroup_id_y 0
		.amdhsa_system_sgpr_workgroup_id_z 0
		.amdhsa_system_sgpr_workgroup_info 0
		.amdhsa_system_vgpr_workitem_id 0
		.amdhsa_next_free_vgpr 140
		.amdhsa_next_free_sgpr 47
		.amdhsa_reserve_vcc 1
		.amdhsa_float_round_mode_32 0
		.amdhsa_float_round_mode_16_64 0
		.amdhsa_float_denorm_mode_32 3
		.amdhsa_float_denorm_mode_16_64 3
		.amdhsa_fp16_overflow 0
		.amdhsa_workgroup_processor_mode 1
		.amdhsa_memory_ordered 1
		.amdhsa_forward_progress 1
		.amdhsa_inst_pref_size 255
		.amdhsa_round_robin_scheduling 0
		.amdhsa_exception_fp_ieee_invalid_op 0
		.amdhsa_exception_fp_denorm_src 0
		.amdhsa_exception_fp_ieee_div_zero 0
		.amdhsa_exception_fp_ieee_overflow 0
		.amdhsa_exception_fp_ieee_underflow 0
		.amdhsa_exception_fp_ieee_inexact 0
		.amdhsa_exception_int_div_zero 0
	.end_amdhsa_kernel
	.section	.text._ZN7rocprim17ROCPRIM_400000_NS6detail17trampoline_kernelINS0_14default_configENS1_22reduce_config_selectorIbEEZNS1_11reduce_implILb1ES3_N6hipcub16HIPCUB_304000_NS22TransformInputIteratorIbN2at6native12_GLOBAL__N_19NonZeroOpIN3c107complexINSE_4HalfEEEEEPKSH_lEEPiiNS8_6detail34convert_binary_result_type_wrapperINS8_3SumESL_iEEEE10hipError_tPvRmT1_T2_T3_mT4_P12ihipStream_tbEUlT_E1_NS1_11comp_targetILNS1_3genE10ELNS1_11target_archE1201ELNS1_3gpuE5ELNS1_3repE0EEENS1_30default_config_static_selectorELNS0_4arch9wavefront6targetE0EEEvSU_,"axG",@progbits,_ZN7rocprim17ROCPRIM_400000_NS6detail17trampoline_kernelINS0_14default_configENS1_22reduce_config_selectorIbEEZNS1_11reduce_implILb1ES3_N6hipcub16HIPCUB_304000_NS22TransformInputIteratorIbN2at6native12_GLOBAL__N_19NonZeroOpIN3c107complexINSE_4HalfEEEEEPKSH_lEEPiiNS8_6detail34convert_binary_result_type_wrapperINS8_3SumESL_iEEEE10hipError_tPvRmT1_T2_T3_mT4_P12ihipStream_tbEUlT_E1_NS1_11comp_targetILNS1_3genE10ELNS1_11target_archE1201ELNS1_3gpuE5ELNS1_3repE0EEENS1_30default_config_static_selectorELNS0_4arch9wavefront6targetE0EEEvSU_,comdat
.Lfunc_end658:
	.size	_ZN7rocprim17ROCPRIM_400000_NS6detail17trampoline_kernelINS0_14default_configENS1_22reduce_config_selectorIbEEZNS1_11reduce_implILb1ES3_N6hipcub16HIPCUB_304000_NS22TransformInputIteratorIbN2at6native12_GLOBAL__N_19NonZeroOpIN3c107complexINSE_4HalfEEEEEPKSH_lEEPiiNS8_6detail34convert_binary_result_type_wrapperINS8_3SumESL_iEEEE10hipError_tPvRmT1_T2_T3_mT4_P12ihipStream_tbEUlT_E1_NS1_11comp_targetILNS1_3genE10ELNS1_11target_archE1201ELNS1_3gpuE5ELNS1_3repE0EEENS1_30default_config_static_selectorELNS0_4arch9wavefront6targetE0EEEvSU_, .Lfunc_end658-_ZN7rocprim17ROCPRIM_400000_NS6detail17trampoline_kernelINS0_14default_configENS1_22reduce_config_selectorIbEEZNS1_11reduce_implILb1ES3_N6hipcub16HIPCUB_304000_NS22TransformInputIteratorIbN2at6native12_GLOBAL__N_19NonZeroOpIN3c107complexINSE_4HalfEEEEEPKSH_lEEPiiNS8_6detail34convert_binary_result_type_wrapperINS8_3SumESL_iEEEE10hipError_tPvRmT1_T2_T3_mT4_P12ihipStream_tbEUlT_E1_NS1_11comp_targetILNS1_3genE10ELNS1_11target_archE1201ELNS1_3gpuE5ELNS1_3repE0EEENS1_30default_config_static_selectorELNS0_4arch9wavefront6targetE0EEEvSU_
                                        ; -- End function
	.set _ZN7rocprim17ROCPRIM_400000_NS6detail17trampoline_kernelINS0_14default_configENS1_22reduce_config_selectorIbEEZNS1_11reduce_implILb1ES3_N6hipcub16HIPCUB_304000_NS22TransformInputIteratorIbN2at6native12_GLOBAL__N_19NonZeroOpIN3c107complexINSE_4HalfEEEEEPKSH_lEEPiiNS8_6detail34convert_binary_result_type_wrapperINS8_3SumESL_iEEEE10hipError_tPvRmT1_T2_T3_mT4_P12ihipStream_tbEUlT_E1_NS1_11comp_targetILNS1_3genE10ELNS1_11target_archE1201ELNS1_3gpuE5ELNS1_3repE0EEENS1_30default_config_static_selectorELNS0_4arch9wavefront6targetE0EEEvSU_.num_vgpr, 140
	.set _ZN7rocprim17ROCPRIM_400000_NS6detail17trampoline_kernelINS0_14default_configENS1_22reduce_config_selectorIbEEZNS1_11reduce_implILb1ES3_N6hipcub16HIPCUB_304000_NS22TransformInputIteratorIbN2at6native12_GLOBAL__N_19NonZeroOpIN3c107complexINSE_4HalfEEEEEPKSH_lEEPiiNS8_6detail34convert_binary_result_type_wrapperINS8_3SumESL_iEEEE10hipError_tPvRmT1_T2_T3_mT4_P12ihipStream_tbEUlT_E1_NS1_11comp_targetILNS1_3genE10ELNS1_11target_archE1201ELNS1_3gpuE5ELNS1_3repE0EEENS1_30default_config_static_selectorELNS0_4arch9wavefront6targetE0EEEvSU_.num_agpr, 0
	.set _ZN7rocprim17ROCPRIM_400000_NS6detail17trampoline_kernelINS0_14default_configENS1_22reduce_config_selectorIbEEZNS1_11reduce_implILb1ES3_N6hipcub16HIPCUB_304000_NS22TransformInputIteratorIbN2at6native12_GLOBAL__N_19NonZeroOpIN3c107complexINSE_4HalfEEEEEPKSH_lEEPiiNS8_6detail34convert_binary_result_type_wrapperINS8_3SumESL_iEEEE10hipError_tPvRmT1_T2_T3_mT4_P12ihipStream_tbEUlT_E1_NS1_11comp_targetILNS1_3genE10ELNS1_11target_archE1201ELNS1_3gpuE5ELNS1_3repE0EEENS1_30default_config_static_selectorELNS0_4arch9wavefront6targetE0EEEvSU_.numbered_sgpr, 47
	.set _ZN7rocprim17ROCPRIM_400000_NS6detail17trampoline_kernelINS0_14default_configENS1_22reduce_config_selectorIbEEZNS1_11reduce_implILb1ES3_N6hipcub16HIPCUB_304000_NS22TransformInputIteratorIbN2at6native12_GLOBAL__N_19NonZeroOpIN3c107complexINSE_4HalfEEEEEPKSH_lEEPiiNS8_6detail34convert_binary_result_type_wrapperINS8_3SumESL_iEEEE10hipError_tPvRmT1_T2_T3_mT4_P12ihipStream_tbEUlT_E1_NS1_11comp_targetILNS1_3genE10ELNS1_11target_archE1201ELNS1_3gpuE5ELNS1_3repE0EEENS1_30default_config_static_selectorELNS0_4arch9wavefront6targetE0EEEvSU_.num_named_barrier, 0
	.set _ZN7rocprim17ROCPRIM_400000_NS6detail17trampoline_kernelINS0_14default_configENS1_22reduce_config_selectorIbEEZNS1_11reduce_implILb1ES3_N6hipcub16HIPCUB_304000_NS22TransformInputIteratorIbN2at6native12_GLOBAL__N_19NonZeroOpIN3c107complexINSE_4HalfEEEEEPKSH_lEEPiiNS8_6detail34convert_binary_result_type_wrapperINS8_3SumESL_iEEEE10hipError_tPvRmT1_T2_T3_mT4_P12ihipStream_tbEUlT_E1_NS1_11comp_targetILNS1_3genE10ELNS1_11target_archE1201ELNS1_3gpuE5ELNS1_3repE0EEENS1_30default_config_static_selectorELNS0_4arch9wavefront6targetE0EEEvSU_.private_seg_size, 0
	.set _ZN7rocprim17ROCPRIM_400000_NS6detail17trampoline_kernelINS0_14default_configENS1_22reduce_config_selectorIbEEZNS1_11reduce_implILb1ES3_N6hipcub16HIPCUB_304000_NS22TransformInputIteratorIbN2at6native12_GLOBAL__N_19NonZeroOpIN3c107complexINSE_4HalfEEEEEPKSH_lEEPiiNS8_6detail34convert_binary_result_type_wrapperINS8_3SumESL_iEEEE10hipError_tPvRmT1_T2_T3_mT4_P12ihipStream_tbEUlT_E1_NS1_11comp_targetILNS1_3genE10ELNS1_11target_archE1201ELNS1_3gpuE5ELNS1_3repE0EEENS1_30default_config_static_selectorELNS0_4arch9wavefront6targetE0EEEvSU_.uses_vcc, 1
	.set _ZN7rocprim17ROCPRIM_400000_NS6detail17trampoline_kernelINS0_14default_configENS1_22reduce_config_selectorIbEEZNS1_11reduce_implILb1ES3_N6hipcub16HIPCUB_304000_NS22TransformInputIteratorIbN2at6native12_GLOBAL__N_19NonZeroOpIN3c107complexINSE_4HalfEEEEEPKSH_lEEPiiNS8_6detail34convert_binary_result_type_wrapperINS8_3SumESL_iEEEE10hipError_tPvRmT1_T2_T3_mT4_P12ihipStream_tbEUlT_E1_NS1_11comp_targetILNS1_3genE10ELNS1_11target_archE1201ELNS1_3gpuE5ELNS1_3repE0EEENS1_30default_config_static_selectorELNS0_4arch9wavefront6targetE0EEEvSU_.uses_flat_scratch, 0
	.set _ZN7rocprim17ROCPRIM_400000_NS6detail17trampoline_kernelINS0_14default_configENS1_22reduce_config_selectorIbEEZNS1_11reduce_implILb1ES3_N6hipcub16HIPCUB_304000_NS22TransformInputIteratorIbN2at6native12_GLOBAL__N_19NonZeroOpIN3c107complexINSE_4HalfEEEEEPKSH_lEEPiiNS8_6detail34convert_binary_result_type_wrapperINS8_3SumESL_iEEEE10hipError_tPvRmT1_T2_T3_mT4_P12ihipStream_tbEUlT_E1_NS1_11comp_targetILNS1_3genE10ELNS1_11target_archE1201ELNS1_3gpuE5ELNS1_3repE0EEENS1_30default_config_static_selectorELNS0_4arch9wavefront6targetE0EEEvSU_.has_dyn_sized_stack, 0
	.set _ZN7rocprim17ROCPRIM_400000_NS6detail17trampoline_kernelINS0_14default_configENS1_22reduce_config_selectorIbEEZNS1_11reduce_implILb1ES3_N6hipcub16HIPCUB_304000_NS22TransformInputIteratorIbN2at6native12_GLOBAL__N_19NonZeroOpIN3c107complexINSE_4HalfEEEEEPKSH_lEEPiiNS8_6detail34convert_binary_result_type_wrapperINS8_3SumESL_iEEEE10hipError_tPvRmT1_T2_T3_mT4_P12ihipStream_tbEUlT_E1_NS1_11comp_targetILNS1_3genE10ELNS1_11target_archE1201ELNS1_3gpuE5ELNS1_3repE0EEENS1_30default_config_static_selectorELNS0_4arch9wavefront6targetE0EEEvSU_.has_recursion, 0
	.set _ZN7rocprim17ROCPRIM_400000_NS6detail17trampoline_kernelINS0_14default_configENS1_22reduce_config_selectorIbEEZNS1_11reduce_implILb1ES3_N6hipcub16HIPCUB_304000_NS22TransformInputIteratorIbN2at6native12_GLOBAL__N_19NonZeroOpIN3c107complexINSE_4HalfEEEEEPKSH_lEEPiiNS8_6detail34convert_binary_result_type_wrapperINS8_3SumESL_iEEEE10hipError_tPvRmT1_T2_T3_mT4_P12ihipStream_tbEUlT_E1_NS1_11comp_targetILNS1_3genE10ELNS1_11target_archE1201ELNS1_3gpuE5ELNS1_3repE0EEENS1_30default_config_static_selectorELNS0_4arch9wavefront6targetE0EEEvSU_.has_indirect_call, 0
	.section	.AMDGPU.csdata,"",@progbits
; Kernel info:
; codeLenInByte = 47264
; TotalNumSgprs: 49
; NumVgprs: 140
; ScratchSize: 0
; MemoryBound: 0
; FloatMode: 240
; IeeeMode: 1
; LDSByteSize: 288 bytes/workgroup (compile time only)
; SGPRBlocks: 0
; VGPRBlocks: 17
; NumSGPRsForWavesPerEU: 49
; NumVGPRsForWavesPerEU: 140
; Occupancy: 10
; WaveLimiterHint : 1
; COMPUTE_PGM_RSRC2:SCRATCH_EN: 0
; COMPUTE_PGM_RSRC2:USER_SGPR: 2
; COMPUTE_PGM_RSRC2:TRAP_HANDLER: 0
; COMPUTE_PGM_RSRC2:TGID_X_EN: 1
; COMPUTE_PGM_RSRC2:TGID_Y_EN: 0
; COMPUTE_PGM_RSRC2:TGID_Z_EN: 0
; COMPUTE_PGM_RSRC2:TIDIG_COMP_CNT: 0
	.section	.text._ZN7rocprim17ROCPRIM_400000_NS6detail17trampoline_kernelINS0_14default_configENS1_22reduce_config_selectorIbEEZNS1_11reduce_implILb1ES3_N6hipcub16HIPCUB_304000_NS22TransformInputIteratorIbN2at6native12_GLOBAL__N_19NonZeroOpIN3c107complexINSE_4HalfEEEEEPKSH_lEEPiiNS8_6detail34convert_binary_result_type_wrapperINS8_3SumESL_iEEEE10hipError_tPvRmT1_T2_T3_mT4_P12ihipStream_tbEUlT_E1_NS1_11comp_targetILNS1_3genE10ELNS1_11target_archE1200ELNS1_3gpuE4ELNS1_3repE0EEENS1_30default_config_static_selectorELNS0_4arch9wavefront6targetE0EEEvSU_,"axG",@progbits,_ZN7rocprim17ROCPRIM_400000_NS6detail17trampoline_kernelINS0_14default_configENS1_22reduce_config_selectorIbEEZNS1_11reduce_implILb1ES3_N6hipcub16HIPCUB_304000_NS22TransformInputIteratorIbN2at6native12_GLOBAL__N_19NonZeroOpIN3c107complexINSE_4HalfEEEEEPKSH_lEEPiiNS8_6detail34convert_binary_result_type_wrapperINS8_3SumESL_iEEEE10hipError_tPvRmT1_T2_T3_mT4_P12ihipStream_tbEUlT_E1_NS1_11comp_targetILNS1_3genE10ELNS1_11target_archE1200ELNS1_3gpuE4ELNS1_3repE0EEENS1_30default_config_static_selectorELNS0_4arch9wavefront6targetE0EEEvSU_,comdat
	.globl	_ZN7rocprim17ROCPRIM_400000_NS6detail17trampoline_kernelINS0_14default_configENS1_22reduce_config_selectorIbEEZNS1_11reduce_implILb1ES3_N6hipcub16HIPCUB_304000_NS22TransformInputIteratorIbN2at6native12_GLOBAL__N_19NonZeroOpIN3c107complexINSE_4HalfEEEEEPKSH_lEEPiiNS8_6detail34convert_binary_result_type_wrapperINS8_3SumESL_iEEEE10hipError_tPvRmT1_T2_T3_mT4_P12ihipStream_tbEUlT_E1_NS1_11comp_targetILNS1_3genE10ELNS1_11target_archE1200ELNS1_3gpuE4ELNS1_3repE0EEENS1_30default_config_static_selectorELNS0_4arch9wavefront6targetE0EEEvSU_ ; -- Begin function _ZN7rocprim17ROCPRIM_400000_NS6detail17trampoline_kernelINS0_14default_configENS1_22reduce_config_selectorIbEEZNS1_11reduce_implILb1ES3_N6hipcub16HIPCUB_304000_NS22TransformInputIteratorIbN2at6native12_GLOBAL__N_19NonZeroOpIN3c107complexINSE_4HalfEEEEEPKSH_lEEPiiNS8_6detail34convert_binary_result_type_wrapperINS8_3SumESL_iEEEE10hipError_tPvRmT1_T2_T3_mT4_P12ihipStream_tbEUlT_E1_NS1_11comp_targetILNS1_3genE10ELNS1_11target_archE1200ELNS1_3gpuE4ELNS1_3repE0EEENS1_30default_config_static_selectorELNS0_4arch9wavefront6targetE0EEEvSU_
	.p2align	8
	.type	_ZN7rocprim17ROCPRIM_400000_NS6detail17trampoline_kernelINS0_14default_configENS1_22reduce_config_selectorIbEEZNS1_11reduce_implILb1ES3_N6hipcub16HIPCUB_304000_NS22TransformInputIteratorIbN2at6native12_GLOBAL__N_19NonZeroOpIN3c107complexINSE_4HalfEEEEEPKSH_lEEPiiNS8_6detail34convert_binary_result_type_wrapperINS8_3SumESL_iEEEE10hipError_tPvRmT1_T2_T3_mT4_P12ihipStream_tbEUlT_E1_NS1_11comp_targetILNS1_3genE10ELNS1_11target_archE1200ELNS1_3gpuE4ELNS1_3repE0EEENS1_30default_config_static_selectorELNS0_4arch9wavefront6targetE0EEEvSU_,@function
_ZN7rocprim17ROCPRIM_400000_NS6detail17trampoline_kernelINS0_14default_configENS1_22reduce_config_selectorIbEEZNS1_11reduce_implILb1ES3_N6hipcub16HIPCUB_304000_NS22TransformInputIteratorIbN2at6native12_GLOBAL__N_19NonZeroOpIN3c107complexINSE_4HalfEEEEEPKSH_lEEPiiNS8_6detail34convert_binary_result_type_wrapperINS8_3SumESL_iEEEE10hipError_tPvRmT1_T2_T3_mT4_P12ihipStream_tbEUlT_E1_NS1_11comp_targetILNS1_3genE10ELNS1_11target_archE1200ELNS1_3gpuE4ELNS1_3repE0EEENS1_30default_config_static_selectorELNS0_4arch9wavefront6targetE0EEEvSU_: ; @_ZN7rocprim17ROCPRIM_400000_NS6detail17trampoline_kernelINS0_14default_configENS1_22reduce_config_selectorIbEEZNS1_11reduce_implILb1ES3_N6hipcub16HIPCUB_304000_NS22TransformInputIteratorIbN2at6native12_GLOBAL__N_19NonZeroOpIN3c107complexINSE_4HalfEEEEEPKSH_lEEPiiNS8_6detail34convert_binary_result_type_wrapperINS8_3SumESL_iEEEE10hipError_tPvRmT1_T2_T3_mT4_P12ihipStream_tbEUlT_E1_NS1_11comp_targetILNS1_3genE10ELNS1_11target_archE1200ELNS1_3gpuE4ELNS1_3repE0EEENS1_30default_config_static_selectorELNS0_4arch9wavefront6targetE0EEEvSU_
; %bb.0:
	.section	.rodata,"a",@progbits
	.p2align	6, 0x0
	.amdhsa_kernel _ZN7rocprim17ROCPRIM_400000_NS6detail17trampoline_kernelINS0_14default_configENS1_22reduce_config_selectorIbEEZNS1_11reduce_implILb1ES3_N6hipcub16HIPCUB_304000_NS22TransformInputIteratorIbN2at6native12_GLOBAL__N_19NonZeroOpIN3c107complexINSE_4HalfEEEEEPKSH_lEEPiiNS8_6detail34convert_binary_result_type_wrapperINS8_3SumESL_iEEEE10hipError_tPvRmT1_T2_T3_mT4_P12ihipStream_tbEUlT_E1_NS1_11comp_targetILNS1_3genE10ELNS1_11target_archE1200ELNS1_3gpuE4ELNS1_3repE0EEENS1_30default_config_static_selectorELNS0_4arch9wavefront6targetE0EEEvSU_
		.amdhsa_group_segment_fixed_size 0
		.amdhsa_private_segment_fixed_size 0
		.amdhsa_kernarg_size 48
		.amdhsa_user_sgpr_count 2
		.amdhsa_user_sgpr_dispatch_ptr 0
		.amdhsa_user_sgpr_queue_ptr 0
		.amdhsa_user_sgpr_kernarg_segment_ptr 1
		.amdhsa_user_sgpr_dispatch_id 0
		.amdhsa_user_sgpr_private_segment_size 0
		.amdhsa_wavefront_size32 1
		.amdhsa_uses_dynamic_stack 0
		.amdhsa_enable_private_segment 0
		.amdhsa_system_sgpr_workgroup_id_x 1
		.amdhsa_system_sgpr_workgroup_id_y 0
		.amdhsa_system_sgpr_workgroup_id_z 0
		.amdhsa_system_sgpr_workgroup_info 0
		.amdhsa_system_vgpr_workitem_id 0
		.amdhsa_next_free_vgpr 1
		.amdhsa_next_free_sgpr 1
		.amdhsa_reserve_vcc 0
		.amdhsa_float_round_mode_32 0
		.amdhsa_float_round_mode_16_64 0
		.amdhsa_float_denorm_mode_32 3
		.amdhsa_float_denorm_mode_16_64 3
		.amdhsa_fp16_overflow 0
		.amdhsa_workgroup_processor_mode 1
		.amdhsa_memory_ordered 1
		.amdhsa_forward_progress 1
		.amdhsa_inst_pref_size 0
		.amdhsa_round_robin_scheduling 0
		.amdhsa_exception_fp_ieee_invalid_op 0
		.amdhsa_exception_fp_denorm_src 0
		.amdhsa_exception_fp_ieee_div_zero 0
		.amdhsa_exception_fp_ieee_overflow 0
		.amdhsa_exception_fp_ieee_underflow 0
		.amdhsa_exception_fp_ieee_inexact 0
		.amdhsa_exception_int_div_zero 0
	.end_amdhsa_kernel
	.section	.text._ZN7rocprim17ROCPRIM_400000_NS6detail17trampoline_kernelINS0_14default_configENS1_22reduce_config_selectorIbEEZNS1_11reduce_implILb1ES3_N6hipcub16HIPCUB_304000_NS22TransformInputIteratorIbN2at6native12_GLOBAL__N_19NonZeroOpIN3c107complexINSE_4HalfEEEEEPKSH_lEEPiiNS8_6detail34convert_binary_result_type_wrapperINS8_3SumESL_iEEEE10hipError_tPvRmT1_T2_T3_mT4_P12ihipStream_tbEUlT_E1_NS1_11comp_targetILNS1_3genE10ELNS1_11target_archE1200ELNS1_3gpuE4ELNS1_3repE0EEENS1_30default_config_static_selectorELNS0_4arch9wavefront6targetE0EEEvSU_,"axG",@progbits,_ZN7rocprim17ROCPRIM_400000_NS6detail17trampoline_kernelINS0_14default_configENS1_22reduce_config_selectorIbEEZNS1_11reduce_implILb1ES3_N6hipcub16HIPCUB_304000_NS22TransformInputIteratorIbN2at6native12_GLOBAL__N_19NonZeroOpIN3c107complexINSE_4HalfEEEEEPKSH_lEEPiiNS8_6detail34convert_binary_result_type_wrapperINS8_3SumESL_iEEEE10hipError_tPvRmT1_T2_T3_mT4_P12ihipStream_tbEUlT_E1_NS1_11comp_targetILNS1_3genE10ELNS1_11target_archE1200ELNS1_3gpuE4ELNS1_3repE0EEENS1_30default_config_static_selectorELNS0_4arch9wavefront6targetE0EEEvSU_,comdat
.Lfunc_end659:
	.size	_ZN7rocprim17ROCPRIM_400000_NS6detail17trampoline_kernelINS0_14default_configENS1_22reduce_config_selectorIbEEZNS1_11reduce_implILb1ES3_N6hipcub16HIPCUB_304000_NS22TransformInputIteratorIbN2at6native12_GLOBAL__N_19NonZeroOpIN3c107complexINSE_4HalfEEEEEPKSH_lEEPiiNS8_6detail34convert_binary_result_type_wrapperINS8_3SumESL_iEEEE10hipError_tPvRmT1_T2_T3_mT4_P12ihipStream_tbEUlT_E1_NS1_11comp_targetILNS1_3genE10ELNS1_11target_archE1200ELNS1_3gpuE4ELNS1_3repE0EEENS1_30default_config_static_selectorELNS0_4arch9wavefront6targetE0EEEvSU_, .Lfunc_end659-_ZN7rocprim17ROCPRIM_400000_NS6detail17trampoline_kernelINS0_14default_configENS1_22reduce_config_selectorIbEEZNS1_11reduce_implILb1ES3_N6hipcub16HIPCUB_304000_NS22TransformInputIteratorIbN2at6native12_GLOBAL__N_19NonZeroOpIN3c107complexINSE_4HalfEEEEEPKSH_lEEPiiNS8_6detail34convert_binary_result_type_wrapperINS8_3SumESL_iEEEE10hipError_tPvRmT1_T2_T3_mT4_P12ihipStream_tbEUlT_E1_NS1_11comp_targetILNS1_3genE10ELNS1_11target_archE1200ELNS1_3gpuE4ELNS1_3repE0EEENS1_30default_config_static_selectorELNS0_4arch9wavefront6targetE0EEEvSU_
                                        ; -- End function
	.set _ZN7rocprim17ROCPRIM_400000_NS6detail17trampoline_kernelINS0_14default_configENS1_22reduce_config_selectorIbEEZNS1_11reduce_implILb1ES3_N6hipcub16HIPCUB_304000_NS22TransformInputIteratorIbN2at6native12_GLOBAL__N_19NonZeroOpIN3c107complexINSE_4HalfEEEEEPKSH_lEEPiiNS8_6detail34convert_binary_result_type_wrapperINS8_3SumESL_iEEEE10hipError_tPvRmT1_T2_T3_mT4_P12ihipStream_tbEUlT_E1_NS1_11comp_targetILNS1_3genE10ELNS1_11target_archE1200ELNS1_3gpuE4ELNS1_3repE0EEENS1_30default_config_static_selectorELNS0_4arch9wavefront6targetE0EEEvSU_.num_vgpr, 0
	.set _ZN7rocprim17ROCPRIM_400000_NS6detail17trampoline_kernelINS0_14default_configENS1_22reduce_config_selectorIbEEZNS1_11reduce_implILb1ES3_N6hipcub16HIPCUB_304000_NS22TransformInputIteratorIbN2at6native12_GLOBAL__N_19NonZeroOpIN3c107complexINSE_4HalfEEEEEPKSH_lEEPiiNS8_6detail34convert_binary_result_type_wrapperINS8_3SumESL_iEEEE10hipError_tPvRmT1_T2_T3_mT4_P12ihipStream_tbEUlT_E1_NS1_11comp_targetILNS1_3genE10ELNS1_11target_archE1200ELNS1_3gpuE4ELNS1_3repE0EEENS1_30default_config_static_selectorELNS0_4arch9wavefront6targetE0EEEvSU_.num_agpr, 0
	.set _ZN7rocprim17ROCPRIM_400000_NS6detail17trampoline_kernelINS0_14default_configENS1_22reduce_config_selectorIbEEZNS1_11reduce_implILb1ES3_N6hipcub16HIPCUB_304000_NS22TransformInputIteratorIbN2at6native12_GLOBAL__N_19NonZeroOpIN3c107complexINSE_4HalfEEEEEPKSH_lEEPiiNS8_6detail34convert_binary_result_type_wrapperINS8_3SumESL_iEEEE10hipError_tPvRmT1_T2_T3_mT4_P12ihipStream_tbEUlT_E1_NS1_11comp_targetILNS1_3genE10ELNS1_11target_archE1200ELNS1_3gpuE4ELNS1_3repE0EEENS1_30default_config_static_selectorELNS0_4arch9wavefront6targetE0EEEvSU_.numbered_sgpr, 0
	.set _ZN7rocprim17ROCPRIM_400000_NS6detail17trampoline_kernelINS0_14default_configENS1_22reduce_config_selectorIbEEZNS1_11reduce_implILb1ES3_N6hipcub16HIPCUB_304000_NS22TransformInputIteratorIbN2at6native12_GLOBAL__N_19NonZeroOpIN3c107complexINSE_4HalfEEEEEPKSH_lEEPiiNS8_6detail34convert_binary_result_type_wrapperINS8_3SumESL_iEEEE10hipError_tPvRmT1_T2_T3_mT4_P12ihipStream_tbEUlT_E1_NS1_11comp_targetILNS1_3genE10ELNS1_11target_archE1200ELNS1_3gpuE4ELNS1_3repE0EEENS1_30default_config_static_selectorELNS0_4arch9wavefront6targetE0EEEvSU_.num_named_barrier, 0
	.set _ZN7rocprim17ROCPRIM_400000_NS6detail17trampoline_kernelINS0_14default_configENS1_22reduce_config_selectorIbEEZNS1_11reduce_implILb1ES3_N6hipcub16HIPCUB_304000_NS22TransformInputIteratorIbN2at6native12_GLOBAL__N_19NonZeroOpIN3c107complexINSE_4HalfEEEEEPKSH_lEEPiiNS8_6detail34convert_binary_result_type_wrapperINS8_3SumESL_iEEEE10hipError_tPvRmT1_T2_T3_mT4_P12ihipStream_tbEUlT_E1_NS1_11comp_targetILNS1_3genE10ELNS1_11target_archE1200ELNS1_3gpuE4ELNS1_3repE0EEENS1_30default_config_static_selectorELNS0_4arch9wavefront6targetE0EEEvSU_.private_seg_size, 0
	.set _ZN7rocprim17ROCPRIM_400000_NS6detail17trampoline_kernelINS0_14default_configENS1_22reduce_config_selectorIbEEZNS1_11reduce_implILb1ES3_N6hipcub16HIPCUB_304000_NS22TransformInputIteratorIbN2at6native12_GLOBAL__N_19NonZeroOpIN3c107complexINSE_4HalfEEEEEPKSH_lEEPiiNS8_6detail34convert_binary_result_type_wrapperINS8_3SumESL_iEEEE10hipError_tPvRmT1_T2_T3_mT4_P12ihipStream_tbEUlT_E1_NS1_11comp_targetILNS1_3genE10ELNS1_11target_archE1200ELNS1_3gpuE4ELNS1_3repE0EEENS1_30default_config_static_selectorELNS0_4arch9wavefront6targetE0EEEvSU_.uses_vcc, 0
	.set _ZN7rocprim17ROCPRIM_400000_NS6detail17trampoline_kernelINS0_14default_configENS1_22reduce_config_selectorIbEEZNS1_11reduce_implILb1ES3_N6hipcub16HIPCUB_304000_NS22TransformInputIteratorIbN2at6native12_GLOBAL__N_19NonZeroOpIN3c107complexINSE_4HalfEEEEEPKSH_lEEPiiNS8_6detail34convert_binary_result_type_wrapperINS8_3SumESL_iEEEE10hipError_tPvRmT1_T2_T3_mT4_P12ihipStream_tbEUlT_E1_NS1_11comp_targetILNS1_3genE10ELNS1_11target_archE1200ELNS1_3gpuE4ELNS1_3repE0EEENS1_30default_config_static_selectorELNS0_4arch9wavefront6targetE0EEEvSU_.uses_flat_scratch, 0
	.set _ZN7rocprim17ROCPRIM_400000_NS6detail17trampoline_kernelINS0_14default_configENS1_22reduce_config_selectorIbEEZNS1_11reduce_implILb1ES3_N6hipcub16HIPCUB_304000_NS22TransformInputIteratorIbN2at6native12_GLOBAL__N_19NonZeroOpIN3c107complexINSE_4HalfEEEEEPKSH_lEEPiiNS8_6detail34convert_binary_result_type_wrapperINS8_3SumESL_iEEEE10hipError_tPvRmT1_T2_T3_mT4_P12ihipStream_tbEUlT_E1_NS1_11comp_targetILNS1_3genE10ELNS1_11target_archE1200ELNS1_3gpuE4ELNS1_3repE0EEENS1_30default_config_static_selectorELNS0_4arch9wavefront6targetE0EEEvSU_.has_dyn_sized_stack, 0
	.set _ZN7rocprim17ROCPRIM_400000_NS6detail17trampoline_kernelINS0_14default_configENS1_22reduce_config_selectorIbEEZNS1_11reduce_implILb1ES3_N6hipcub16HIPCUB_304000_NS22TransformInputIteratorIbN2at6native12_GLOBAL__N_19NonZeroOpIN3c107complexINSE_4HalfEEEEEPKSH_lEEPiiNS8_6detail34convert_binary_result_type_wrapperINS8_3SumESL_iEEEE10hipError_tPvRmT1_T2_T3_mT4_P12ihipStream_tbEUlT_E1_NS1_11comp_targetILNS1_3genE10ELNS1_11target_archE1200ELNS1_3gpuE4ELNS1_3repE0EEENS1_30default_config_static_selectorELNS0_4arch9wavefront6targetE0EEEvSU_.has_recursion, 0
	.set _ZN7rocprim17ROCPRIM_400000_NS6detail17trampoline_kernelINS0_14default_configENS1_22reduce_config_selectorIbEEZNS1_11reduce_implILb1ES3_N6hipcub16HIPCUB_304000_NS22TransformInputIteratorIbN2at6native12_GLOBAL__N_19NonZeroOpIN3c107complexINSE_4HalfEEEEEPKSH_lEEPiiNS8_6detail34convert_binary_result_type_wrapperINS8_3SumESL_iEEEE10hipError_tPvRmT1_T2_T3_mT4_P12ihipStream_tbEUlT_E1_NS1_11comp_targetILNS1_3genE10ELNS1_11target_archE1200ELNS1_3gpuE4ELNS1_3repE0EEENS1_30default_config_static_selectorELNS0_4arch9wavefront6targetE0EEEvSU_.has_indirect_call, 0
	.section	.AMDGPU.csdata,"",@progbits
; Kernel info:
; codeLenInByte = 0
; TotalNumSgprs: 0
; NumVgprs: 0
; ScratchSize: 0
; MemoryBound: 0
; FloatMode: 240
; IeeeMode: 1
; LDSByteSize: 0 bytes/workgroup (compile time only)
; SGPRBlocks: 0
; VGPRBlocks: 0
; NumSGPRsForWavesPerEU: 1
; NumVGPRsForWavesPerEU: 1
; Occupancy: 16
; WaveLimiterHint : 0
; COMPUTE_PGM_RSRC2:SCRATCH_EN: 0
; COMPUTE_PGM_RSRC2:USER_SGPR: 2
; COMPUTE_PGM_RSRC2:TRAP_HANDLER: 0
; COMPUTE_PGM_RSRC2:TGID_X_EN: 1
; COMPUTE_PGM_RSRC2:TGID_Y_EN: 0
; COMPUTE_PGM_RSRC2:TGID_Z_EN: 0
; COMPUTE_PGM_RSRC2:TIDIG_COMP_CNT: 0
	.section	.text._ZN7rocprim17ROCPRIM_400000_NS6detail17trampoline_kernelINS0_14default_configENS1_22reduce_config_selectorIbEEZNS1_11reduce_implILb1ES3_N6hipcub16HIPCUB_304000_NS22TransformInputIteratorIbN2at6native12_GLOBAL__N_19NonZeroOpIN3c107complexINSE_4HalfEEEEEPKSH_lEEPiiNS8_6detail34convert_binary_result_type_wrapperINS8_3SumESL_iEEEE10hipError_tPvRmT1_T2_T3_mT4_P12ihipStream_tbEUlT_E1_NS1_11comp_targetILNS1_3genE9ELNS1_11target_archE1100ELNS1_3gpuE3ELNS1_3repE0EEENS1_30default_config_static_selectorELNS0_4arch9wavefront6targetE0EEEvSU_,"axG",@progbits,_ZN7rocprim17ROCPRIM_400000_NS6detail17trampoline_kernelINS0_14default_configENS1_22reduce_config_selectorIbEEZNS1_11reduce_implILb1ES3_N6hipcub16HIPCUB_304000_NS22TransformInputIteratorIbN2at6native12_GLOBAL__N_19NonZeroOpIN3c107complexINSE_4HalfEEEEEPKSH_lEEPiiNS8_6detail34convert_binary_result_type_wrapperINS8_3SumESL_iEEEE10hipError_tPvRmT1_T2_T3_mT4_P12ihipStream_tbEUlT_E1_NS1_11comp_targetILNS1_3genE9ELNS1_11target_archE1100ELNS1_3gpuE3ELNS1_3repE0EEENS1_30default_config_static_selectorELNS0_4arch9wavefront6targetE0EEEvSU_,comdat
	.globl	_ZN7rocprim17ROCPRIM_400000_NS6detail17trampoline_kernelINS0_14default_configENS1_22reduce_config_selectorIbEEZNS1_11reduce_implILb1ES3_N6hipcub16HIPCUB_304000_NS22TransformInputIteratorIbN2at6native12_GLOBAL__N_19NonZeroOpIN3c107complexINSE_4HalfEEEEEPKSH_lEEPiiNS8_6detail34convert_binary_result_type_wrapperINS8_3SumESL_iEEEE10hipError_tPvRmT1_T2_T3_mT4_P12ihipStream_tbEUlT_E1_NS1_11comp_targetILNS1_3genE9ELNS1_11target_archE1100ELNS1_3gpuE3ELNS1_3repE0EEENS1_30default_config_static_selectorELNS0_4arch9wavefront6targetE0EEEvSU_ ; -- Begin function _ZN7rocprim17ROCPRIM_400000_NS6detail17trampoline_kernelINS0_14default_configENS1_22reduce_config_selectorIbEEZNS1_11reduce_implILb1ES3_N6hipcub16HIPCUB_304000_NS22TransformInputIteratorIbN2at6native12_GLOBAL__N_19NonZeroOpIN3c107complexINSE_4HalfEEEEEPKSH_lEEPiiNS8_6detail34convert_binary_result_type_wrapperINS8_3SumESL_iEEEE10hipError_tPvRmT1_T2_T3_mT4_P12ihipStream_tbEUlT_E1_NS1_11comp_targetILNS1_3genE9ELNS1_11target_archE1100ELNS1_3gpuE3ELNS1_3repE0EEENS1_30default_config_static_selectorELNS0_4arch9wavefront6targetE0EEEvSU_
	.p2align	8
	.type	_ZN7rocprim17ROCPRIM_400000_NS6detail17trampoline_kernelINS0_14default_configENS1_22reduce_config_selectorIbEEZNS1_11reduce_implILb1ES3_N6hipcub16HIPCUB_304000_NS22TransformInputIteratorIbN2at6native12_GLOBAL__N_19NonZeroOpIN3c107complexINSE_4HalfEEEEEPKSH_lEEPiiNS8_6detail34convert_binary_result_type_wrapperINS8_3SumESL_iEEEE10hipError_tPvRmT1_T2_T3_mT4_P12ihipStream_tbEUlT_E1_NS1_11comp_targetILNS1_3genE9ELNS1_11target_archE1100ELNS1_3gpuE3ELNS1_3repE0EEENS1_30default_config_static_selectorELNS0_4arch9wavefront6targetE0EEEvSU_,@function
_ZN7rocprim17ROCPRIM_400000_NS6detail17trampoline_kernelINS0_14default_configENS1_22reduce_config_selectorIbEEZNS1_11reduce_implILb1ES3_N6hipcub16HIPCUB_304000_NS22TransformInputIteratorIbN2at6native12_GLOBAL__N_19NonZeroOpIN3c107complexINSE_4HalfEEEEEPKSH_lEEPiiNS8_6detail34convert_binary_result_type_wrapperINS8_3SumESL_iEEEE10hipError_tPvRmT1_T2_T3_mT4_P12ihipStream_tbEUlT_E1_NS1_11comp_targetILNS1_3genE9ELNS1_11target_archE1100ELNS1_3gpuE3ELNS1_3repE0EEENS1_30default_config_static_selectorELNS0_4arch9wavefront6targetE0EEEvSU_: ; @_ZN7rocprim17ROCPRIM_400000_NS6detail17trampoline_kernelINS0_14default_configENS1_22reduce_config_selectorIbEEZNS1_11reduce_implILb1ES3_N6hipcub16HIPCUB_304000_NS22TransformInputIteratorIbN2at6native12_GLOBAL__N_19NonZeroOpIN3c107complexINSE_4HalfEEEEEPKSH_lEEPiiNS8_6detail34convert_binary_result_type_wrapperINS8_3SumESL_iEEEE10hipError_tPvRmT1_T2_T3_mT4_P12ihipStream_tbEUlT_E1_NS1_11comp_targetILNS1_3genE9ELNS1_11target_archE1100ELNS1_3gpuE3ELNS1_3repE0EEENS1_30default_config_static_selectorELNS0_4arch9wavefront6targetE0EEEvSU_
; %bb.0:
	.section	.rodata,"a",@progbits
	.p2align	6, 0x0
	.amdhsa_kernel _ZN7rocprim17ROCPRIM_400000_NS6detail17trampoline_kernelINS0_14default_configENS1_22reduce_config_selectorIbEEZNS1_11reduce_implILb1ES3_N6hipcub16HIPCUB_304000_NS22TransformInputIteratorIbN2at6native12_GLOBAL__N_19NonZeroOpIN3c107complexINSE_4HalfEEEEEPKSH_lEEPiiNS8_6detail34convert_binary_result_type_wrapperINS8_3SumESL_iEEEE10hipError_tPvRmT1_T2_T3_mT4_P12ihipStream_tbEUlT_E1_NS1_11comp_targetILNS1_3genE9ELNS1_11target_archE1100ELNS1_3gpuE3ELNS1_3repE0EEENS1_30default_config_static_selectorELNS0_4arch9wavefront6targetE0EEEvSU_
		.amdhsa_group_segment_fixed_size 0
		.amdhsa_private_segment_fixed_size 0
		.amdhsa_kernarg_size 48
		.amdhsa_user_sgpr_count 2
		.amdhsa_user_sgpr_dispatch_ptr 0
		.amdhsa_user_sgpr_queue_ptr 0
		.amdhsa_user_sgpr_kernarg_segment_ptr 1
		.amdhsa_user_sgpr_dispatch_id 0
		.amdhsa_user_sgpr_private_segment_size 0
		.amdhsa_wavefront_size32 1
		.amdhsa_uses_dynamic_stack 0
		.amdhsa_enable_private_segment 0
		.amdhsa_system_sgpr_workgroup_id_x 1
		.amdhsa_system_sgpr_workgroup_id_y 0
		.amdhsa_system_sgpr_workgroup_id_z 0
		.amdhsa_system_sgpr_workgroup_info 0
		.amdhsa_system_vgpr_workitem_id 0
		.amdhsa_next_free_vgpr 1
		.amdhsa_next_free_sgpr 1
		.amdhsa_reserve_vcc 0
		.amdhsa_float_round_mode_32 0
		.amdhsa_float_round_mode_16_64 0
		.amdhsa_float_denorm_mode_32 3
		.amdhsa_float_denorm_mode_16_64 3
		.amdhsa_fp16_overflow 0
		.amdhsa_workgroup_processor_mode 1
		.amdhsa_memory_ordered 1
		.amdhsa_forward_progress 1
		.amdhsa_inst_pref_size 0
		.amdhsa_round_robin_scheduling 0
		.amdhsa_exception_fp_ieee_invalid_op 0
		.amdhsa_exception_fp_denorm_src 0
		.amdhsa_exception_fp_ieee_div_zero 0
		.amdhsa_exception_fp_ieee_overflow 0
		.amdhsa_exception_fp_ieee_underflow 0
		.amdhsa_exception_fp_ieee_inexact 0
		.amdhsa_exception_int_div_zero 0
	.end_amdhsa_kernel
	.section	.text._ZN7rocprim17ROCPRIM_400000_NS6detail17trampoline_kernelINS0_14default_configENS1_22reduce_config_selectorIbEEZNS1_11reduce_implILb1ES3_N6hipcub16HIPCUB_304000_NS22TransformInputIteratorIbN2at6native12_GLOBAL__N_19NonZeroOpIN3c107complexINSE_4HalfEEEEEPKSH_lEEPiiNS8_6detail34convert_binary_result_type_wrapperINS8_3SumESL_iEEEE10hipError_tPvRmT1_T2_T3_mT4_P12ihipStream_tbEUlT_E1_NS1_11comp_targetILNS1_3genE9ELNS1_11target_archE1100ELNS1_3gpuE3ELNS1_3repE0EEENS1_30default_config_static_selectorELNS0_4arch9wavefront6targetE0EEEvSU_,"axG",@progbits,_ZN7rocprim17ROCPRIM_400000_NS6detail17trampoline_kernelINS0_14default_configENS1_22reduce_config_selectorIbEEZNS1_11reduce_implILb1ES3_N6hipcub16HIPCUB_304000_NS22TransformInputIteratorIbN2at6native12_GLOBAL__N_19NonZeroOpIN3c107complexINSE_4HalfEEEEEPKSH_lEEPiiNS8_6detail34convert_binary_result_type_wrapperINS8_3SumESL_iEEEE10hipError_tPvRmT1_T2_T3_mT4_P12ihipStream_tbEUlT_E1_NS1_11comp_targetILNS1_3genE9ELNS1_11target_archE1100ELNS1_3gpuE3ELNS1_3repE0EEENS1_30default_config_static_selectorELNS0_4arch9wavefront6targetE0EEEvSU_,comdat
.Lfunc_end660:
	.size	_ZN7rocprim17ROCPRIM_400000_NS6detail17trampoline_kernelINS0_14default_configENS1_22reduce_config_selectorIbEEZNS1_11reduce_implILb1ES3_N6hipcub16HIPCUB_304000_NS22TransformInputIteratorIbN2at6native12_GLOBAL__N_19NonZeroOpIN3c107complexINSE_4HalfEEEEEPKSH_lEEPiiNS8_6detail34convert_binary_result_type_wrapperINS8_3SumESL_iEEEE10hipError_tPvRmT1_T2_T3_mT4_P12ihipStream_tbEUlT_E1_NS1_11comp_targetILNS1_3genE9ELNS1_11target_archE1100ELNS1_3gpuE3ELNS1_3repE0EEENS1_30default_config_static_selectorELNS0_4arch9wavefront6targetE0EEEvSU_, .Lfunc_end660-_ZN7rocprim17ROCPRIM_400000_NS6detail17trampoline_kernelINS0_14default_configENS1_22reduce_config_selectorIbEEZNS1_11reduce_implILb1ES3_N6hipcub16HIPCUB_304000_NS22TransformInputIteratorIbN2at6native12_GLOBAL__N_19NonZeroOpIN3c107complexINSE_4HalfEEEEEPKSH_lEEPiiNS8_6detail34convert_binary_result_type_wrapperINS8_3SumESL_iEEEE10hipError_tPvRmT1_T2_T3_mT4_P12ihipStream_tbEUlT_E1_NS1_11comp_targetILNS1_3genE9ELNS1_11target_archE1100ELNS1_3gpuE3ELNS1_3repE0EEENS1_30default_config_static_selectorELNS0_4arch9wavefront6targetE0EEEvSU_
                                        ; -- End function
	.set _ZN7rocprim17ROCPRIM_400000_NS6detail17trampoline_kernelINS0_14default_configENS1_22reduce_config_selectorIbEEZNS1_11reduce_implILb1ES3_N6hipcub16HIPCUB_304000_NS22TransformInputIteratorIbN2at6native12_GLOBAL__N_19NonZeroOpIN3c107complexINSE_4HalfEEEEEPKSH_lEEPiiNS8_6detail34convert_binary_result_type_wrapperINS8_3SumESL_iEEEE10hipError_tPvRmT1_T2_T3_mT4_P12ihipStream_tbEUlT_E1_NS1_11comp_targetILNS1_3genE9ELNS1_11target_archE1100ELNS1_3gpuE3ELNS1_3repE0EEENS1_30default_config_static_selectorELNS0_4arch9wavefront6targetE0EEEvSU_.num_vgpr, 0
	.set _ZN7rocprim17ROCPRIM_400000_NS6detail17trampoline_kernelINS0_14default_configENS1_22reduce_config_selectorIbEEZNS1_11reduce_implILb1ES3_N6hipcub16HIPCUB_304000_NS22TransformInputIteratorIbN2at6native12_GLOBAL__N_19NonZeroOpIN3c107complexINSE_4HalfEEEEEPKSH_lEEPiiNS8_6detail34convert_binary_result_type_wrapperINS8_3SumESL_iEEEE10hipError_tPvRmT1_T2_T3_mT4_P12ihipStream_tbEUlT_E1_NS1_11comp_targetILNS1_3genE9ELNS1_11target_archE1100ELNS1_3gpuE3ELNS1_3repE0EEENS1_30default_config_static_selectorELNS0_4arch9wavefront6targetE0EEEvSU_.num_agpr, 0
	.set _ZN7rocprim17ROCPRIM_400000_NS6detail17trampoline_kernelINS0_14default_configENS1_22reduce_config_selectorIbEEZNS1_11reduce_implILb1ES3_N6hipcub16HIPCUB_304000_NS22TransformInputIteratorIbN2at6native12_GLOBAL__N_19NonZeroOpIN3c107complexINSE_4HalfEEEEEPKSH_lEEPiiNS8_6detail34convert_binary_result_type_wrapperINS8_3SumESL_iEEEE10hipError_tPvRmT1_T2_T3_mT4_P12ihipStream_tbEUlT_E1_NS1_11comp_targetILNS1_3genE9ELNS1_11target_archE1100ELNS1_3gpuE3ELNS1_3repE0EEENS1_30default_config_static_selectorELNS0_4arch9wavefront6targetE0EEEvSU_.numbered_sgpr, 0
	.set _ZN7rocprim17ROCPRIM_400000_NS6detail17trampoline_kernelINS0_14default_configENS1_22reduce_config_selectorIbEEZNS1_11reduce_implILb1ES3_N6hipcub16HIPCUB_304000_NS22TransformInputIteratorIbN2at6native12_GLOBAL__N_19NonZeroOpIN3c107complexINSE_4HalfEEEEEPKSH_lEEPiiNS8_6detail34convert_binary_result_type_wrapperINS8_3SumESL_iEEEE10hipError_tPvRmT1_T2_T3_mT4_P12ihipStream_tbEUlT_E1_NS1_11comp_targetILNS1_3genE9ELNS1_11target_archE1100ELNS1_3gpuE3ELNS1_3repE0EEENS1_30default_config_static_selectorELNS0_4arch9wavefront6targetE0EEEvSU_.num_named_barrier, 0
	.set _ZN7rocprim17ROCPRIM_400000_NS6detail17trampoline_kernelINS0_14default_configENS1_22reduce_config_selectorIbEEZNS1_11reduce_implILb1ES3_N6hipcub16HIPCUB_304000_NS22TransformInputIteratorIbN2at6native12_GLOBAL__N_19NonZeroOpIN3c107complexINSE_4HalfEEEEEPKSH_lEEPiiNS8_6detail34convert_binary_result_type_wrapperINS8_3SumESL_iEEEE10hipError_tPvRmT1_T2_T3_mT4_P12ihipStream_tbEUlT_E1_NS1_11comp_targetILNS1_3genE9ELNS1_11target_archE1100ELNS1_3gpuE3ELNS1_3repE0EEENS1_30default_config_static_selectorELNS0_4arch9wavefront6targetE0EEEvSU_.private_seg_size, 0
	.set _ZN7rocprim17ROCPRIM_400000_NS6detail17trampoline_kernelINS0_14default_configENS1_22reduce_config_selectorIbEEZNS1_11reduce_implILb1ES3_N6hipcub16HIPCUB_304000_NS22TransformInputIteratorIbN2at6native12_GLOBAL__N_19NonZeroOpIN3c107complexINSE_4HalfEEEEEPKSH_lEEPiiNS8_6detail34convert_binary_result_type_wrapperINS8_3SumESL_iEEEE10hipError_tPvRmT1_T2_T3_mT4_P12ihipStream_tbEUlT_E1_NS1_11comp_targetILNS1_3genE9ELNS1_11target_archE1100ELNS1_3gpuE3ELNS1_3repE0EEENS1_30default_config_static_selectorELNS0_4arch9wavefront6targetE0EEEvSU_.uses_vcc, 0
	.set _ZN7rocprim17ROCPRIM_400000_NS6detail17trampoline_kernelINS0_14default_configENS1_22reduce_config_selectorIbEEZNS1_11reduce_implILb1ES3_N6hipcub16HIPCUB_304000_NS22TransformInputIteratorIbN2at6native12_GLOBAL__N_19NonZeroOpIN3c107complexINSE_4HalfEEEEEPKSH_lEEPiiNS8_6detail34convert_binary_result_type_wrapperINS8_3SumESL_iEEEE10hipError_tPvRmT1_T2_T3_mT4_P12ihipStream_tbEUlT_E1_NS1_11comp_targetILNS1_3genE9ELNS1_11target_archE1100ELNS1_3gpuE3ELNS1_3repE0EEENS1_30default_config_static_selectorELNS0_4arch9wavefront6targetE0EEEvSU_.uses_flat_scratch, 0
	.set _ZN7rocprim17ROCPRIM_400000_NS6detail17trampoline_kernelINS0_14default_configENS1_22reduce_config_selectorIbEEZNS1_11reduce_implILb1ES3_N6hipcub16HIPCUB_304000_NS22TransformInputIteratorIbN2at6native12_GLOBAL__N_19NonZeroOpIN3c107complexINSE_4HalfEEEEEPKSH_lEEPiiNS8_6detail34convert_binary_result_type_wrapperINS8_3SumESL_iEEEE10hipError_tPvRmT1_T2_T3_mT4_P12ihipStream_tbEUlT_E1_NS1_11comp_targetILNS1_3genE9ELNS1_11target_archE1100ELNS1_3gpuE3ELNS1_3repE0EEENS1_30default_config_static_selectorELNS0_4arch9wavefront6targetE0EEEvSU_.has_dyn_sized_stack, 0
	.set _ZN7rocprim17ROCPRIM_400000_NS6detail17trampoline_kernelINS0_14default_configENS1_22reduce_config_selectorIbEEZNS1_11reduce_implILb1ES3_N6hipcub16HIPCUB_304000_NS22TransformInputIteratorIbN2at6native12_GLOBAL__N_19NonZeroOpIN3c107complexINSE_4HalfEEEEEPKSH_lEEPiiNS8_6detail34convert_binary_result_type_wrapperINS8_3SumESL_iEEEE10hipError_tPvRmT1_T2_T3_mT4_P12ihipStream_tbEUlT_E1_NS1_11comp_targetILNS1_3genE9ELNS1_11target_archE1100ELNS1_3gpuE3ELNS1_3repE0EEENS1_30default_config_static_selectorELNS0_4arch9wavefront6targetE0EEEvSU_.has_recursion, 0
	.set _ZN7rocprim17ROCPRIM_400000_NS6detail17trampoline_kernelINS0_14default_configENS1_22reduce_config_selectorIbEEZNS1_11reduce_implILb1ES3_N6hipcub16HIPCUB_304000_NS22TransformInputIteratorIbN2at6native12_GLOBAL__N_19NonZeroOpIN3c107complexINSE_4HalfEEEEEPKSH_lEEPiiNS8_6detail34convert_binary_result_type_wrapperINS8_3SumESL_iEEEE10hipError_tPvRmT1_T2_T3_mT4_P12ihipStream_tbEUlT_E1_NS1_11comp_targetILNS1_3genE9ELNS1_11target_archE1100ELNS1_3gpuE3ELNS1_3repE0EEENS1_30default_config_static_selectorELNS0_4arch9wavefront6targetE0EEEvSU_.has_indirect_call, 0
	.section	.AMDGPU.csdata,"",@progbits
; Kernel info:
; codeLenInByte = 0
; TotalNumSgprs: 0
; NumVgprs: 0
; ScratchSize: 0
; MemoryBound: 0
; FloatMode: 240
; IeeeMode: 1
; LDSByteSize: 0 bytes/workgroup (compile time only)
; SGPRBlocks: 0
; VGPRBlocks: 0
; NumSGPRsForWavesPerEU: 1
; NumVGPRsForWavesPerEU: 1
; Occupancy: 16
; WaveLimiterHint : 0
; COMPUTE_PGM_RSRC2:SCRATCH_EN: 0
; COMPUTE_PGM_RSRC2:USER_SGPR: 2
; COMPUTE_PGM_RSRC2:TRAP_HANDLER: 0
; COMPUTE_PGM_RSRC2:TGID_X_EN: 1
; COMPUTE_PGM_RSRC2:TGID_Y_EN: 0
; COMPUTE_PGM_RSRC2:TGID_Z_EN: 0
; COMPUTE_PGM_RSRC2:TIDIG_COMP_CNT: 0
	.section	.text._ZN7rocprim17ROCPRIM_400000_NS6detail17trampoline_kernelINS0_14default_configENS1_22reduce_config_selectorIbEEZNS1_11reduce_implILb1ES3_N6hipcub16HIPCUB_304000_NS22TransformInputIteratorIbN2at6native12_GLOBAL__N_19NonZeroOpIN3c107complexINSE_4HalfEEEEEPKSH_lEEPiiNS8_6detail34convert_binary_result_type_wrapperINS8_3SumESL_iEEEE10hipError_tPvRmT1_T2_T3_mT4_P12ihipStream_tbEUlT_E1_NS1_11comp_targetILNS1_3genE8ELNS1_11target_archE1030ELNS1_3gpuE2ELNS1_3repE0EEENS1_30default_config_static_selectorELNS0_4arch9wavefront6targetE0EEEvSU_,"axG",@progbits,_ZN7rocprim17ROCPRIM_400000_NS6detail17trampoline_kernelINS0_14default_configENS1_22reduce_config_selectorIbEEZNS1_11reduce_implILb1ES3_N6hipcub16HIPCUB_304000_NS22TransformInputIteratorIbN2at6native12_GLOBAL__N_19NonZeroOpIN3c107complexINSE_4HalfEEEEEPKSH_lEEPiiNS8_6detail34convert_binary_result_type_wrapperINS8_3SumESL_iEEEE10hipError_tPvRmT1_T2_T3_mT4_P12ihipStream_tbEUlT_E1_NS1_11comp_targetILNS1_3genE8ELNS1_11target_archE1030ELNS1_3gpuE2ELNS1_3repE0EEENS1_30default_config_static_selectorELNS0_4arch9wavefront6targetE0EEEvSU_,comdat
	.globl	_ZN7rocprim17ROCPRIM_400000_NS6detail17trampoline_kernelINS0_14default_configENS1_22reduce_config_selectorIbEEZNS1_11reduce_implILb1ES3_N6hipcub16HIPCUB_304000_NS22TransformInputIteratorIbN2at6native12_GLOBAL__N_19NonZeroOpIN3c107complexINSE_4HalfEEEEEPKSH_lEEPiiNS8_6detail34convert_binary_result_type_wrapperINS8_3SumESL_iEEEE10hipError_tPvRmT1_T2_T3_mT4_P12ihipStream_tbEUlT_E1_NS1_11comp_targetILNS1_3genE8ELNS1_11target_archE1030ELNS1_3gpuE2ELNS1_3repE0EEENS1_30default_config_static_selectorELNS0_4arch9wavefront6targetE0EEEvSU_ ; -- Begin function _ZN7rocprim17ROCPRIM_400000_NS6detail17trampoline_kernelINS0_14default_configENS1_22reduce_config_selectorIbEEZNS1_11reduce_implILb1ES3_N6hipcub16HIPCUB_304000_NS22TransformInputIteratorIbN2at6native12_GLOBAL__N_19NonZeroOpIN3c107complexINSE_4HalfEEEEEPKSH_lEEPiiNS8_6detail34convert_binary_result_type_wrapperINS8_3SumESL_iEEEE10hipError_tPvRmT1_T2_T3_mT4_P12ihipStream_tbEUlT_E1_NS1_11comp_targetILNS1_3genE8ELNS1_11target_archE1030ELNS1_3gpuE2ELNS1_3repE0EEENS1_30default_config_static_selectorELNS0_4arch9wavefront6targetE0EEEvSU_
	.p2align	8
	.type	_ZN7rocprim17ROCPRIM_400000_NS6detail17trampoline_kernelINS0_14default_configENS1_22reduce_config_selectorIbEEZNS1_11reduce_implILb1ES3_N6hipcub16HIPCUB_304000_NS22TransformInputIteratorIbN2at6native12_GLOBAL__N_19NonZeroOpIN3c107complexINSE_4HalfEEEEEPKSH_lEEPiiNS8_6detail34convert_binary_result_type_wrapperINS8_3SumESL_iEEEE10hipError_tPvRmT1_T2_T3_mT4_P12ihipStream_tbEUlT_E1_NS1_11comp_targetILNS1_3genE8ELNS1_11target_archE1030ELNS1_3gpuE2ELNS1_3repE0EEENS1_30default_config_static_selectorELNS0_4arch9wavefront6targetE0EEEvSU_,@function
_ZN7rocprim17ROCPRIM_400000_NS6detail17trampoline_kernelINS0_14default_configENS1_22reduce_config_selectorIbEEZNS1_11reduce_implILb1ES3_N6hipcub16HIPCUB_304000_NS22TransformInputIteratorIbN2at6native12_GLOBAL__N_19NonZeroOpIN3c107complexINSE_4HalfEEEEEPKSH_lEEPiiNS8_6detail34convert_binary_result_type_wrapperINS8_3SumESL_iEEEE10hipError_tPvRmT1_T2_T3_mT4_P12ihipStream_tbEUlT_E1_NS1_11comp_targetILNS1_3genE8ELNS1_11target_archE1030ELNS1_3gpuE2ELNS1_3repE0EEENS1_30default_config_static_selectorELNS0_4arch9wavefront6targetE0EEEvSU_: ; @_ZN7rocprim17ROCPRIM_400000_NS6detail17trampoline_kernelINS0_14default_configENS1_22reduce_config_selectorIbEEZNS1_11reduce_implILb1ES3_N6hipcub16HIPCUB_304000_NS22TransformInputIteratorIbN2at6native12_GLOBAL__N_19NonZeroOpIN3c107complexINSE_4HalfEEEEEPKSH_lEEPiiNS8_6detail34convert_binary_result_type_wrapperINS8_3SumESL_iEEEE10hipError_tPvRmT1_T2_T3_mT4_P12ihipStream_tbEUlT_E1_NS1_11comp_targetILNS1_3genE8ELNS1_11target_archE1030ELNS1_3gpuE2ELNS1_3repE0EEENS1_30default_config_static_selectorELNS0_4arch9wavefront6targetE0EEEvSU_
; %bb.0:
	.section	.rodata,"a",@progbits
	.p2align	6, 0x0
	.amdhsa_kernel _ZN7rocprim17ROCPRIM_400000_NS6detail17trampoline_kernelINS0_14default_configENS1_22reduce_config_selectorIbEEZNS1_11reduce_implILb1ES3_N6hipcub16HIPCUB_304000_NS22TransformInputIteratorIbN2at6native12_GLOBAL__N_19NonZeroOpIN3c107complexINSE_4HalfEEEEEPKSH_lEEPiiNS8_6detail34convert_binary_result_type_wrapperINS8_3SumESL_iEEEE10hipError_tPvRmT1_T2_T3_mT4_P12ihipStream_tbEUlT_E1_NS1_11comp_targetILNS1_3genE8ELNS1_11target_archE1030ELNS1_3gpuE2ELNS1_3repE0EEENS1_30default_config_static_selectorELNS0_4arch9wavefront6targetE0EEEvSU_
		.amdhsa_group_segment_fixed_size 0
		.amdhsa_private_segment_fixed_size 0
		.amdhsa_kernarg_size 48
		.amdhsa_user_sgpr_count 2
		.amdhsa_user_sgpr_dispatch_ptr 0
		.amdhsa_user_sgpr_queue_ptr 0
		.amdhsa_user_sgpr_kernarg_segment_ptr 1
		.amdhsa_user_sgpr_dispatch_id 0
		.amdhsa_user_sgpr_private_segment_size 0
		.amdhsa_wavefront_size32 1
		.amdhsa_uses_dynamic_stack 0
		.amdhsa_enable_private_segment 0
		.amdhsa_system_sgpr_workgroup_id_x 1
		.amdhsa_system_sgpr_workgroup_id_y 0
		.amdhsa_system_sgpr_workgroup_id_z 0
		.amdhsa_system_sgpr_workgroup_info 0
		.amdhsa_system_vgpr_workitem_id 0
		.amdhsa_next_free_vgpr 1
		.amdhsa_next_free_sgpr 1
		.amdhsa_reserve_vcc 0
		.amdhsa_float_round_mode_32 0
		.amdhsa_float_round_mode_16_64 0
		.amdhsa_float_denorm_mode_32 3
		.amdhsa_float_denorm_mode_16_64 3
		.amdhsa_fp16_overflow 0
		.amdhsa_workgroup_processor_mode 1
		.amdhsa_memory_ordered 1
		.amdhsa_forward_progress 1
		.amdhsa_inst_pref_size 0
		.amdhsa_round_robin_scheduling 0
		.amdhsa_exception_fp_ieee_invalid_op 0
		.amdhsa_exception_fp_denorm_src 0
		.amdhsa_exception_fp_ieee_div_zero 0
		.amdhsa_exception_fp_ieee_overflow 0
		.amdhsa_exception_fp_ieee_underflow 0
		.amdhsa_exception_fp_ieee_inexact 0
		.amdhsa_exception_int_div_zero 0
	.end_amdhsa_kernel
	.section	.text._ZN7rocprim17ROCPRIM_400000_NS6detail17trampoline_kernelINS0_14default_configENS1_22reduce_config_selectorIbEEZNS1_11reduce_implILb1ES3_N6hipcub16HIPCUB_304000_NS22TransformInputIteratorIbN2at6native12_GLOBAL__N_19NonZeroOpIN3c107complexINSE_4HalfEEEEEPKSH_lEEPiiNS8_6detail34convert_binary_result_type_wrapperINS8_3SumESL_iEEEE10hipError_tPvRmT1_T2_T3_mT4_P12ihipStream_tbEUlT_E1_NS1_11comp_targetILNS1_3genE8ELNS1_11target_archE1030ELNS1_3gpuE2ELNS1_3repE0EEENS1_30default_config_static_selectorELNS0_4arch9wavefront6targetE0EEEvSU_,"axG",@progbits,_ZN7rocprim17ROCPRIM_400000_NS6detail17trampoline_kernelINS0_14default_configENS1_22reduce_config_selectorIbEEZNS1_11reduce_implILb1ES3_N6hipcub16HIPCUB_304000_NS22TransformInputIteratorIbN2at6native12_GLOBAL__N_19NonZeroOpIN3c107complexINSE_4HalfEEEEEPKSH_lEEPiiNS8_6detail34convert_binary_result_type_wrapperINS8_3SumESL_iEEEE10hipError_tPvRmT1_T2_T3_mT4_P12ihipStream_tbEUlT_E1_NS1_11comp_targetILNS1_3genE8ELNS1_11target_archE1030ELNS1_3gpuE2ELNS1_3repE0EEENS1_30default_config_static_selectorELNS0_4arch9wavefront6targetE0EEEvSU_,comdat
.Lfunc_end661:
	.size	_ZN7rocprim17ROCPRIM_400000_NS6detail17trampoline_kernelINS0_14default_configENS1_22reduce_config_selectorIbEEZNS1_11reduce_implILb1ES3_N6hipcub16HIPCUB_304000_NS22TransformInputIteratorIbN2at6native12_GLOBAL__N_19NonZeroOpIN3c107complexINSE_4HalfEEEEEPKSH_lEEPiiNS8_6detail34convert_binary_result_type_wrapperINS8_3SumESL_iEEEE10hipError_tPvRmT1_T2_T3_mT4_P12ihipStream_tbEUlT_E1_NS1_11comp_targetILNS1_3genE8ELNS1_11target_archE1030ELNS1_3gpuE2ELNS1_3repE0EEENS1_30default_config_static_selectorELNS0_4arch9wavefront6targetE0EEEvSU_, .Lfunc_end661-_ZN7rocprim17ROCPRIM_400000_NS6detail17trampoline_kernelINS0_14default_configENS1_22reduce_config_selectorIbEEZNS1_11reduce_implILb1ES3_N6hipcub16HIPCUB_304000_NS22TransformInputIteratorIbN2at6native12_GLOBAL__N_19NonZeroOpIN3c107complexINSE_4HalfEEEEEPKSH_lEEPiiNS8_6detail34convert_binary_result_type_wrapperINS8_3SumESL_iEEEE10hipError_tPvRmT1_T2_T3_mT4_P12ihipStream_tbEUlT_E1_NS1_11comp_targetILNS1_3genE8ELNS1_11target_archE1030ELNS1_3gpuE2ELNS1_3repE0EEENS1_30default_config_static_selectorELNS0_4arch9wavefront6targetE0EEEvSU_
                                        ; -- End function
	.set _ZN7rocprim17ROCPRIM_400000_NS6detail17trampoline_kernelINS0_14default_configENS1_22reduce_config_selectorIbEEZNS1_11reduce_implILb1ES3_N6hipcub16HIPCUB_304000_NS22TransformInputIteratorIbN2at6native12_GLOBAL__N_19NonZeroOpIN3c107complexINSE_4HalfEEEEEPKSH_lEEPiiNS8_6detail34convert_binary_result_type_wrapperINS8_3SumESL_iEEEE10hipError_tPvRmT1_T2_T3_mT4_P12ihipStream_tbEUlT_E1_NS1_11comp_targetILNS1_3genE8ELNS1_11target_archE1030ELNS1_3gpuE2ELNS1_3repE0EEENS1_30default_config_static_selectorELNS0_4arch9wavefront6targetE0EEEvSU_.num_vgpr, 0
	.set _ZN7rocprim17ROCPRIM_400000_NS6detail17trampoline_kernelINS0_14default_configENS1_22reduce_config_selectorIbEEZNS1_11reduce_implILb1ES3_N6hipcub16HIPCUB_304000_NS22TransformInputIteratorIbN2at6native12_GLOBAL__N_19NonZeroOpIN3c107complexINSE_4HalfEEEEEPKSH_lEEPiiNS8_6detail34convert_binary_result_type_wrapperINS8_3SumESL_iEEEE10hipError_tPvRmT1_T2_T3_mT4_P12ihipStream_tbEUlT_E1_NS1_11comp_targetILNS1_3genE8ELNS1_11target_archE1030ELNS1_3gpuE2ELNS1_3repE0EEENS1_30default_config_static_selectorELNS0_4arch9wavefront6targetE0EEEvSU_.num_agpr, 0
	.set _ZN7rocprim17ROCPRIM_400000_NS6detail17trampoline_kernelINS0_14default_configENS1_22reduce_config_selectorIbEEZNS1_11reduce_implILb1ES3_N6hipcub16HIPCUB_304000_NS22TransformInputIteratorIbN2at6native12_GLOBAL__N_19NonZeroOpIN3c107complexINSE_4HalfEEEEEPKSH_lEEPiiNS8_6detail34convert_binary_result_type_wrapperINS8_3SumESL_iEEEE10hipError_tPvRmT1_T2_T3_mT4_P12ihipStream_tbEUlT_E1_NS1_11comp_targetILNS1_3genE8ELNS1_11target_archE1030ELNS1_3gpuE2ELNS1_3repE0EEENS1_30default_config_static_selectorELNS0_4arch9wavefront6targetE0EEEvSU_.numbered_sgpr, 0
	.set _ZN7rocprim17ROCPRIM_400000_NS6detail17trampoline_kernelINS0_14default_configENS1_22reduce_config_selectorIbEEZNS1_11reduce_implILb1ES3_N6hipcub16HIPCUB_304000_NS22TransformInputIteratorIbN2at6native12_GLOBAL__N_19NonZeroOpIN3c107complexINSE_4HalfEEEEEPKSH_lEEPiiNS8_6detail34convert_binary_result_type_wrapperINS8_3SumESL_iEEEE10hipError_tPvRmT1_T2_T3_mT4_P12ihipStream_tbEUlT_E1_NS1_11comp_targetILNS1_3genE8ELNS1_11target_archE1030ELNS1_3gpuE2ELNS1_3repE0EEENS1_30default_config_static_selectorELNS0_4arch9wavefront6targetE0EEEvSU_.num_named_barrier, 0
	.set _ZN7rocprim17ROCPRIM_400000_NS6detail17trampoline_kernelINS0_14default_configENS1_22reduce_config_selectorIbEEZNS1_11reduce_implILb1ES3_N6hipcub16HIPCUB_304000_NS22TransformInputIteratorIbN2at6native12_GLOBAL__N_19NonZeroOpIN3c107complexINSE_4HalfEEEEEPKSH_lEEPiiNS8_6detail34convert_binary_result_type_wrapperINS8_3SumESL_iEEEE10hipError_tPvRmT1_T2_T3_mT4_P12ihipStream_tbEUlT_E1_NS1_11comp_targetILNS1_3genE8ELNS1_11target_archE1030ELNS1_3gpuE2ELNS1_3repE0EEENS1_30default_config_static_selectorELNS0_4arch9wavefront6targetE0EEEvSU_.private_seg_size, 0
	.set _ZN7rocprim17ROCPRIM_400000_NS6detail17trampoline_kernelINS0_14default_configENS1_22reduce_config_selectorIbEEZNS1_11reduce_implILb1ES3_N6hipcub16HIPCUB_304000_NS22TransformInputIteratorIbN2at6native12_GLOBAL__N_19NonZeroOpIN3c107complexINSE_4HalfEEEEEPKSH_lEEPiiNS8_6detail34convert_binary_result_type_wrapperINS8_3SumESL_iEEEE10hipError_tPvRmT1_T2_T3_mT4_P12ihipStream_tbEUlT_E1_NS1_11comp_targetILNS1_3genE8ELNS1_11target_archE1030ELNS1_3gpuE2ELNS1_3repE0EEENS1_30default_config_static_selectorELNS0_4arch9wavefront6targetE0EEEvSU_.uses_vcc, 0
	.set _ZN7rocprim17ROCPRIM_400000_NS6detail17trampoline_kernelINS0_14default_configENS1_22reduce_config_selectorIbEEZNS1_11reduce_implILb1ES3_N6hipcub16HIPCUB_304000_NS22TransformInputIteratorIbN2at6native12_GLOBAL__N_19NonZeroOpIN3c107complexINSE_4HalfEEEEEPKSH_lEEPiiNS8_6detail34convert_binary_result_type_wrapperINS8_3SumESL_iEEEE10hipError_tPvRmT1_T2_T3_mT4_P12ihipStream_tbEUlT_E1_NS1_11comp_targetILNS1_3genE8ELNS1_11target_archE1030ELNS1_3gpuE2ELNS1_3repE0EEENS1_30default_config_static_selectorELNS0_4arch9wavefront6targetE0EEEvSU_.uses_flat_scratch, 0
	.set _ZN7rocprim17ROCPRIM_400000_NS6detail17trampoline_kernelINS0_14default_configENS1_22reduce_config_selectorIbEEZNS1_11reduce_implILb1ES3_N6hipcub16HIPCUB_304000_NS22TransformInputIteratorIbN2at6native12_GLOBAL__N_19NonZeroOpIN3c107complexINSE_4HalfEEEEEPKSH_lEEPiiNS8_6detail34convert_binary_result_type_wrapperINS8_3SumESL_iEEEE10hipError_tPvRmT1_T2_T3_mT4_P12ihipStream_tbEUlT_E1_NS1_11comp_targetILNS1_3genE8ELNS1_11target_archE1030ELNS1_3gpuE2ELNS1_3repE0EEENS1_30default_config_static_selectorELNS0_4arch9wavefront6targetE0EEEvSU_.has_dyn_sized_stack, 0
	.set _ZN7rocprim17ROCPRIM_400000_NS6detail17trampoline_kernelINS0_14default_configENS1_22reduce_config_selectorIbEEZNS1_11reduce_implILb1ES3_N6hipcub16HIPCUB_304000_NS22TransformInputIteratorIbN2at6native12_GLOBAL__N_19NonZeroOpIN3c107complexINSE_4HalfEEEEEPKSH_lEEPiiNS8_6detail34convert_binary_result_type_wrapperINS8_3SumESL_iEEEE10hipError_tPvRmT1_T2_T3_mT4_P12ihipStream_tbEUlT_E1_NS1_11comp_targetILNS1_3genE8ELNS1_11target_archE1030ELNS1_3gpuE2ELNS1_3repE0EEENS1_30default_config_static_selectorELNS0_4arch9wavefront6targetE0EEEvSU_.has_recursion, 0
	.set _ZN7rocprim17ROCPRIM_400000_NS6detail17trampoline_kernelINS0_14default_configENS1_22reduce_config_selectorIbEEZNS1_11reduce_implILb1ES3_N6hipcub16HIPCUB_304000_NS22TransformInputIteratorIbN2at6native12_GLOBAL__N_19NonZeroOpIN3c107complexINSE_4HalfEEEEEPKSH_lEEPiiNS8_6detail34convert_binary_result_type_wrapperINS8_3SumESL_iEEEE10hipError_tPvRmT1_T2_T3_mT4_P12ihipStream_tbEUlT_E1_NS1_11comp_targetILNS1_3genE8ELNS1_11target_archE1030ELNS1_3gpuE2ELNS1_3repE0EEENS1_30default_config_static_selectorELNS0_4arch9wavefront6targetE0EEEvSU_.has_indirect_call, 0
	.section	.AMDGPU.csdata,"",@progbits
; Kernel info:
; codeLenInByte = 0
; TotalNumSgprs: 0
; NumVgprs: 0
; ScratchSize: 0
; MemoryBound: 0
; FloatMode: 240
; IeeeMode: 1
; LDSByteSize: 0 bytes/workgroup (compile time only)
; SGPRBlocks: 0
; VGPRBlocks: 0
; NumSGPRsForWavesPerEU: 1
; NumVGPRsForWavesPerEU: 1
; Occupancy: 16
; WaveLimiterHint : 0
; COMPUTE_PGM_RSRC2:SCRATCH_EN: 0
; COMPUTE_PGM_RSRC2:USER_SGPR: 2
; COMPUTE_PGM_RSRC2:TRAP_HANDLER: 0
; COMPUTE_PGM_RSRC2:TGID_X_EN: 1
; COMPUTE_PGM_RSRC2:TGID_Y_EN: 0
; COMPUTE_PGM_RSRC2:TGID_Z_EN: 0
; COMPUTE_PGM_RSRC2:TIDIG_COMP_CNT: 0
	.section	.text._ZN7rocprim17ROCPRIM_400000_NS6detail17trampoline_kernelINS0_14default_configENS1_25partition_config_selectorILNS1_17partition_subalgoE5ElNS0_10empty_typeEbEEZZNS1_14partition_implILS5_5ELb0ES3_mN6hipcub16HIPCUB_304000_NS21CountingInputIteratorIllEEPS6_NSA_22TransformInputIteratorIbN2at6native12_GLOBAL__N_19NonZeroOpIN3c107complexINSJ_4HalfEEEEEPKSM_lEENS0_5tupleIJPlS6_EEENSR_IJSD_SD_EEES6_PiJS6_EEE10hipError_tPvRmT3_T4_T5_T6_T7_T9_mT8_P12ihipStream_tbDpT10_ENKUlT_T0_E_clISt17integral_constantIbLb0EES1F_EEDaS1A_S1B_EUlS1A_E_NS1_11comp_targetILNS1_3genE0ELNS1_11target_archE4294967295ELNS1_3gpuE0ELNS1_3repE0EEENS1_30default_config_static_selectorELNS0_4arch9wavefront6targetE0EEEvT1_,"axG",@progbits,_ZN7rocprim17ROCPRIM_400000_NS6detail17trampoline_kernelINS0_14default_configENS1_25partition_config_selectorILNS1_17partition_subalgoE5ElNS0_10empty_typeEbEEZZNS1_14partition_implILS5_5ELb0ES3_mN6hipcub16HIPCUB_304000_NS21CountingInputIteratorIllEEPS6_NSA_22TransformInputIteratorIbN2at6native12_GLOBAL__N_19NonZeroOpIN3c107complexINSJ_4HalfEEEEEPKSM_lEENS0_5tupleIJPlS6_EEENSR_IJSD_SD_EEES6_PiJS6_EEE10hipError_tPvRmT3_T4_T5_T6_T7_T9_mT8_P12ihipStream_tbDpT10_ENKUlT_T0_E_clISt17integral_constantIbLb0EES1F_EEDaS1A_S1B_EUlS1A_E_NS1_11comp_targetILNS1_3genE0ELNS1_11target_archE4294967295ELNS1_3gpuE0ELNS1_3repE0EEENS1_30default_config_static_selectorELNS0_4arch9wavefront6targetE0EEEvT1_,comdat
	.globl	_ZN7rocprim17ROCPRIM_400000_NS6detail17trampoline_kernelINS0_14default_configENS1_25partition_config_selectorILNS1_17partition_subalgoE5ElNS0_10empty_typeEbEEZZNS1_14partition_implILS5_5ELb0ES3_mN6hipcub16HIPCUB_304000_NS21CountingInputIteratorIllEEPS6_NSA_22TransformInputIteratorIbN2at6native12_GLOBAL__N_19NonZeroOpIN3c107complexINSJ_4HalfEEEEEPKSM_lEENS0_5tupleIJPlS6_EEENSR_IJSD_SD_EEES6_PiJS6_EEE10hipError_tPvRmT3_T4_T5_T6_T7_T9_mT8_P12ihipStream_tbDpT10_ENKUlT_T0_E_clISt17integral_constantIbLb0EES1F_EEDaS1A_S1B_EUlS1A_E_NS1_11comp_targetILNS1_3genE0ELNS1_11target_archE4294967295ELNS1_3gpuE0ELNS1_3repE0EEENS1_30default_config_static_selectorELNS0_4arch9wavefront6targetE0EEEvT1_ ; -- Begin function _ZN7rocprim17ROCPRIM_400000_NS6detail17trampoline_kernelINS0_14default_configENS1_25partition_config_selectorILNS1_17partition_subalgoE5ElNS0_10empty_typeEbEEZZNS1_14partition_implILS5_5ELb0ES3_mN6hipcub16HIPCUB_304000_NS21CountingInputIteratorIllEEPS6_NSA_22TransformInputIteratorIbN2at6native12_GLOBAL__N_19NonZeroOpIN3c107complexINSJ_4HalfEEEEEPKSM_lEENS0_5tupleIJPlS6_EEENSR_IJSD_SD_EEES6_PiJS6_EEE10hipError_tPvRmT3_T4_T5_T6_T7_T9_mT8_P12ihipStream_tbDpT10_ENKUlT_T0_E_clISt17integral_constantIbLb0EES1F_EEDaS1A_S1B_EUlS1A_E_NS1_11comp_targetILNS1_3genE0ELNS1_11target_archE4294967295ELNS1_3gpuE0ELNS1_3repE0EEENS1_30default_config_static_selectorELNS0_4arch9wavefront6targetE0EEEvT1_
	.p2align	8
	.type	_ZN7rocprim17ROCPRIM_400000_NS6detail17trampoline_kernelINS0_14default_configENS1_25partition_config_selectorILNS1_17partition_subalgoE5ElNS0_10empty_typeEbEEZZNS1_14partition_implILS5_5ELb0ES3_mN6hipcub16HIPCUB_304000_NS21CountingInputIteratorIllEEPS6_NSA_22TransformInputIteratorIbN2at6native12_GLOBAL__N_19NonZeroOpIN3c107complexINSJ_4HalfEEEEEPKSM_lEENS0_5tupleIJPlS6_EEENSR_IJSD_SD_EEES6_PiJS6_EEE10hipError_tPvRmT3_T4_T5_T6_T7_T9_mT8_P12ihipStream_tbDpT10_ENKUlT_T0_E_clISt17integral_constantIbLb0EES1F_EEDaS1A_S1B_EUlS1A_E_NS1_11comp_targetILNS1_3genE0ELNS1_11target_archE4294967295ELNS1_3gpuE0ELNS1_3repE0EEENS1_30default_config_static_selectorELNS0_4arch9wavefront6targetE0EEEvT1_,@function
_ZN7rocprim17ROCPRIM_400000_NS6detail17trampoline_kernelINS0_14default_configENS1_25partition_config_selectorILNS1_17partition_subalgoE5ElNS0_10empty_typeEbEEZZNS1_14partition_implILS5_5ELb0ES3_mN6hipcub16HIPCUB_304000_NS21CountingInputIteratorIllEEPS6_NSA_22TransformInputIteratorIbN2at6native12_GLOBAL__N_19NonZeroOpIN3c107complexINSJ_4HalfEEEEEPKSM_lEENS0_5tupleIJPlS6_EEENSR_IJSD_SD_EEES6_PiJS6_EEE10hipError_tPvRmT3_T4_T5_T6_T7_T9_mT8_P12ihipStream_tbDpT10_ENKUlT_T0_E_clISt17integral_constantIbLb0EES1F_EEDaS1A_S1B_EUlS1A_E_NS1_11comp_targetILNS1_3genE0ELNS1_11target_archE4294967295ELNS1_3gpuE0ELNS1_3repE0EEENS1_30default_config_static_selectorELNS0_4arch9wavefront6targetE0EEEvT1_: ; @_ZN7rocprim17ROCPRIM_400000_NS6detail17trampoline_kernelINS0_14default_configENS1_25partition_config_selectorILNS1_17partition_subalgoE5ElNS0_10empty_typeEbEEZZNS1_14partition_implILS5_5ELb0ES3_mN6hipcub16HIPCUB_304000_NS21CountingInputIteratorIllEEPS6_NSA_22TransformInputIteratorIbN2at6native12_GLOBAL__N_19NonZeroOpIN3c107complexINSJ_4HalfEEEEEPKSM_lEENS0_5tupleIJPlS6_EEENSR_IJSD_SD_EEES6_PiJS6_EEE10hipError_tPvRmT3_T4_T5_T6_T7_T9_mT8_P12ihipStream_tbDpT10_ENKUlT_T0_E_clISt17integral_constantIbLb0EES1F_EEDaS1A_S1B_EUlS1A_E_NS1_11comp_targetILNS1_3genE0ELNS1_11target_archE4294967295ELNS1_3gpuE0ELNS1_3repE0EEENS1_30default_config_static_selectorELNS0_4arch9wavefront6targetE0EEEvT1_
; %bb.0:
	.section	.rodata,"a",@progbits
	.p2align	6, 0x0
	.amdhsa_kernel _ZN7rocprim17ROCPRIM_400000_NS6detail17trampoline_kernelINS0_14default_configENS1_25partition_config_selectorILNS1_17partition_subalgoE5ElNS0_10empty_typeEbEEZZNS1_14partition_implILS5_5ELb0ES3_mN6hipcub16HIPCUB_304000_NS21CountingInputIteratorIllEEPS6_NSA_22TransformInputIteratorIbN2at6native12_GLOBAL__N_19NonZeroOpIN3c107complexINSJ_4HalfEEEEEPKSM_lEENS0_5tupleIJPlS6_EEENSR_IJSD_SD_EEES6_PiJS6_EEE10hipError_tPvRmT3_T4_T5_T6_T7_T9_mT8_P12ihipStream_tbDpT10_ENKUlT_T0_E_clISt17integral_constantIbLb0EES1F_EEDaS1A_S1B_EUlS1A_E_NS1_11comp_targetILNS1_3genE0ELNS1_11target_archE4294967295ELNS1_3gpuE0ELNS1_3repE0EEENS1_30default_config_static_selectorELNS0_4arch9wavefront6targetE0EEEvT1_
		.amdhsa_group_segment_fixed_size 0
		.amdhsa_private_segment_fixed_size 0
		.amdhsa_kernarg_size 120
		.amdhsa_user_sgpr_count 2
		.amdhsa_user_sgpr_dispatch_ptr 0
		.amdhsa_user_sgpr_queue_ptr 0
		.amdhsa_user_sgpr_kernarg_segment_ptr 1
		.amdhsa_user_sgpr_dispatch_id 0
		.amdhsa_user_sgpr_private_segment_size 0
		.amdhsa_wavefront_size32 1
		.amdhsa_uses_dynamic_stack 0
		.amdhsa_enable_private_segment 0
		.amdhsa_system_sgpr_workgroup_id_x 1
		.amdhsa_system_sgpr_workgroup_id_y 0
		.amdhsa_system_sgpr_workgroup_id_z 0
		.amdhsa_system_sgpr_workgroup_info 0
		.amdhsa_system_vgpr_workitem_id 0
		.amdhsa_next_free_vgpr 1
		.amdhsa_next_free_sgpr 1
		.amdhsa_reserve_vcc 0
		.amdhsa_float_round_mode_32 0
		.amdhsa_float_round_mode_16_64 0
		.amdhsa_float_denorm_mode_32 3
		.amdhsa_float_denorm_mode_16_64 3
		.amdhsa_fp16_overflow 0
		.amdhsa_workgroup_processor_mode 1
		.amdhsa_memory_ordered 1
		.amdhsa_forward_progress 1
		.amdhsa_inst_pref_size 0
		.amdhsa_round_robin_scheduling 0
		.amdhsa_exception_fp_ieee_invalid_op 0
		.amdhsa_exception_fp_denorm_src 0
		.amdhsa_exception_fp_ieee_div_zero 0
		.amdhsa_exception_fp_ieee_overflow 0
		.amdhsa_exception_fp_ieee_underflow 0
		.amdhsa_exception_fp_ieee_inexact 0
		.amdhsa_exception_int_div_zero 0
	.end_amdhsa_kernel
	.section	.text._ZN7rocprim17ROCPRIM_400000_NS6detail17trampoline_kernelINS0_14default_configENS1_25partition_config_selectorILNS1_17partition_subalgoE5ElNS0_10empty_typeEbEEZZNS1_14partition_implILS5_5ELb0ES3_mN6hipcub16HIPCUB_304000_NS21CountingInputIteratorIllEEPS6_NSA_22TransformInputIteratorIbN2at6native12_GLOBAL__N_19NonZeroOpIN3c107complexINSJ_4HalfEEEEEPKSM_lEENS0_5tupleIJPlS6_EEENSR_IJSD_SD_EEES6_PiJS6_EEE10hipError_tPvRmT3_T4_T5_T6_T7_T9_mT8_P12ihipStream_tbDpT10_ENKUlT_T0_E_clISt17integral_constantIbLb0EES1F_EEDaS1A_S1B_EUlS1A_E_NS1_11comp_targetILNS1_3genE0ELNS1_11target_archE4294967295ELNS1_3gpuE0ELNS1_3repE0EEENS1_30default_config_static_selectorELNS0_4arch9wavefront6targetE0EEEvT1_,"axG",@progbits,_ZN7rocprim17ROCPRIM_400000_NS6detail17trampoline_kernelINS0_14default_configENS1_25partition_config_selectorILNS1_17partition_subalgoE5ElNS0_10empty_typeEbEEZZNS1_14partition_implILS5_5ELb0ES3_mN6hipcub16HIPCUB_304000_NS21CountingInputIteratorIllEEPS6_NSA_22TransformInputIteratorIbN2at6native12_GLOBAL__N_19NonZeroOpIN3c107complexINSJ_4HalfEEEEEPKSM_lEENS0_5tupleIJPlS6_EEENSR_IJSD_SD_EEES6_PiJS6_EEE10hipError_tPvRmT3_T4_T5_T6_T7_T9_mT8_P12ihipStream_tbDpT10_ENKUlT_T0_E_clISt17integral_constantIbLb0EES1F_EEDaS1A_S1B_EUlS1A_E_NS1_11comp_targetILNS1_3genE0ELNS1_11target_archE4294967295ELNS1_3gpuE0ELNS1_3repE0EEENS1_30default_config_static_selectorELNS0_4arch9wavefront6targetE0EEEvT1_,comdat
.Lfunc_end662:
	.size	_ZN7rocprim17ROCPRIM_400000_NS6detail17trampoline_kernelINS0_14default_configENS1_25partition_config_selectorILNS1_17partition_subalgoE5ElNS0_10empty_typeEbEEZZNS1_14partition_implILS5_5ELb0ES3_mN6hipcub16HIPCUB_304000_NS21CountingInputIteratorIllEEPS6_NSA_22TransformInputIteratorIbN2at6native12_GLOBAL__N_19NonZeroOpIN3c107complexINSJ_4HalfEEEEEPKSM_lEENS0_5tupleIJPlS6_EEENSR_IJSD_SD_EEES6_PiJS6_EEE10hipError_tPvRmT3_T4_T5_T6_T7_T9_mT8_P12ihipStream_tbDpT10_ENKUlT_T0_E_clISt17integral_constantIbLb0EES1F_EEDaS1A_S1B_EUlS1A_E_NS1_11comp_targetILNS1_3genE0ELNS1_11target_archE4294967295ELNS1_3gpuE0ELNS1_3repE0EEENS1_30default_config_static_selectorELNS0_4arch9wavefront6targetE0EEEvT1_, .Lfunc_end662-_ZN7rocprim17ROCPRIM_400000_NS6detail17trampoline_kernelINS0_14default_configENS1_25partition_config_selectorILNS1_17partition_subalgoE5ElNS0_10empty_typeEbEEZZNS1_14partition_implILS5_5ELb0ES3_mN6hipcub16HIPCUB_304000_NS21CountingInputIteratorIllEEPS6_NSA_22TransformInputIteratorIbN2at6native12_GLOBAL__N_19NonZeroOpIN3c107complexINSJ_4HalfEEEEEPKSM_lEENS0_5tupleIJPlS6_EEENSR_IJSD_SD_EEES6_PiJS6_EEE10hipError_tPvRmT3_T4_T5_T6_T7_T9_mT8_P12ihipStream_tbDpT10_ENKUlT_T0_E_clISt17integral_constantIbLb0EES1F_EEDaS1A_S1B_EUlS1A_E_NS1_11comp_targetILNS1_3genE0ELNS1_11target_archE4294967295ELNS1_3gpuE0ELNS1_3repE0EEENS1_30default_config_static_selectorELNS0_4arch9wavefront6targetE0EEEvT1_
                                        ; -- End function
	.set _ZN7rocprim17ROCPRIM_400000_NS6detail17trampoline_kernelINS0_14default_configENS1_25partition_config_selectorILNS1_17partition_subalgoE5ElNS0_10empty_typeEbEEZZNS1_14partition_implILS5_5ELb0ES3_mN6hipcub16HIPCUB_304000_NS21CountingInputIteratorIllEEPS6_NSA_22TransformInputIteratorIbN2at6native12_GLOBAL__N_19NonZeroOpIN3c107complexINSJ_4HalfEEEEEPKSM_lEENS0_5tupleIJPlS6_EEENSR_IJSD_SD_EEES6_PiJS6_EEE10hipError_tPvRmT3_T4_T5_T6_T7_T9_mT8_P12ihipStream_tbDpT10_ENKUlT_T0_E_clISt17integral_constantIbLb0EES1F_EEDaS1A_S1B_EUlS1A_E_NS1_11comp_targetILNS1_3genE0ELNS1_11target_archE4294967295ELNS1_3gpuE0ELNS1_3repE0EEENS1_30default_config_static_selectorELNS0_4arch9wavefront6targetE0EEEvT1_.num_vgpr, 0
	.set _ZN7rocprim17ROCPRIM_400000_NS6detail17trampoline_kernelINS0_14default_configENS1_25partition_config_selectorILNS1_17partition_subalgoE5ElNS0_10empty_typeEbEEZZNS1_14partition_implILS5_5ELb0ES3_mN6hipcub16HIPCUB_304000_NS21CountingInputIteratorIllEEPS6_NSA_22TransformInputIteratorIbN2at6native12_GLOBAL__N_19NonZeroOpIN3c107complexINSJ_4HalfEEEEEPKSM_lEENS0_5tupleIJPlS6_EEENSR_IJSD_SD_EEES6_PiJS6_EEE10hipError_tPvRmT3_T4_T5_T6_T7_T9_mT8_P12ihipStream_tbDpT10_ENKUlT_T0_E_clISt17integral_constantIbLb0EES1F_EEDaS1A_S1B_EUlS1A_E_NS1_11comp_targetILNS1_3genE0ELNS1_11target_archE4294967295ELNS1_3gpuE0ELNS1_3repE0EEENS1_30default_config_static_selectorELNS0_4arch9wavefront6targetE0EEEvT1_.num_agpr, 0
	.set _ZN7rocprim17ROCPRIM_400000_NS6detail17trampoline_kernelINS0_14default_configENS1_25partition_config_selectorILNS1_17partition_subalgoE5ElNS0_10empty_typeEbEEZZNS1_14partition_implILS5_5ELb0ES3_mN6hipcub16HIPCUB_304000_NS21CountingInputIteratorIllEEPS6_NSA_22TransformInputIteratorIbN2at6native12_GLOBAL__N_19NonZeroOpIN3c107complexINSJ_4HalfEEEEEPKSM_lEENS0_5tupleIJPlS6_EEENSR_IJSD_SD_EEES6_PiJS6_EEE10hipError_tPvRmT3_T4_T5_T6_T7_T9_mT8_P12ihipStream_tbDpT10_ENKUlT_T0_E_clISt17integral_constantIbLb0EES1F_EEDaS1A_S1B_EUlS1A_E_NS1_11comp_targetILNS1_3genE0ELNS1_11target_archE4294967295ELNS1_3gpuE0ELNS1_3repE0EEENS1_30default_config_static_selectorELNS0_4arch9wavefront6targetE0EEEvT1_.numbered_sgpr, 0
	.set _ZN7rocprim17ROCPRIM_400000_NS6detail17trampoline_kernelINS0_14default_configENS1_25partition_config_selectorILNS1_17partition_subalgoE5ElNS0_10empty_typeEbEEZZNS1_14partition_implILS5_5ELb0ES3_mN6hipcub16HIPCUB_304000_NS21CountingInputIteratorIllEEPS6_NSA_22TransformInputIteratorIbN2at6native12_GLOBAL__N_19NonZeroOpIN3c107complexINSJ_4HalfEEEEEPKSM_lEENS0_5tupleIJPlS6_EEENSR_IJSD_SD_EEES6_PiJS6_EEE10hipError_tPvRmT3_T4_T5_T6_T7_T9_mT8_P12ihipStream_tbDpT10_ENKUlT_T0_E_clISt17integral_constantIbLb0EES1F_EEDaS1A_S1B_EUlS1A_E_NS1_11comp_targetILNS1_3genE0ELNS1_11target_archE4294967295ELNS1_3gpuE0ELNS1_3repE0EEENS1_30default_config_static_selectorELNS0_4arch9wavefront6targetE0EEEvT1_.num_named_barrier, 0
	.set _ZN7rocprim17ROCPRIM_400000_NS6detail17trampoline_kernelINS0_14default_configENS1_25partition_config_selectorILNS1_17partition_subalgoE5ElNS0_10empty_typeEbEEZZNS1_14partition_implILS5_5ELb0ES3_mN6hipcub16HIPCUB_304000_NS21CountingInputIteratorIllEEPS6_NSA_22TransformInputIteratorIbN2at6native12_GLOBAL__N_19NonZeroOpIN3c107complexINSJ_4HalfEEEEEPKSM_lEENS0_5tupleIJPlS6_EEENSR_IJSD_SD_EEES6_PiJS6_EEE10hipError_tPvRmT3_T4_T5_T6_T7_T9_mT8_P12ihipStream_tbDpT10_ENKUlT_T0_E_clISt17integral_constantIbLb0EES1F_EEDaS1A_S1B_EUlS1A_E_NS1_11comp_targetILNS1_3genE0ELNS1_11target_archE4294967295ELNS1_3gpuE0ELNS1_3repE0EEENS1_30default_config_static_selectorELNS0_4arch9wavefront6targetE0EEEvT1_.private_seg_size, 0
	.set _ZN7rocprim17ROCPRIM_400000_NS6detail17trampoline_kernelINS0_14default_configENS1_25partition_config_selectorILNS1_17partition_subalgoE5ElNS0_10empty_typeEbEEZZNS1_14partition_implILS5_5ELb0ES3_mN6hipcub16HIPCUB_304000_NS21CountingInputIteratorIllEEPS6_NSA_22TransformInputIteratorIbN2at6native12_GLOBAL__N_19NonZeroOpIN3c107complexINSJ_4HalfEEEEEPKSM_lEENS0_5tupleIJPlS6_EEENSR_IJSD_SD_EEES6_PiJS6_EEE10hipError_tPvRmT3_T4_T5_T6_T7_T9_mT8_P12ihipStream_tbDpT10_ENKUlT_T0_E_clISt17integral_constantIbLb0EES1F_EEDaS1A_S1B_EUlS1A_E_NS1_11comp_targetILNS1_3genE0ELNS1_11target_archE4294967295ELNS1_3gpuE0ELNS1_3repE0EEENS1_30default_config_static_selectorELNS0_4arch9wavefront6targetE0EEEvT1_.uses_vcc, 0
	.set _ZN7rocprim17ROCPRIM_400000_NS6detail17trampoline_kernelINS0_14default_configENS1_25partition_config_selectorILNS1_17partition_subalgoE5ElNS0_10empty_typeEbEEZZNS1_14partition_implILS5_5ELb0ES3_mN6hipcub16HIPCUB_304000_NS21CountingInputIteratorIllEEPS6_NSA_22TransformInputIteratorIbN2at6native12_GLOBAL__N_19NonZeroOpIN3c107complexINSJ_4HalfEEEEEPKSM_lEENS0_5tupleIJPlS6_EEENSR_IJSD_SD_EEES6_PiJS6_EEE10hipError_tPvRmT3_T4_T5_T6_T7_T9_mT8_P12ihipStream_tbDpT10_ENKUlT_T0_E_clISt17integral_constantIbLb0EES1F_EEDaS1A_S1B_EUlS1A_E_NS1_11comp_targetILNS1_3genE0ELNS1_11target_archE4294967295ELNS1_3gpuE0ELNS1_3repE0EEENS1_30default_config_static_selectorELNS0_4arch9wavefront6targetE0EEEvT1_.uses_flat_scratch, 0
	.set _ZN7rocprim17ROCPRIM_400000_NS6detail17trampoline_kernelINS0_14default_configENS1_25partition_config_selectorILNS1_17partition_subalgoE5ElNS0_10empty_typeEbEEZZNS1_14partition_implILS5_5ELb0ES3_mN6hipcub16HIPCUB_304000_NS21CountingInputIteratorIllEEPS6_NSA_22TransformInputIteratorIbN2at6native12_GLOBAL__N_19NonZeroOpIN3c107complexINSJ_4HalfEEEEEPKSM_lEENS0_5tupleIJPlS6_EEENSR_IJSD_SD_EEES6_PiJS6_EEE10hipError_tPvRmT3_T4_T5_T6_T7_T9_mT8_P12ihipStream_tbDpT10_ENKUlT_T0_E_clISt17integral_constantIbLb0EES1F_EEDaS1A_S1B_EUlS1A_E_NS1_11comp_targetILNS1_3genE0ELNS1_11target_archE4294967295ELNS1_3gpuE0ELNS1_3repE0EEENS1_30default_config_static_selectorELNS0_4arch9wavefront6targetE0EEEvT1_.has_dyn_sized_stack, 0
	.set _ZN7rocprim17ROCPRIM_400000_NS6detail17trampoline_kernelINS0_14default_configENS1_25partition_config_selectorILNS1_17partition_subalgoE5ElNS0_10empty_typeEbEEZZNS1_14partition_implILS5_5ELb0ES3_mN6hipcub16HIPCUB_304000_NS21CountingInputIteratorIllEEPS6_NSA_22TransformInputIteratorIbN2at6native12_GLOBAL__N_19NonZeroOpIN3c107complexINSJ_4HalfEEEEEPKSM_lEENS0_5tupleIJPlS6_EEENSR_IJSD_SD_EEES6_PiJS6_EEE10hipError_tPvRmT3_T4_T5_T6_T7_T9_mT8_P12ihipStream_tbDpT10_ENKUlT_T0_E_clISt17integral_constantIbLb0EES1F_EEDaS1A_S1B_EUlS1A_E_NS1_11comp_targetILNS1_3genE0ELNS1_11target_archE4294967295ELNS1_3gpuE0ELNS1_3repE0EEENS1_30default_config_static_selectorELNS0_4arch9wavefront6targetE0EEEvT1_.has_recursion, 0
	.set _ZN7rocprim17ROCPRIM_400000_NS6detail17trampoline_kernelINS0_14default_configENS1_25partition_config_selectorILNS1_17partition_subalgoE5ElNS0_10empty_typeEbEEZZNS1_14partition_implILS5_5ELb0ES3_mN6hipcub16HIPCUB_304000_NS21CountingInputIteratorIllEEPS6_NSA_22TransformInputIteratorIbN2at6native12_GLOBAL__N_19NonZeroOpIN3c107complexINSJ_4HalfEEEEEPKSM_lEENS0_5tupleIJPlS6_EEENSR_IJSD_SD_EEES6_PiJS6_EEE10hipError_tPvRmT3_T4_T5_T6_T7_T9_mT8_P12ihipStream_tbDpT10_ENKUlT_T0_E_clISt17integral_constantIbLb0EES1F_EEDaS1A_S1B_EUlS1A_E_NS1_11comp_targetILNS1_3genE0ELNS1_11target_archE4294967295ELNS1_3gpuE0ELNS1_3repE0EEENS1_30default_config_static_selectorELNS0_4arch9wavefront6targetE0EEEvT1_.has_indirect_call, 0
	.section	.AMDGPU.csdata,"",@progbits
; Kernel info:
; codeLenInByte = 0
; TotalNumSgprs: 0
; NumVgprs: 0
; ScratchSize: 0
; MemoryBound: 0
; FloatMode: 240
; IeeeMode: 1
; LDSByteSize: 0 bytes/workgroup (compile time only)
; SGPRBlocks: 0
; VGPRBlocks: 0
; NumSGPRsForWavesPerEU: 1
; NumVGPRsForWavesPerEU: 1
; Occupancy: 16
; WaveLimiterHint : 0
; COMPUTE_PGM_RSRC2:SCRATCH_EN: 0
; COMPUTE_PGM_RSRC2:USER_SGPR: 2
; COMPUTE_PGM_RSRC2:TRAP_HANDLER: 0
; COMPUTE_PGM_RSRC2:TGID_X_EN: 1
; COMPUTE_PGM_RSRC2:TGID_Y_EN: 0
; COMPUTE_PGM_RSRC2:TGID_Z_EN: 0
; COMPUTE_PGM_RSRC2:TIDIG_COMP_CNT: 0
	.section	.text._ZN7rocprim17ROCPRIM_400000_NS6detail17trampoline_kernelINS0_14default_configENS1_25partition_config_selectorILNS1_17partition_subalgoE5ElNS0_10empty_typeEbEEZZNS1_14partition_implILS5_5ELb0ES3_mN6hipcub16HIPCUB_304000_NS21CountingInputIteratorIllEEPS6_NSA_22TransformInputIteratorIbN2at6native12_GLOBAL__N_19NonZeroOpIN3c107complexINSJ_4HalfEEEEEPKSM_lEENS0_5tupleIJPlS6_EEENSR_IJSD_SD_EEES6_PiJS6_EEE10hipError_tPvRmT3_T4_T5_T6_T7_T9_mT8_P12ihipStream_tbDpT10_ENKUlT_T0_E_clISt17integral_constantIbLb0EES1F_EEDaS1A_S1B_EUlS1A_E_NS1_11comp_targetILNS1_3genE5ELNS1_11target_archE942ELNS1_3gpuE9ELNS1_3repE0EEENS1_30default_config_static_selectorELNS0_4arch9wavefront6targetE0EEEvT1_,"axG",@progbits,_ZN7rocprim17ROCPRIM_400000_NS6detail17trampoline_kernelINS0_14default_configENS1_25partition_config_selectorILNS1_17partition_subalgoE5ElNS0_10empty_typeEbEEZZNS1_14partition_implILS5_5ELb0ES3_mN6hipcub16HIPCUB_304000_NS21CountingInputIteratorIllEEPS6_NSA_22TransformInputIteratorIbN2at6native12_GLOBAL__N_19NonZeroOpIN3c107complexINSJ_4HalfEEEEEPKSM_lEENS0_5tupleIJPlS6_EEENSR_IJSD_SD_EEES6_PiJS6_EEE10hipError_tPvRmT3_T4_T5_T6_T7_T9_mT8_P12ihipStream_tbDpT10_ENKUlT_T0_E_clISt17integral_constantIbLb0EES1F_EEDaS1A_S1B_EUlS1A_E_NS1_11comp_targetILNS1_3genE5ELNS1_11target_archE942ELNS1_3gpuE9ELNS1_3repE0EEENS1_30default_config_static_selectorELNS0_4arch9wavefront6targetE0EEEvT1_,comdat
	.globl	_ZN7rocprim17ROCPRIM_400000_NS6detail17trampoline_kernelINS0_14default_configENS1_25partition_config_selectorILNS1_17partition_subalgoE5ElNS0_10empty_typeEbEEZZNS1_14partition_implILS5_5ELb0ES3_mN6hipcub16HIPCUB_304000_NS21CountingInputIteratorIllEEPS6_NSA_22TransformInputIteratorIbN2at6native12_GLOBAL__N_19NonZeroOpIN3c107complexINSJ_4HalfEEEEEPKSM_lEENS0_5tupleIJPlS6_EEENSR_IJSD_SD_EEES6_PiJS6_EEE10hipError_tPvRmT3_T4_T5_T6_T7_T9_mT8_P12ihipStream_tbDpT10_ENKUlT_T0_E_clISt17integral_constantIbLb0EES1F_EEDaS1A_S1B_EUlS1A_E_NS1_11comp_targetILNS1_3genE5ELNS1_11target_archE942ELNS1_3gpuE9ELNS1_3repE0EEENS1_30default_config_static_selectorELNS0_4arch9wavefront6targetE0EEEvT1_ ; -- Begin function _ZN7rocprim17ROCPRIM_400000_NS6detail17trampoline_kernelINS0_14default_configENS1_25partition_config_selectorILNS1_17partition_subalgoE5ElNS0_10empty_typeEbEEZZNS1_14partition_implILS5_5ELb0ES3_mN6hipcub16HIPCUB_304000_NS21CountingInputIteratorIllEEPS6_NSA_22TransformInputIteratorIbN2at6native12_GLOBAL__N_19NonZeroOpIN3c107complexINSJ_4HalfEEEEEPKSM_lEENS0_5tupleIJPlS6_EEENSR_IJSD_SD_EEES6_PiJS6_EEE10hipError_tPvRmT3_T4_T5_T6_T7_T9_mT8_P12ihipStream_tbDpT10_ENKUlT_T0_E_clISt17integral_constantIbLb0EES1F_EEDaS1A_S1B_EUlS1A_E_NS1_11comp_targetILNS1_3genE5ELNS1_11target_archE942ELNS1_3gpuE9ELNS1_3repE0EEENS1_30default_config_static_selectorELNS0_4arch9wavefront6targetE0EEEvT1_
	.p2align	8
	.type	_ZN7rocprim17ROCPRIM_400000_NS6detail17trampoline_kernelINS0_14default_configENS1_25partition_config_selectorILNS1_17partition_subalgoE5ElNS0_10empty_typeEbEEZZNS1_14partition_implILS5_5ELb0ES3_mN6hipcub16HIPCUB_304000_NS21CountingInputIteratorIllEEPS6_NSA_22TransformInputIteratorIbN2at6native12_GLOBAL__N_19NonZeroOpIN3c107complexINSJ_4HalfEEEEEPKSM_lEENS0_5tupleIJPlS6_EEENSR_IJSD_SD_EEES6_PiJS6_EEE10hipError_tPvRmT3_T4_T5_T6_T7_T9_mT8_P12ihipStream_tbDpT10_ENKUlT_T0_E_clISt17integral_constantIbLb0EES1F_EEDaS1A_S1B_EUlS1A_E_NS1_11comp_targetILNS1_3genE5ELNS1_11target_archE942ELNS1_3gpuE9ELNS1_3repE0EEENS1_30default_config_static_selectorELNS0_4arch9wavefront6targetE0EEEvT1_,@function
_ZN7rocprim17ROCPRIM_400000_NS6detail17trampoline_kernelINS0_14default_configENS1_25partition_config_selectorILNS1_17partition_subalgoE5ElNS0_10empty_typeEbEEZZNS1_14partition_implILS5_5ELb0ES3_mN6hipcub16HIPCUB_304000_NS21CountingInputIteratorIllEEPS6_NSA_22TransformInputIteratorIbN2at6native12_GLOBAL__N_19NonZeroOpIN3c107complexINSJ_4HalfEEEEEPKSM_lEENS0_5tupleIJPlS6_EEENSR_IJSD_SD_EEES6_PiJS6_EEE10hipError_tPvRmT3_T4_T5_T6_T7_T9_mT8_P12ihipStream_tbDpT10_ENKUlT_T0_E_clISt17integral_constantIbLb0EES1F_EEDaS1A_S1B_EUlS1A_E_NS1_11comp_targetILNS1_3genE5ELNS1_11target_archE942ELNS1_3gpuE9ELNS1_3repE0EEENS1_30default_config_static_selectorELNS0_4arch9wavefront6targetE0EEEvT1_: ; @_ZN7rocprim17ROCPRIM_400000_NS6detail17trampoline_kernelINS0_14default_configENS1_25partition_config_selectorILNS1_17partition_subalgoE5ElNS0_10empty_typeEbEEZZNS1_14partition_implILS5_5ELb0ES3_mN6hipcub16HIPCUB_304000_NS21CountingInputIteratorIllEEPS6_NSA_22TransformInputIteratorIbN2at6native12_GLOBAL__N_19NonZeroOpIN3c107complexINSJ_4HalfEEEEEPKSM_lEENS0_5tupleIJPlS6_EEENSR_IJSD_SD_EEES6_PiJS6_EEE10hipError_tPvRmT3_T4_T5_T6_T7_T9_mT8_P12ihipStream_tbDpT10_ENKUlT_T0_E_clISt17integral_constantIbLb0EES1F_EEDaS1A_S1B_EUlS1A_E_NS1_11comp_targetILNS1_3genE5ELNS1_11target_archE942ELNS1_3gpuE9ELNS1_3repE0EEENS1_30default_config_static_selectorELNS0_4arch9wavefront6targetE0EEEvT1_
; %bb.0:
	.section	.rodata,"a",@progbits
	.p2align	6, 0x0
	.amdhsa_kernel _ZN7rocprim17ROCPRIM_400000_NS6detail17trampoline_kernelINS0_14default_configENS1_25partition_config_selectorILNS1_17partition_subalgoE5ElNS0_10empty_typeEbEEZZNS1_14partition_implILS5_5ELb0ES3_mN6hipcub16HIPCUB_304000_NS21CountingInputIteratorIllEEPS6_NSA_22TransformInputIteratorIbN2at6native12_GLOBAL__N_19NonZeroOpIN3c107complexINSJ_4HalfEEEEEPKSM_lEENS0_5tupleIJPlS6_EEENSR_IJSD_SD_EEES6_PiJS6_EEE10hipError_tPvRmT3_T4_T5_T6_T7_T9_mT8_P12ihipStream_tbDpT10_ENKUlT_T0_E_clISt17integral_constantIbLb0EES1F_EEDaS1A_S1B_EUlS1A_E_NS1_11comp_targetILNS1_3genE5ELNS1_11target_archE942ELNS1_3gpuE9ELNS1_3repE0EEENS1_30default_config_static_selectorELNS0_4arch9wavefront6targetE0EEEvT1_
		.amdhsa_group_segment_fixed_size 0
		.amdhsa_private_segment_fixed_size 0
		.amdhsa_kernarg_size 120
		.amdhsa_user_sgpr_count 2
		.amdhsa_user_sgpr_dispatch_ptr 0
		.amdhsa_user_sgpr_queue_ptr 0
		.amdhsa_user_sgpr_kernarg_segment_ptr 1
		.amdhsa_user_sgpr_dispatch_id 0
		.amdhsa_user_sgpr_private_segment_size 0
		.amdhsa_wavefront_size32 1
		.amdhsa_uses_dynamic_stack 0
		.amdhsa_enable_private_segment 0
		.amdhsa_system_sgpr_workgroup_id_x 1
		.amdhsa_system_sgpr_workgroup_id_y 0
		.amdhsa_system_sgpr_workgroup_id_z 0
		.amdhsa_system_sgpr_workgroup_info 0
		.amdhsa_system_vgpr_workitem_id 0
		.amdhsa_next_free_vgpr 1
		.amdhsa_next_free_sgpr 1
		.amdhsa_reserve_vcc 0
		.amdhsa_float_round_mode_32 0
		.amdhsa_float_round_mode_16_64 0
		.amdhsa_float_denorm_mode_32 3
		.amdhsa_float_denorm_mode_16_64 3
		.amdhsa_fp16_overflow 0
		.amdhsa_workgroup_processor_mode 1
		.amdhsa_memory_ordered 1
		.amdhsa_forward_progress 1
		.amdhsa_inst_pref_size 0
		.amdhsa_round_robin_scheduling 0
		.amdhsa_exception_fp_ieee_invalid_op 0
		.amdhsa_exception_fp_denorm_src 0
		.amdhsa_exception_fp_ieee_div_zero 0
		.amdhsa_exception_fp_ieee_overflow 0
		.amdhsa_exception_fp_ieee_underflow 0
		.amdhsa_exception_fp_ieee_inexact 0
		.amdhsa_exception_int_div_zero 0
	.end_amdhsa_kernel
	.section	.text._ZN7rocprim17ROCPRIM_400000_NS6detail17trampoline_kernelINS0_14default_configENS1_25partition_config_selectorILNS1_17partition_subalgoE5ElNS0_10empty_typeEbEEZZNS1_14partition_implILS5_5ELb0ES3_mN6hipcub16HIPCUB_304000_NS21CountingInputIteratorIllEEPS6_NSA_22TransformInputIteratorIbN2at6native12_GLOBAL__N_19NonZeroOpIN3c107complexINSJ_4HalfEEEEEPKSM_lEENS0_5tupleIJPlS6_EEENSR_IJSD_SD_EEES6_PiJS6_EEE10hipError_tPvRmT3_T4_T5_T6_T7_T9_mT8_P12ihipStream_tbDpT10_ENKUlT_T0_E_clISt17integral_constantIbLb0EES1F_EEDaS1A_S1B_EUlS1A_E_NS1_11comp_targetILNS1_3genE5ELNS1_11target_archE942ELNS1_3gpuE9ELNS1_3repE0EEENS1_30default_config_static_selectorELNS0_4arch9wavefront6targetE0EEEvT1_,"axG",@progbits,_ZN7rocprim17ROCPRIM_400000_NS6detail17trampoline_kernelINS0_14default_configENS1_25partition_config_selectorILNS1_17partition_subalgoE5ElNS0_10empty_typeEbEEZZNS1_14partition_implILS5_5ELb0ES3_mN6hipcub16HIPCUB_304000_NS21CountingInputIteratorIllEEPS6_NSA_22TransformInputIteratorIbN2at6native12_GLOBAL__N_19NonZeroOpIN3c107complexINSJ_4HalfEEEEEPKSM_lEENS0_5tupleIJPlS6_EEENSR_IJSD_SD_EEES6_PiJS6_EEE10hipError_tPvRmT3_T4_T5_T6_T7_T9_mT8_P12ihipStream_tbDpT10_ENKUlT_T0_E_clISt17integral_constantIbLb0EES1F_EEDaS1A_S1B_EUlS1A_E_NS1_11comp_targetILNS1_3genE5ELNS1_11target_archE942ELNS1_3gpuE9ELNS1_3repE0EEENS1_30default_config_static_selectorELNS0_4arch9wavefront6targetE0EEEvT1_,comdat
.Lfunc_end663:
	.size	_ZN7rocprim17ROCPRIM_400000_NS6detail17trampoline_kernelINS0_14default_configENS1_25partition_config_selectorILNS1_17partition_subalgoE5ElNS0_10empty_typeEbEEZZNS1_14partition_implILS5_5ELb0ES3_mN6hipcub16HIPCUB_304000_NS21CountingInputIteratorIllEEPS6_NSA_22TransformInputIteratorIbN2at6native12_GLOBAL__N_19NonZeroOpIN3c107complexINSJ_4HalfEEEEEPKSM_lEENS0_5tupleIJPlS6_EEENSR_IJSD_SD_EEES6_PiJS6_EEE10hipError_tPvRmT3_T4_T5_T6_T7_T9_mT8_P12ihipStream_tbDpT10_ENKUlT_T0_E_clISt17integral_constantIbLb0EES1F_EEDaS1A_S1B_EUlS1A_E_NS1_11comp_targetILNS1_3genE5ELNS1_11target_archE942ELNS1_3gpuE9ELNS1_3repE0EEENS1_30default_config_static_selectorELNS0_4arch9wavefront6targetE0EEEvT1_, .Lfunc_end663-_ZN7rocprim17ROCPRIM_400000_NS6detail17trampoline_kernelINS0_14default_configENS1_25partition_config_selectorILNS1_17partition_subalgoE5ElNS0_10empty_typeEbEEZZNS1_14partition_implILS5_5ELb0ES3_mN6hipcub16HIPCUB_304000_NS21CountingInputIteratorIllEEPS6_NSA_22TransformInputIteratorIbN2at6native12_GLOBAL__N_19NonZeroOpIN3c107complexINSJ_4HalfEEEEEPKSM_lEENS0_5tupleIJPlS6_EEENSR_IJSD_SD_EEES6_PiJS6_EEE10hipError_tPvRmT3_T4_T5_T6_T7_T9_mT8_P12ihipStream_tbDpT10_ENKUlT_T0_E_clISt17integral_constantIbLb0EES1F_EEDaS1A_S1B_EUlS1A_E_NS1_11comp_targetILNS1_3genE5ELNS1_11target_archE942ELNS1_3gpuE9ELNS1_3repE0EEENS1_30default_config_static_selectorELNS0_4arch9wavefront6targetE0EEEvT1_
                                        ; -- End function
	.set _ZN7rocprim17ROCPRIM_400000_NS6detail17trampoline_kernelINS0_14default_configENS1_25partition_config_selectorILNS1_17partition_subalgoE5ElNS0_10empty_typeEbEEZZNS1_14partition_implILS5_5ELb0ES3_mN6hipcub16HIPCUB_304000_NS21CountingInputIteratorIllEEPS6_NSA_22TransformInputIteratorIbN2at6native12_GLOBAL__N_19NonZeroOpIN3c107complexINSJ_4HalfEEEEEPKSM_lEENS0_5tupleIJPlS6_EEENSR_IJSD_SD_EEES6_PiJS6_EEE10hipError_tPvRmT3_T4_T5_T6_T7_T9_mT8_P12ihipStream_tbDpT10_ENKUlT_T0_E_clISt17integral_constantIbLb0EES1F_EEDaS1A_S1B_EUlS1A_E_NS1_11comp_targetILNS1_3genE5ELNS1_11target_archE942ELNS1_3gpuE9ELNS1_3repE0EEENS1_30default_config_static_selectorELNS0_4arch9wavefront6targetE0EEEvT1_.num_vgpr, 0
	.set _ZN7rocprim17ROCPRIM_400000_NS6detail17trampoline_kernelINS0_14default_configENS1_25partition_config_selectorILNS1_17partition_subalgoE5ElNS0_10empty_typeEbEEZZNS1_14partition_implILS5_5ELb0ES3_mN6hipcub16HIPCUB_304000_NS21CountingInputIteratorIllEEPS6_NSA_22TransformInputIteratorIbN2at6native12_GLOBAL__N_19NonZeroOpIN3c107complexINSJ_4HalfEEEEEPKSM_lEENS0_5tupleIJPlS6_EEENSR_IJSD_SD_EEES6_PiJS6_EEE10hipError_tPvRmT3_T4_T5_T6_T7_T9_mT8_P12ihipStream_tbDpT10_ENKUlT_T0_E_clISt17integral_constantIbLb0EES1F_EEDaS1A_S1B_EUlS1A_E_NS1_11comp_targetILNS1_3genE5ELNS1_11target_archE942ELNS1_3gpuE9ELNS1_3repE0EEENS1_30default_config_static_selectorELNS0_4arch9wavefront6targetE0EEEvT1_.num_agpr, 0
	.set _ZN7rocprim17ROCPRIM_400000_NS6detail17trampoline_kernelINS0_14default_configENS1_25partition_config_selectorILNS1_17partition_subalgoE5ElNS0_10empty_typeEbEEZZNS1_14partition_implILS5_5ELb0ES3_mN6hipcub16HIPCUB_304000_NS21CountingInputIteratorIllEEPS6_NSA_22TransformInputIteratorIbN2at6native12_GLOBAL__N_19NonZeroOpIN3c107complexINSJ_4HalfEEEEEPKSM_lEENS0_5tupleIJPlS6_EEENSR_IJSD_SD_EEES6_PiJS6_EEE10hipError_tPvRmT3_T4_T5_T6_T7_T9_mT8_P12ihipStream_tbDpT10_ENKUlT_T0_E_clISt17integral_constantIbLb0EES1F_EEDaS1A_S1B_EUlS1A_E_NS1_11comp_targetILNS1_3genE5ELNS1_11target_archE942ELNS1_3gpuE9ELNS1_3repE0EEENS1_30default_config_static_selectorELNS0_4arch9wavefront6targetE0EEEvT1_.numbered_sgpr, 0
	.set _ZN7rocprim17ROCPRIM_400000_NS6detail17trampoline_kernelINS0_14default_configENS1_25partition_config_selectorILNS1_17partition_subalgoE5ElNS0_10empty_typeEbEEZZNS1_14partition_implILS5_5ELb0ES3_mN6hipcub16HIPCUB_304000_NS21CountingInputIteratorIllEEPS6_NSA_22TransformInputIteratorIbN2at6native12_GLOBAL__N_19NonZeroOpIN3c107complexINSJ_4HalfEEEEEPKSM_lEENS0_5tupleIJPlS6_EEENSR_IJSD_SD_EEES6_PiJS6_EEE10hipError_tPvRmT3_T4_T5_T6_T7_T9_mT8_P12ihipStream_tbDpT10_ENKUlT_T0_E_clISt17integral_constantIbLb0EES1F_EEDaS1A_S1B_EUlS1A_E_NS1_11comp_targetILNS1_3genE5ELNS1_11target_archE942ELNS1_3gpuE9ELNS1_3repE0EEENS1_30default_config_static_selectorELNS0_4arch9wavefront6targetE0EEEvT1_.num_named_barrier, 0
	.set _ZN7rocprim17ROCPRIM_400000_NS6detail17trampoline_kernelINS0_14default_configENS1_25partition_config_selectorILNS1_17partition_subalgoE5ElNS0_10empty_typeEbEEZZNS1_14partition_implILS5_5ELb0ES3_mN6hipcub16HIPCUB_304000_NS21CountingInputIteratorIllEEPS6_NSA_22TransformInputIteratorIbN2at6native12_GLOBAL__N_19NonZeroOpIN3c107complexINSJ_4HalfEEEEEPKSM_lEENS0_5tupleIJPlS6_EEENSR_IJSD_SD_EEES6_PiJS6_EEE10hipError_tPvRmT3_T4_T5_T6_T7_T9_mT8_P12ihipStream_tbDpT10_ENKUlT_T0_E_clISt17integral_constantIbLb0EES1F_EEDaS1A_S1B_EUlS1A_E_NS1_11comp_targetILNS1_3genE5ELNS1_11target_archE942ELNS1_3gpuE9ELNS1_3repE0EEENS1_30default_config_static_selectorELNS0_4arch9wavefront6targetE0EEEvT1_.private_seg_size, 0
	.set _ZN7rocprim17ROCPRIM_400000_NS6detail17trampoline_kernelINS0_14default_configENS1_25partition_config_selectorILNS1_17partition_subalgoE5ElNS0_10empty_typeEbEEZZNS1_14partition_implILS5_5ELb0ES3_mN6hipcub16HIPCUB_304000_NS21CountingInputIteratorIllEEPS6_NSA_22TransformInputIteratorIbN2at6native12_GLOBAL__N_19NonZeroOpIN3c107complexINSJ_4HalfEEEEEPKSM_lEENS0_5tupleIJPlS6_EEENSR_IJSD_SD_EEES6_PiJS6_EEE10hipError_tPvRmT3_T4_T5_T6_T7_T9_mT8_P12ihipStream_tbDpT10_ENKUlT_T0_E_clISt17integral_constantIbLb0EES1F_EEDaS1A_S1B_EUlS1A_E_NS1_11comp_targetILNS1_3genE5ELNS1_11target_archE942ELNS1_3gpuE9ELNS1_3repE0EEENS1_30default_config_static_selectorELNS0_4arch9wavefront6targetE0EEEvT1_.uses_vcc, 0
	.set _ZN7rocprim17ROCPRIM_400000_NS6detail17trampoline_kernelINS0_14default_configENS1_25partition_config_selectorILNS1_17partition_subalgoE5ElNS0_10empty_typeEbEEZZNS1_14partition_implILS5_5ELb0ES3_mN6hipcub16HIPCUB_304000_NS21CountingInputIteratorIllEEPS6_NSA_22TransformInputIteratorIbN2at6native12_GLOBAL__N_19NonZeroOpIN3c107complexINSJ_4HalfEEEEEPKSM_lEENS0_5tupleIJPlS6_EEENSR_IJSD_SD_EEES6_PiJS6_EEE10hipError_tPvRmT3_T4_T5_T6_T7_T9_mT8_P12ihipStream_tbDpT10_ENKUlT_T0_E_clISt17integral_constantIbLb0EES1F_EEDaS1A_S1B_EUlS1A_E_NS1_11comp_targetILNS1_3genE5ELNS1_11target_archE942ELNS1_3gpuE9ELNS1_3repE0EEENS1_30default_config_static_selectorELNS0_4arch9wavefront6targetE0EEEvT1_.uses_flat_scratch, 0
	.set _ZN7rocprim17ROCPRIM_400000_NS6detail17trampoline_kernelINS0_14default_configENS1_25partition_config_selectorILNS1_17partition_subalgoE5ElNS0_10empty_typeEbEEZZNS1_14partition_implILS5_5ELb0ES3_mN6hipcub16HIPCUB_304000_NS21CountingInputIteratorIllEEPS6_NSA_22TransformInputIteratorIbN2at6native12_GLOBAL__N_19NonZeroOpIN3c107complexINSJ_4HalfEEEEEPKSM_lEENS0_5tupleIJPlS6_EEENSR_IJSD_SD_EEES6_PiJS6_EEE10hipError_tPvRmT3_T4_T5_T6_T7_T9_mT8_P12ihipStream_tbDpT10_ENKUlT_T0_E_clISt17integral_constantIbLb0EES1F_EEDaS1A_S1B_EUlS1A_E_NS1_11comp_targetILNS1_3genE5ELNS1_11target_archE942ELNS1_3gpuE9ELNS1_3repE0EEENS1_30default_config_static_selectorELNS0_4arch9wavefront6targetE0EEEvT1_.has_dyn_sized_stack, 0
	.set _ZN7rocprim17ROCPRIM_400000_NS6detail17trampoline_kernelINS0_14default_configENS1_25partition_config_selectorILNS1_17partition_subalgoE5ElNS0_10empty_typeEbEEZZNS1_14partition_implILS5_5ELb0ES3_mN6hipcub16HIPCUB_304000_NS21CountingInputIteratorIllEEPS6_NSA_22TransformInputIteratorIbN2at6native12_GLOBAL__N_19NonZeroOpIN3c107complexINSJ_4HalfEEEEEPKSM_lEENS0_5tupleIJPlS6_EEENSR_IJSD_SD_EEES6_PiJS6_EEE10hipError_tPvRmT3_T4_T5_T6_T7_T9_mT8_P12ihipStream_tbDpT10_ENKUlT_T0_E_clISt17integral_constantIbLb0EES1F_EEDaS1A_S1B_EUlS1A_E_NS1_11comp_targetILNS1_3genE5ELNS1_11target_archE942ELNS1_3gpuE9ELNS1_3repE0EEENS1_30default_config_static_selectorELNS0_4arch9wavefront6targetE0EEEvT1_.has_recursion, 0
	.set _ZN7rocprim17ROCPRIM_400000_NS6detail17trampoline_kernelINS0_14default_configENS1_25partition_config_selectorILNS1_17partition_subalgoE5ElNS0_10empty_typeEbEEZZNS1_14partition_implILS5_5ELb0ES3_mN6hipcub16HIPCUB_304000_NS21CountingInputIteratorIllEEPS6_NSA_22TransformInputIteratorIbN2at6native12_GLOBAL__N_19NonZeroOpIN3c107complexINSJ_4HalfEEEEEPKSM_lEENS0_5tupleIJPlS6_EEENSR_IJSD_SD_EEES6_PiJS6_EEE10hipError_tPvRmT3_T4_T5_T6_T7_T9_mT8_P12ihipStream_tbDpT10_ENKUlT_T0_E_clISt17integral_constantIbLb0EES1F_EEDaS1A_S1B_EUlS1A_E_NS1_11comp_targetILNS1_3genE5ELNS1_11target_archE942ELNS1_3gpuE9ELNS1_3repE0EEENS1_30default_config_static_selectorELNS0_4arch9wavefront6targetE0EEEvT1_.has_indirect_call, 0
	.section	.AMDGPU.csdata,"",@progbits
; Kernel info:
; codeLenInByte = 0
; TotalNumSgprs: 0
; NumVgprs: 0
; ScratchSize: 0
; MemoryBound: 0
; FloatMode: 240
; IeeeMode: 1
; LDSByteSize: 0 bytes/workgroup (compile time only)
; SGPRBlocks: 0
; VGPRBlocks: 0
; NumSGPRsForWavesPerEU: 1
; NumVGPRsForWavesPerEU: 1
; Occupancy: 16
; WaveLimiterHint : 0
; COMPUTE_PGM_RSRC2:SCRATCH_EN: 0
; COMPUTE_PGM_RSRC2:USER_SGPR: 2
; COMPUTE_PGM_RSRC2:TRAP_HANDLER: 0
; COMPUTE_PGM_RSRC2:TGID_X_EN: 1
; COMPUTE_PGM_RSRC2:TGID_Y_EN: 0
; COMPUTE_PGM_RSRC2:TGID_Z_EN: 0
; COMPUTE_PGM_RSRC2:TIDIG_COMP_CNT: 0
	.section	.text._ZN7rocprim17ROCPRIM_400000_NS6detail17trampoline_kernelINS0_14default_configENS1_25partition_config_selectorILNS1_17partition_subalgoE5ElNS0_10empty_typeEbEEZZNS1_14partition_implILS5_5ELb0ES3_mN6hipcub16HIPCUB_304000_NS21CountingInputIteratorIllEEPS6_NSA_22TransformInputIteratorIbN2at6native12_GLOBAL__N_19NonZeroOpIN3c107complexINSJ_4HalfEEEEEPKSM_lEENS0_5tupleIJPlS6_EEENSR_IJSD_SD_EEES6_PiJS6_EEE10hipError_tPvRmT3_T4_T5_T6_T7_T9_mT8_P12ihipStream_tbDpT10_ENKUlT_T0_E_clISt17integral_constantIbLb0EES1F_EEDaS1A_S1B_EUlS1A_E_NS1_11comp_targetILNS1_3genE4ELNS1_11target_archE910ELNS1_3gpuE8ELNS1_3repE0EEENS1_30default_config_static_selectorELNS0_4arch9wavefront6targetE0EEEvT1_,"axG",@progbits,_ZN7rocprim17ROCPRIM_400000_NS6detail17trampoline_kernelINS0_14default_configENS1_25partition_config_selectorILNS1_17partition_subalgoE5ElNS0_10empty_typeEbEEZZNS1_14partition_implILS5_5ELb0ES3_mN6hipcub16HIPCUB_304000_NS21CountingInputIteratorIllEEPS6_NSA_22TransformInputIteratorIbN2at6native12_GLOBAL__N_19NonZeroOpIN3c107complexINSJ_4HalfEEEEEPKSM_lEENS0_5tupleIJPlS6_EEENSR_IJSD_SD_EEES6_PiJS6_EEE10hipError_tPvRmT3_T4_T5_T6_T7_T9_mT8_P12ihipStream_tbDpT10_ENKUlT_T0_E_clISt17integral_constantIbLb0EES1F_EEDaS1A_S1B_EUlS1A_E_NS1_11comp_targetILNS1_3genE4ELNS1_11target_archE910ELNS1_3gpuE8ELNS1_3repE0EEENS1_30default_config_static_selectorELNS0_4arch9wavefront6targetE0EEEvT1_,comdat
	.globl	_ZN7rocprim17ROCPRIM_400000_NS6detail17trampoline_kernelINS0_14default_configENS1_25partition_config_selectorILNS1_17partition_subalgoE5ElNS0_10empty_typeEbEEZZNS1_14partition_implILS5_5ELb0ES3_mN6hipcub16HIPCUB_304000_NS21CountingInputIteratorIllEEPS6_NSA_22TransformInputIteratorIbN2at6native12_GLOBAL__N_19NonZeroOpIN3c107complexINSJ_4HalfEEEEEPKSM_lEENS0_5tupleIJPlS6_EEENSR_IJSD_SD_EEES6_PiJS6_EEE10hipError_tPvRmT3_T4_T5_T6_T7_T9_mT8_P12ihipStream_tbDpT10_ENKUlT_T0_E_clISt17integral_constantIbLb0EES1F_EEDaS1A_S1B_EUlS1A_E_NS1_11comp_targetILNS1_3genE4ELNS1_11target_archE910ELNS1_3gpuE8ELNS1_3repE0EEENS1_30default_config_static_selectorELNS0_4arch9wavefront6targetE0EEEvT1_ ; -- Begin function _ZN7rocprim17ROCPRIM_400000_NS6detail17trampoline_kernelINS0_14default_configENS1_25partition_config_selectorILNS1_17partition_subalgoE5ElNS0_10empty_typeEbEEZZNS1_14partition_implILS5_5ELb0ES3_mN6hipcub16HIPCUB_304000_NS21CountingInputIteratorIllEEPS6_NSA_22TransformInputIteratorIbN2at6native12_GLOBAL__N_19NonZeroOpIN3c107complexINSJ_4HalfEEEEEPKSM_lEENS0_5tupleIJPlS6_EEENSR_IJSD_SD_EEES6_PiJS6_EEE10hipError_tPvRmT3_T4_T5_T6_T7_T9_mT8_P12ihipStream_tbDpT10_ENKUlT_T0_E_clISt17integral_constantIbLb0EES1F_EEDaS1A_S1B_EUlS1A_E_NS1_11comp_targetILNS1_3genE4ELNS1_11target_archE910ELNS1_3gpuE8ELNS1_3repE0EEENS1_30default_config_static_selectorELNS0_4arch9wavefront6targetE0EEEvT1_
	.p2align	8
	.type	_ZN7rocprim17ROCPRIM_400000_NS6detail17trampoline_kernelINS0_14default_configENS1_25partition_config_selectorILNS1_17partition_subalgoE5ElNS0_10empty_typeEbEEZZNS1_14partition_implILS5_5ELb0ES3_mN6hipcub16HIPCUB_304000_NS21CountingInputIteratorIllEEPS6_NSA_22TransformInputIteratorIbN2at6native12_GLOBAL__N_19NonZeroOpIN3c107complexINSJ_4HalfEEEEEPKSM_lEENS0_5tupleIJPlS6_EEENSR_IJSD_SD_EEES6_PiJS6_EEE10hipError_tPvRmT3_T4_T5_T6_T7_T9_mT8_P12ihipStream_tbDpT10_ENKUlT_T0_E_clISt17integral_constantIbLb0EES1F_EEDaS1A_S1B_EUlS1A_E_NS1_11comp_targetILNS1_3genE4ELNS1_11target_archE910ELNS1_3gpuE8ELNS1_3repE0EEENS1_30default_config_static_selectorELNS0_4arch9wavefront6targetE0EEEvT1_,@function
_ZN7rocprim17ROCPRIM_400000_NS6detail17trampoline_kernelINS0_14default_configENS1_25partition_config_selectorILNS1_17partition_subalgoE5ElNS0_10empty_typeEbEEZZNS1_14partition_implILS5_5ELb0ES3_mN6hipcub16HIPCUB_304000_NS21CountingInputIteratorIllEEPS6_NSA_22TransformInputIteratorIbN2at6native12_GLOBAL__N_19NonZeroOpIN3c107complexINSJ_4HalfEEEEEPKSM_lEENS0_5tupleIJPlS6_EEENSR_IJSD_SD_EEES6_PiJS6_EEE10hipError_tPvRmT3_T4_T5_T6_T7_T9_mT8_P12ihipStream_tbDpT10_ENKUlT_T0_E_clISt17integral_constantIbLb0EES1F_EEDaS1A_S1B_EUlS1A_E_NS1_11comp_targetILNS1_3genE4ELNS1_11target_archE910ELNS1_3gpuE8ELNS1_3repE0EEENS1_30default_config_static_selectorELNS0_4arch9wavefront6targetE0EEEvT1_: ; @_ZN7rocprim17ROCPRIM_400000_NS6detail17trampoline_kernelINS0_14default_configENS1_25partition_config_selectorILNS1_17partition_subalgoE5ElNS0_10empty_typeEbEEZZNS1_14partition_implILS5_5ELb0ES3_mN6hipcub16HIPCUB_304000_NS21CountingInputIteratorIllEEPS6_NSA_22TransformInputIteratorIbN2at6native12_GLOBAL__N_19NonZeroOpIN3c107complexINSJ_4HalfEEEEEPKSM_lEENS0_5tupleIJPlS6_EEENSR_IJSD_SD_EEES6_PiJS6_EEE10hipError_tPvRmT3_T4_T5_T6_T7_T9_mT8_P12ihipStream_tbDpT10_ENKUlT_T0_E_clISt17integral_constantIbLb0EES1F_EEDaS1A_S1B_EUlS1A_E_NS1_11comp_targetILNS1_3genE4ELNS1_11target_archE910ELNS1_3gpuE8ELNS1_3repE0EEENS1_30default_config_static_selectorELNS0_4arch9wavefront6targetE0EEEvT1_
; %bb.0:
	.section	.rodata,"a",@progbits
	.p2align	6, 0x0
	.amdhsa_kernel _ZN7rocprim17ROCPRIM_400000_NS6detail17trampoline_kernelINS0_14default_configENS1_25partition_config_selectorILNS1_17partition_subalgoE5ElNS0_10empty_typeEbEEZZNS1_14partition_implILS5_5ELb0ES3_mN6hipcub16HIPCUB_304000_NS21CountingInputIteratorIllEEPS6_NSA_22TransformInputIteratorIbN2at6native12_GLOBAL__N_19NonZeroOpIN3c107complexINSJ_4HalfEEEEEPKSM_lEENS0_5tupleIJPlS6_EEENSR_IJSD_SD_EEES6_PiJS6_EEE10hipError_tPvRmT3_T4_T5_T6_T7_T9_mT8_P12ihipStream_tbDpT10_ENKUlT_T0_E_clISt17integral_constantIbLb0EES1F_EEDaS1A_S1B_EUlS1A_E_NS1_11comp_targetILNS1_3genE4ELNS1_11target_archE910ELNS1_3gpuE8ELNS1_3repE0EEENS1_30default_config_static_selectorELNS0_4arch9wavefront6targetE0EEEvT1_
		.amdhsa_group_segment_fixed_size 0
		.amdhsa_private_segment_fixed_size 0
		.amdhsa_kernarg_size 120
		.amdhsa_user_sgpr_count 2
		.amdhsa_user_sgpr_dispatch_ptr 0
		.amdhsa_user_sgpr_queue_ptr 0
		.amdhsa_user_sgpr_kernarg_segment_ptr 1
		.amdhsa_user_sgpr_dispatch_id 0
		.amdhsa_user_sgpr_private_segment_size 0
		.amdhsa_wavefront_size32 1
		.amdhsa_uses_dynamic_stack 0
		.amdhsa_enable_private_segment 0
		.amdhsa_system_sgpr_workgroup_id_x 1
		.amdhsa_system_sgpr_workgroup_id_y 0
		.amdhsa_system_sgpr_workgroup_id_z 0
		.amdhsa_system_sgpr_workgroup_info 0
		.amdhsa_system_vgpr_workitem_id 0
		.amdhsa_next_free_vgpr 1
		.amdhsa_next_free_sgpr 1
		.amdhsa_reserve_vcc 0
		.amdhsa_float_round_mode_32 0
		.amdhsa_float_round_mode_16_64 0
		.amdhsa_float_denorm_mode_32 3
		.amdhsa_float_denorm_mode_16_64 3
		.amdhsa_fp16_overflow 0
		.amdhsa_workgroup_processor_mode 1
		.amdhsa_memory_ordered 1
		.amdhsa_forward_progress 1
		.amdhsa_inst_pref_size 0
		.amdhsa_round_robin_scheduling 0
		.amdhsa_exception_fp_ieee_invalid_op 0
		.amdhsa_exception_fp_denorm_src 0
		.amdhsa_exception_fp_ieee_div_zero 0
		.amdhsa_exception_fp_ieee_overflow 0
		.amdhsa_exception_fp_ieee_underflow 0
		.amdhsa_exception_fp_ieee_inexact 0
		.amdhsa_exception_int_div_zero 0
	.end_amdhsa_kernel
	.section	.text._ZN7rocprim17ROCPRIM_400000_NS6detail17trampoline_kernelINS0_14default_configENS1_25partition_config_selectorILNS1_17partition_subalgoE5ElNS0_10empty_typeEbEEZZNS1_14partition_implILS5_5ELb0ES3_mN6hipcub16HIPCUB_304000_NS21CountingInputIteratorIllEEPS6_NSA_22TransformInputIteratorIbN2at6native12_GLOBAL__N_19NonZeroOpIN3c107complexINSJ_4HalfEEEEEPKSM_lEENS0_5tupleIJPlS6_EEENSR_IJSD_SD_EEES6_PiJS6_EEE10hipError_tPvRmT3_T4_T5_T6_T7_T9_mT8_P12ihipStream_tbDpT10_ENKUlT_T0_E_clISt17integral_constantIbLb0EES1F_EEDaS1A_S1B_EUlS1A_E_NS1_11comp_targetILNS1_3genE4ELNS1_11target_archE910ELNS1_3gpuE8ELNS1_3repE0EEENS1_30default_config_static_selectorELNS0_4arch9wavefront6targetE0EEEvT1_,"axG",@progbits,_ZN7rocprim17ROCPRIM_400000_NS6detail17trampoline_kernelINS0_14default_configENS1_25partition_config_selectorILNS1_17partition_subalgoE5ElNS0_10empty_typeEbEEZZNS1_14partition_implILS5_5ELb0ES3_mN6hipcub16HIPCUB_304000_NS21CountingInputIteratorIllEEPS6_NSA_22TransformInputIteratorIbN2at6native12_GLOBAL__N_19NonZeroOpIN3c107complexINSJ_4HalfEEEEEPKSM_lEENS0_5tupleIJPlS6_EEENSR_IJSD_SD_EEES6_PiJS6_EEE10hipError_tPvRmT3_T4_T5_T6_T7_T9_mT8_P12ihipStream_tbDpT10_ENKUlT_T0_E_clISt17integral_constantIbLb0EES1F_EEDaS1A_S1B_EUlS1A_E_NS1_11comp_targetILNS1_3genE4ELNS1_11target_archE910ELNS1_3gpuE8ELNS1_3repE0EEENS1_30default_config_static_selectorELNS0_4arch9wavefront6targetE0EEEvT1_,comdat
.Lfunc_end664:
	.size	_ZN7rocprim17ROCPRIM_400000_NS6detail17trampoline_kernelINS0_14default_configENS1_25partition_config_selectorILNS1_17partition_subalgoE5ElNS0_10empty_typeEbEEZZNS1_14partition_implILS5_5ELb0ES3_mN6hipcub16HIPCUB_304000_NS21CountingInputIteratorIllEEPS6_NSA_22TransformInputIteratorIbN2at6native12_GLOBAL__N_19NonZeroOpIN3c107complexINSJ_4HalfEEEEEPKSM_lEENS0_5tupleIJPlS6_EEENSR_IJSD_SD_EEES6_PiJS6_EEE10hipError_tPvRmT3_T4_T5_T6_T7_T9_mT8_P12ihipStream_tbDpT10_ENKUlT_T0_E_clISt17integral_constantIbLb0EES1F_EEDaS1A_S1B_EUlS1A_E_NS1_11comp_targetILNS1_3genE4ELNS1_11target_archE910ELNS1_3gpuE8ELNS1_3repE0EEENS1_30default_config_static_selectorELNS0_4arch9wavefront6targetE0EEEvT1_, .Lfunc_end664-_ZN7rocprim17ROCPRIM_400000_NS6detail17trampoline_kernelINS0_14default_configENS1_25partition_config_selectorILNS1_17partition_subalgoE5ElNS0_10empty_typeEbEEZZNS1_14partition_implILS5_5ELb0ES3_mN6hipcub16HIPCUB_304000_NS21CountingInputIteratorIllEEPS6_NSA_22TransformInputIteratorIbN2at6native12_GLOBAL__N_19NonZeroOpIN3c107complexINSJ_4HalfEEEEEPKSM_lEENS0_5tupleIJPlS6_EEENSR_IJSD_SD_EEES6_PiJS6_EEE10hipError_tPvRmT3_T4_T5_T6_T7_T9_mT8_P12ihipStream_tbDpT10_ENKUlT_T0_E_clISt17integral_constantIbLb0EES1F_EEDaS1A_S1B_EUlS1A_E_NS1_11comp_targetILNS1_3genE4ELNS1_11target_archE910ELNS1_3gpuE8ELNS1_3repE0EEENS1_30default_config_static_selectorELNS0_4arch9wavefront6targetE0EEEvT1_
                                        ; -- End function
	.set _ZN7rocprim17ROCPRIM_400000_NS6detail17trampoline_kernelINS0_14default_configENS1_25partition_config_selectorILNS1_17partition_subalgoE5ElNS0_10empty_typeEbEEZZNS1_14partition_implILS5_5ELb0ES3_mN6hipcub16HIPCUB_304000_NS21CountingInputIteratorIllEEPS6_NSA_22TransformInputIteratorIbN2at6native12_GLOBAL__N_19NonZeroOpIN3c107complexINSJ_4HalfEEEEEPKSM_lEENS0_5tupleIJPlS6_EEENSR_IJSD_SD_EEES6_PiJS6_EEE10hipError_tPvRmT3_T4_T5_T6_T7_T9_mT8_P12ihipStream_tbDpT10_ENKUlT_T0_E_clISt17integral_constantIbLb0EES1F_EEDaS1A_S1B_EUlS1A_E_NS1_11comp_targetILNS1_3genE4ELNS1_11target_archE910ELNS1_3gpuE8ELNS1_3repE0EEENS1_30default_config_static_selectorELNS0_4arch9wavefront6targetE0EEEvT1_.num_vgpr, 0
	.set _ZN7rocprim17ROCPRIM_400000_NS6detail17trampoline_kernelINS0_14default_configENS1_25partition_config_selectorILNS1_17partition_subalgoE5ElNS0_10empty_typeEbEEZZNS1_14partition_implILS5_5ELb0ES3_mN6hipcub16HIPCUB_304000_NS21CountingInputIteratorIllEEPS6_NSA_22TransformInputIteratorIbN2at6native12_GLOBAL__N_19NonZeroOpIN3c107complexINSJ_4HalfEEEEEPKSM_lEENS0_5tupleIJPlS6_EEENSR_IJSD_SD_EEES6_PiJS6_EEE10hipError_tPvRmT3_T4_T5_T6_T7_T9_mT8_P12ihipStream_tbDpT10_ENKUlT_T0_E_clISt17integral_constantIbLb0EES1F_EEDaS1A_S1B_EUlS1A_E_NS1_11comp_targetILNS1_3genE4ELNS1_11target_archE910ELNS1_3gpuE8ELNS1_3repE0EEENS1_30default_config_static_selectorELNS0_4arch9wavefront6targetE0EEEvT1_.num_agpr, 0
	.set _ZN7rocprim17ROCPRIM_400000_NS6detail17trampoline_kernelINS0_14default_configENS1_25partition_config_selectorILNS1_17partition_subalgoE5ElNS0_10empty_typeEbEEZZNS1_14partition_implILS5_5ELb0ES3_mN6hipcub16HIPCUB_304000_NS21CountingInputIteratorIllEEPS6_NSA_22TransformInputIteratorIbN2at6native12_GLOBAL__N_19NonZeroOpIN3c107complexINSJ_4HalfEEEEEPKSM_lEENS0_5tupleIJPlS6_EEENSR_IJSD_SD_EEES6_PiJS6_EEE10hipError_tPvRmT3_T4_T5_T6_T7_T9_mT8_P12ihipStream_tbDpT10_ENKUlT_T0_E_clISt17integral_constantIbLb0EES1F_EEDaS1A_S1B_EUlS1A_E_NS1_11comp_targetILNS1_3genE4ELNS1_11target_archE910ELNS1_3gpuE8ELNS1_3repE0EEENS1_30default_config_static_selectorELNS0_4arch9wavefront6targetE0EEEvT1_.numbered_sgpr, 0
	.set _ZN7rocprim17ROCPRIM_400000_NS6detail17trampoline_kernelINS0_14default_configENS1_25partition_config_selectorILNS1_17partition_subalgoE5ElNS0_10empty_typeEbEEZZNS1_14partition_implILS5_5ELb0ES3_mN6hipcub16HIPCUB_304000_NS21CountingInputIteratorIllEEPS6_NSA_22TransformInputIteratorIbN2at6native12_GLOBAL__N_19NonZeroOpIN3c107complexINSJ_4HalfEEEEEPKSM_lEENS0_5tupleIJPlS6_EEENSR_IJSD_SD_EEES6_PiJS6_EEE10hipError_tPvRmT3_T4_T5_T6_T7_T9_mT8_P12ihipStream_tbDpT10_ENKUlT_T0_E_clISt17integral_constantIbLb0EES1F_EEDaS1A_S1B_EUlS1A_E_NS1_11comp_targetILNS1_3genE4ELNS1_11target_archE910ELNS1_3gpuE8ELNS1_3repE0EEENS1_30default_config_static_selectorELNS0_4arch9wavefront6targetE0EEEvT1_.num_named_barrier, 0
	.set _ZN7rocprim17ROCPRIM_400000_NS6detail17trampoline_kernelINS0_14default_configENS1_25partition_config_selectorILNS1_17partition_subalgoE5ElNS0_10empty_typeEbEEZZNS1_14partition_implILS5_5ELb0ES3_mN6hipcub16HIPCUB_304000_NS21CountingInputIteratorIllEEPS6_NSA_22TransformInputIteratorIbN2at6native12_GLOBAL__N_19NonZeroOpIN3c107complexINSJ_4HalfEEEEEPKSM_lEENS0_5tupleIJPlS6_EEENSR_IJSD_SD_EEES6_PiJS6_EEE10hipError_tPvRmT3_T4_T5_T6_T7_T9_mT8_P12ihipStream_tbDpT10_ENKUlT_T0_E_clISt17integral_constantIbLb0EES1F_EEDaS1A_S1B_EUlS1A_E_NS1_11comp_targetILNS1_3genE4ELNS1_11target_archE910ELNS1_3gpuE8ELNS1_3repE0EEENS1_30default_config_static_selectorELNS0_4arch9wavefront6targetE0EEEvT1_.private_seg_size, 0
	.set _ZN7rocprim17ROCPRIM_400000_NS6detail17trampoline_kernelINS0_14default_configENS1_25partition_config_selectorILNS1_17partition_subalgoE5ElNS0_10empty_typeEbEEZZNS1_14partition_implILS5_5ELb0ES3_mN6hipcub16HIPCUB_304000_NS21CountingInputIteratorIllEEPS6_NSA_22TransformInputIteratorIbN2at6native12_GLOBAL__N_19NonZeroOpIN3c107complexINSJ_4HalfEEEEEPKSM_lEENS0_5tupleIJPlS6_EEENSR_IJSD_SD_EEES6_PiJS6_EEE10hipError_tPvRmT3_T4_T5_T6_T7_T9_mT8_P12ihipStream_tbDpT10_ENKUlT_T0_E_clISt17integral_constantIbLb0EES1F_EEDaS1A_S1B_EUlS1A_E_NS1_11comp_targetILNS1_3genE4ELNS1_11target_archE910ELNS1_3gpuE8ELNS1_3repE0EEENS1_30default_config_static_selectorELNS0_4arch9wavefront6targetE0EEEvT1_.uses_vcc, 0
	.set _ZN7rocprim17ROCPRIM_400000_NS6detail17trampoline_kernelINS0_14default_configENS1_25partition_config_selectorILNS1_17partition_subalgoE5ElNS0_10empty_typeEbEEZZNS1_14partition_implILS5_5ELb0ES3_mN6hipcub16HIPCUB_304000_NS21CountingInputIteratorIllEEPS6_NSA_22TransformInputIteratorIbN2at6native12_GLOBAL__N_19NonZeroOpIN3c107complexINSJ_4HalfEEEEEPKSM_lEENS0_5tupleIJPlS6_EEENSR_IJSD_SD_EEES6_PiJS6_EEE10hipError_tPvRmT3_T4_T5_T6_T7_T9_mT8_P12ihipStream_tbDpT10_ENKUlT_T0_E_clISt17integral_constantIbLb0EES1F_EEDaS1A_S1B_EUlS1A_E_NS1_11comp_targetILNS1_3genE4ELNS1_11target_archE910ELNS1_3gpuE8ELNS1_3repE0EEENS1_30default_config_static_selectorELNS0_4arch9wavefront6targetE0EEEvT1_.uses_flat_scratch, 0
	.set _ZN7rocprim17ROCPRIM_400000_NS6detail17trampoline_kernelINS0_14default_configENS1_25partition_config_selectorILNS1_17partition_subalgoE5ElNS0_10empty_typeEbEEZZNS1_14partition_implILS5_5ELb0ES3_mN6hipcub16HIPCUB_304000_NS21CountingInputIteratorIllEEPS6_NSA_22TransformInputIteratorIbN2at6native12_GLOBAL__N_19NonZeroOpIN3c107complexINSJ_4HalfEEEEEPKSM_lEENS0_5tupleIJPlS6_EEENSR_IJSD_SD_EEES6_PiJS6_EEE10hipError_tPvRmT3_T4_T5_T6_T7_T9_mT8_P12ihipStream_tbDpT10_ENKUlT_T0_E_clISt17integral_constantIbLb0EES1F_EEDaS1A_S1B_EUlS1A_E_NS1_11comp_targetILNS1_3genE4ELNS1_11target_archE910ELNS1_3gpuE8ELNS1_3repE0EEENS1_30default_config_static_selectorELNS0_4arch9wavefront6targetE0EEEvT1_.has_dyn_sized_stack, 0
	.set _ZN7rocprim17ROCPRIM_400000_NS6detail17trampoline_kernelINS0_14default_configENS1_25partition_config_selectorILNS1_17partition_subalgoE5ElNS0_10empty_typeEbEEZZNS1_14partition_implILS5_5ELb0ES3_mN6hipcub16HIPCUB_304000_NS21CountingInputIteratorIllEEPS6_NSA_22TransformInputIteratorIbN2at6native12_GLOBAL__N_19NonZeroOpIN3c107complexINSJ_4HalfEEEEEPKSM_lEENS0_5tupleIJPlS6_EEENSR_IJSD_SD_EEES6_PiJS6_EEE10hipError_tPvRmT3_T4_T5_T6_T7_T9_mT8_P12ihipStream_tbDpT10_ENKUlT_T0_E_clISt17integral_constantIbLb0EES1F_EEDaS1A_S1B_EUlS1A_E_NS1_11comp_targetILNS1_3genE4ELNS1_11target_archE910ELNS1_3gpuE8ELNS1_3repE0EEENS1_30default_config_static_selectorELNS0_4arch9wavefront6targetE0EEEvT1_.has_recursion, 0
	.set _ZN7rocprim17ROCPRIM_400000_NS6detail17trampoline_kernelINS0_14default_configENS1_25partition_config_selectorILNS1_17partition_subalgoE5ElNS0_10empty_typeEbEEZZNS1_14partition_implILS5_5ELb0ES3_mN6hipcub16HIPCUB_304000_NS21CountingInputIteratorIllEEPS6_NSA_22TransformInputIteratorIbN2at6native12_GLOBAL__N_19NonZeroOpIN3c107complexINSJ_4HalfEEEEEPKSM_lEENS0_5tupleIJPlS6_EEENSR_IJSD_SD_EEES6_PiJS6_EEE10hipError_tPvRmT3_T4_T5_T6_T7_T9_mT8_P12ihipStream_tbDpT10_ENKUlT_T0_E_clISt17integral_constantIbLb0EES1F_EEDaS1A_S1B_EUlS1A_E_NS1_11comp_targetILNS1_3genE4ELNS1_11target_archE910ELNS1_3gpuE8ELNS1_3repE0EEENS1_30default_config_static_selectorELNS0_4arch9wavefront6targetE0EEEvT1_.has_indirect_call, 0
	.section	.AMDGPU.csdata,"",@progbits
; Kernel info:
; codeLenInByte = 0
; TotalNumSgprs: 0
; NumVgprs: 0
; ScratchSize: 0
; MemoryBound: 0
; FloatMode: 240
; IeeeMode: 1
; LDSByteSize: 0 bytes/workgroup (compile time only)
; SGPRBlocks: 0
; VGPRBlocks: 0
; NumSGPRsForWavesPerEU: 1
; NumVGPRsForWavesPerEU: 1
; Occupancy: 16
; WaveLimiterHint : 0
; COMPUTE_PGM_RSRC2:SCRATCH_EN: 0
; COMPUTE_PGM_RSRC2:USER_SGPR: 2
; COMPUTE_PGM_RSRC2:TRAP_HANDLER: 0
; COMPUTE_PGM_RSRC2:TGID_X_EN: 1
; COMPUTE_PGM_RSRC2:TGID_Y_EN: 0
; COMPUTE_PGM_RSRC2:TGID_Z_EN: 0
; COMPUTE_PGM_RSRC2:TIDIG_COMP_CNT: 0
	.section	.text._ZN7rocprim17ROCPRIM_400000_NS6detail17trampoline_kernelINS0_14default_configENS1_25partition_config_selectorILNS1_17partition_subalgoE5ElNS0_10empty_typeEbEEZZNS1_14partition_implILS5_5ELb0ES3_mN6hipcub16HIPCUB_304000_NS21CountingInputIteratorIllEEPS6_NSA_22TransformInputIteratorIbN2at6native12_GLOBAL__N_19NonZeroOpIN3c107complexINSJ_4HalfEEEEEPKSM_lEENS0_5tupleIJPlS6_EEENSR_IJSD_SD_EEES6_PiJS6_EEE10hipError_tPvRmT3_T4_T5_T6_T7_T9_mT8_P12ihipStream_tbDpT10_ENKUlT_T0_E_clISt17integral_constantIbLb0EES1F_EEDaS1A_S1B_EUlS1A_E_NS1_11comp_targetILNS1_3genE3ELNS1_11target_archE908ELNS1_3gpuE7ELNS1_3repE0EEENS1_30default_config_static_selectorELNS0_4arch9wavefront6targetE0EEEvT1_,"axG",@progbits,_ZN7rocprim17ROCPRIM_400000_NS6detail17trampoline_kernelINS0_14default_configENS1_25partition_config_selectorILNS1_17partition_subalgoE5ElNS0_10empty_typeEbEEZZNS1_14partition_implILS5_5ELb0ES3_mN6hipcub16HIPCUB_304000_NS21CountingInputIteratorIllEEPS6_NSA_22TransformInputIteratorIbN2at6native12_GLOBAL__N_19NonZeroOpIN3c107complexINSJ_4HalfEEEEEPKSM_lEENS0_5tupleIJPlS6_EEENSR_IJSD_SD_EEES6_PiJS6_EEE10hipError_tPvRmT3_T4_T5_T6_T7_T9_mT8_P12ihipStream_tbDpT10_ENKUlT_T0_E_clISt17integral_constantIbLb0EES1F_EEDaS1A_S1B_EUlS1A_E_NS1_11comp_targetILNS1_3genE3ELNS1_11target_archE908ELNS1_3gpuE7ELNS1_3repE0EEENS1_30default_config_static_selectorELNS0_4arch9wavefront6targetE0EEEvT1_,comdat
	.globl	_ZN7rocprim17ROCPRIM_400000_NS6detail17trampoline_kernelINS0_14default_configENS1_25partition_config_selectorILNS1_17partition_subalgoE5ElNS0_10empty_typeEbEEZZNS1_14partition_implILS5_5ELb0ES3_mN6hipcub16HIPCUB_304000_NS21CountingInputIteratorIllEEPS6_NSA_22TransformInputIteratorIbN2at6native12_GLOBAL__N_19NonZeroOpIN3c107complexINSJ_4HalfEEEEEPKSM_lEENS0_5tupleIJPlS6_EEENSR_IJSD_SD_EEES6_PiJS6_EEE10hipError_tPvRmT3_T4_T5_T6_T7_T9_mT8_P12ihipStream_tbDpT10_ENKUlT_T0_E_clISt17integral_constantIbLb0EES1F_EEDaS1A_S1B_EUlS1A_E_NS1_11comp_targetILNS1_3genE3ELNS1_11target_archE908ELNS1_3gpuE7ELNS1_3repE0EEENS1_30default_config_static_selectorELNS0_4arch9wavefront6targetE0EEEvT1_ ; -- Begin function _ZN7rocprim17ROCPRIM_400000_NS6detail17trampoline_kernelINS0_14default_configENS1_25partition_config_selectorILNS1_17partition_subalgoE5ElNS0_10empty_typeEbEEZZNS1_14partition_implILS5_5ELb0ES3_mN6hipcub16HIPCUB_304000_NS21CountingInputIteratorIllEEPS6_NSA_22TransformInputIteratorIbN2at6native12_GLOBAL__N_19NonZeroOpIN3c107complexINSJ_4HalfEEEEEPKSM_lEENS0_5tupleIJPlS6_EEENSR_IJSD_SD_EEES6_PiJS6_EEE10hipError_tPvRmT3_T4_T5_T6_T7_T9_mT8_P12ihipStream_tbDpT10_ENKUlT_T0_E_clISt17integral_constantIbLb0EES1F_EEDaS1A_S1B_EUlS1A_E_NS1_11comp_targetILNS1_3genE3ELNS1_11target_archE908ELNS1_3gpuE7ELNS1_3repE0EEENS1_30default_config_static_selectorELNS0_4arch9wavefront6targetE0EEEvT1_
	.p2align	8
	.type	_ZN7rocprim17ROCPRIM_400000_NS6detail17trampoline_kernelINS0_14default_configENS1_25partition_config_selectorILNS1_17partition_subalgoE5ElNS0_10empty_typeEbEEZZNS1_14partition_implILS5_5ELb0ES3_mN6hipcub16HIPCUB_304000_NS21CountingInputIteratorIllEEPS6_NSA_22TransformInputIteratorIbN2at6native12_GLOBAL__N_19NonZeroOpIN3c107complexINSJ_4HalfEEEEEPKSM_lEENS0_5tupleIJPlS6_EEENSR_IJSD_SD_EEES6_PiJS6_EEE10hipError_tPvRmT3_T4_T5_T6_T7_T9_mT8_P12ihipStream_tbDpT10_ENKUlT_T0_E_clISt17integral_constantIbLb0EES1F_EEDaS1A_S1B_EUlS1A_E_NS1_11comp_targetILNS1_3genE3ELNS1_11target_archE908ELNS1_3gpuE7ELNS1_3repE0EEENS1_30default_config_static_selectorELNS0_4arch9wavefront6targetE0EEEvT1_,@function
_ZN7rocprim17ROCPRIM_400000_NS6detail17trampoline_kernelINS0_14default_configENS1_25partition_config_selectorILNS1_17partition_subalgoE5ElNS0_10empty_typeEbEEZZNS1_14partition_implILS5_5ELb0ES3_mN6hipcub16HIPCUB_304000_NS21CountingInputIteratorIllEEPS6_NSA_22TransformInputIteratorIbN2at6native12_GLOBAL__N_19NonZeroOpIN3c107complexINSJ_4HalfEEEEEPKSM_lEENS0_5tupleIJPlS6_EEENSR_IJSD_SD_EEES6_PiJS6_EEE10hipError_tPvRmT3_T4_T5_T6_T7_T9_mT8_P12ihipStream_tbDpT10_ENKUlT_T0_E_clISt17integral_constantIbLb0EES1F_EEDaS1A_S1B_EUlS1A_E_NS1_11comp_targetILNS1_3genE3ELNS1_11target_archE908ELNS1_3gpuE7ELNS1_3repE0EEENS1_30default_config_static_selectorELNS0_4arch9wavefront6targetE0EEEvT1_: ; @_ZN7rocprim17ROCPRIM_400000_NS6detail17trampoline_kernelINS0_14default_configENS1_25partition_config_selectorILNS1_17partition_subalgoE5ElNS0_10empty_typeEbEEZZNS1_14partition_implILS5_5ELb0ES3_mN6hipcub16HIPCUB_304000_NS21CountingInputIteratorIllEEPS6_NSA_22TransformInputIteratorIbN2at6native12_GLOBAL__N_19NonZeroOpIN3c107complexINSJ_4HalfEEEEEPKSM_lEENS0_5tupleIJPlS6_EEENSR_IJSD_SD_EEES6_PiJS6_EEE10hipError_tPvRmT3_T4_T5_T6_T7_T9_mT8_P12ihipStream_tbDpT10_ENKUlT_T0_E_clISt17integral_constantIbLb0EES1F_EEDaS1A_S1B_EUlS1A_E_NS1_11comp_targetILNS1_3genE3ELNS1_11target_archE908ELNS1_3gpuE7ELNS1_3repE0EEENS1_30default_config_static_selectorELNS0_4arch9wavefront6targetE0EEEvT1_
; %bb.0:
	.section	.rodata,"a",@progbits
	.p2align	6, 0x0
	.amdhsa_kernel _ZN7rocprim17ROCPRIM_400000_NS6detail17trampoline_kernelINS0_14default_configENS1_25partition_config_selectorILNS1_17partition_subalgoE5ElNS0_10empty_typeEbEEZZNS1_14partition_implILS5_5ELb0ES3_mN6hipcub16HIPCUB_304000_NS21CountingInputIteratorIllEEPS6_NSA_22TransformInputIteratorIbN2at6native12_GLOBAL__N_19NonZeroOpIN3c107complexINSJ_4HalfEEEEEPKSM_lEENS0_5tupleIJPlS6_EEENSR_IJSD_SD_EEES6_PiJS6_EEE10hipError_tPvRmT3_T4_T5_T6_T7_T9_mT8_P12ihipStream_tbDpT10_ENKUlT_T0_E_clISt17integral_constantIbLb0EES1F_EEDaS1A_S1B_EUlS1A_E_NS1_11comp_targetILNS1_3genE3ELNS1_11target_archE908ELNS1_3gpuE7ELNS1_3repE0EEENS1_30default_config_static_selectorELNS0_4arch9wavefront6targetE0EEEvT1_
		.amdhsa_group_segment_fixed_size 0
		.amdhsa_private_segment_fixed_size 0
		.amdhsa_kernarg_size 120
		.amdhsa_user_sgpr_count 2
		.amdhsa_user_sgpr_dispatch_ptr 0
		.amdhsa_user_sgpr_queue_ptr 0
		.amdhsa_user_sgpr_kernarg_segment_ptr 1
		.amdhsa_user_sgpr_dispatch_id 0
		.amdhsa_user_sgpr_private_segment_size 0
		.amdhsa_wavefront_size32 1
		.amdhsa_uses_dynamic_stack 0
		.amdhsa_enable_private_segment 0
		.amdhsa_system_sgpr_workgroup_id_x 1
		.amdhsa_system_sgpr_workgroup_id_y 0
		.amdhsa_system_sgpr_workgroup_id_z 0
		.amdhsa_system_sgpr_workgroup_info 0
		.amdhsa_system_vgpr_workitem_id 0
		.amdhsa_next_free_vgpr 1
		.amdhsa_next_free_sgpr 1
		.amdhsa_reserve_vcc 0
		.amdhsa_float_round_mode_32 0
		.amdhsa_float_round_mode_16_64 0
		.amdhsa_float_denorm_mode_32 3
		.amdhsa_float_denorm_mode_16_64 3
		.amdhsa_fp16_overflow 0
		.amdhsa_workgroup_processor_mode 1
		.amdhsa_memory_ordered 1
		.amdhsa_forward_progress 1
		.amdhsa_inst_pref_size 0
		.amdhsa_round_robin_scheduling 0
		.amdhsa_exception_fp_ieee_invalid_op 0
		.amdhsa_exception_fp_denorm_src 0
		.amdhsa_exception_fp_ieee_div_zero 0
		.amdhsa_exception_fp_ieee_overflow 0
		.amdhsa_exception_fp_ieee_underflow 0
		.amdhsa_exception_fp_ieee_inexact 0
		.amdhsa_exception_int_div_zero 0
	.end_amdhsa_kernel
	.section	.text._ZN7rocprim17ROCPRIM_400000_NS6detail17trampoline_kernelINS0_14default_configENS1_25partition_config_selectorILNS1_17partition_subalgoE5ElNS0_10empty_typeEbEEZZNS1_14partition_implILS5_5ELb0ES3_mN6hipcub16HIPCUB_304000_NS21CountingInputIteratorIllEEPS6_NSA_22TransformInputIteratorIbN2at6native12_GLOBAL__N_19NonZeroOpIN3c107complexINSJ_4HalfEEEEEPKSM_lEENS0_5tupleIJPlS6_EEENSR_IJSD_SD_EEES6_PiJS6_EEE10hipError_tPvRmT3_T4_T5_T6_T7_T9_mT8_P12ihipStream_tbDpT10_ENKUlT_T0_E_clISt17integral_constantIbLb0EES1F_EEDaS1A_S1B_EUlS1A_E_NS1_11comp_targetILNS1_3genE3ELNS1_11target_archE908ELNS1_3gpuE7ELNS1_3repE0EEENS1_30default_config_static_selectorELNS0_4arch9wavefront6targetE0EEEvT1_,"axG",@progbits,_ZN7rocprim17ROCPRIM_400000_NS6detail17trampoline_kernelINS0_14default_configENS1_25partition_config_selectorILNS1_17partition_subalgoE5ElNS0_10empty_typeEbEEZZNS1_14partition_implILS5_5ELb0ES3_mN6hipcub16HIPCUB_304000_NS21CountingInputIteratorIllEEPS6_NSA_22TransformInputIteratorIbN2at6native12_GLOBAL__N_19NonZeroOpIN3c107complexINSJ_4HalfEEEEEPKSM_lEENS0_5tupleIJPlS6_EEENSR_IJSD_SD_EEES6_PiJS6_EEE10hipError_tPvRmT3_T4_T5_T6_T7_T9_mT8_P12ihipStream_tbDpT10_ENKUlT_T0_E_clISt17integral_constantIbLb0EES1F_EEDaS1A_S1B_EUlS1A_E_NS1_11comp_targetILNS1_3genE3ELNS1_11target_archE908ELNS1_3gpuE7ELNS1_3repE0EEENS1_30default_config_static_selectorELNS0_4arch9wavefront6targetE0EEEvT1_,comdat
.Lfunc_end665:
	.size	_ZN7rocprim17ROCPRIM_400000_NS6detail17trampoline_kernelINS0_14default_configENS1_25partition_config_selectorILNS1_17partition_subalgoE5ElNS0_10empty_typeEbEEZZNS1_14partition_implILS5_5ELb0ES3_mN6hipcub16HIPCUB_304000_NS21CountingInputIteratorIllEEPS6_NSA_22TransformInputIteratorIbN2at6native12_GLOBAL__N_19NonZeroOpIN3c107complexINSJ_4HalfEEEEEPKSM_lEENS0_5tupleIJPlS6_EEENSR_IJSD_SD_EEES6_PiJS6_EEE10hipError_tPvRmT3_T4_T5_T6_T7_T9_mT8_P12ihipStream_tbDpT10_ENKUlT_T0_E_clISt17integral_constantIbLb0EES1F_EEDaS1A_S1B_EUlS1A_E_NS1_11comp_targetILNS1_3genE3ELNS1_11target_archE908ELNS1_3gpuE7ELNS1_3repE0EEENS1_30default_config_static_selectorELNS0_4arch9wavefront6targetE0EEEvT1_, .Lfunc_end665-_ZN7rocprim17ROCPRIM_400000_NS6detail17trampoline_kernelINS0_14default_configENS1_25partition_config_selectorILNS1_17partition_subalgoE5ElNS0_10empty_typeEbEEZZNS1_14partition_implILS5_5ELb0ES3_mN6hipcub16HIPCUB_304000_NS21CountingInputIteratorIllEEPS6_NSA_22TransformInputIteratorIbN2at6native12_GLOBAL__N_19NonZeroOpIN3c107complexINSJ_4HalfEEEEEPKSM_lEENS0_5tupleIJPlS6_EEENSR_IJSD_SD_EEES6_PiJS6_EEE10hipError_tPvRmT3_T4_T5_T6_T7_T9_mT8_P12ihipStream_tbDpT10_ENKUlT_T0_E_clISt17integral_constantIbLb0EES1F_EEDaS1A_S1B_EUlS1A_E_NS1_11comp_targetILNS1_3genE3ELNS1_11target_archE908ELNS1_3gpuE7ELNS1_3repE0EEENS1_30default_config_static_selectorELNS0_4arch9wavefront6targetE0EEEvT1_
                                        ; -- End function
	.set _ZN7rocprim17ROCPRIM_400000_NS6detail17trampoline_kernelINS0_14default_configENS1_25partition_config_selectorILNS1_17partition_subalgoE5ElNS0_10empty_typeEbEEZZNS1_14partition_implILS5_5ELb0ES3_mN6hipcub16HIPCUB_304000_NS21CountingInputIteratorIllEEPS6_NSA_22TransformInputIteratorIbN2at6native12_GLOBAL__N_19NonZeroOpIN3c107complexINSJ_4HalfEEEEEPKSM_lEENS0_5tupleIJPlS6_EEENSR_IJSD_SD_EEES6_PiJS6_EEE10hipError_tPvRmT3_T4_T5_T6_T7_T9_mT8_P12ihipStream_tbDpT10_ENKUlT_T0_E_clISt17integral_constantIbLb0EES1F_EEDaS1A_S1B_EUlS1A_E_NS1_11comp_targetILNS1_3genE3ELNS1_11target_archE908ELNS1_3gpuE7ELNS1_3repE0EEENS1_30default_config_static_selectorELNS0_4arch9wavefront6targetE0EEEvT1_.num_vgpr, 0
	.set _ZN7rocprim17ROCPRIM_400000_NS6detail17trampoline_kernelINS0_14default_configENS1_25partition_config_selectorILNS1_17partition_subalgoE5ElNS0_10empty_typeEbEEZZNS1_14partition_implILS5_5ELb0ES3_mN6hipcub16HIPCUB_304000_NS21CountingInputIteratorIllEEPS6_NSA_22TransformInputIteratorIbN2at6native12_GLOBAL__N_19NonZeroOpIN3c107complexINSJ_4HalfEEEEEPKSM_lEENS0_5tupleIJPlS6_EEENSR_IJSD_SD_EEES6_PiJS6_EEE10hipError_tPvRmT3_T4_T5_T6_T7_T9_mT8_P12ihipStream_tbDpT10_ENKUlT_T0_E_clISt17integral_constantIbLb0EES1F_EEDaS1A_S1B_EUlS1A_E_NS1_11comp_targetILNS1_3genE3ELNS1_11target_archE908ELNS1_3gpuE7ELNS1_3repE0EEENS1_30default_config_static_selectorELNS0_4arch9wavefront6targetE0EEEvT1_.num_agpr, 0
	.set _ZN7rocprim17ROCPRIM_400000_NS6detail17trampoline_kernelINS0_14default_configENS1_25partition_config_selectorILNS1_17partition_subalgoE5ElNS0_10empty_typeEbEEZZNS1_14partition_implILS5_5ELb0ES3_mN6hipcub16HIPCUB_304000_NS21CountingInputIteratorIllEEPS6_NSA_22TransformInputIteratorIbN2at6native12_GLOBAL__N_19NonZeroOpIN3c107complexINSJ_4HalfEEEEEPKSM_lEENS0_5tupleIJPlS6_EEENSR_IJSD_SD_EEES6_PiJS6_EEE10hipError_tPvRmT3_T4_T5_T6_T7_T9_mT8_P12ihipStream_tbDpT10_ENKUlT_T0_E_clISt17integral_constantIbLb0EES1F_EEDaS1A_S1B_EUlS1A_E_NS1_11comp_targetILNS1_3genE3ELNS1_11target_archE908ELNS1_3gpuE7ELNS1_3repE0EEENS1_30default_config_static_selectorELNS0_4arch9wavefront6targetE0EEEvT1_.numbered_sgpr, 0
	.set _ZN7rocprim17ROCPRIM_400000_NS6detail17trampoline_kernelINS0_14default_configENS1_25partition_config_selectorILNS1_17partition_subalgoE5ElNS0_10empty_typeEbEEZZNS1_14partition_implILS5_5ELb0ES3_mN6hipcub16HIPCUB_304000_NS21CountingInputIteratorIllEEPS6_NSA_22TransformInputIteratorIbN2at6native12_GLOBAL__N_19NonZeroOpIN3c107complexINSJ_4HalfEEEEEPKSM_lEENS0_5tupleIJPlS6_EEENSR_IJSD_SD_EEES6_PiJS6_EEE10hipError_tPvRmT3_T4_T5_T6_T7_T9_mT8_P12ihipStream_tbDpT10_ENKUlT_T0_E_clISt17integral_constantIbLb0EES1F_EEDaS1A_S1B_EUlS1A_E_NS1_11comp_targetILNS1_3genE3ELNS1_11target_archE908ELNS1_3gpuE7ELNS1_3repE0EEENS1_30default_config_static_selectorELNS0_4arch9wavefront6targetE0EEEvT1_.num_named_barrier, 0
	.set _ZN7rocprim17ROCPRIM_400000_NS6detail17trampoline_kernelINS0_14default_configENS1_25partition_config_selectorILNS1_17partition_subalgoE5ElNS0_10empty_typeEbEEZZNS1_14partition_implILS5_5ELb0ES3_mN6hipcub16HIPCUB_304000_NS21CountingInputIteratorIllEEPS6_NSA_22TransformInputIteratorIbN2at6native12_GLOBAL__N_19NonZeroOpIN3c107complexINSJ_4HalfEEEEEPKSM_lEENS0_5tupleIJPlS6_EEENSR_IJSD_SD_EEES6_PiJS6_EEE10hipError_tPvRmT3_T4_T5_T6_T7_T9_mT8_P12ihipStream_tbDpT10_ENKUlT_T0_E_clISt17integral_constantIbLb0EES1F_EEDaS1A_S1B_EUlS1A_E_NS1_11comp_targetILNS1_3genE3ELNS1_11target_archE908ELNS1_3gpuE7ELNS1_3repE0EEENS1_30default_config_static_selectorELNS0_4arch9wavefront6targetE0EEEvT1_.private_seg_size, 0
	.set _ZN7rocprim17ROCPRIM_400000_NS6detail17trampoline_kernelINS0_14default_configENS1_25partition_config_selectorILNS1_17partition_subalgoE5ElNS0_10empty_typeEbEEZZNS1_14partition_implILS5_5ELb0ES3_mN6hipcub16HIPCUB_304000_NS21CountingInputIteratorIllEEPS6_NSA_22TransformInputIteratorIbN2at6native12_GLOBAL__N_19NonZeroOpIN3c107complexINSJ_4HalfEEEEEPKSM_lEENS0_5tupleIJPlS6_EEENSR_IJSD_SD_EEES6_PiJS6_EEE10hipError_tPvRmT3_T4_T5_T6_T7_T9_mT8_P12ihipStream_tbDpT10_ENKUlT_T0_E_clISt17integral_constantIbLb0EES1F_EEDaS1A_S1B_EUlS1A_E_NS1_11comp_targetILNS1_3genE3ELNS1_11target_archE908ELNS1_3gpuE7ELNS1_3repE0EEENS1_30default_config_static_selectorELNS0_4arch9wavefront6targetE0EEEvT1_.uses_vcc, 0
	.set _ZN7rocprim17ROCPRIM_400000_NS6detail17trampoline_kernelINS0_14default_configENS1_25partition_config_selectorILNS1_17partition_subalgoE5ElNS0_10empty_typeEbEEZZNS1_14partition_implILS5_5ELb0ES3_mN6hipcub16HIPCUB_304000_NS21CountingInputIteratorIllEEPS6_NSA_22TransformInputIteratorIbN2at6native12_GLOBAL__N_19NonZeroOpIN3c107complexINSJ_4HalfEEEEEPKSM_lEENS0_5tupleIJPlS6_EEENSR_IJSD_SD_EEES6_PiJS6_EEE10hipError_tPvRmT3_T4_T5_T6_T7_T9_mT8_P12ihipStream_tbDpT10_ENKUlT_T0_E_clISt17integral_constantIbLb0EES1F_EEDaS1A_S1B_EUlS1A_E_NS1_11comp_targetILNS1_3genE3ELNS1_11target_archE908ELNS1_3gpuE7ELNS1_3repE0EEENS1_30default_config_static_selectorELNS0_4arch9wavefront6targetE0EEEvT1_.uses_flat_scratch, 0
	.set _ZN7rocprim17ROCPRIM_400000_NS6detail17trampoline_kernelINS0_14default_configENS1_25partition_config_selectorILNS1_17partition_subalgoE5ElNS0_10empty_typeEbEEZZNS1_14partition_implILS5_5ELb0ES3_mN6hipcub16HIPCUB_304000_NS21CountingInputIteratorIllEEPS6_NSA_22TransformInputIteratorIbN2at6native12_GLOBAL__N_19NonZeroOpIN3c107complexINSJ_4HalfEEEEEPKSM_lEENS0_5tupleIJPlS6_EEENSR_IJSD_SD_EEES6_PiJS6_EEE10hipError_tPvRmT3_T4_T5_T6_T7_T9_mT8_P12ihipStream_tbDpT10_ENKUlT_T0_E_clISt17integral_constantIbLb0EES1F_EEDaS1A_S1B_EUlS1A_E_NS1_11comp_targetILNS1_3genE3ELNS1_11target_archE908ELNS1_3gpuE7ELNS1_3repE0EEENS1_30default_config_static_selectorELNS0_4arch9wavefront6targetE0EEEvT1_.has_dyn_sized_stack, 0
	.set _ZN7rocprim17ROCPRIM_400000_NS6detail17trampoline_kernelINS0_14default_configENS1_25partition_config_selectorILNS1_17partition_subalgoE5ElNS0_10empty_typeEbEEZZNS1_14partition_implILS5_5ELb0ES3_mN6hipcub16HIPCUB_304000_NS21CountingInputIteratorIllEEPS6_NSA_22TransformInputIteratorIbN2at6native12_GLOBAL__N_19NonZeroOpIN3c107complexINSJ_4HalfEEEEEPKSM_lEENS0_5tupleIJPlS6_EEENSR_IJSD_SD_EEES6_PiJS6_EEE10hipError_tPvRmT3_T4_T5_T6_T7_T9_mT8_P12ihipStream_tbDpT10_ENKUlT_T0_E_clISt17integral_constantIbLb0EES1F_EEDaS1A_S1B_EUlS1A_E_NS1_11comp_targetILNS1_3genE3ELNS1_11target_archE908ELNS1_3gpuE7ELNS1_3repE0EEENS1_30default_config_static_selectorELNS0_4arch9wavefront6targetE0EEEvT1_.has_recursion, 0
	.set _ZN7rocprim17ROCPRIM_400000_NS6detail17trampoline_kernelINS0_14default_configENS1_25partition_config_selectorILNS1_17partition_subalgoE5ElNS0_10empty_typeEbEEZZNS1_14partition_implILS5_5ELb0ES3_mN6hipcub16HIPCUB_304000_NS21CountingInputIteratorIllEEPS6_NSA_22TransformInputIteratorIbN2at6native12_GLOBAL__N_19NonZeroOpIN3c107complexINSJ_4HalfEEEEEPKSM_lEENS0_5tupleIJPlS6_EEENSR_IJSD_SD_EEES6_PiJS6_EEE10hipError_tPvRmT3_T4_T5_T6_T7_T9_mT8_P12ihipStream_tbDpT10_ENKUlT_T0_E_clISt17integral_constantIbLb0EES1F_EEDaS1A_S1B_EUlS1A_E_NS1_11comp_targetILNS1_3genE3ELNS1_11target_archE908ELNS1_3gpuE7ELNS1_3repE0EEENS1_30default_config_static_selectorELNS0_4arch9wavefront6targetE0EEEvT1_.has_indirect_call, 0
	.section	.AMDGPU.csdata,"",@progbits
; Kernel info:
; codeLenInByte = 0
; TotalNumSgprs: 0
; NumVgprs: 0
; ScratchSize: 0
; MemoryBound: 0
; FloatMode: 240
; IeeeMode: 1
; LDSByteSize: 0 bytes/workgroup (compile time only)
; SGPRBlocks: 0
; VGPRBlocks: 0
; NumSGPRsForWavesPerEU: 1
; NumVGPRsForWavesPerEU: 1
; Occupancy: 16
; WaveLimiterHint : 0
; COMPUTE_PGM_RSRC2:SCRATCH_EN: 0
; COMPUTE_PGM_RSRC2:USER_SGPR: 2
; COMPUTE_PGM_RSRC2:TRAP_HANDLER: 0
; COMPUTE_PGM_RSRC2:TGID_X_EN: 1
; COMPUTE_PGM_RSRC2:TGID_Y_EN: 0
; COMPUTE_PGM_RSRC2:TGID_Z_EN: 0
; COMPUTE_PGM_RSRC2:TIDIG_COMP_CNT: 0
	.section	.text._ZN7rocprim17ROCPRIM_400000_NS6detail17trampoline_kernelINS0_14default_configENS1_25partition_config_selectorILNS1_17partition_subalgoE5ElNS0_10empty_typeEbEEZZNS1_14partition_implILS5_5ELb0ES3_mN6hipcub16HIPCUB_304000_NS21CountingInputIteratorIllEEPS6_NSA_22TransformInputIteratorIbN2at6native12_GLOBAL__N_19NonZeroOpIN3c107complexINSJ_4HalfEEEEEPKSM_lEENS0_5tupleIJPlS6_EEENSR_IJSD_SD_EEES6_PiJS6_EEE10hipError_tPvRmT3_T4_T5_T6_T7_T9_mT8_P12ihipStream_tbDpT10_ENKUlT_T0_E_clISt17integral_constantIbLb0EES1F_EEDaS1A_S1B_EUlS1A_E_NS1_11comp_targetILNS1_3genE2ELNS1_11target_archE906ELNS1_3gpuE6ELNS1_3repE0EEENS1_30default_config_static_selectorELNS0_4arch9wavefront6targetE0EEEvT1_,"axG",@progbits,_ZN7rocprim17ROCPRIM_400000_NS6detail17trampoline_kernelINS0_14default_configENS1_25partition_config_selectorILNS1_17partition_subalgoE5ElNS0_10empty_typeEbEEZZNS1_14partition_implILS5_5ELb0ES3_mN6hipcub16HIPCUB_304000_NS21CountingInputIteratorIllEEPS6_NSA_22TransformInputIteratorIbN2at6native12_GLOBAL__N_19NonZeroOpIN3c107complexINSJ_4HalfEEEEEPKSM_lEENS0_5tupleIJPlS6_EEENSR_IJSD_SD_EEES6_PiJS6_EEE10hipError_tPvRmT3_T4_T5_T6_T7_T9_mT8_P12ihipStream_tbDpT10_ENKUlT_T0_E_clISt17integral_constantIbLb0EES1F_EEDaS1A_S1B_EUlS1A_E_NS1_11comp_targetILNS1_3genE2ELNS1_11target_archE906ELNS1_3gpuE6ELNS1_3repE0EEENS1_30default_config_static_selectorELNS0_4arch9wavefront6targetE0EEEvT1_,comdat
	.globl	_ZN7rocprim17ROCPRIM_400000_NS6detail17trampoline_kernelINS0_14default_configENS1_25partition_config_selectorILNS1_17partition_subalgoE5ElNS0_10empty_typeEbEEZZNS1_14partition_implILS5_5ELb0ES3_mN6hipcub16HIPCUB_304000_NS21CountingInputIteratorIllEEPS6_NSA_22TransformInputIteratorIbN2at6native12_GLOBAL__N_19NonZeroOpIN3c107complexINSJ_4HalfEEEEEPKSM_lEENS0_5tupleIJPlS6_EEENSR_IJSD_SD_EEES6_PiJS6_EEE10hipError_tPvRmT3_T4_T5_T6_T7_T9_mT8_P12ihipStream_tbDpT10_ENKUlT_T0_E_clISt17integral_constantIbLb0EES1F_EEDaS1A_S1B_EUlS1A_E_NS1_11comp_targetILNS1_3genE2ELNS1_11target_archE906ELNS1_3gpuE6ELNS1_3repE0EEENS1_30default_config_static_selectorELNS0_4arch9wavefront6targetE0EEEvT1_ ; -- Begin function _ZN7rocprim17ROCPRIM_400000_NS6detail17trampoline_kernelINS0_14default_configENS1_25partition_config_selectorILNS1_17partition_subalgoE5ElNS0_10empty_typeEbEEZZNS1_14partition_implILS5_5ELb0ES3_mN6hipcub16HIPCUB_304000_NS21CountingInputIteratorIllEEPS6_NSA_22TransformInputIteratorIbN2at6native12_GLOBAL__N_19NonZeroOpIN3c107complexINSJ_4HalfEEEEEPKSM_lEENS0_5tupleIJPlS6_EEENSR_IJSD_SD_EEES6_PiJS6_EEE10hipError_tPvRmT3_T4_T5_T6_T7_T9_mT8_P12ihipStream_tbDpT10_ENKUlT_T0_E_clISt17integral_constantIbLb0EES1F_EEDaS1A_S1B_EUlS1A_E_NS1_11comp_targetILNS1_3genE2ELNS1_11target_archE906ELNS1_3gpuE6ELNS1_3repE0EEENS1_30default_config_static_selectorELNS0_4arch9wavefront6targetE0EEEvT1_
	.p2align	8
	.type	_ZN7rocprim17ROCPRIM_400000_NS6detail17trampoline_kernelINS0_14default_configENS1_25partition_config_selectorILNS1_17partition_subalgoE5ElNS0_10empty_typeEbEEZZNS1_14partition_implILS5_5ELb0ES3_mN6hipcub16HIPCUB_304000_NS21CountingInputIteratorIllEEPS6_NSA_22TransformInputIteratorIbN2at6native12_GLOBAL__N_19NonZeroOpIN3c107complexINSJ_4HalfEEEEEPKSM_lEENS0_5tupleIJPlS6_EEENSR_IJSD_SD_EEES6_PiJS6_EEE10hipError_tPvRmT3_T4_T5_T6_T7_T9_mT8_P12ihipStream_tbDpT10_ENKUlT_T0_E_clISt17integral_constantIbLb0EES1F_EEDaS1A_S1B_EUlS1A_E_NS1_11comp_targetILNS1_3genE2ELNS1_11target_archE906ELNS1_3gpuE6ELNS1_3repE0EEENS1_30default_config_static_selectorELNS0_4arch9wavefront6targetE0EEEvT1_,@function
_ZN7rocprim17ROCPRIM_400000_NS6detail17trampoline_kernelINS0_14default_configENS1_25partition_config_selectorILNS1_17partition_subalgoE5ElNS0_10empty_typeEbEEZZNS1_14partition_implILS5_5ELb0ES3_mN6hipcub16HIPCUB_304000_NS21CountingInputIteratorIllEEPS6_NSA_22TransformInputIteratorIbN2at6native12_GLOBAL__N_19NonZeroOpIN3c107complexINSJ_4HalfEEEEEPKSM_lEENS0_5tupleIJPlS6_EEENSR_IJSD_SD_EEES6_PiJS6_EEE10hipError_tPvRmT3_T4_T5_T6_T7_T9_mT8_P12ihipStream_tbDpT10_ENKUlT_T0_E_clISt17integral_constantIbLb0EES1F_EEDaS1A_S1B_EUlS1A_E_NS1_11comp_targetILNS1_3genE2ELNS1_11target_archE906ELNS1_3gpuE6ELNS1_3repE0EEENS1_30default_config_static_selectorELNS0_4arch9wavefront6targetE0EEEvT1_: ; @_ZN7rocprim17ROCPRIM_400000_NS6detail17trampoline_kernelINS0_14default_configENS1_25partition_config_selectorILNS1_17partition_subalgoE5ElNS0_10empty_typeEbEEZZNS1_14partition_implILS5_5ELb0ES3_mN6hipcub16HIPCUB_304000_NS21CountingInputIteratorIllEEPS6_NSA_22TransformInputIteratorIbN2at6native12_GLOBAL__N_19NonZeroOpIN3c107complexINSJ_4HalfEEEEEPKSM_lEENS0_5tupleIJPlS6_EEENSR_IJSD_SD_EEES6_PiJS6_EEE10hipError_tPvRmT3_T4_T5_T6_T7_T9_mT8_P12ihipStream_tbDpT10_ENKUlT_T0_E_clISt17integral_constantIbLb0EES1F_EEDaS1A_S1B_EUlS1A_E_NS1_11comp_targetILNS1_3genE2ELNS1_11target_archE906ELNS1_3gpuE6ELNS1_3repE0EEENS1_30default_config_static_selectorELNS0_4arch9wavefront6targetE0EEEvT1_
; %bb.0:
	.section	.rodata,"a",@progbits
	.p2align	6, 0x0
	.amdhsa_kernel _ZN7rocprim17ROCPRIM_400000_NS6detail17trampoline_kernelINS0_14default_configENS1_25partition_config_selectorILNS1_17partition_subalgoE5ElNS0_10empty_typeEbEEZZNS1_14partition_implILS5_5ELb0ES3_mN6hipcub16HIPCUB_304000_NS21CountingInputIteratorIllEEPS6_NSA_22TransformInputIteratorIbN2at6native12_GLOBAL__N_19NonZeroOpIN3c107complexINSJ_4HalfEEEEEPKSM_lEENS0_5tupleIJPlS6_EEENSR_IJSD_SD_EEES6_PiJS6_EEE10hipError_tPvRmT3_T4_T5_T6_T7_T9_mT8_P12ihipStream_tbDpT10_ENKUlT_T0_E_clISt17integral_constantIbLb0EES1F_EEDaS1A_S1B_EUlS1A_E_NS1_11comp_targetILNS1_3genE2ELNS1_11target_archE906ELNS1_3gpuE6ELNS1_3repE0EEENS1_30default_config_static_selectorELNS0_4arch9wavefront6targetE0EEEvT1_
		.amdhsa_group_segment_fixed_size 0
		.amdhsa_private_segment_fixed_size 0
		.amdhsa_kernarg_size 120
		.amdhsa_user_sgpr_count 2
		.amdhsa_user_sgpr_dispatch_ptr 0
		.amdhsa_user_sgpr_queue_ptr 0
		.amdhsa_user_sgpr_kernarg_segment_ptr 1
		.amdhsa_user_sgpr_dispatch_id 0
		.amdhsa_user_sgpr_private_segment_size 0
		.amdhsa_wavefront_size32 1
		.amdhsa_uses_dynamic_stack 0
		.amdhsa_enable_private_segment 0
		.amdhsa_system_sgpr_workgroup_id_x 1
		.amdhsa_system_sgpr_workgroup_id_y 0
		.amdhsa_system_sgpr_workgroup_id_z 0
		.amdhsa_system_sgpr_workgroup_info 0
		.amdhsa_system_vgpr_workitem_id 0
		.amdhsa_next_free_vgpr 1
		.amdhsa_next_free_sgpr 1
		.amdhsa_reserve_vcc 0
		.amdhsa_float_round_mode_32 0
		.amdhsa_float_round_mode_16_64 0
		.amdhsa_float_denorm_mode_32 3
		.amdhsa_float_denorm_mode_16_64 3
		.amdhsa_fp16_overflow 0
		.amdhsa_workgroup_processor_mode 1
		.amdhsa_memory_ordered 1
		.amdhsa_forward_progress 1
		.amdhsa_inst_pref_size 0
		.amdhsa_round_robin_scheduling 0
		.amdhsa_exception_fp_ieee_invalid_op 0
		.amdhsa_exception_fp_denorm_src 0
		.amdhsa_exception_fp_ieee_div_zero 0
		.amdhsa_exception_fp_ieee_overflow 0
		.amdhsa_exception_fp_ieee_underflow 0
		.amdhsa_exception_fp_ieee_inexact 0
		.amdhsa_exception_int_div_zero 0
	.end_amdhsa_kernel
	.section	.text._ZN7rocprim17ROCPRIM_400000_NS6detail17trampoline_kernelINS0_14default_configENS1_25partition_config_selectorILNS1_17partition_subalgoE5ElNS0_10empty_typeEbEEZZNS1_14partition_implILS5_5ELb0ES3_mN6hipcub16HIPCUB_304000_NS21CountingInputIteratorIllEEPS6_NSA_22TransformInputIteratorIbN2at6native12_GLOBAL__N_19NonZeroOpIN3c107complexINSJ_4HalfEEEEEPKSM_lEENS0_5tupleIJPlS6_EEENSR_IJSD_SD_EEES6_PiJS6_EEE10hipError_tPvRmT3_T4_T5_T6_T7_T9_mT8_P12ihipStream_tbDpT10_ENKUlT_T0_E_clISt17integral_constantIbLb0EES1F_EEDaS1A_S1B_EUlS1A_E_NS1_11comp_targetILNS1_3genE2ELNS1_11target_archE906ELNS1_3gpuE6ELNS1_3repE0EEENS1_30default_config_static_selectorELNS0_4arch9wavefront6targetE0EEEvT1_,"axG",@progbits,_ZN7rocprim17ROCPRIM_400000_NS6detail17trampoline_kernelINS0_14default_configENS1_25partition_config_selectorILNS1_17partition_subalgoE5ElNS0_10empty_typeEbEEZZNS1_14partition_implILS5_5ELb0ES3_mN6hipcub16HIPCUB_304000_NS21CountingInputIteratorIllEEPS6_NSA_22TransformInputIteratorIbN2at6native12_GLOBAL__N_19NonZeroOpIN3c107complexINSJ_4HalfEEEEEPKSM_lEENS0_5tupleIJPlS6_EEENSR_IJSD_SD_EEES6_PiJS6_EEE10hipError_tPvRmT3_T4_T5_T6_T7_T9_mT8_P12ihipStream_tbDpT10_ENKUlT_T0_E_clISt17integral_constantIbLb0EES1F_EEDaS1A_S1B_EUlS1A_E_NS1_11comp_targetILNS1_3genE2ELNS1_11target_archE906ELNS1_3gpuE6ELNS1_3repE0EEENS1_30default_config_static_selectorELNS0_4arch9wavefront6targetE0EEEvT1_,comdat
.Lfunc_end666:
	.size	_ZN7rocprim17ROCPRIM_400000_NS6detail17trampoline_kernelINS0_14default_configENS1_25partition_config_selectorILNS1_17partition_subalgoE5ElNS0_10empty_typeEbEEZZNS1_14partition_implILS5_5ELb0ES3_mN6hipcub16HIPCUB_304000_NS21CountingInputIteratorIllEEPS6_NSA_22TransformInputIteratorIbN2at6native12_GLOBAL__N_19NonZeroOpIN3c107complexINSJ_4HalfEEEEEPKSM_lEENS0_5tupleIJPlS6_EEENSR_IJSD_SD_EEES6_PiJS6_EEE10hipError_tPvRmT3_T4_T5_T6_T7_T9_mT8_P12ihipStream_tbDpT10_ENKUlT_T0_E_clISt17integral_constantIbLb0EES1F_EEDaS1A_S1B_EUlS1A_E_NS1_11comp_targetILNS1_3genE2ELNS1_11target_archE906ELNS1_3gpuE6ELNS1_3repE0EEENS1_30default_config_static_selectorELNS0_4arch9wavefront6targetE0EEEvT1_, .Lfunc_end666-_ZN7rocprim17ROCPRIM_400000_NS6detail17trampoline_kernelINS0_14default_configENS1_25partition_config_selectorILNS1_17partition_subalgoE5ElNS0_10empty_typeEbEEZZNS1_14partition_implILS5_5ELb0ES3_mN6hipcub16HIPCUB_304000_NS21CountingInputIteratorIllEEPS6_NSA_22TransformInputIteratorIbN2at6native12_GLOBAL__N_19NonZeroOpIN3c107complexINSJ_4HalfEEEEEPKSM_lEENS0_5tupleIJPlS6_EEENSR_IJSD_SD_EEES6_PiJS6_EEE10hipError_tPvRmT3_T4_T5_T6_T7_T9_mT8_P12ihipStream_tbDpT10_ENKUlT_T0_E_clISt17integral_constantIbLb0EES1F_EEDaS1A_S1B_EUlS1A_E_NS1_11comp_targetILNS1_3genE2ELNS1_11target_archE906ELNS1_3gpuE6ELNS1_3repE0EEENS1_30default_config_static_selectorELNS0_4arch9wavefront6targetE0EEEvT1_
                                        ; -- End function
	.set _ZN7rocprim17ROCPRIM_400000_NS6detail17trampoline_kernelINS0_14default_configENS1_25partition_config_selectorILNS1_17partition_subalgoE5ElNS0_10empty_typeEbEEZZNS1_14partition_implILS5_5ELb0ES3_mN6hipcub16HIPCUB_304000_NS21CountingInputIteratorIllEEPS6_NSA_22TransformInputIteratorIbN2at6native12_GLOBAL__N_19NonZeroOpIN3c107complexINSJ_4HalfEEEEEPKSM_lEENS0_5tupleIJPlS6_EEENSR_IJSD_SD_EEES6_PiJS6_EEE10hipError_tPvRmT3_T4_T5_T6_T7_T9_mT8_P12ihipStream_tbDpT10_ENKUlT_T0_E_clISt17integral_constantIbLb0EES1F_EEDaS1A_S1B_EUlS1A_E_NS1_11comp_targetILNS1_3genE2ELNS1_11target_archE906ELNS1_3gpuE6ELNS1_3repE0EEENS1_30default_config_static_selectorELNS0_4arch9wavefront6targetE0EEEvT1_.num_vgpr, 0
	.set _ZN7rocprim17ROCPRIM_400000_NS6detail17trampoline_kernelINS0_14default_configENS1_25partition_config_selectorILNS1_17partition_subalgoE5ElNS0_10empty_typeEbEEZZNS1_14partition_implILS5_5ELb0ES3_mN6hipcub16HIPCUB_304000_NS21CountingInputIteratorIllEEPS6_NSA_22TransformInputIteratorIbN2at6native12_GLOBAL__N_19NonZeroOpIN3c107complexINSJ_4HalfEEEEEPKSM_lEENS0_5tupleIJPlS6_EEENSR_IJSD_SD_EEES6_PiJS6_EEE10hipError_tPvRmT3_T4_T5_T6_T7_T9_mT8_P12ihipStream_tbDpT10_ENKUlT_T0_E_clISt17integral_constantIbLb0EES1F_EEDaS1A_S1B_EUlS1A_E_NS1_11comp_targetILNS1_3genE2ELNS1_11target_archE906ELNS1_3gpuE6ELNS1_3repE0EEENS1_30default_config_static_selectorELNS0_4arch9wavefront6targetE0EEEvT1_.num_agpr, 0
	.set _ZN7rocprim17ROCPRIM_400000_NS6detail17trampoline_kernelINS0_14default_configENS1_25partition_config_selectorILNS1_17partition_subalgoE5ElNS0_10empty_typeEbEEZZNS1_14partition_implILS5_5ELb0ES3_mN6hipcub16HIPCUB_304000_NS21CountingInputIteratorIllEEPS6_NSA_22TransformInputIteratorIbN2at6native12_GLOBAL__N_19NonZeroOpIN3c107complexINSJ_4HalfEEEEEPKSM_lEENS0_5tupleIJPlS6_EEENSR_IJSD_SD_EEES6_PiJS6_EEE10hipError_tPvRmT3_T4_T5_T6_T7_T9_mT8_P12ihipStream_tbDpT10_ENKUlT_T0_E_clISt17integral_constantIbLb0EES1F_EEDaS1A_S1B_EUlS1A_E_NS1_11comp_targetILNS1_3genE2ELNS1_11target_archE906ELNS1_3gpuE6ELNS1_3repE0EEENS1_30default_config_static_selectorELNS0_4arch9wavefront6targetE0EEEvT1_.numbered_sgpr, 0
	.set _ZN7rocprim17ROCPRIM_400000_NS6detail17trampoline_kernelINS0_14default_configENS1_25partition_config_selectorILNS1_17partition_subalgoE5ElNS0_10empty_typeEbEEZZNS1_14partition_implILS5_5ELb0ES3_mN6hipcub16HIPCUB_304000_NS21CountingInputIteratorIllEEPS6_NSA_22TransformInputIteratorIbN2at6native12_GLOBAL__N_19NonZeroOpIN3c107complexINSJ_4HalfEEEEEPKSM_lEENS0_5tupleIJPlS6_EEENSR_IJSD_SD_EEES6_PiJS6_EEE10hipError_tPvRmT3_T4_T5_T6_T7_T9_mT8_P12ihipStream_tbDpT10_ENKUlT_T0_E_clISt17integral_constantIbLb0EES1F_EEDaS1A_S1B_EUlS1A_E_NS1_11comp_targetILNS1_3genE2ELNS1_11target_archE906ELNS1_3gpuE6ELNS1_3repE0EEENS1_30default_config_static_selectorELNS0_4arch9wavefront6targetE0EEEvT1_.num_named_barrier, 0
	.set _ZN7rocprim17ROCPRIM_400000_NS6detail17trampoline_kernelINS0_14default_configENS1_25partition_config_selectorILNS1_17partition_subalgoE5ElNS0_10empty_typeEbEEZZNS1_14partition_implILS5_5ELb0ES3_mN6hipcub16HIPCUB_304000_NS21CountingInputIteratorIllEEPS6_NSA_22TransformInputIteratorIbN2at6native12_GLOBAL__N_19NonZeroOpIN3c107complexINSJ_4HalfEEEEEPKSM_lEENS0_5tupleIJPlS6_EEENSR_IJSD_SD_EEES6_PiJS6_EEE10hipError_tPvRmT3_T4_T5_T6_T7_T9_mT8_P12ihipStream_tbDpT10_ENKUlT_T0_E_clISt17integral_constantIbLb0EES1F_EEDaS1A_S1B_EUlS1A_E_NS1_11comp_targetILNS1_3genE2ELNS1_11target_archE906ELNS1_3gpuE6ELNS1_3repE0EEENS1_30default_config_static_selectorELNS0_4arch9wavefront6targetE0EEEvT1_.private_seg_size, 0
	.set _ZN7rocprim17ROCPRIM_400000_NS6detail17trampoline_kernelINS0_14default_configENS1_25partition_config_selectorILNS1_17partition_subalgoE5ElNS0_10empty_typeEbEEZZNS1_14partition_implILS5_5ELb0ES3_mN6hipcub16HIPCUB_304000_NS21CountingInputIteratorIllEEPS6_NSA_22TransformInputIteratorIbN2at6native12_GLOBAL__N_19NonZeroOpIN3c107complexINSJ_4HalfEEEEEPKSM_lEENS0_5tupleIJPlS6_EEENSR_IJSD_SD_EEES6_PiJS6_EEE10hipError_tPvRmT3_T4_T5_T6_T7_T9_mT8_P12ihipStream_tbDpT10_ENKUlT_T0_E_clISt17integral_constantIbLb0EES1F_EEDaS1A_S1B_EUlS1A_E_NS1_11comp_targetILNS1_3genE2ELNS1_11target_archE906ELNS1_3gpuE6ELNS1_3repE0EEENS1_30default_config_static_selectorELNS0_4arch9wavefront6targetE0EEEvT1_.uses_vcc, 0
	.set _ZN7rocprim17ROCPRIM_400000_NS6detail17trampoline_kernelINS0_14default_configENS1_25partition_config_selectorILNS1_17partition_subalgoE5ElNS0_10empty_typeEbEEZZNS1_14partition_implILS5_5ELb0ES3_mN6hipcub16HIPCUB_304000_NS21CountingInputIteratorIllEEPS6_NSA_22TransformInputIteratorIbN2at6native12_GLOBAL__N_19NonZeroOpIN3c107complexINSJ_4HalfEEEEEPKSM_lEENS0_5tupleIJPlS6_EEENSR_IJSD_SD_EEES6_PiJS6_EEE10hipError_tPvRmT3_T4_T5_T6_T7_T9_mT8_P12ihipStream_tbDpT10_ENKUlT_T0_E_clISt17integral_constantIbLb0EES1F_EEDaS1A_S1B_EUlS1A_E_NS1_11comp_targetILNS1_3genE2ELNS1_11target_archE906ELNS1_3gpuE6ELNS1_3repE0EEENS1_30default_config_static_selectorELNS0_4arch9wavefront6targetE0EEEvT1_.uses_flat_scratch, 0
	.set _ZN7rocprim17ROCPRIM_400000_NS6detail17trampoline_kernelINS0_14default_configENS1_25partition_config_selectorILNS1_17partition_subalgoE5ElNS0_10empty_typeEbEEZZNS1_14partition_implILS5_5ELb0ES3_mN6hipcub16HIPCUB_304000_NS21CountingInputIteratorIllEEPS6_NSA_22TransformInputIteratorIbN2at6native12_GLOBAL__N_19NonZeroOpIN3c107complexINSJ_4HalfEEEEEPKSM_lEENS0_5tupleIJPlS6_EEENSR_IJSD_SD_EEES6_PiJS6_EEE10hipError_tPvRmT3_T4_T5_T6_T7_T9_mT8_P12ihipStream_tbDpT10_ENKUlT_T0_E_clISt17integral_constantIbLb0EES1F_EEDaS1A_S1B_EUlS1A_E_NS1_11comp_targetILNS1_3genE2ELNS1_11target_archE906ELNS1_3gpuE6ELNS1_3repE0EEENS1_30default_config_static_selectorELNS0_4arch9wavefront6targetE0EEEvT1_.has_dyn_sized_stack, 0
	.set _ZN7rocprim17ROCPRIM_400000_NS6detail17trampoline_kernelINS0_14default_configENS1_25partition_config_selectorILNS1_17partition_subalgoE5ElNS0_10empty_typeEbEEZZNS1_14partition_implILS5_5ELb0ES3_mN6hipcub16HIPCUB_304000_NS21CountingInputIteratorIllEEPS6_NSA_22TransformInputIteratorIbN2at6native12_GLOBAL__N_19NonZeroOpIN3c107complexINSJ_4HalfEEEEEPKSM_lEENS0_5tupleIJPlS6_EEENSR_IJSD_SD_EEES6_PiJS6_EEE10hipError_tPvRmT3_T4_T5_T6_T7_T9_mT8_P12ihipStream_tbDpT10_ENKUlT_T0_E_clISt17integral_constantIbLb0EES1F_EEDaS1A_S1B_EUlS1A_E_NS1_11comp_targetILNS1_3genE2ELNS1_11target_archE906ELNS1_3gpuE6ELNS1_3repE0EEENS1_30default_config_static_selectorELNS0_4arch9wavefront6targetE0EEEvT1_.has_recursion, 0
	.set _ZN7rocprim17ROCPRIM_400000_NS6detail17trampoline_kernelINS0_14default_configENS1_25partition_config_selectorILNS1_17partition_subalgoE5ElNS0_10empty_typeEbEEZZNS1_14partition_implILS5_5ELb0ES3_mN6hipcub16HIPCUB_304000_NS21CountingInputIteratorIllEEPS6_NSA_22TransformInputIteratorIbN2at6native12_GLOBAL__N_19NonZeroOpIN3c107complexINSJ_4HalfEEEEEPKSM_lEENS0_5tupleIJPlS6_EEENSR_IJSD_SD_EEES6_PiJS6_EEE10hipError_tPvRmT3_T4_T5_T6_T7_T9_mT8_P12ihipStream_tbDpT10_ENKUlT_T0_E_clISt17integral_constantIbLb0EES1F_EEDaS1A_S1B_EUlS1A_E_NS1_11comp_targetILNS1_3genE2ELNS1_11target_archE906ELNS1_3gpuE6ELNS1_3repE0EEENS1_30default_config_static_selectorELNS0_4arch9wavefront6targetE0EEEvT1_.has_indirect_call, 0
	.section	.AMDGPU.csdata,"",@progbits
; Kernel info:
; codeLenInByte = 0
; TotalNumSgprs: 0
; NumVgprs: 0
; ScratchSize: 0
; MemoryBound: 0
; FloatMode: 240
; IeeeMode: 1
; LDSByteSize: 0 bytes/workgroup (compile time only)
; SGPRBlocks: 0
; VGPRBlocks: 0
; NumSGPRsForWavesPerEU: 1
; NumVGPRsForWavesPerEU: 1
; Occupancy: 16
; WaveLimiterHint : 0
; COMPUTE_PGM_RSRC2:SCRATCH_EN: 0
; COMPUTE_PGM_RSRC2:USER_SGPR: 2
; COMPUTE_PGM_RSRC2:TRAP_HANDLER: 0
; COMPUTE_PGM_RSRC2:TGID_X_EN: 1
; COMPUTE_PGM_RSRC2:TGID_Y_EN: 0
; COMPUTE_PGM_RSRC2:TGID_Z_EN: 0
; COMPUTE_PGM_RSRC2:TIDIG_COMP_CNT: 0
	.section	.text._ZN7rocprim17ROCPRIM_400000_NS6detail17trampoline_kernelINS0_14default_configENS1_25partition_config_selectorILNS1_17partition_subalgoE5ElNS0_10empty_typeEbEEZZNS1_14partition_implILS5_5ELb0ES3_mN6hipcub16HIPCUB_304000_NS21CountingInputIteratorIllEEPS6_NSA_22TransformInputIteratorIbN2at6native12_GLOBAL__N_19NonZeroOpIN3c107complexINSJ_4HalfEEEEEPKSM_lEENS0_5tupleIJPlS6_EEENSR_IJSD_SD_EEES6_PiJS6_EEE10hipError_tPvRmT3_T4_T5_T6_T7_T9_mT8_P12ihipStream_tbDpT10_ENKUlT_T0_E_clISt17integral_constantIbLb0EES1F_EEDaS1A_S1B_EUlS1A_E_NS1_11comp_targetILNS1_3genE10ELNS1_11target_archE1200ELNS1_3gpuE4ELNS1_3repE0EEENS1_30default_config_static_selectorELNS0_4arch9wavefront6targetE0EEEvT1_,"axG",@progbits,_ZN7rocprim17ROCPRIM_400000_NS6detail17trampoline_kernelINS0_14default_configENS1_25partition_config_selectorILNS1_17partition_subalgoE5ElNS0_10empty_typeEbEEZZNS1_14partition_implILS5_5ELb0ES3_mN6hipcub16HIPCUB_304000_NS21CountingInputIteratorIllEEPS6_NSA_22TransformInputIteratorIbN2at6native12_GLOBAL__N_19NonZeroOpIN3c107complexINSJ_4HalfEEEEEPKSM_lEENS0_5tupleIJPlS6_EEENSR_IJSD_SD_EEES6_PiJS6_EEE10hipError_tPvRmT3_T4_T5_T6_T7_T9_mT8_P12ihipStream_tbDpT10_ENKUlT_T0_E_clISt17integral_constantIbLb0EES1F_EEDaS1A_S1B_EUlS1A_E_NS1_11comp_targetILNS1_3genE10ELNS1_11target_archE1200ELNS1_3gpuE4ELNS1_3repE0EEENS1_30default_config_static_selectorELNS0_4arch9wavefront6targetE0EEEvT1_,comdat
	.globl	_ZN7rocprim17ROCPRIM_400000_NS6detail17trampoline_kernelINS0_14default_configENS1_25partition_config_selectorILNS1_17partition_subalgoE5ElNS0_10empty_typeEbEEZZNS1_14partition_implILS5_5ELb0ES3_mN6hipcub16HIPCUB_304000_NS21CountingInputIteratorIllEEPS6_NSA_22TransformInputIteratorIbN2at6native12_GLOBAL__N_19NonZeroOpIN3c107complexINSJ_4HalfEEEEEPKSM_lEENS0_5tupleIJPlS6_EEENSR_IJSD_SD_EEES6_PiJS6_EEE10hipError_tPvRmT3_T4_T5_T6_T7_T9_mT8_P12ihipStream_tbDpT10_ENKUlT_T0_E_clISt17integral_constantIbLb0EES1F_EEDaS1A_S1B_EUlS1A_E_NS1_11comp_targetILNS1_3genE10ELNS1_11target_archE1200ELNS1_3gpuE4ELNS1_3repE0EEENS1_30default_config_static_selectorELNS0_4arch9wavefront6targetE0EEEvT1_ ; -- Begin function _ZN7rocprim17ROCPRIM_400000_NS6detail17trampoline_kernelINS0_14default_configENS1_25partition_config_selectorILNS1_17partition_subalgoE5ElNS0_10empty_typeEbEEZZNS1_14partition_implILS5_5ELb0ES3_mN6hipcub16HIPCUB_304000_NS21CountingInputIteratorIllEEPS6_NSA_22TransformInputIteratorIbN2at6native12_GLOBAL__N_19NonZeroOpIN3c107complexINSJ_4HalfEEEEEPKSM_lEENS0_5tupleIJPlS6_EEENSR_IJSD_SD_EEES6_PiJS6_EEE10hipError_tPvRmT3_T4_T5_T6_T7_T9_mT8_P12ihipStream_tbDpT10_ENKUlT_T0_E_clISt17integral_constantIbLb0EES1F_EEDaS1A_S1B_EUlS1A_E_NS1_11comp_targetILNS1_3genE10ELNS1_11target_archE1200ELNS1_3gpuE4ELNS1_3repE0EEENS1_30default_config_static_selectorELNS0_4arch9wavefront6targetE0EEEvT1_
	.p2align	8
	.type	_ZN7rocprim17ROCPRIM_400000_NS6detail17trampoline_kernelINS0_14default_configENS1_25partition_config_selectorILNS1_17partition_subalgoE5ElNS0_10empty_typeEbEEZZNS1_14partition_implILS5_5ELb0ES3_mN6hipcub16HIPCUB_304000_NS21CountingInputIteratorIllEEPS6_NSA_22TransformInputIteratorIbN2at6native12_GLOBAL__N_19NonZeroOpIN3c107complexINSJ_4HalfEEEEEPKSM_lEENS0_5tupleIJPlS6_EEENSR_IJSD_SD_EEES6_PiJS6_EEE10hipError_tPvRmT3_T4_T5_T6_T7_T9_mT8_P12ihipStream_tbDpT10_ENKUlT_T0_E_clISt17integral_constantIbLb0EES1F_EEDaS1A_S1B_EUlS1A_E_NS1_11comp_targetILNS1_3genE10ELNS1_11target_archE1200ELNS1_3gpuE4ELNS1_3repE0EEENS1_30default_config_static_selectorELNS0_4arch9wavefront6targetE0EEEvT1_,@function
_ZN7rocprim17ROCPRIM_400000_NS6detail17trampoline_kernelINS0_14default_configENS1_25partition_config_selectorILNS1_17partition_subalgoE5ElNS0_10empty_typeEbEEZZNS1_14partition_implILS5_5ELb0ES3_mN6hipcub16HIPCUB_304000_NS21CountingInputIteratorIllEEPS6_NSA_22TransformInputIteratorIbN2at6native12_GLOBAL__N_19NonZeroOpIN3c107complexINSJ_4HalfEEEEEPKSM_lEENS0_5tupleIJPlS6_EEENSR_IJSD_SD_EEES6_PiJS6_EEE10hipError_tPvRmT3_T4_T5_T6_T7_T9_mT8_P12ihipStream_tbDpT10_ENKUlT_T0_E_clISt17integral_constantIbLb0EES1F_EEDaS1A_S1B_EUlS1A_E_NS1_11comp_targetILNS1_3genE10ELNS1_11target_archE1200ELNS1_3gpuE4ELNS1_3repE0EEENS1_30default_config_static_selectorELNS0_4arch9wavefront6targetE0EEEvT1_: ; @_ZN7rocprim17ROCPRIM_400000_NS6detail17trampoline_kernelINS0_14default_configENS1_25partition_config_selectorILNS1_17partition_subalgoE5ElNS0_10empty_typeEbEEZZNS1_14partition_implILS5_5ELb0ES3_mN6hipcub16HIPCUB_304000_NS21CountingInputIteratorIllEEPS6_NSA_22TransformInputIteratorIbN2at6native12_GLOBAL__N_19NonZeroOpIN3c107complexINSJ_4HalfEEEEEPKSM_lEENS0_5tupleIJPlS6_EEENSR_IJSD_SD_EEES6_PiJS6_EEE10hipError_tPvRmT3_T4_T5_T6_T7_T9_mT8_P12ihipStream_tbDpT10_ENKUlT_T0_E_clISt17integral_constantIbLb0EES1F_EEDaS1A_S1B_EUlS1A_E_NS1_11comp_targetILNS1_3genE10ELNS1_11target_archE1200ELNS1_3gpuE4ELNS1_3repE0EEENS1_30default_config_static_selectorELNS0_4arch9wavefront6targetE0EEEvT1_
; %bb.0:
	s_clause 0x3
	s_load_b128 s[8:11], s[0:1], 0x48
	s_load_b32 s16, s[0:1], 0x70
	s_load_b128 s[4:7], s[0:1], 0x8
	s_load_b64 s[2:3], s[0:1], 0x58
	s_mov_b32 s13, 0
	s_lshl_b32 s12, ttmp9, 10
	s_mov_b32 s15, s13
	v_lshrrev_b32_e32 v12, 2, v0
	v_or_b32_e32 v9, 0x200, v0
	v_or_b32_e32 v10, 0x300, v0
	v_and_b32_e32 v11, 0xf8, v0
	s_mov_b32 s19, -1
	s_wait_kmcnt 0x0
	s_load_b64 s[10:11], s[10:11], 0x0
	s_lshl_b32 s14, s16, 10
	s_add_co_i32 s16, s16, -1
	s_add_nc_u64 s[14:15], s[6:7], s[14:15]
	s_lshl_b32 s17, s16, 10
	v_cmp_le_u64_e64 s14, s[2:3], s[14:15]
	s_add_co_i32 s3, s6, s17
	s_cmp_eq_u32 ttmp9, s16
	s_add_nc_u64 s[4:5], s[6:7], s[4:5]
	s_cselect_b32 s16, -1, 0
	s_delay_alu instid0(SALU_CYCLE_1) | instskip(SKIP_2) | instid1(SALU_CYCLE_1)
	s_and_b32 s14, s16, s14
	s_wait_alu 0xfffe
	s_xor_b32 s17, s14, -1
	s_and_b32 vcc_lo, exec_lo, s17
	s_cbranch_vccz .LBB667_2
; %bb.1:
	v_or_b32_e32 v7, 0x100, v0
	v_or_b32_e32 v1, s12, v0
	v_lshrrev_b32_e32 v8, 2, v9
	v_lshrrev_b32_e32 v13, 2, v10
	v_and_b32_e32 v14, 56, v12
	v_lshrrev_b32_e32 v7, 2, v7
	v_add_co_u32 v1, s14, s4, v1
	s_wait_alu 0xf1ff
	v_add_co_ci_u32_e64 v2, null, s5, 0, s14
	v_lshlrev_b32_e32 v15, 3, v0
	v_and_b32_e32 v16, 0x78, v7
	v_add_co_u32 v3, vcc_lo, 0x100, v1
	v_and_b32_e32 v17, 0xb8, v8
	v_and_b32_e32 v13, 0xf8, v13
	v_add_co_ci_u32_e64 v4, null, 0, v2, vcc_lo
	v_add_co_u32 v5, vcc_lo, 0x200, v1
	v_add_nc_u32_e32 v14, v14, v15
	s_wait_alu 0xfffd
	v_add_co_ci_u32_e64 v6, null, 0, v2, vcc_lo
	v_add_co_u32 v7, vcc_lo, 0x300, v1
	v_add_nc_u32_e32 v16, v16, v15
	v_add_nc_u32_e32 v17, v17, v15
	s_wait_alu 0xfffd
	v_add_co_ci_u32_e64 v8, null, 0, v2, vcc_lo
	v_add_nc_u32_e32 v13, v13, v15
	ds_store_b64 v14, v[1:2]
	ds_store_b64 v16, v[3:4] offset:2048
	ds_store_b64 v17, v[5:6] offset:4096
	;; [unrolled: 1-line block ×3, first 2 shown]
	v_lshl_add_u32 v1, v0, 5, v11
	s_wait_dscnt 0x0
	s_barrier_signal -1
	s_barrier_wait -1
	global_inv scope:SCOPE_SE
	ds_load_2addr_b64 v[5:8], v1 offset1:1
	ds_load_2addr_b64 v[1:4], v1 offset0:2 offset1:3
	s_mov_b32 s19, s13
	s_branch .LBB667_3
.LBB667_2:
                                        ; implicit-def: $vgpr3_vgpr4
                                        ; implicit-def: $vgpr7_vgpr8
.LBB667_3:
	s_load_b64 s[14:15], s[0:1], 0x20
	s_sub_co_i32 s18, s2, s3
	s_and_not1_b32 vcc_lo, exec_lo, s19
	v_cmp_gt_u32_e64 s2, s18, v0
	s_wait_alu 0xfffe
	s_cbranch_vccnz .LBB667_5
; %bb.4:
	s_wait_dscnt 0x1
	v_or_b32_e32 v7, 0x100, v0
	s_add_nc_u64 s[4:5], s[4:5], s[12:13]
	v_lshrrev_b32_e32 v14, 2, v9
	s_wait_dscnt 0x0
	s_wait_alu 0xfffe
	v_add_co_u32 v1, s3, s4, v0
	s_wait_alu 0xf1ff
	v_add_co_ci_u32_e64 v2, null, s5, 0, s3
	v_add_co_u32 v3, s3, s4, v7
	s_wait_alu 0xf1ff
	v_add_co_ci_u32_e64 v4, null, s5, 0, s3
	v_cmp_gt_u32_e32 vcc_lo, s18, v7
	v_add_co_u32 v13, s3, s4, v10
	s_wait_alu 0xf1ff
	v_add_co_ci_u32_e64 v8, null, s5, 0, s3
	s_wait_alu 0xfffd
	v_dual_cndmask_b32 v4, 0, v4 :: v_dual_cndmask_b32 v3, 0, v3
	v_cmp_gt_u32_e32 vcc_lo, s18, v10
	v_lshrrev_b32_e32 v7, 2, v7
	v_lshrrev_b32_e32 v15, 2, v10
	v_cndmask_b32_e64 v2, 0, v2, s2
	v_cndmask_b32_e64 v1, 0, v1, s2
	v_add_co_u32 v5, s2, s4, v9
	v_and_b32_e32 v12, 56, v12
	v_lshlrev_b32_e32 v16, 3, v0
	s_wait_alu 0xfffd
	v_dual_cndmask_b32 v8, 0, v8 :: v_dual_and_b32 v17, 0x78, v7
	s_wait_alu 0xf1ff
	v_add_co_ci_u32_e64 v6, null, s5, 0, s2
	v_cmp_gt_u32_e64 s2, s18, v9
	v_and_b32_e32 v14, 0xb8, v14
	v_and_b32_e32 v15, 0xf8, v15
	v_dual_cndmask_b32 v7, 0, v13 :: v_dual_add_nc_u32 v12, v12, v16
	v_add_nc_u32_e32 v13, v17, v16
	s_wait_alu 0xf1ff
	v_cndmask_b32_e64 v6, 0, v6, s2
	v_cndmask_b32_e64 v5, 0, v5, s2
	v_add_nc_u32_e32 v14, v14, v16
	v_add_nc_u32_e32 v15, v15, v16
	ds_store_b64 v12, v[1:2]
	ds_store_b64 v13, v[3:4] offset:2048
	ds_store_b64 v14, v[5:6] offset:4096
	;; [unrolled: 1-line block ×3, first 2 shown]
	v_lshl_add_u32 v1, v0, 5, v11
	s_wait_loadcnt_dscnt 0x0
	s_barrier_signal -1
	s_barrier_wait -1
	global_inv scope:SCOPE_SE
	ds_load_2addr_b64 v[5:8], v1 offset1:1
	ds_load_2addr_b64 v[1:4], v1 offset0:2 offset1:3
.LBB667_5:
	s_lshl_b64 s[2:3], s[6:7], 2
	v_lshlrev_b32_e32 v11, 2, v0
	v_lshrrev_b32_e32 v26, 5, v0
	s_wait_kmcnt 0x0
	s_wait_alu 0xfffe
	s_add_nc_u64 s[2:3], s[14:15], s[2:3]
	s_lshl_b64 s[4:5], s[12:13], 2
	s_and_b32 vcc_lo, exec_lo, s17
	s_wait_alu 0xfffe
	s_add_nc_u64 s[2:3], s[2:3], s[4:5]
	s_mov_b32 s4, -1
	s_wait_loadcnt_dscnt 0x0
	s_barrier_signal -1
	s_barrier_wait -1
	global_inv scope:SCOPE_SE
	s_cbranch_vccz .LBB667_7
; %bb.6:
	s_clause 0x3
	global_load_b32 v12, v11, s[2:3]
	global_load_b32 v13, v11, s[2:3] offset:1024
	global_load_b32 v14, v11, s[2:3] offset:2048
	;; [unrolled: 1-line block ×3, first 2 shown]
	v_or_b32_e32 v16, 0x100, v0
	v_lshrrev_b32_e32 v17, 5, v9
	v_lshrrev_b32_e32 v19, 5, v10
	v_and_b32_e32 v18, 4, v26
	s_mov_b32 s4, 0
	v_lshrrev_b32_e32 v16, 5, v16
	v_and_b32_e32 v17, 20, v17
	v_and_b32_e32 v19, 28, v19
	v_add_nc_u32_e32 v18, v18, v0
	s_delay_alu instid0(VALU_DEP_4) | instskip(NEXT) | instid1(VALU_DEP_4)
	v_and_b32_e32 v16, 12, v16
	v_add_nc_u32_e32 v17, v17, v0
	s_delay_alu instid0(VALU_DEP_4) | instskip(NEXT) | instid1(VALU_DEP_3)
	v_add_nc_u32_e32 v19, v19, v0
	v_add_nc_u32_e32 v16, v16, v0
	s_wait_loadcnt 0x3
	v_lshrrev_b32_e32 v20, 16, v12
	s_wait_loadcnt 0x2
	v_lshrrev_b32_e32 v21, 16, v13
	;; [unrolled: 2-line block ×4, first 2 shown]
	v_or_b32_e32 v12, v12, v20
	v_or_b32_e32 v13, v13, v21
	;; [unrolled: 1-line block ×3, first 2 shown]
	s_delay_alu instid0(VALU_DEP_4) | instskip(NEXT) | instid1(VALU_DEP_4)
	v_or_b32_e32 v15, v15, v23
	v_and_b32_e32 v12, 0x7fff, v12
	s_delay_alu instid0(VALU_DEP_4) | instskip(NEXT) | instid1(VALU_DEP_4)
	v_and_b32_e32 v13, 0x7fff, v13
	v_and_b32_e32 v14, 0x7fff, v14
	s_delay_alu instid0(VALU_DEP_4) | instskip(NEXT) | instid1(VALU_DEP_4)
	v_and_b32_e32 v15, 0x7fff, v15
	v_cmp_ne_u16_e32 vcc_lo, 0, v12
	s_wait_alu 0xfffd
	v_cndmask_b32_e64 v12, 0, 1, vcc_lo
	v_cmp_ne_u16_e32 vcc_lo, 0, v13
	s_wait_alu 0xfffd
	v_cndmask_b32_e64 v13, 0, 1, vcc_lo
	v_cmp_ne_u16_e32 vcc_lo, 0, v14
	s_wait_alu 0xfffd
	v_cndmask_b32_e64 v14, 0, 1, vcc_lo
	v_cmp_ne_u16_e32 vcc_lo, 0, v15
	s_wait_alu 0xfffd
	v_cndmask_b32_e64 v15, 0, 1, vcc_lo
	ds_store_b8 v18, v12
	ds_store_b8 v16, v13 offset:256
	ds_store_b8 v17, v14 offset:512
	;; [unrolled: 1-line block ×3, first 2 shown]
	s_wait_dscnt 0x0
	s_barrier_signal -1
	s_barrier_wait -1
.LBB667_7:
	s_wait_alu 0xfffe
	s_and_not1_b32 vcc_lo, exec_lo, s4
	s_wait_alu 0xfffe
	s_cbranch_vccnz .LBB667_15
; %bb.8:
	v_dual_mov_b32 v12, 0 :: v_dual_mov_b32 v13, 0
	s_mov_b32 s4, exec_lo
	v_cmpx_gt_u32_e64 s18, v0
	s_cbranch_execz .LBB667_10
; %bb.9:
	global_load_b32 v12, v11, s[2:3]
	s_wait_loadcnt 0x0
	v_lshrrev_b32_e32 v13, 16, v12
	s_delay_alu instid0(VALU_DEP_1) | instskip(NEXT) | instid1(VALU_DEP_1)
	v_or_b32_e32 v12, v12, v13
	v_and_b32_e32 v12, 0x7fff, v12
	s_delay_alu instid0(VALU_DEP_1)
	v_cmp_ne_u16_e32 vcc_lo, 0, v12
	s_wait_alu 0xfffd
	v_cndmask_b32_e64 v12, 0, 1, vcc_lo
	v_cndmask_b32_e64 v13, 0, 1, vcc_lo
.LBB667_10:
	s_wait_alu 0xfffe
	s_or_b32 exec_lo, exec_lo, s4
	v_or_b32_e32 v14, 0x100, v0
	s_mov_b32 s4, exec_lo
	s_delay_alu instid0(VALU_DEP_1)
	v_cmpx_gt_u32_e64 s18, v14
	s_cbranch_execnz .LBB667_129
; %bb.11:
	s_wait_alu 0xfffe
	s_or_b32 exec_lo, exec_lo, s4
	s_delay_alu instid0(SALU_CYCLE_1)
	s_mov_b32 s4, exec_lo
	v_cmpx_gt_u32_e64 s18, v9
	s_cbranch_execnz .LBB667_130
.LBB667_12:
	s_wait_alu 0xfffe
	s_or_b32 exec_lo, exec_lo, s4
	s_delay_alu instid0(SALU_CYCLE_1)
	s_mov_b32 s4, exec_lo
	v_cmpx_gt_u32_e64 s18, v10
	s_cbranch_execz .LBB667_14
.LBB667_13:
	global_load_b32 v11, v11, s[2:3] offset:3072
	s_wait_loadcnt 0x0
	v_lshrrev_b32_e32 v15, 16, v11
	s_delay_alu instid0(VALU_DEP_1) | instskip(SKIP_1) | instid1(VALU_DEP_2)
	v_or_b32_e32 v11, v11, v15
	v_lshrrev_b32_e32 v15, 16, v13
	v_and_b32_e32 v11, 0x7fff, v11
	s_delay_alu instid0(VALU_DEP_1) | instskip(SKIP_2) | instid1(VALU_DEP_1)
	v_cmp_ne_u16_e32 vcc_lo, 0, v11
	s_wait_alu 0xfffd
	v_cndmask_b32_e64 v11, 0, 1, vcc_lo
	v_lshlrev_b16 v11, 8, v11
	s_delay_alu instid0(VALU_DEP_1) | instskip(NEXT) | instid1(VALU_DEP_1)
	v_or_b32_e32 v11, v15, v11
	v_lshlrev_b32_e32 v11, 16, v11
	s_delay_alu instid0(VALU_DEP_1)
	v_and_or_b32 v13, 0xffff, v13, v11
.LBB667_14:
	s_wait_alu 0xfffe
	s_or_b32 exec_lo, exec_lo, s4
	v_lshrrev_b32_e32 v11, 5, v14
	v_lshrrev_b32_e32 v9, 5, v9
	;; [unrolled: 1-line block ×3, first 2 shown]
	v_and_b32_e32 v14, 4, v26
	v_lshrrev_b32_e32 v15, 8, v13
	v_and_b32_e32 v11, 12, v11
	v_and_b32_e32 v9, 28, v9
	;; [unrolled: 1-line block ×3, first 2 shown]
	v_add_nc_u32_e32 v14, v14, v0
	v_lshrrev_b32_e32 v16, 24, v13
	v_add_nc_u32_e32 v11, v11, v0
	v_add_nc_u32_e32 v9, v9, v0
	;; [unrolled: 1-line block ×3, first 2 shown]
	ds_store_b8 v14, v12
	ds_store_b8 v11, v15 offset:256
	ds_store_b8_d16_hi v9, v13 offset:512
	ds_store_b8 v10, v16 offset:768
	s_wait_loadcnt_dscnt 0x0
	s_barrier_signal -1
	s_barrier_wait -1
.LBB667_15:
	v_lshrrev_b32_e32 v9, 3, v0
	s_wait_loadcnt 0x0
	global_inv scope:SCOPE_SE
	s_load_b64 s[6:7], s[0:1], 0x68
	v_mbcnt_lo_u32_b32 v31, -1, 0
	s_cmp_lg_u32 ttmp9, 0
	v_dual_mov_b32 v10, 0 :: v_dual_and_b32 v9, 28, v9
	s_mov_b32 s3, -1
	s_delay_alu instid0(VALU_DEP_2) | instskip(NEXT) | instid1(VALU_DEP_2)
	v_and_b32_e32 v32, 15, v31
	v_lshl_add_u32 v9, v0, 2, v9
	ds_load_b32 v27, v9
	s_wait_loadcnt_dscnt 0x0
	s_barrier_signal -1
	s_barrier_wait -1
	global_inv scope:SCOPE_SE
	v_and_b32_e32 v30, 0xff, v27
	v_bfe_u32 v29, v27, 8, 8
	v_bfe_u32 v28, v27, 16, 8
	v_lshrrev_b32_e32 v25, 24, v27
	s_delay_alu instid0(VALU_DEP_2) | instskip(NEXT) | instid1(VALU_DEP_1)
	v_add3_u32 v9, v29, v30, v28
	v_add_co_u32 v17, s2, v9, v25
	s_wait_alu 0xf1ff
	v_add_co_ci_u32_e64 v18, null, 0, 0, s2
	v_cmp_ne_u32_e64 s2, 0, v32
	s_cbranch_scc0 .LBB667_72
; %bb.16:
	v_mov_b32_e32 v11, v17
	v_mov_b32_dpp v9, v17 row_shr:1 row_mask:0xf bank_mask:0xf
	v_mov_b32_dpp v14, v10 row_shr:1 row_mask:0xf bank_mask:0xf
	v_dual_mov_b32 v13, v17 :: v_dual_mov_b32 v12, v18
	s_and_saveexec_b32 s3, s2
; %bb.17:
	s_delay_alu instid0(VALU_DEP_3) | instskip(SKIP_2) | instid1(VALU_DEP_2)
	v_add_co_u32 v13, vcc_lo, v17, v9
	s_wait_alu 0xfffd
	v_add_co_ci_u32_e64 v10, null, 0, v18, vcc_lo
	v_add_co_u32 v9, vcc_lo, 0, v13
	s_wait_alu 0xfffd
	s_delay_alu instid0(VALU_DEP_2) | instskip(NEXT) | instid1(VALU_DEP_1)
	v_add_co_ci_u32_e64 v10, null, v14, v10, vcc_lo
	v_dual_mov_b32 v12, v10 :: v_dual_mov_b32 v11, v9
; %bb.18:
	s_wait_alu 0xfffe
	s_or_b32 exec_lo, exec_lo, s3
	v_mov_b32_dpp v9, v13 row_shr:2 row_mask:0xf bank_mask:0xf
	v_mov_b32_dpp v14, v10 row_shr:2 row_mask:0xf bank_mask:0xf
	s_mov_b32 s3, exec_lo
	v_cmpx_lt_u32_e32 1, v32
; %bb.19:
	s_delay_alu instid0(VALU_DEP_3) | instskip(SKIP_2) | instid1(VALU_DEP_2)
	v_add_co_u32 v13, vcc_lo, v11, v9
	s_wait_alu 0xfffd
	v_add_co_ci_u32_e64 v10, null, 0, v12, vcc_lo
	v_add_co_u32 v9, vcc_lo, 0, v13
	s_wait_alu 0xfffd
	s_delay_alu instid0(VALU_DEP_2) | instskip(NEXT) | instid1(VALU_DEP_1)
	v_add_co_ci_u32_e64 v10, null, v14, v10, vcc_lo
	v_dual_mov_b32 v12, v10 :: v_dual_mov_b32 v11, v9
; %bb.20:
	s_wait_alu 0xfffe
	s_or_b32 exec_lo, exec_lo, s3
	v_mov_b32_dpp v9, v13 row_shr:4 row_mask:0xf bank_mask:0xf
	v_mov_b32_dpp v14, v10 row_shr:4 row_mask:0xf bank_mask:0xf
	s_mov_b32 s3, exec_lo
	v_cmpx_lt_u32_e32 3, v32
	;; [unrolled: 17-line block ×3, first 2 shown]
; %bb.23:
	s_delay_alu instid0(VALU_DEP_3) | instskip(SKIP_2) | instid1(VALU_DEP_2)
	v_add_co_u32 v13, vcc_lo, v11, v14
	s_wait_alu 0xfffd
	v_add_co_ci_u32_e64 v10, null, 0, v12, vcc_lo
	v_add_co_u32 v11, vcc_lo, 0, v13
	s_wait_alu 0xfffd
	s_delay_alu instid0(VALU_DEP_2) | instskip(NEXT) | instid1(VALU_DEP_1)
	v_add_co_ci_u32_e64 v12, null, v9, v10, vcc_lo
	v_mov_b32_e32 v10, v12
; %bb.24:
	s_wait_alu 0xfffe
	s_or_b32 exec_lo, exec_lo, s3
	ds_swizzle_b32 v9, v13 offset:swizzle(BROADCAST,32,15)
	ds_swizzle_b32 v14, v10 offset:swizzle(BROADCAST,32,15)
	v_and_b32_e32 v15, 16, v31
	s_mov_b32 s3, exec_lo
	s_delay_alu instid0(VALU_DEP_1)
	v_cmpx_ne_u32_e32 0, v15
	s_cbranch_execz .LBB667_26
; %bb.25:
	s_wait_dscnt 0x1
	v_add_co_u32 v13, vcc_lo, v11, v9
	s_wait_alu 0xfffd
	v_add_co_ci_u32_e64 v10, null, 0, v12, vcc_lo
	s_delay_alu instid0(VALU_DEP_2) | instskip(SKIP_2) | instid1(VALU_DEP_2)
	v_add_co_u32 v9, vcc_lo, 0, v13
	s_wait_dscnt 0x0
	s_wait_alu 0xfffd
	v_add_co_ci_u32_e64 v10, null, v14, v10, vcc_lo
	s_delay_alu instid0(VALU_DEP_1)
	v_dual_mov_b32 v12, v10 :: v_dual_mov_b32 v11, v9
.LBB667_26:
	s_wait_alu 0xfffe
	s_or_b32 exec_lo, exec_lo, s3
	s_wait_dscnt 0x1
	v_or_b32_e32 v9, 31, v0
	s_mov_b32 s3, exec_lo
	s_delay_alu instid0(VALU_DEP_1)
	v_cmpx_eq_u32_e64 v0, v9
; %bb.27:
	v_lshlrev_b32_e32 v9, 3, v26
	ds_store_b64 v9, v[11:12]
; %bb.28:
	s_wait_alu 0xfffe
	s_or_b32 exec_lo, exec_lo, s3
	s_delay_alu instid0(SALU_CYCLE_1)
	s_mov_b32 s3, exec_lo
	s_wait_loadcnt_dscnt 0x0
	s_barrier_signal -1
	s_barrier_wait -1
	global_inv scope:SCOPE_SE
	v_cmpx_gt_u32_e32 8, v0
	s_cbranch_execz .LBB667_36
; %bb.29:
	v_lshlrev_b32_e32 v9, 3, v0
	s_mov_b32 s4, exec_lo
	ds_load_b64 v[11:12], v9
	s_wait_dscnt 0x0
	v_dual_mov_b32 v15, v11 :: v_dual_and_b32 v14, 7, v31
	v_mov_b32_dpp v19, v11 row_shr:1 row_mask:0xf bank_mask:0xf
	v_mov_b32_dpp v16, v12 row_shr:1 row_mask:0xf bank_mask:0xf
	s_delay_alu instid0(VALU_DEP_3)
	v_cmpx_ne_u32_e32 0, v14
; %bb.30:
	s_delay_alu instid0(VALU_DEP_3) | instskip(SKIP_2) | instid1(VALU_DEP_2)
	v_add_co_u32 v15, vcc_lo, v11, v19
	s_wait_alu 0xfffd
	v_add_co_ci_u32_e64 v12, null, 0, v12, vcc_lo
	v_add_co_u32 v11, vcc_lo, 0, v15
	s_wait_alu 0xfffd
	s_delay_alu instid0(VALU_DEP_2)
	v_add_co_ci_u32_e64 v12, null, v16, v12, vcc_lo
; %bb.31:
	s_wait_alu 0xfffe
	s_or_b32 exec_lo, exec_lo, s4
	v_mov_b32_dpp v19, v15 row_shr:2 row_mask:0xf bank_mask:0xf
	s_delay_alu instid0(VALU_DEP_2)
	v_mov_b32_dpp v16, v12 row_shr:2 row_mask:0xf bank_mask:0xf
	s_mov_b32 s4, exec_lo
	v_cmpx_lt_u32_e32 1, v14
; %bb.32:
	s_delay_alu instid0(VALU_DEP_3) | instskip(SKIP_2) | instid1(VALU_DEP_2)
	v_add_co_u32 v15, vcc_lo, v11, v19
	s_wait_alu 0xfffd
	v_add_co_ci_u32_e64 v12, null, 0, v12, vcc_lo
	v_add_co_u32 v11, vcc_lo, 0, v15
	s_wait_alu 0xfffd
	s_delay_alu instid0(VALU_DEP_2)
	v_add_co_ci_u32_e64 v12, null, v16, v12, vcc_lo
; %bb.33:
	s_wait_alu 0xfffe
	s_or_b32 exec_lo, exec_lo, s4
	v_mov_b32_dpp v16, v15 row_shr:4 row_mask:0xf bank_mask:0xf
	s_delay_alu instid0(VALU_DEP_2)
	v_mov_b32_dpp v15, v12 row_shr:4 row_mask:0xf bank_mask:0xf
	s_mov_b32 s4, exec_lo
	v_cmpx_lt_u32_e32 3, v14
; %bb.34:
	s_delay_alu instid0(VALU_DEP_3) | instskip(SKIP_2) | instid1(VALU_DEP_2)
	v_add_co_u32 v11, vcc_lo, v11, v16
	s_wait_alu 0xfffd
	v_add_co_ci_u32_e64 v12, null, 0, v12, vcc_lo
	v_add_co_u32 v11, vcc_lo, v11, 0
	s_wait_alu 0xfffd
	s_delay_alu instid0(VALU_DEP_2)
	v_add_co_ci_u32_e64 v12, null, v12, v15, vcc_lo
; %bb.35:
	s_wait_alu 0xfffe
	s_or_b32 exec_lo, exec_lo, s4
	ds_store_b64 v9, v[11:12]
.LBB667_36:
	s_wait_alu 0xfffe
	s_or_b32 exec_lo, exec_lo, s3
	s_delay_alu instid0(SALU_CYCLE_1)
	s_mov_b32 s4, exec_lo
	v_cmp_gt_u32_e32 vcc_lo, 32, v0
	s_wait_loadcnt_dscnt 0x0
	s_barrier_signal -1
	s_barrier_wait -1
	global_inv scope:SCOPE_SE
                                        ; implicit-def: $vgpr19_vgpr20
	v_cmpx_lt_u32_e32 31, v0
	s_cbranch_execz .LBB667_38
; %bb.37:
	v_lshl_add_u32 v9, v26, 3, -8
	ds_load_b64 v[19:20], v9
	s_wait_dscnt 0x0
	v_add_co_u32 v13, s3, v13, v19
	s_wait_alu 0xf1ff
	v_add_co_ci_u32_e64 v10, null, v10, v20, s3
.LBB667_38:
	s_wait_alu 0xfffe
	s_or_b32 exec_lo, exec_lo, s4
	v_sub_co_u32 v9, s3, v31, 1
	s_delay_alu instid0(VALU_DEP_1) | instskip(SKIP_1) | instid1(VALU_DEP_1)
	v_cmp_gt_i32_e64 s4, 0, v9
	s_wait_alu 0xf1ff
	v_cndmask_b32_e64 v9, v9, v31, s4
	s_delay_alu instid0(VALU_DEP_1)
	v_lshlrev_b32_e32 v9, 2, v9
	ds_bpermute_b32 v33, v9, v13
	ds_bpermute_b32 v34, v9, v10
	s_and_saveexec_b32 s4, vcc_lo
	s_cbranch_execz .LBB667_77
; %bb.39:
	v_mov_b32_e32 v12, 0
	ds_load_b64 v[9:10], v12 offset:56
	s_and_saveexec_b32 s5, s3
	s_cbranch_execz .LBB667_41
; %bb.40:
	s_add_co_i32 s12, ttmp9, 32
	s_wait_alu 0xfffe
	s_lshl_b64 s[12:13], s[12:13], 4
	s_wait_kmcnt 0x0
	s_wait_alu 0xfffe
	s_add_nc_u64 s[12:13], s[6:7], s[12:13]
	s_wait_alu 0xfffe
	v_dual_mov_b32 v11, 1 :: v_dual_mov_b32 v14, s13
	v_mov_b32_e32 v13, s12
	s_wait_dscnt 0x0
	;;#ASMSTART
	global_store_b128 v[13:14], v[9:12] off scope:SCOPE_DEV	
s_wait_storecnt 0x0
	;;#ASMEND
.LBB667_41:
	s_wait_alu 0xfffe
	s_or_b32 exec_lo, exec_lo, s5
	v_xad_u32 v21, v31, -1, ttmp9
	s_mov_b32 s12, 0
	s_mov_b32 s5, exec_lo
	s_delay_alu instid0(VALU_DEP_1) | instskip(NEXT) | instid1(VALU_DEP_1)
	v_add_nc_u32_e32 v11, 32, v21
	v_lshlrev_b64_e32 v[11:12], 4, v[11:12]
	s_wait_kmcnt 0x0
	s_delay_alu instid0(VALU_DEP_1) | instskip(SKIP_1) | instid1(VALU_DEP_2)
	v_add_co_u32 v11, vcc_lo, s6, v11
	s_wait_alu 0xfffd
	v_add_co_ci_u32_e64 v12, null, s7, v12, vcc_lo
	;;#ASMSTART
	global_load_b128 v[13:16], v[11:12] off scope:SCOPE_DEV	
s_wait_loadcnt 0x0
	;;#ASMEND
	v_and_b32_e32 v16, 0xff, v15
	s_delay_alu instid0(VALU_DEP_1)
	v_cmpx_eq_u16_e32 0, v16
	s_cbranch_execz .LBB667_44
.LBB667_42:                             ; =>This Inner Loop Header: Depth=1
	;;#ASMSTART
	global_load_b128 v[13:16], v[11:12] off scope:SCOPE_DEV	
s_wait_loadcnt 0x0
	;;#ASMEND
	v_and_b32_e32 v16, 0xff, v15
	s_delay_alu instid0(VALU_DEP_1)
	v_cmp_ne_u16_e32 vcc_lo, 0, v16
	s_wait_alu 0xfffe
	s_or_b32 s12, vcc_lo, s12
	s_wait_alu 0xfffe
	s_and_not1_b32 exec_lo, exec_lo, s12
	s_cbranch_execnz .LBB667_42
; %bb.43:
	s_or_b32 exec_lo, exec_lo, s12
.LBB667_44:
	s_wait_alu 0xfffe
	s_or_b32 exec_lo, exec_lo, s5
	v_cmp_ne_u32_e32 vcc_lo, 31, v31
	v_and_b32_e32 v12, 0xff, v15
	v_lshlrev_b32_e64 v36, v31, -1
	s_mov_b32 s5, exec_lo
	s_wait_alu 0xfffd
	v_add_co_ci_u32_e64 v11, null, 0, v31, vcc_lo
	v_cmp_eq_u16_e32 vcc_lo, 2, v12
	s_delay_alu instid0(VALU_DEP_2)
	v_dual_mov_b32 v12, v13 :: v_dual_lshlrev_b32 v35, 2, v11
	s_wait_alu 0xfffd
	v_and_or_b32 v11, vcc_lo, v36, 0x80000000
	ds_bpermute_b32 v22, v35, v13
	ds_bpermute_b32 v16, v35, v14
	v_ctz_i32_b32_e32 v11, v11
	s_delay_alu instid0(VALU_DEP_1)
	v_cmpx_lt_u32_e64 v31, v11
	s_cbranch_execz .LBB667_46
; %bb.45:
	s_wait_dscnt 0x1
	v_add_co_u32 v12, vcc_lo, v13, v22
	s_wait_alu 0xfffd
	v_add_co_ci_u32_e64 v14, null, 0, v14, vcc_lo
	s_delay_alu instid0(VALU_DEP_2) | instskip(SKIP_2) | instid1(VALU_DEP_2)
	v_add_co_u32 v13, vcc_lo, 0, v12
	s_wait_dscnt 0x0
	s_wait_alu 0xfffd
	v_add_co_ci_u32_e64 v14, null, v16, v14, vcc_lo
.LBB667_46:
	s_wait_alu 0xfffe
	s_or_b32 exec_lo, exec_lo, s5
	v_cmp_gt_u32_e32 vcc_lo, 30, v31
	v_add_nc_u32_e32 v38, 2, v31
	s_mov_b32 s5, exec_lo
	s_wait_dscnt 0x0
	s_wait_alu 0xfffd
	v_cndmask_b32_e64 v16, 0, 2, vcc_lo
	s_delay_alu instid0(VALU_DEP_1)
	v_add_lshl_u32 v37, v16, v31, 2
	ds_bpermute_b32 v22, v37, v12
	ds_bpermute_b32 v16, v37, v14
	v_cmpx_le_u32_e64 v38, v11
	s_cbranch_execz .LBB667_48
; %bb.47:
	s_wait_dscnt 0x1
	v_add_co_u32 v12, vcc_lo, v13, v22
	s_wait_alu 0xfffd
	v_add_co_ci_u32_e64 v14, null, 0, v14, vcc_lo
	s_delay_alu instid0(VALU_DEP_2) | instskip(SKIP_2) | instid1(VALU_DEP_2)
	v_add_co_u32 v13, vcc_lo, 0, v12
	s_wait_dscnt 0x0
	s_wait_alu 0xfffd
	v_add_co_ci_u32_e64 v14, null, v16, v14, vcc_lo
.LBB667_48:
	s_wait_alu 0xfffe
	s_or_b32 exec_lo, exec_lo, s5
	v_cmp_gt_u32_e32 vcc_lo, 28, v31
	v_add_nc_u32_e32 v40, 4, v31
	s_mov_b32 s5, exec_lo
	s_wait_dscnt 0x0
	s_wait_alu 0xfffd
	v_cndmask_b32_e64 v16, 0, 4, vcc_lo
	s_delay_alu instid0(VALU_DEP_1)
	v_add_lshl_u32 v39, v16, v31, 2
	ds_bpermute_b32 v22, v39, v12
	ds_bpermute_b32 v16, v39, v14
	v_cmpx_le_u32_e64 v40, v11
	;; [unrolled: 25-line block ×3, first 2 shown]
	s_cbranch_execz .LBB667_52
; %bb.51:
	s_wait_dscnt 0x1
	v_add_co_u32 v12, vcc_lo, v13, v22
	s_wait_alu 0xfffd
	v_add_co_ci_u32_e64 v14, null, 0, v14, vcc_lo
	s_delay_alu instid0(VALU_DEP_2) | instskip(SKIP_2) | instid1(VALU_DEP_2)
	v_add_co_u32 v13, vcc_lo, 0, v12
	s_wait_dscnt 0x0
	s_wait_alu 0xfffd
	v_add_co_ci_u32_e64 v14, null, v16, v14, vcc_lo
.LBB667_52:
	s_wait_alu 0xfffe
	s_or_b32 exec_lo, exec_lo, s5
	v_lshl_or_b32 v43, v31, 2, 64
	v_add_nc_u32_e32 v44, 16, v31
	s_mov_b32 s5, exec_lo
	s_wait_dscnt 0x0
	ds_bpermute_b32 v16, v43, v12
	ds_bpermute_b32 v12, v43, v14
	v_cmpx_le_u32_e64 v44, v11
	s_cbranch_execz .LBB667_54
; %bb.53:
	s_wait_dscnt 0x1
	v_add_co_u32 v11, vcc_lo, v13, v16
	s_wait_alu 0xfffd
	v_add_co_ci_u32_e64 v14, null, 0, v14, vcc_lo
	s_delay_alu instid0(VALU_DEP_2) | instskip(SKIP_2) | instid1(VALU_DEP_2)
	v_add_co_u32 v13, vcc_lo, v11, 0
	s_wait_dscnt 0x0
	s_wait_alu 0xfffd
	v_add_co_ci_u32_e64 v14, null, v14, v12, vcc_lo
.LBB667_54:
	s_wait_alu 0xfffe
	s_or_b32 exec_lo, exec_lo, s5
	v_mov_b32_e32 v22, 0
	s_branch .LBB667_57
.LBB667_55:                             ;   in Loop: Header=BB667_57 Depth=1
	s_wait_alu 0xfffe
	s_or_b32 exec_lo, exec_lo, s5
	v_add_co_u32 v13, vcc_lo, v13, v11
	v_subrev_nc_u32_e32 v21, 32, v21
	s_wait_alu 0xfffd
	v_add_co_ci_u32_e64 v14, null, v14, v12, vcc_lo
	s_mov_b32 s5, 0
.LBB667_56:                             ;   in Loop: Header=BB667_57 Depth=1
	s_wait_alu 0xfffe
	s_and_b32 vcc_lo, exec_lo, s5
	s_wait_alu 0xfffe
	s_cbranch_vccnz .LBB667_73
.LBB667_57:                             ; =>This Loop Header: Depth=1
                                        ;     Child Loop BB667_60 Depth 2
	v_and_b32_e32 v11, 0xff, v15
	s_mov_b32 s5, -1
	s_delay_alu instid0(VALU_DEP_1)
	v_cmp_ne_u16_e32 vcc_lo, 2, v11
	s_wait_dscnt 0x0
	v_dual_mov_b32 v11, v13 :: v_dual_mov_b32 v12, v14
                                        ; implicit-def: $vgpr13_vgpr14
	s_cmp_lg_u32 vcc_lo, exec_lo
	s_cbranch_scc1 .LBB667_56
; %bb.58:                               ;   in Loop: Header=BB667_57 Depth=1
	v_lshlrev_b64_e32 v[13:14], 4, v[21:22]
	s_mov_b32 s5, exec_lo
	s_delay_alu instid0(VALU_DEP_1) | instskip(SKIP_1) | instid1(VALU_DEP_2)
	v_add_co_u32 v23, vcc_lo, s6, v13
	s_wait_alu 0xfffd
	v_add_co_ci_u32_e64 v24, null, s7, v14, vcc_lo
	;;#ASMSTART
	global_load_b128 v[13:16], v[23:24] off scope:SCOPE_DEV	
s_wait_loadcnt 0x0
	;;#ASMEND
	v_and_b32_e32 v16, 0xff, v15
	s_delay_alu instid0(VALU_DEP_1)
	v_cmpx_eq_u16_e32 0, v16
	s_cbranch_execz .LBB667_62
; %bb.59:                               ;   in Loop: Header=BB667_57 Depth=1
	s_mov_b32 s12, 0
.LBB667_60:                             ;   Parent Loop BB667_57 Depth=1
                                        ; =>  This Inner Loop Header: Depth=2
	;;#ASMSTART
	global_load_b128 v[13:16], v[23:24] off scope:SCOPE_DEV	
s_wait_loadcnt 0x0
	;;#ASMEND
	v_and_b32_e32 v16, 0xff, v15
	s_delay_alu instid0(VALU_DEP_1)
	v_cmp_ne_u16_e32 vcc_lo, 0, v16
	s_wait_alu 0xfffe
	s_or_b32 s12, vcc_lo, s12
	s_wait_alu 0xfffe
	s_and_not1_b32 exec_lo, exec_lo, s12
	s_cbranch_execnz .LBB667_60
; %bb.61:                               ;   in Loop: Header=BB667_57 Depth=1
	s_or_b32 exec_lo, exec_lo, s12
.LBB667_62:                             ;   in Loop: Header=BB667_57 Depth=1
	s_wait_alu 0xfffe
	s_or_b32 exec_lo, exec_lo, s5
	v_dual_mov_b32 v23, v13 :: v_dual_and_b32 v16, 0xff, v15
	ds_bpermute_b32 v45, v35, v13
	ds_bpermute_b32 v24, v35, v14
	s_mov_b32 s5, exec_lo
	v_cmp_eq_u16_e32 vcc_lo, 2, v16
	s_wait_alu 0xfffd
	v_and_or_b32 v16, vcc_lo, v36, 0x80000000
	s_delay_alu instid0(VALU_DEP_1) | instskip(NEXT) | instid1(VALU_DEP_1)
	v_ctz_i32_b32_e32 v16, v16
	v_cmpx_lt_u32_e64 v31, v16
	s_cbranch_execz .LBB667_64
; %bb.63:                               ;   in Loop: Header=BB667_57 Depth=1
	s_wait_dscnt 0x1
	v_add_co_u32 v23, vcc_lo, v13, v45
	s_wait_alu 0xfffd
	v_add_co_ci_u32_e64 v14, null, 0, v14, vcc_lo
	s_delay_alu instid0(VALU_DEP_2) | instskip(SKIP_2) | instid1(VALU_DEP_2)
	v_add_co_u32 v13, vcc_lo, 0, v23
	s_wait_dscnt 0x0
	s_wait_alu 0xfffd
	v_add_co_ci_u32_e64 v14, null, v24, v14, vcc_lo
.LBB667_64:                             ;   in Loop: Header=BB667_57 Depth=1
	s_wait_alu 0xfffe
	s_or_b32 exec_lo, exec_lo, s5
	s_wait_dscnt 0x1
	ds_bpermute_b32 v45, v37, v23
	s_wait_dscnt 0x1
	ds_bpermute_b32 v24, v37, v14
	s_mov_b32 s5, exec_lo
	v_cmpx_le_u32_e64 v38, v16
	s_cbranch_execz .LBB667_66
; %bb.65:                               ;   in Loop: Header=BB667_57 Depth=1
	s_wait_dscnt 0x1
	v_add_co_u32 v23, vcc_lo, v13, v45
	s_wait_alu 0xfffd
	v_add_co_ci_u32_e64 v14, null, 0, v14, vcc_lo
	s_delay_alu instid0(VALU_DEP_2) | instskip(SKIP_2) | instid1(VALU_DEP_2)
	v_add_co_u32 v13, vcc_lo, 0, v23
	s_wait_dscnt 0x0
	s_wait_alu 0xfffd
	v_add_co_ci_u32_e64 v14, null, v24, v14, vcc_lo
.LBB667_66:                             ;   in Loop: Header=BB667_57 Depth=1
	s_wait_alu 0xfffe
	s_or_b32 exec_lo, exec_lo, s5
	s_wait_dscnt 0x1
	ds_bpermute_b32 v45, v39, v23
	s_wait_dscnt 0x1
	ds_bpermute_b32 v24, v39, v14
	s_mov_b32 s5, exec_lo
	v_cmpx_le_u32_e64 v40, v16
	;; [unrolled: 20-line block ×3, first 2 shown]
	s_cbranch_execz .LBB667_70
; %bb.69:                               ;   in Loop: Header=BB667_57 Depth=1
	s_wait_dscnt 0x1
	v_add_co_u32 v23, vcc_lo, v13, v45
	s_wait_alu 0xfffd
	v_add_co_ci_u32_e64 v14, null, 0, v14, vcc_lo
	s_delay_alu instid0(VALU_DEP_2) | instskip(SKIP_2) | instid1(VALU_DEP_2)
	v_add_co_u32 v13, vcc_lo, 0, v23
	s_wait_dscnt 0x0
	s_wait_alu 0xfffd
	v_add_co_ci_u32_e64 v14, null, v24, v14, vcc_lo
.LBB667_70:                             ;   in Loop: Header=BB667_57 Depth=1
	s_wait_alu 0xfffe
	s_or_b32 exec_lo, exec_lo, s5
	s_wait_dscnt 0x0
	ds_bpermute_b32 v24, v43, v23
	ds_bpermute_b32 v23, v43, v14
	s_mov_b32 s5, exec_lo
	v_cmpx_le_u32_e64 v44, v16
	s_cbranch_execz .LBB667_55
; %bb.71:                               ;   in Loop: Header=BB667_57 Depth=1
	s_wait_dscnt 0x1
	v_add_co_u32 v13, vcc_lo, v13, v24
	s_wait_alu 0xfffd
	v_add_co_ci_u32_e64 v14, null, 0, v14, vcc_lo
	s_delay_alu instid0(VALU_DEP_2) | instskip(SKIP_2) | instid1(VALU_DEP_2)
	v_add_co_u32 v13, vcc_lo, v13, 0
	s_wait_dscnt 0x0
	s_wait_alu 0xfffd
	v_add_co_ci_u32_e64 v14, null, v14, v23, vcc_lo
	s_branch .LBB667_55
.LBB667_72:
                                        ; implicit-def: $vgpr15_vgpr16
                                        ; implicit-def: $vgpr13_vgpr14
                                        ; implicit-def: $vgpr19_vgpr20
                                        ; implicit-def: $vgpr21_vgpr22
                                        ; implicit-def: $vgpr11_vgpr12
	s_load_b64 s[4:5], s[0:1], 0x30
	s_and_b32 vcc_lo, exec_lo, s3
	s_wait_alu 0xfffe
	s_cbranch_vccnz .LBB667_78
	s_branch .LBB667_103
.LBB667_73:
	s_and_saveexec_b32 s5, s3
	s_cbranch_execz .LBB667_75
; %bb.74:
	s_add_co_i32 s12, ttmp9, 32
	s_mov_b32 s13, 0
	v_add_co_u32 v13, vcc_lo, v11, v9
	s_wait_alu 0xfffe
	s_lshl_b64 s[12:13], s[12:13], 4
	v_dual_mov_b32 v15, 2 :: v_dual_mov_b32 v16, 0
	s_wait_alu 0xfffe
	s_add_nc_u64 s[12:13], s[6:7], s[12:13]
	s_wait_alu 0xfffd
	v_add_co_ci_u32_e64 v14, null, v12, v10, vcc_lo
	s_wait_alu 0xfffe
	v_dual_mov_b32 v22, s13 :: v_dual_mov_b32 v21, s12
	;;#ASMSTART
	global_store_b128 v[21:22], v[13:16] off scope:SCOPE_DEV	
s_wait_storecnt 0x0
	;;#ASMEND
	ds_store_b128 v16, v[9:12] offset:8448
.LBB667_75:
	s_wait_alu 0xfffe
	s_or_b32 exec_lo, exec_lo, s5
	v_cmp_eq_u32_e32 vcc_lo, 0, v0
	s_and_b32 exec_lo, exec_lo, vcc_lo
; %bb.76:
	v_mov_b32_e32 v9, 0
	ds_store_b64 v9, v[11:12] offset:56
.LBB667_77:
	s_wait_alu 0xfffe
	s_or_b32 exec_lo, exec_lo, s4
	s_wait_dscnt 0x1
	v_cndmask_b32_e64 v10, v33, v19, s3
	v_cmp_ne_u32_e32 vcc_lo, 0, v0
	v_mov_b32_e32 v9, 0
	s_wait_loadcnt_dscnt 0x0
	s_barrier_signal -1
	s_barrier_wait -1
	global_inv scope:SCOPE_SE
	s_wait_alu 0xfffd
	v_cndmask_b32_e32 v16, 0, v10, vcc_lo
	ds_load_b64 v[13:14], v9 offset:56
	v_cndmask_b32_e64 v11, v34, v20, s3
	s_wait_loadcnt_dscnt 0x0
	s_barrier_signal -1
	s_barrier_wait -1
	global_inv scope:SCOPE_SE
	v_cndmask_b32_e32 v15, 0, v11, vcc_lo
	ds_load_b128 v[9:12], v9 offset:8448
	v_add_co_u32 v21, vcc_lo, v13, v16
	s_wait_alu 0xfffd
	v_add_co_ci_u32_e64 v22, null, v14, v15, vcc_lo
	s_delay_alu instid0(VALU_DEP_2) | instskip(SKIP_1) | instid1(VALU_DEP_2)
	v_add_co_u32 v19, vcc_lo, v21, v30
	s_wait_alu 0xfffd
	v_add_co_ci_u32_e64 v20, null, 0, v22, vcc_lo
	s_delay_alu instid0(VALU_DEP_2) | instskip(SKIP_1) | instid1(VALU_DEP_2)
	v_add_co_u32 v13, vcc_lo, v19, v29
	s_wait_alu 0xfffd
	v_add_co_ci_u32_e64 v14, null, 0, v20, vcc_lo
	s_delay_alu instid0(VALU_DEP_2) | instskip(SKIP_1) | instid1(VALU_DEP_2)
	v_add_co_u32 v15, vcc_lo, v13, v28
	s_wait_alu 0xfffd
	v_add_co_ci_u32_e64 v16, null, 0, v14, vcc_lo
	s_load_b64 s[4:5], s[0:1], 0x30
	s_branch .LBB667_103
.LBB667_78:
	s_wait_dscnt 0x0
	v_dual_mov_b32 v10, 0 :: v_dual_mov_b32 v11, v17
	v_mov_b32_dpp v12, v17 row_shr:1 row_mask:0xf bank_mask:0xf
	s_delay_alu instid0(VALU_DEP_2)
	v_mov_b32_dpp v9, v10 row_shr:1 row_mask:0xf bank_mask:0xf
	s_and_saveexec_b32 s0, s2
; %bb.79:
	s_delay_alu instid0(VALU_DEP_2) | instskip(SKIP_2) | instid1(VALU_DEP_2)
	v_add_co_u32 v11, vcc_lo, v17, v12
	s_wait_alu 0xfffd
	v_add_co_ci_u32_e64 v10, null, 0, v18, vcc_lo
	v_add_co_u32 v17, vcc_lo, 0, v11
	s_wait_alu 0xfffd
	s_delay_alu instid0(VALU_DEP_2) | instskip(NEXT) | instid1(VALU_DEP_1)
	v_add_co_ci_u32_e64 v18, null, v9, v10, vcc_lo
	v_mov_b32_e32 v10, v18
; %bb.80:
	s_or_b32 exec_lo, exec_lo, s0
	v_mov_b32_dpp v9, v11 row_shr:2 row_mask:0xf bank_mask:0xf
	s_delay_alu instid0(VALU_DEP_2)
	v_mov_b32_dpp v12, v10 row_shr:2 row_mask:0xf bank_mask:0xf
	s_mov_b32 s0, exec_lo
	v_cmpx_lt_u32_e32 1, v32
; %bb.81:
	s_delay_alu instid0(VALU_DEP_3) | instskip(SKIP_2) | instid1(VALU_DEP_2)
	v_add_co_u32 v11, vcc_lo, v17, v9
	s_wait_alu 0xfffd
	v_add_co_ci_u32_e64 v10, null, 0, v18, vcc_lo
	v_add_co_u32 v9, vcc_lo, 0, v11
	s_wait_alu 0xfffd
	s_delay_alu instid0(VALU_DEP_2) | instskip(NEXT) | instid1(VALU_DEP_1)
	v_add_co_ci_u32_e64 v10, null, v12, v10, vcc_lo
	v_dual_mov_b32 v18, v10 :: v_dual_mov_b32 v17, v9
; %bb.82:
	s_or_b32 exec_lo, exec_lo, s0
	v_mov_b32_dpp v9, v11 row_shr:4 row_mask:0xf bank_mask:0xf
	v_mov_b32_dpp v12, v10 row_shr:4 row_mask:0xf bank_mask:0xf
	s_mov_b32 s0, exec_lo
	v_cmpx_lt_u32_e32 3, v32
; %bb.83:
	s_delay_alu instid0(VALU_DEP_3) | instskip(SKIP_2) | instid1(VALU_DEP_2)
	v_add_co_u32 v11, vcc_lo, v17, v9
	s_wait_alu 0xfffd
	v_add_co_ci_u32_e64 v10, null, 0, v18, vcc_lo
	v_add_co_u32 v9, vcc_lo, 0, v11
	s_wait_alu 0xfffd
	s_delay_alu instid0(VALU_DEP_2) | instskip(NEXT) | instid1(VALU_DEP_1)
	v_add_co_ci_u32_e64 v10, null, v12, v10, vcc_lo
	v_dual_mov_b32 v18, v10 :: v_dual_mov_b32 v17, v9
; %bb.84:
	s_or_b32 exec_lo, exec_lo, s0
	v_mov_b32_dpp v12, v11 row_shr:8 row_mask:0xf bank_mask:0xf
	v_mov_b32_dpp v9, v10 row_shr:8 row_mask:0xf bank_mask:0xf
	s_mov_b32 s0, exec_lo
	v_cmpx_lt_u32_e32 7, v32
; %bb.85:
	s_delay_alu instid0(VALU_DEP_3) | instskip(SKIP_2) | instid1(VALU_DEP_2)
	v_add_co_u32 v11, vcc_lo, v17, v12
	s_wait_alu 0xfffd
	v_add_co_ci_u32_e64 v10, null, 0, v18, vcc_lo
	v_add_co_u32 v17, vcc_lo, 0, v11
	s_wait_alu 0xfffd
	s_delay_alu instid0(VALU_DEP_2) | instskip(NEXT) | instid1(VALU_DEP_1)
	v_add_co_ci_u32_e64 v18, null, v9, v10, vcc_lo
	v_mov_b32_e32 v10, v18
; %bb.86:
	s_or_b32 exec_lo, exec_lo, s0
	ds_swizzle_b32 v11, v11 offset:swizzle(BROADCAST,32,15)
	ds_swizzle_b32 v9, v10 offset:swizzle(BROADCAST,32,15)
	v_and_b32_e32 v10, 16, v31
	s_mov_b32 s0, exec_lo
	s_delay_alu instid0(VALU_DEP_1)
	v_cmpx_ne_u32_e32 0, v10
	s_cbranch_execz .LBB667_88
; %bb.87:
	s_wait_dscnt 0x1
	v_add_co_u32 v10, vcc_lo, v17, v11
	s_wait_alu 0xfffd
	v_add_co_ci_u32_e64 v11, null, 0, v18, vcc_lo
	s_delay_alu instid0(VALU_DEP_2) | instskip(SKIP_2) | instid1(VALU_DEP_2)
	v_add_co_u32 v17, vcc_lo, v10, 0
	s_wait_dscnt 0x0
	s_wait_alu 0xfffd
	v_add_co_ci_u32_e64 v18, null, v11, v9, vcc_lo
.LBB667_88:
	s_or_b32 exec_lo, exec_lo, s0
	s_wait_dscnt 0x0
	v_or_b32_e32 v9, 31, v0
	s_mov_b32 s0, exec_lo
	s_delay_alu instid0(VALU_DEP_1)
	v_cmpx_eq_u32_e64 v0, v9
; %bb.89:
	v_lshlrev_b32_e32 v9, 3, v26
	ds_store_b64 v9, v[17:18]
; %bb.90:
	s_or_b32 exec_lo, exec_lo, s0
	s_delay_alu instid0(SALU_CYCLE_1)
	s_mov_b32 s0, exec_lo
	s_wait_loadcnt_dscnt 0x0
	s_barrier_signal -1
	s_barrier_wait -1
	global_inv scope:SCOPE_SE
	v_cmpx_gt_u32_e32 8, v0
	s_cbranch_execz .LBB667_98
; %bb.91:
	v_lshlrev_b32_e32 v11, 3, v0
	s_mov_b32 s1, exec_lo
	ds_load_b64 v[9:10], v11
	s_wait_dscnt 0x0
	v_dual_mov_b32 v13, v9 :: v_dual_and_b32 v12, 7, v31
	v_mov_b32_dpp v15, v9 row_shr:1 row_mask:0xf bank_mask:0xf
	v_mov_b32_dpp v14, v10 row_shr:1 row_mask:0xf bank_mask:0xf
	s_delay_alu instid0(VALU_DEP_3)
	v_cmpx_ne_u32_e32 0, v12
; %bb.92:
	s_delay_alu instid0(VALU_DEP_3) | instskip(SKIP_2) | instid1(VALU_DEP_2)
	v_add_co_u32 v13, vcc_lo, v9, v15
	s_wait_alu 0xfffd
	v_add_co_ci_u32_e64 v10, null, 0, v10, vcc_lo
	v_add_co_u32 v9, vcc_lo, 0, v13
	s_wait_alu 0xfffd
	s_delay_alu instid0(VALU_DEP_2)
	v_add_co_ci_u32_e64 v10, null, v14, v10, vcc_lo
; %bb.93:
	s_or_b32 exec_lo, exec_lo, s1
	v_mov_b32_dpp v15, v13 row_shr:2 row_mask:0xf bank_mask:0xf
	s_delay_alu instid0(VALU_DEP_2)
	v_mov_b32_dpp v14, v10 row_shr:2 row_mask:0xf bank_mask:0xf
	s_mov_b32 s1, exec_lo
	v_cmpx_lt_u32_e32 1, v12
; %bb.94:
	s_delay_alu instid0(VALU_DEP_3) | instskip(SKIP_2) | instid1(VALU_DEP_2)
	v_add_co_u32 v13, vcc_lo, v9, v15
	s_wait_alu 0xfffd
	v_add_co_ci_u32_e64 v10, null, 0, v10, vcc_lo
	v_add_co_u32 v9, vcc_lo, 0, v13
	s_wait_alu 0xfffd
	s_delay_alu instid0(VALU_DEP_2)
	v_add_co_ci_u32_e64 v10, null, v14, v10, vcc_lo
; %bb.95:
	s_or_b32 exec_lo, exec_lo, s1
	v_mov_b32_dpp v14, v13 row_shr:4 row_mask:0xf bank_mask:0xf
	s_delay_alu instid0(VALU_DEP_2)
	v_mov_b32_dpp v13, v10 row_shr:4 row_mask:0xf bank_mask:0xf
	s_mov_b32 s1, exec_lo
	v_cmpx_lt_u32_e32 3, v12
; %bb.96:
	s_delay_alu instid0(VALU_DEP_3) | instskip(SKIP_2) | instid1(VALU_DEP_2)
	v_add_co_u32 v9, vcc_lo, v9, v14
	s_wait_alu 0xfffd
	v_add_co_ci_u32_e64 v10, null, 0, v10, vcc_lo
	v_add_co_u32 v9, vcc_lo, v9, 0
	s_wait_alu 0xfffd
	s_delay_alu instid0(VALU_DEP_2)
	v_add_co_ci_u32_e64 v10, null, v10, v13, vcc_lo
; %bb.97:
	s_or_b32 exec_lo, exec_lo, s1
	ds_store_b64 v11, v[9:10]
.LBB667_98:
	s_or_b32 exec_lo, exec_lo, s0
	v_mov_b32_e32 v13, 0
	v_mov_b32_e32 v14, 0
	s_mov_b32 s0, exec_lo
	s_wait_loadcnt_dscnt 0x0
	s_barrier_signal -1
	s_barrier_wait -1
	global_inv scope:SCOPE_SE
	v_cmpx_lt_u32_e32 31, v0
; %bb.99:
	v_lshl_add_u32 v9, v26, 3, -8
	ds_load_b64 v[13:14], v9
; %bb.100:
	s_or_b32 exec_lo, exec_lo, s0
	v_sub_co_u32 v9, vcc_lo, v31, 1
	v_mov_b32_e32 v12, 0
	s_delay_alu instid0(VALU_DEP_2) | instskip(NEXT) | instid1(VALU_DEP_1)
	v_cmp_gt_i32_e64 s0, 0, v9
	v_cndmask_b32_e64 v9, v9, v31, s0
	s_wait_dscnt 0x0
	v_add_co_u32 v10, s0, v13, v17
	s_wait_alu 0xf1ff
	v_add_co_ci_u32_e64 v11, null, v14, v18, s0
	v_lshlrev_b32_e32 v9, 2, v9
	v_cmp_eq_u32_e64 s0, 0, v0
	ds_bpermute_b32 v15, v9, v10
	ds_bpermute_b32 v16, v9, v11
	ds_load_b64 v[9:10], v12 offset:56
	s_and_saveexec_b32 s1, s0
	s_cbranch_execz .LBB667_102
; %bb.101:
	s_wait_kmcnt 0x0
	s_add_nc_u64 s[2:3], s[6:7], 0x200
	s_wait_alu 0xfffe
	v_dual_mov_b32 v11, 2 :: v_dual_mov_b32 v18, s3
	v_mov_b32_e32 v17, s2
	s_wait_dscnt 0x0
	;;#ASMSTART
	global_store_b128 v[17:18], v[9:12] off scope:SCOPE_DEV	
s_wait_storecnt 0x0
	;;#ASMEND
.LBB667_102:
	s_wait_alu 0xfffe
	s_or_b32 exec_lo, exec_lo, s1
	s_wait_dscnt 0x1
	s_wait_alu 0xfffd
	v_dual_cndmask_b32 v11, v15, v13 :: v_dual_cndmask_b32 v12, v16, v14
	s_wait_loadcnt_dscnt 0x0
	s_barrier_signal -1
	s_barrier_wait -1
	s_delay_alu instid0(VALU_DEP_1)
	v_cndmask_b32_e64 v21, v11, 0, s0
	v_cndmask_b32_e64 v22, v12, 0, s0
	v_mov_b32_e32 v11, 0
	v_mov_b32_e32 v12, 0
	global_inv scope:SCOPE_SE
	v_add_co_u32 v19, vcc_lo, v21, v30
	s_wait_alu 0xfffd
	v_add_co_ci_u32_e64 v20, null, 0, v22, vcc_lo
	s_delay_alu instid0(VALU_DEP_2) | instskip(SKIP_1) | instid1(VALU_DEP_2)
	v_add_co_u32 v13, vcc_lo, v19, v29
	s_wait_alu 0xfffd
	v_add_co_ci_u32_e64 v14, null, 0, v20, vcc_lo
	s_delay_alu instid0(VALU_DEP_2) | instskip(SKIP_1) | instid1(VALU_DEP_2)
	v_add_co_u32 v15, vcc_lo, v13, v28
	s_wait_alu 0xfffd
	v_add_co_ci_u32_e64 v16, null, 0, v14, vcc_lo
.LBB667_103:
	v_and_b32_e32 v26, 1, v27
	s_wait_dscnt 0x0
	v_cmp_gt_u64_e32 vcc_lo, 0x101, v[9:10]
	v_lshrrev_b32_e32 v23, 16, v27
	v_lshrrev_b32_e32 v24, 8, v27
	s_mov_b32 s1, -1
	v_cmp_eq_u32_e64 s0, 1, v26
	s_cbranch_vccnz .LBB667_107
; %bb.104:
	s_wait_alu 0xfffe
	s_and_b32 vcc_lo, exec_lo, s1
	s_wait_alu 0xfffe
	s_cbranch_vccnz .LBB667_116
.LBB667_105:
	v_cmp_eq_u32_e32 vcc_lo, 0, v0
	s_and_b32 s0, vcc_lo, s16
	s_wait_alu 0xfffe
	s_and_saveexec_b32 s1, s0
	s_cbranch_execnz .LBB667_128
.LBB667_106:
	s_endpgm
.LBB667_107:
	v_add_co_u32 v17, vcc_lo, v11, v9
	s_wait_alu 0xfffd
	v_add_co_ci_u32_e64 v18, null, v12, v10, vcc_lo
	s_delay_alu instid0(VALU_DEP_1)
	v_cmp_lt_u64_e32 vcc_lo, v[21:22], v[17:18]
	s_or_b32 s1, s17, vcc_lo
	s_wait_alu 0xfffe
	s_and_b32 s1, s1, s0
	s_wait_alu 0xfffe
	s_and_saveexec_b32 s0, s1
	s_cbranch_execz .LBB667_109
; %bb.108:
	v_lshlrev_b64_e32 v[27:28], 3, v[21:22]
	s_lshl_b64 s[2:3], s[10:11], 3
	s_wait_kmcnt 0x0
	s_wait_alu 0xfffe
	s_add_nc_u64 s[2:3], s[4:5], s[2:3]
	s_wait_alu 0xfffe
	v_add_co_u32 v27, vcc_lo, s2, v27
	s_wait_alu 0xfffd
	v_add_co_ci_u32_e64 v28, null, s3, v28, vcc_lo
	global_store_b64 v[27:28], v[5:6], off
.LBB667_109:
	s_wait_alu 0xfffe
	s_or_b32 exec_lo, exec_lo, s0
	v_and_b32_e32 v22, 1, v24
	v_cmp_lt_u64_e32 vcc_lo, v[19:20], v[17:18]
	s_delay_alu instid0(VALU_DEP_2)
	v_cmp_eq_u32_e64 s0, 1, v22
	s_or_b32 s1, s17, vcc_lo
	s_wait_alu 0xfffe
	s_and_b32 s1, s1, s0
	s_wait_alu 0xfffe
	s_and_saveexec_b32 s0, s1
	s_cbranch_execz .LBB667_111
; %bb.110:
	v_lshlrev_b64_e32 v[27:28], 3, v[19:20]
	s_lshl_b64 s[2:3], s[10:11], 3
	s_wait_kmcnt 0x0
	s_wait_alu 0xfffe
	s_add_nc_u64 s[2:3], s[4:5], s[2:3]
	s_wait_alu 0xfffe
	v_add_co_u32 v27, vcc_lo, s2, v27
	s_wait_alu 0xfffd
	v_add_co_ci_u32_e64 v28, null, s3, v28, vcc_lo
	global_store_b64 v[27:28], v[7:8], off
.LBB667_111:
	s_wait_alu 0xfffe
	s_or_b32 exec_lo, exec_lo, s0
	v_and_b32_e32 v20, 1, v23
	v_cmp_lt_u64_e32 vcc_lo, v[13:14], v[17:18]
	s_delay_alu instid0(VALU_DEP_2)
	v_cmp_eq_u32_e64 s0, 1, v20
	;; [unrolled: 24-line block ×3, first 2 shown]
	s_or_b32 s1, s17, vcc_lo
	s_wait_alu 0xfffe
	s_and_b32 s1, s1, s0
	s_wait_alu 0xfffe
	s_and_saveexec_b32 s0, s1
	s_cbranch_execz .LBB667_115
; %bb.114:
	v_lshlrev_b64_e32 v[16:17], 3, v[15:16]
	s_lshl_b64 s[2:3], s[10:11], 3
	s_wait_kmcnt 0x0
	s_wait_alu 0xfffe
	s_add_nc_u64 s[2:3], s[4:5], s[2:3]
	s_wait_alu 0xfffe
	v_add_co_u32 v16, vcc_lo, s2, v16
	s_wait_alu 0xfffd
	v_add_co_ci_u32_e64 v17, null, s3, v17, vcc_lo
	global_store_b64 v[16:17], v[3:4], off
.LBB667_115:
	s_wait_alu 0xfffe
	s_or_b32 exec_lo, exec_lo, s0
	s_branch .LBB667_105
.LBB667_116:
	s_mov_b32 s0, exec_lo
	v_cmpx_eq_u32_e32 1, v26
; %bb.117:
	v_sub_nc_u32_e32 v14, v21, v11
	s_delay_alu instid0(VALU_DEP_1)
	v_lshlrev_b32_e32 v14, 3, v14
	ds_store_b64 v14, v[5:6]
; %bb.118:
	s_wait_alu 0xfffe
	s_or_b32 exec_lo, exec_lo, s0
	v_and_b32_e32 v5, 1, v24
	s_mov_b32 s0, exec_lo
	s_delay_alu instid0(VALU_DEP_1)
	v_cmpx_eq_u32_e32 1, v5
; %bb.119:
	v_sub_nc_u32_e32 v5, v19, v11
	s_delay_alu instid0(VALU_DEP_1)
	v_lshlrev_b32_e32 v5, 3, v5
	ds_store_b64 v5, v[7:8]
; %bb.120:
	s_wait_alu 0xfffe
	s_or_b32 exec_lo, exec_lo, s0
	v_and_b32_e32 v5, 1, v23
	s_mov_b32 s0, exec_lo
	s_delay_alu instid0(VALU_DEP_1)
	;; [unrolled: 12-line block ×3, first 2 shown]
	v_cmpx_eq_u32_e32 1, v1
; %bb.123:
	v_sub_nc_u32_e32 v1, v15, v11
	s_delay_alu instid0(VALU_DEP_1)
	v_lshlrev_b32_e32 v1, 3, v1
	ds_store_b64 v1, v[3:4]
; %bb.124:
	s_wait_alu 0xfffe
	s_or_b32 exec_lo, exec_lo, s0
	v_mov_b32_e32 v3, 0
	s_mov_b32 s1, exec_lo
	s_wait_storecnt 0x0
	s_wait_loadcnt_dscnt 0x0
	s_barrier_signal -1
	s_barrier_wait -1
	v_mov_b32_e32 v1, v3
	global_inv scope:SCOPE_SE
	v_cmpx_gt_u64_e64 v[9:10], v[0:1]
	s_cbranch_execz .LBB667_127
; %bb.125:
	v_lshlrev_b64_e32 v[4:5], 3, v[11:12]
	s_lshl_b64 s[2:3], s[10:11], 3
	v_or_b32_e32 v2, 0x100, v0
	s_wait_kmcnt 0x0
	s_delay_alu instid0(VALU_DEP_2) | instskip(SKIP_3) | instid1(VALU_DEP_2)
	v_add_co_u32 v4, vcc_lo, s4, v4
	s_wait_alu 0xfffd
	v_add_co_ci_u32_e64 v5, null, s5, v5, vcc_lo
	s_wait_alu 0xfffe
	v_add_co_u32 v6, vcc_lo, v4, s2
	s_wait_alu 0xfffd
	s_delay_alu instid0(VALU_DEP_2)
	v_add_co_ci_u32_e64 v7, null, s3, v5, vcc_lo
	v_dual_mov_b32 v5, v1 :: v_dual_mov_b32 v4, v0
	s_mov_b32 s2, 0
.LBB667_126:                            ; =>This Inner Loop Header: Depth=1
	s_delay_alu instid0(VALU_DEP_1) | instskip(NEXT) | instid1(VALU_DEP_2)
	v_lshlrev_b32_e32 v1, 3, v4
	v_lshlrev_b64_e32 v[15:16], 3, v[4:5]
	v_dual_mov_b32 v5, v3 :: v_dual_mov_b32 v4, v2
	v_cmp_le_u64_e32 vcc_lo, v[9:10], v[2:3]
	ds_load_b64 v[13:14], v1
	v_add_nc_u32_e32 v2, 0x100, v2
	v_add_co_u32 v15, s0, v6, v15
	s_wait_alu 0xf1ff
	v_add_co_ci_u32_e64 v16, null, v7, v16, s0
	s_wait_alu 0xfffe
	s_or_b32 s2, vcc_lo, s2
	s_wait_dscnt 0x0
	global_store_b64 v[15:16], v[13:14], off
	s_wait_alu 0xfffe
	s_and_not1_b32 exec_lo, exec_lo, s2
	s_cbranch_execnz .LBB667_126
.LBB667_127:
	s_wait_alu 0xfffe
	s_or_b32 exec_lo, exec_lo, s1
	v_cmp_eq_u32_e32 vcc_lo, 0, v0
	s_and_b32 s0, vcc_lo, s16
	s_wait_alu 0xfffe
	s_and_saveexec_b32 s1, s0
	s_cbranch_execz .LBB667_106
.LBB667_128:
	v_add_co_u32 v0, vcc_lo, v11, v9
	s_wait_alu 0xfffd
	v_add_co_ci_u32_e64 v1, null, v12, v10, vcc_lo
	v_mov_b32_e32 v2, 0
	s_delay_alu instid0(VALU_DEP_3) | instskip(SKIP_1) | instid1(VALU_DEP_3)
	v_add_co_u32 v0, vcc_lo, v0, s10
	s_wait_alu 0xfffd
	v_add_co_ci_u32_e64 v1, null, s11, v1, vcc_lo
	global_store_b64 v2, v[0:1], s[8:9]
	s_endpgm
.LBB667_129:
	global_load_b32 v15, v11, s[2:3] offset:1024
	s_wait_loadcnt 0x0
	v_lshrrev_b32_e32 v16, 16, v15
	s_delay_alu instid0(VALU_DEP_1) | instskip(NEXT) | instid1(VALU_DEP_1)
	v_or_b32_e32 v15, v15, v16
	v_and_b32_e32 v15, 0x7fff, v15
	s_delay_alu instid0(VALU_DEP_1) | instskip(SKIP_2) | instid1(VALU_DEP_1)
	v_cmp_ne_u16_e32 vcc_lo, 0, v15
	s_wait_alu 0xfffd
	v_cndmask_b32_e64 v15, 0, 1, vcc_lo
	v_lshlrev_b16 v15, 8, v15
	s_delay_alu instid0(VALU_DEP_1) | instskip(NEXT) | instid1(VALU_DEP_1)
	v_or_b32_e32 v13, v13, v15
	v_and_b32_e32 v13, 0xffff, v13
	s_wait_alu 0xfffe
	s_or_b32 exec_lo, exec_lo, s4
	s_delay_alu instid0(SALU_CYCLE_1)
	s_mov_b32 s4, exec_lo
	v_cmpx_gt_u32_e64 s18, v9
	s_cbranch_execz .LBB667_12
.LBB667_130:
	global_load_b32 v15, v11, s[2:3] offset:2048
	s_wait_loadcnt 0x0
	v_lshrrev_b32_e32 v16, 16, v15
	s_delay_alu instid0(VALU_DEP_1) | instskip(NEXT) | instid1(VALU_DEP_1)
	v_or_b32_e32 v15, v15, v16
	v_and_b32_e32 v15, 0x7fff, v15
	s_delay_alu instid0(VALU_DEP_1) | instskip(SKIP_2) | instid1(VALU_DEP_1)
	v_cmp_ne_u16_e32 vcc_lo, 0, v15
	s_wait_alu 0xfffd
	v_cndmask_b32_e64 v15, 0, 1, vcc_lo
	v_lshl_or_b32 v13, v15, 16, v13
	s_wait_alu 0xfffe
	s_or_b32 exec_lo, exec_lo, s4
	s_delay_alu instid0(SALU_CYCLE_1)
	s_mov_b32 s4, exec_lo
	v_cmpx_gt_u32_e64 s18, v10
	s_cbranch_execnz .LBB667_13
	s_branch .LBB667_14
	.section	.rodata,"a",@progbits
	.p2align	6, 0x0
	.amdhsa_kernel _ZN7rocprim17ROCPRIM_400000_NS6detail17trampoline_kernelINS0_14default_configENS1_25partition_config_selectorILNS1_17partition_subalgoE5ElNS0_10empty_typeEbEEZZNS1_14partition_implILS5_5ELb0ES3_mN6hipcub16HIPCUB_304000_NS21CountingInputIteratorIllEEPS6_NSA_22TransformInputIteratorIbN2at6native12_GLOBAL__N_19NonZeroOpIN3c107complexINSJ_4HalfEEEEEPKSM_lEENS0_5tupleIJPlS6_EEENSR_IJSD_SD_EEES6_PiJS6_EEE10hipError_tPvRmT3_T4_T5_T6_T7_T9_mT8_P12ihipStream_tbDpT10_ENKUlT_T0_E_clISt17integral_constantIbLb0EES1F_EEDaS1A_S1B_EUlS1A_E_NS1_11comp_targetILNS1_3genE10ELNS1_11target_archE1200ELNS1_3gpuE4ELNS1_3repE0EEENS1_30default_config_static_selectorELNS0_4arch9wavefront6targetE0EEEvT1_
		.amdhsa_group_segment_fixed_size 8464
		.amdhsa_private_segment_fixed_size 0
		.amdhsa_kernarg_size 120
		.amdhsa_user_sgpr_count 2
		.amdhsa_user_sgpr_dispatch_ptr 0
		.amdhsa_user_sgpr_queue_ptr 0
		.amdhsa_user_sgpr_kernarg_segment_ptr 1
		.amdhsa_user_sgpr_dispatch_id 0
		.amdhsa_user_sgpr_private_segment_size 0
		.amdhsa_wavefront_size32 1
		.amdhsa_uses_dynamic_stack 0
		.amdhsa_enable_private_segment 0
		.amdhsa_system_sgpr_workgroup_id_x 1
		.amdhsa_system_sgpr_workgroup_id_y 0
		.amdhsa_system_sgpr_workgroup_id_z 0
		.amdhsa_system_sgpr_workgroup_info 0
		.amdhsa_system_vgpr_workitem_id 0
		.amdhsa_next_free_vgpr 46
		.amdhsa_next_free_sgpr 20
		.amdhsa_reserve_vcc 1
		.amdhsa_float_round_mode_32 0
		.amdhsa_float_round_mode_16_64 0
		.amdhsa_float_denorm_mode_32 3
		.amdhsa_float_denorm_mode_16_64 3
		.amdhsa_fp16_overflow 0
		.amdhsa_workgroup_processor_mode 1
		.amdhsa_memory_ordered 1
		.amdhsa_forward_progress 1
		.amdhsa_inst_pref_size 55
		.amdhsa_round_robin_scheduling 0
		.amdhsa_exception_fp_ieee_invalid_op 0
		.amdhsa_exception_fp_denorm_src 0
		.amdhsa_exception_fp_ieee_div_zero 0
		.amdhsa_exception_fp_ieee_overflow 0
		.amdhsa_exception_fp_ieee_underflow 0
		.amdhsa_exception_fp_ieee_inexact 0
		.amdhsa_exception_int_div_zero 0
	.end_amdhsa_kernel
	.section	.text._ZN7rocprim17ROCPRIM_400000_NS6detail17trampoline_kernelINS0_14default_configENS1_25partition_config_selectorILNS1_17partition_subalgoE5ElNS0_10empty_typeEbEEZZNS1_14partition_implILS5_5ELb0ES3_mN6hipcub16HIPCUB_304000_NS21CountingInputIteratorIllEEPS6_NSA_22TransformInputIteratorIbN2at6native12_GLOBAL__N_19NonZeroOpIN3c107complexINSJ_4HalfEEEEEPKSM_lEENS0_5tupleIJPlS6_EEENSR_IJSD_SD_EEES6_PiJS6_EEE10hipError_tPvRmT3_T4_T5_T6_T7_T9_mT8_P12ihipStream_tbDpT10_ENKUlT_T0_E_clISt17integral_constantIbLb0EES1F_EEDaS1A_S1B_EUlS1A_E_NS1_11comp_targetILNS1_3genE10ELNS1_11target_archE1200ELNS1_3gpuE4ELNS1_3repE0EEENS1_30default_config_static_selectorELNS0_4arch9wavefront6targetE0EEEvT1_,"axG",@progbits,_ZN7rocprim17ROCPRIM_400000_NS6detail17trampoline_kernelINS0_14default_configENS1_25partition_config_selectorILNS1_17partition_subalgoE5ElNS0_10empty_typeEbEEZZNS1_14partition_implILS5_5ELb0ES3_mN6hipcub16HIPCUB_304000_NS21CountingInputIteratorIllEEPS6_NSA_22TransformInputIteratorIbN2at6native12_GLOBAL__N_19NonZeroOpIN3c107complexINSJ_4HalfEEEEEPKSM_lEENS0_5tupleIJPlS6_EEENSR_IJSD_SD_EEES6_PiJS6_EEE10hipError_tPvRmT3_T4_T5_T6_T7_T9_mT8_P12ihipStream_tbDpT10_ENKUlT_T0_E_clISt17integral_constantIbLb0EES1F_EEDaS1A_S1B_EUlS1A_E_NS1_11comp_targetILNS1_3genE10ELNS1_11target_archE1200ELNS1_3gpuE4ELNS1_3repE0EEENS1_30default_config_static_selectorELNS0_4arch9wavefront6targetE0EEEvT1_,comdat
.Lfunc_end667:
	.size	_ZN7rocprim17ROCPRIM_400000_NS6detail17trampoline_kernelINS0_14default_configENS1_25partition_config_selectorILNS1_17partition_subalgoE5ElNS0_10empty_typeEbEEZZNS1_14partition_implILS5_5ELb0ES3_mN6hipcub16HIPCUB_304000_NS21CountingInputIteratorIllEEPS6_NSA_22TransformInputIteratorIbN2at6native12_GLOBAL__N_19NonZeroOpIN3c107complexINSJ_4HalfEEEEEPKSM_lEENS0_5tupleIJPlS6_EEENSR_IJSD_SD_EEES6_PiJS6_EEE10hipError_tPvRmT3_T4_T5_T6_T7_T9_mT8_P12ihipStream_tbDpT10_ENKUlT_T0_E_clISt17integral_constantIbLb0EES1F_EEDaS1A_S1B_EUlS1A_E_NS1_11comp_targetILNS1_3genE10ELNS1_11target_archE1200ELNS1_3gpuE4ELNS1_3repE0EEENS1_30default_config_static_selectorELNS0_4arch9wavefront6targetE0EEEvT1_, .Lfunc_end667-_ZN7rocprim17ROCPRIM_400000_NS6detail17trampoline_kernelINS0_14default_configENS1_25partition_config_selectorILNS1_17partition_subalgoE5ElNS0_10empty_typeEbEEZZNS1_14partition_implILS5_5ELb0ES3_mN6hipcub16HIPCUB_304000_NS21CountingInputIteratorIllEEPS6_NSA_22TransformInputIteratorIbN2at6native12_GLOBAL__N_19NonZeroOpIN3c107complexINSJ_4HalfEEEEEPKSM_lEENS0_5tupleIJPlS6_EEENSR_IJSD_SD_EEES6_PiJS6_EEE10hipError_tPvRmT3_T4_T5_T6_T7_T9_mT8_P12ihipStream_tbDpT10_ENKUlT_T0_E_clISt17integral_constantIbLb0EES1F_EEDaS1A_S1B_EUlS1A_E_NS1_11comp_targetILNS1_3genE10ELNS1_11target_archE1200ELNS1_3gpuE4ELNS1_3repE0EEENS1_30default_config_static_selectorELNS0_4arch9wavefront6targetE0EEEvT1_
                                        ; -- End function
	.set _ZN7rocprim17ROCPRIM_400000_NS6detail17trampoline_kernelINS0_14default_configENS1_25partition_config_selectorILNS1_17partition_subalgoE5ElNS0_10empty_typeEbEEZZNS1_14partition_implILS5_5ELb0ES3_mN6hipcub16HIPCUB_304000_NS21CountingInputIteratorIllEEPS6_NSA_22TransformInputIteratorIbN2at6native12_GLOBAL__N_19NonZeroOpIN3c107complexINSJ_4HalfEEEEEPKSM_lEENS0_5tupleIJPlS6_EEENSR_IJSD_SD_EEES6_PiJS6_EEE10hipError_tPvRmT3_T4_T5_T6_T7_T9_mT8_P12ihipStream_tbDpT10_ENKUlT_T0_E_clISt17integral_constantIbLb0EES1F_EEDaS1A_S1B_EUlS1A_E_NS1_11comp_targetILNS1_3genE10ELNS1_11target_archE1200ELNS1_3gpuE4ELNS1_3repE0EEENS1_30default_config_static_selectorELNS0_4arch9wavefront6targetE0EEEvT1_.num_vgpr, 46
	.set _ZN7rocprim17ROCPRIM_400000_NS6detail17trampoline_kernelINS0_14default_configENS1_25partition_config_selectorILNS1_17partition_subalgoE5ElNS0_10empty_typeEbEEZZNS1_14partition_implILS5_5ELb0ES3_mN6hipcub16HIPCUB_304000_NS21CountingInputIteratorIllEEPS6_NSA_22TransformInputIteratorIbN2at6native12_GLOBAL__N_19NonZeroOpIN3c107complexINSJ_4HalfEEEEEPKSM_lEENS0_5tupleIJPlS6_EEENSR_IJSD_SD_EEES6_PiJS6_EEE10hipError_tPvRmT3_T4_T5_T6_T7_T9_mT8_P12ihipStream_tbDpT10_ENKUlT_T0_E_clISt17integral_constantIbLb0EES1F_EEDaS1A_S1B_EUlS1A_E_NS1_11comp_targetILNS1_3genE10ELNS1_11target_archE1200ELNS1_3gpuE4ELNS1_3repE0EEENS1_30default_config_static_selectorELNS0_4arch9wavefront6targetE0EEEvT1_.num_agpr, 0
	.set _ZN7rocprim17ROCPRIM_400000_NS6detail17trampoline_kernelINS0_14default_configENS1_25partition_config_selectorILNS1_17partition_subalgoE5ElNS0_10empty_typeEbEEZZNS1_14partition_implILS5_5ELb0ES3_mN6hipcub16HIPCUB_304000_NS21CountingInputIteratorIllEEPS6_NSA_22TransformInputIteratorIbN2at6native12_GLOBAL__N_19NonZeroOpIN3c107complexINSJ_4HalfEEEEEPKSM_lEENS0_5tupleIJPlS6_EEENSR_IJSD_SD_EEES6_PiJS6_EEE10hipError_tPvRmT3_T4_T5_T6_T7_T9_mT8_P12ihipStream_tbDpT10_ENKUlT_T0_E_clISt17integral_constantIbLb0EES1F_EEDaS1A_S1B_EUlS1A_E_NS1_11comp_targetILNS1_3genE10ELNS1_11target_archE1200ELNS1_3gpuE4ELNS1_3repE0EEENS1_30default_config_static_selectorELNS0_4arch9wavefront6targetE0EEEvT1_.numbered_sgpr, 20
	.set _ZN7rocprim17ROCPRIM_400000_NS6detail17trampoline_kernelINS0_14default_configENS1_25partition_config_selectorILNS1_17partition_subalgoE5ElNS0_10empty_typeEbEEZZNS1_14partition_implILS5_5ELb0ES3_mN6hipcub16HIPCUB_304000_NS21CountingInputIteratorIllEEPS6_NSA_22TransformInputIteratorIbN2at6native12_GLOBAL__N_19NonZeroOpIN3c107complexINSJ_4HalfEEEEEPKSM_lEENS0_5tupleIJPlS6_EEENSR_IJSD_SD_EEES6_PiJS6_EEE10hipError_tPvRmT3_T4_T5_T6_T7_T9_mT8_P12ihipStream_tbDpT10_ENKUlT_T0_E_clISt17integral_constantIbLb0EES1F_EEDaS1A_S1B_EUlS1A_E_NS1_11comp_targetILNS1_3genE10ELNS1_11target_archE1200ELNS1_3gpuE4ELNS1_3repE0EEENS1_30default_config_static_selectorELNS0_4arch9wavefront6targetE0EEEvT1_.num_named_barrier, 0
	.set _ZN7rocprim17ROCPRIM_400000_NS6detail17trampoline_kernelINS0_14default_configENS1_25partition_config_selectorILNS1_17partition_subalgoE5ElNS0_10empty_typeEbEEZZNS1_14partition_implILS5_5ELb0ES3_mN6hipcub16HIPCUB_304000_NS21CountingInputIteratorIllEEPS6_NSA_22TransformInputIteratorIbN2at6native12_GLOBAL__N_19NonZeroOpIN3c107complexINSJ_4HalfEEEEEPKSM_lEENS0_5tupleIJPlS6_EEENSR_IJSD_SD_EEES6_PiJS6_EEE10hipError_tPvRmT3_T4_T5_T6_T7_T9_mT8_P12ihipStream_tbDpT10_ENKUlT_T0_E_clISt17integral_constantIbLb0EES1F_EEDaS1A_S1B_EUlS1A_E_NS1_11comp_targetILNS1_3genE10ELNS1_11target_archE1200ELNS1_3gpuE4ELNS1_3repE0EEENS1_30default_config_static_selectorELNS0_4arch9wavefront6targetE0EEEvT1_.private_seg_size, 0
	.set _ZN7rocprim17ROCPRIM_400000_NS6detail17trampoline_kernelINS0_14default_configENS1_25partition_config_selectorILNS1_17partition_subalgoE5ElNS0_10empty_typeEbEEZZNS1_14partition_implILS5_5ELb0ES3_mN6hipcub16HIPCUB_304000_NS21CountingInputIteratorIllEEPS6_NSA_22TransformInputIteratorIbN2at6native12_GLOBAL__N_19NonZeroOpIN3c107complexINSJ_4HalfEEEEEPKSM_lEENS0_5tupleIJPlS6_EEENSR_IJSD_SD_EEES6_PiJS6_EEE10hipError_tPvRmT3_T4_T5_T6_T7_T9_mT8_P12ihipStream_tbDpT10_ENKUlT_T0_E_clISt17integral_constantIbLb0EES1F_EEDaS1A_S1B_EUlS1A_E_NS1_11comp_targetILNS1_3genE10ELNS1_11target_archE1200ELNS1_3gpuE4ELNS1_3repE0EEENS1_30default_config_static_selectorELNS0_4arch9wavefront6targetE0EEEvT1_.uses_vcc, 1
	.set _ZN7rocprim17ROCPRIM_400000_NS6detail17trampoline_kernelINS0_14default_configENS1_25partition_config_selectorILNS1_17partition_subalgoE5ElNS0_10empty_typeEbEEZZNS1_14partition_implILS5_5ELb0ES3_mN6hipcub16HIPCUB_304000_NS21CountingInputIteratorIllEEPS6_NSA_22TransformInputIteratorIbN2at6native12_GLOBAL__N_19NonZeroOpIN3c107complexINSJ_4HalfEEEEEPKSM_lEENS0_5tupleIJPlS6_EEENSR_IJSD_SD_EEES6_PiJS6_EEE10hipError_tPvRmT3_T4_T5_T6_T7_T9_mT8_P12ihipStream_tbDpT10_ENKUlT_T0_E_clISt17integral_constantIbLb0EES1F_EEDaS1A_S1B_EUlS1A_E_NS1_11comp_targetILNS1_3genE10ELNS1_11target_archE1200ELNS1_3gpuE4ELNS1_3repE0EEENS1_30default_config_static_selectorELNS0_4arch9wavefront6targetE0EEEvT1_.uses_flat_scratch, 0
	.set _ZN7rocprim17ROCPRIM_400000_NS6detail17trampoline_kernelINS0_14default_configENS1_25partition_config_selectorILNS1_17partition_subalgoE5ElNS0_10empty_typeEbEEZZNS1_14partition_implILS5_5ELb0ES3_mN6hipcub16HIPCUB_304000_NS21CountingInputIteratorIllEEPS6_NSA_22TransformInputIteratorIbN2at6native12_GLOBAL__N_19NonZeroOpIN3c107complexINSJ_4HalfEEEEEPKSM_lEENS0_5tupleIJPlS6_EEENSR_IJSD_SD_EEES6_PiJS6_EEE10hipError_tPvRmT3_T4_T5_T6_T7_T9_mT8_P12ihipStream_tbDpT10_ENKUlT_T0_E_clISt17integral_constantIbLb0EES1F_EEDaS1A_S1B_EUlS1A_E_NS1_11comp_targetILNS1_3genE10ELNS1_11target_archE1200ELNS1_3gpuE4ELNS1_3repE0EEENS1_30default_config_static_selectorELNS0_4arch9wavefront6targetE0EEEvT1_.has_dyn_sized_stack, 0
	.set _ZN7rocprim17ROCPRIM_400000_NS6detail17trampoline_kernelINS0_14default_configENS1_25partition_config_selectorILNS1_17partition_subalgoE5ElNS0_10empty_typeEbEEZZNS1_14partition_implILS5_5ELb0ES3_mN6hipcub16HIPCUB_304000_NS21CountingInputIteratorIllEEPS6_NSA_22TransformInputIteratorIbN2at6native12_GLOBAL__N_19NonZeroOpIN3c107complexINSJ_4HalfEEEEEPKSM_lEENS0_5tupleIJPlS6_EEENSR_IJSD_SD_EEES6_PiJS6_EEE10hipError_tPvRmT3_T4_T5_T6_T7_T9_mT8_P12ihipStream_tbDpT10_ENKUlT_T0_E_clISt17integral_constantIbLb0EES1F_EEDaS1A_S1B_EUlS1A_E_NS1_11comp_targetILNS1_3genE10ELNS1_11target_archE1200ELNS1_3gpuE4ELNS1_3repE0EEENS1_30default_config_static_selectorELNS0_4arch9wavefront6targetE0EEEvT1_.has_recursion, 0
	.set _ZN7rocprim17ROCPRIM_400000_NS6detail17trampoline_kernelINS0_14default_configENS1_25partition_config_selectorILNS1_17partition_subalgoE5ElNS0_10empty_typeEbEEZZNS1_14partition_implILS5_5ELb0ES3_mN6hipcub16HIPCUB_304000_NS21CountingInputIteratorIllEEPS6_NSA_22TransformInputIteratorIbN2at6native12_GLOBAL__N_19NonZeroOpIN3c107complexINSJ_4HalfEEEEEPKSM_lEENS0_5tupleIJPlS6_EEENSR_IJSD_SD_EEES6_PiJS6_EEE10hipError_tPvRmT3_T4_T5_T6_T7_T9_mT8_P12ihipStream_tbDpT10_ENKUlT_T0_E_clISt17integral_constantIbLb0EES1F_EEDaS1A_S1B_EUlS1A_E_NS1_11comp_targetILNS1_3genE10ELNS1_11target_archE1200ELNS1_3gpuE4ELNS1_3repE0EEENS1_30default_config_static_selectorELNS0_4arch9wavefront6targetE0EEEvT1_.has_indirect_call, 0
	.section	.AMDGPU.csdata,"",@progbits
; Kernel info:
; codeLenInByte = 6984
; TotalNumSgprs: 22
; NumVgprs: 46
; ScratchSize: 0
; MemoryBound: 0
; FloatMode: 240
; IeeeMode: 1
; LDSByteSize: 8464 bytes/workgroup (compile time only)
; SGPRBlocks: 0
; VGPRBlocks: 5
; NumSGPRsForWavesPerEU: 22
; NumVGPRsForWavesPerEU: 46
; Occupancy: 16
; WaveLimiterHint : 1
; COMPUTE_PGM_RSRC2:SCRATCH_EN: 0
; COMPUTE_PGM_RSRC2:USER_SGPR: 2
; COMPUTE_PGM_RSRC2:TRAP_HANDLER: 0
; COMPUTE_PGM_RSRC2:TGID_X_EN: 1
; COMPUTE_PGM_RSRC2:TGID_Y_EN: 0
; COMPUTE_PGM_RSRC2:TGID_Z_EN: 0
; COMPUTE_PGM_RSRC2:TIDIG_COMP_CNT: 0
	.section	.text._ZN7rocprim17ROCPRIM_400000_NS6detail17trampoline_kernelINS0_14default_configENS1_25partition_config_selectorILNS1_17partition_subalgoE5ElNS0_10empty_typeEbEEZZNS1_14partition_implILS5_5ELb0ES3_mN6hipcub16HIPCUB_304000_NS21CountingInputIteratorIllEEPS6_NSA_22TransformInputIteratorIbN2at6native12_GLOBAL__N_19NonZeroOpIN3c107complexINSJ_4HalfEEEEEPKSM_lEENS0_5tupleIJPlS6_EEENSR_IJSD_SD_EEES6_PiJS6_EEE10hipError_tPvRmT3_T4_T5_T6_T7_T9_mT8_P12ihipStream_tbDpT10_ENKUlT_T0_E_clISt17integral_constantIbLb0EES1F_EEDaS1A_S1B_EUlS1A_E_NS1_11comp_targetILNS1_3genE9ELNS1_11target_archE1100ELNS1_3gpuE3ELNS1_3repE0EEENS1_30default_config_static_selectorELNS0_4arch9wavefront6targetE0EEEvT1_,"axG",@progbits,_ZN7rocprim17ROCPRIM_400000_NS6detail17trampoline_kernelINS0_14default_configENS1_25partition_config_selectorILNS1_17partition_subalgoE5ElNS0_10empty_typeEbEEZZNS1_14partition_implILS5_5ELb0ES3_mN6hipcub16HIPCUB_304000_NS21CountingInputIteratorIllEEPS6_NSA_22TransformInputIteratorIbN2at6native12_GLOBAL__N_19NonZeroOpIN3c107complexINSJ_4HalfEEEEEPKSM_lEENS0_5tupleIJPlS6_EEENSR_IJSD_SD_EEES6_PiJS6_EEE10hipError_tPvRmT3_T4_T5_T6_T7_T9_mT8_P12ihipStream_tbDpT10_ENKUlT_T0_E_clISt17integral_constantIbLb0EES1F_EEDaS1A_S1B_EUlS1A_E_NS1_11comp_targetILNS1_3genE9ELNS1_11target_archE1100ELNS1_3gpuE3ELNS1_3repE0EEENS1_30default_config_static_selectorELNS0_4arch9wavefront6targetE0EEEvT1_,comdat
	.globl	_ZN7rocprim17ROCPRIM_400000_NS6detail17trampoline_kernelINS0_14default_configENS1_25partition_config_selectorILNS1_17partition_subalgoE5ElNS0_10empty_typeEbEEZZNS1_14partition_implILS5_5ELb0ES3_mN6hipcub16HIPCUB_304000_NS21CountingInputIteratorIllEEPS6_NSA_22TransformInputIteratorIbN2at6native12_GLOBAL__N_19NonZeroOpIN3c107complexINSJ_4HalfEEEEEPKSM_lEENS0_5tupleIJPlS6_EEENSR_IJSD_SD_EEES6_PiJS6_EEE10hipError_tPvRmT3_T4_T5_T6_T7_T9_mT8_P12ihipStream_tbDpT10_ENKUlT_T0_E_clISt17integral_constantIbLb0EES1F_EEDaS1A_S1B_EUlS1A_E_NS1_11comp_targetILNS1_3genE9ELNS1_11target_archE1100ELNS1_3gpuE3ELNS1_3repE0EEENS1_30default_config_static_selectorELNS0_4arch9wavefront6targetE0EEEvT1_ ; -- Begin function _ZN7rocprim17ROCPRIM_400000_NS6detail17trampoline_kernelINS0_14default_configENS1_25partition_config_selectorILNS1_17partition_subalgoE5ElNS0_10empty_typeEbEEZZNS1_14partition_implILS5_5ELb0ES3_mN6hipcub16HIPCUB_304000_NS21CountingInputIteratorIllEEPS6_NSA_22TransformInputIteratorIbN2at6native12_GLOBAL__N_19NonZeroOpIN3c107complexINSJ_4HalfEEEEEPKSM_lEENS0_5tupleIJPlS6_EEENSR_IJSD_SD_EEES6_PiJS6_EEE10hipError_tPvRmT3_T4_T5_T6_T7_T9_mT8_P12ihipStream_tbDpT10_ENKUlT_T0_E_clISt17integral_constantIbLb0EES1F_EEDaS1A_S1B_EUlS1A_E_NS1_11comp_targetILNS1_3genE9ELNS1_11target_archE1100ELNS1_3gpuE3ELNS1_3repE0EEENS1_30default_config_static_selectorELNS0_4arch9wavefront6targetE0EEEvT1_
	.p2align	8
	.type	_ZN7rocprim17ROCPRIM_400000_NS6detail17trampoline_kernelINS0_14default_configENS1_25partition_config_selectorILNS1_17partition_subalgoE5ElNS0_10empty_typeEbEEZZNS1_14partition_implILS5_5ELb0ES3_mN6hipcub16HIPCUB_304000_NS21CountingInputIteratorIllEEPS6_NSA_22TransformInputIteratorIbN2at6native12_GLOBAL__N_19NonZeroOpIN3c107complexINSJ_4HalfEEEEEPKSM_lEENS0_5tupleIJPlS6_EEENSR_IJSD_SD_EEES6_PiJS6_EEE10hipError_tPvRmT3_T4_T5_T6_T7_T9_mT8_P12ihipStream_tbDpT10_ENKUlT_T0_E_clISt17integral_constantIbLb0EES1F_EEDaS1A_S1B_EUlS1A_E_NS1_11comp_targetILNS1_3genE9ELNS1_11target_archE1100ELNS1_3gpuE3ELNS1_3repE0EEENS1_30default_config_static_selectorELNS0_4arch9wavefront6targetE0EEEvT1_,@function
_ZN7rocprim17ROCPRIM_400000_NS6detail17trampoline_kernelINS0_14default_configENS1_25partition_config_selectorILNS1_17partition_subalgoE5ElNS0_10empty_typeEbEEZZNS1_14partition_implILS5_5ELb0ES3_mN6hipcub16HIPCUB_304000_NS21CountingInputIteratorIllEEPS6_NSA_22TransformInputIteratorIbN2at6native12_GLOBAL__N_19NonZeroOpIN3c107complexINSJ_4HalfEEEEEPKSM_lEENS0_5tupleIJPlS6_EEENSR_IJSD_SD_EEES6_PiJS6_EEE10hipError_tPvRmT3_T4_T5_T6_T7_T9_mT8_P12ihipStream_tbDpT10_ENKUlT_T0_E_clISt17integral_constantIbLb0EES1F_EEDaS1A_S1B_EUlS1A_E_NS1_11comp_targetILNS1_3genE9ELNS1_11target_archE1100ELNS1_3gpuE3ELNS1_3repE0EEENS1_30default_config_static_selectorELNS0_4arch9wavefront6targetE0EEEvT1_: ; @_ZN7rocprim17ROCPRIM_400000_NS6detail17trampoline_kernelINS0_14default_configENS1_25partition_config_selectorILNS1_17partition_subalgoE5ElNS0_10empty_typeEbEEZZNS1_14partition_implILS5_5ELb0ES3_mN6hipcub16HIPCUB_304000_NS21CountingInputIteratorIllEEPS6_NSA_22TransformInputIteratorIbN2at6native12_GLOBAL__N_19NonZeroOpIN3c107complexINSJ_4HalfEEEEEPKSM_lEENS0_5tupleIJPlS6_EEENSR_IJSD_SD_EEES6_PiJS6_EEE10hipError_tPvRmT3_T4_T5_T6_T7_T9_mT8_P12ihipStream_tbDpT10_ENKUlT_T0_E_clISt17integral_constantIbLb0EES1F_EEDaS1A_S1B_EUlS1A_E_NS1_11comp_targetILNS1_3genE9ELNS1_11target_archE1100ELNS1_3gpuE3ELNS1_3repE0EEENS1_30default_config_static_selectorELNS0_4arch9wavefront6targetE0EEEvT1_
; %bb.0:
	.section	.rodata,"a",@progbits
	.p2align	6, 0x0
	.amdhsa_kernel _ZN7rocprim17ROCPRIM_400000_NS6detail17trampoline_kernelINS0_14default_configENS1_25partition_config_selectorILNS1_17partition_subalgoE5ElNS0_10empty_typeEbEEZZNS1_14partition_implILS5_5ELb0ES3_mN6hipcub16HIPCUB_304000_NS21CountingInputIteratorIllEEPS6_NSA_22TransformInputIteratorIbN2at6native12_GLOBAL__N_19NonZeroOpIN3c107complexINSJ_4HalfEEEEEPKSM_lEENS0_5tupleIJPlS6_EEENSR_IJSD_SD_EEES6_PiJS6_EEE10hipError_tPvRmT3_T4_T5_T6_T7_T9_mT8_P12ihipStream_tbDpT10_ENKUlT_T0_E_clISt17integral_constantIbLb0EES1F_EEDaS1A_S1B_EUlS1A_E_NS1_11comp_targetILNS1_3genE9ELNS1_11target_archE1100ELNS1_3gpuE3ELNS1_3repE0EEENS1_30default_config_static_selectorELNS0_4arch9wavefront6targetE0EEEvT1_
		.amdhsa_group_segment_fixed_size 0
		.amdhsa_private_segment_fixed_size 0
		.amdhsa_kernarg_size 120
		.amdhsa_user_sgpr_count 2
		.amdhsa_user_sgpr_dispatch_ptr 0
		.amdhsa_user_sgpr_queue_ptr 0
		.amdhsa_user_sgpr_kernarg_segment_ptr 1
		.amdhsa_user_sgpr_dispatch_id 0
		.amdhsa_user_sgpr_private_segment_size 0
		.amdhsa_wavefront_size32 1
		.amdhsa_uses_dynamic_stack 0
		.amdhsa_enable_private_segment 0
		.amdhsa_system_sgpr_workgroup_id_x 1
		.amdhsa_system_sgpr_workgroup_id_y 0
		.amdhsa_system_sgpr_workgroup_id_z 0
		.amdhsa_system_sgpr_workgroup_info 0
		.amdhsa_system_vgpr_workitem_id 0
		.amdhsa_next_free_vgpr 1
		.amdhsa_next_free_sgpr 1
		.amdhsa_reserve_vcc 0
		.amdhsa_float_round_mode_32 0
		.amdhsa_float_round_mode_16_64 0
		.amdhsa_float_denorm_mode_32 3
		.amdhsa_float_denorm_mode_16_64 3
		.amdhsa_fp16_overflow 0
		.amdhsa_workgroup_processor_mode 1
		.amdhsa_memory_ordered 1
		.amdhsa_forward_progress 1
		.amdhsa_inst_pref_size 0
		.amdhsa_round_robin_scheduling 0
		.amdhsa_exception_fp_ieee_invalid_op 0
		.amdhsa_exception_fp_denorm_src 0
		.amdhsa_exception_fp_ieee_div_zero 0
		.amdhsa_exception_fp_ieee_overflow 0
		.amdhsa_exception_fp_ieee_underflow 0
		.amdhsa_exception_fp_ieee_inexact 0
		.amdhsa_exception_int_div_zero 0
	.end_amdhsa_kernel
	.section	.text._ZN7rocprim17ROCPRIM_400000_NS6detail17trampoline_kernelINS0_14default_configENS1_25partition_config_selectorILNS1_17partition_subalgoE5ElNS0_10empty_typeEbEEZZNS1_14partition_implILS5_5ELb0ES3_mN6hipcub16HIPCUB_304000_NS21CountingInputIteratorIllEEPS6_NSA_22TransformInputIteratorIbN2at6native12_GLOBAL__N_19NonZeroOpIN3c107complexINSJ_4HalfEEEEEPKSM_lEENS0_5tupleIJPlS6_EEENSR_IJSD_SD_EEES6_PiJS6_EEE10hipError_tPvRmT3_T4_T5_T6_T7_T9_mT8_P12ihipStream_tbDpT10_ENKUlT_T0_E_clISt17integral_constantIbLb0EES1F_EEDaS1A_S1B_EUlS1A_E_NS1_11comp_targetILNS1_3genE9ELNS1_11target_archE1100ELNS1_3gpuE3ELNS1_3repE0EEENS1_30default_config_static_selectorELNS0_4arch9wavefront6targetE0EEEvT1_,"axG",@progbits,_ZN7rocprim17ROCPRIM_400000_NS6detail17trampoline_kernelINS0_14default_configENS1_25partition_config_selectorILNS1_17partition_subalgoE5ElNS0_10empty_typeEbEEZZNS1_14partition_implILS5_5ELb0ES3_mN6hipcub16HIPCUB_304000_NS21CountingInputIteratorIllEEPS6_NSA_22TransformInputIteratorIbN2at6native12_GLOBAL__N_19NonZeroOpIN3c107complexINSJ_4HalfEEEEEPKSM_lEENS0_5tupleIJPlS6_EEENSR_IJSD_SD_EEES6_PiJS6_EEE10hipError_tPvRmT3_T4_T5_T6_T7_T9_mT8_P12ihipStream_tbDpT10_ENKUlT_T0_E_clISt17integral_constantIbLb0EES1F_EEDaS1A_S1B_EUlS1A_E_NS1_11comp_targetILNS1_3genE9ELNS1_11target_archE1100ELNS1_3gpuE3ELNS1_3repE0EEENS1_30default_config_static_selectorELNS0_4arch9wavefront6targetE0EEEvT1_,comdat
.Lfunc_end668:
	.size	_ZN7rocprim17ROCPRIM_400000_NS6detail17trampoline_kernelINS0_14default_configENS1_25partition_config_selectorILNS1_17partition_subalgoE5ElNS0_10empty_typeEbEEZZNS1_14partition_implILS5_5ELb0ES3_mN6hipcub16HIPCUB_304000_NS21CountingInputIteratorIllEEPS6_NSA_22TransformInputIteratorIbN2at6native12_GLOBAL__N_19NonZeroOpIN3c107complexINSJ_4HalfEEEEEPKSM_lEENS0_5tupleIJPlS6_EEENSR_IJSD_SD_EEES6_PiJS6_EEE10hipError_tPvRmT3_T4_T5_T6_T7_T9_mT8_P12ihipStream_tbDpT10_ENKUlT_T0_E_clISt17integral_constantIbLb0EES1F_EEDaS1A_S1B_EUlS1A_E_NS1_11comp_targetILNS1_3genE9ELNS1_11target_archE1100ELNS1_3gpuE3ELNS1_3repE0EEENS1_30default_config_static_selectorELNS0_4arch9wavefront6targetE0EEEvT1_, .Lfunc_end668-_ZN7rocprim17ROCPRIM_400000_NS6detail17trampoline_kernelINS0_14default_configENS1_25partition_config_selectorILNS1_17partition_subalgoE5ElNS0_10empty_typeEbEEZZNS1_14partition_implILS5_5ELb0ES3_mN6hipcub16HIPCUB_304000_NS21CountingInputIteratorIllEEPS6_NSA_22TransformInputIteratorIbN2at6native12_GLOBAL__N_19NonZeroOpIN3c107complexINSJ_4HalfEEEEEPKSM_lEENS0_5tupleIJPlS6_EEENSR_IJSD_SD_EEES6_PiJS6_EEE10hipError_tPvRmT3_T4_T5_T6_T7_T9_mT8_P12ihipStream_tbDpT10_ENKUlT_T0_E_clISt17integral_constantIbLb0EES1F_EEDaS1A_S1B_EUlS1A_E_NS1_11comp_targetILNS1_3genE9ELNS1_11target_archE1100ELNS1_3gpuE3ELNS1_3repE0EEENS1_30default_config_static_selectorELNS0_4arch9wavefront6targetE0EEEvT1_
                                        ; -- End function
	.set _ZN7rocprim17ROCPRIM_400000_NS6detail17trampoline_kernelINS0_14default_configENS1_25partition_config_selectorILNS1_17partition_subalgoE5ElNS0_10empty_typeEbEEZZNS1_14partition_implILS5_5ELb0ES3_mN6hipcub16HIPCUB_304000_NS21CountingInputIteratorIllEEPS6_NSA_22TransformInputIteratorIbN2at6native12_GLOBAL__N_19NonZeroOpIN3c107complexINSJ_4HalfEEEEEPKSM_lEENS0_5tupleIJPlS6_EEENSR_IJSD_SD_EEES6_PiJS6_EEE10hipError_tPvRmT3_T4_T5_T6_T7_T9_mT8_P12ihipStream_tbDpT10_ENKUlT_T0_E_clISt17integral_constantIbLb0EES1F_EEDaS1A_S1B_EUlS1A_E_NS1_11comp_targetILNS1_3genE9ELNS1_11target_archE1100ELNS1_3gpuE3ELNS1_3repE0EEENS1_30default_config_static_selectorELNS0_4arch9wavefront6targetE0EEEvT1_.num_vgpr, 0
	.set _ZN7rocprim17ROCPRIM_400000_NS6detail17trampoline_kernelINS0_14default_configENS1_25partition_config_selectorILNS1_17partition_subalgoE5ElNS0_10empty_typeEbEEZZNS1_14partition_implILS5_5ELb0ES3_mN6hipcub16HIPCUB_304000_NS21CountingInputIteratorIllEEPS6_NSA_22TransformInputIteratorIbN2at6native12_GLOBAL__N_19NonZeroOpIN3c107complexINSJ_4HalfEEEEEPKSM_lEENS0_5tupleIJPlS6_EEENSR_IJSD_SD_EEES6_PiJS6_EEE10hipError_tPvRmT3_T4_T5_T6_T7_T9_mT8_P12ihipStream_tbDpT10_ENKUlT_T0_E_clISt17integral_constantIbLb0EES1F_EEDaS1A_S1B_EUlS1A_E_NS1_11comp_targetILNS1_3genE9ELNS1_11target_archE1100ELNS1_3gpuE3ELNS1_3repE0EEENS1_30default_config_static_selectorELNS0_4arch9wavefront6targetE0EEEvT1_.num_agpr, 0
	.set _ZN7rocprim17ROCPRIM_400000_NS6detail17trampoline_kernelINS0_14default_configENS1_25partition_config_selectorILNS1_17partition_subalgoE5ElNS0_10empty_typeEbEEZZNS1_14partition_implILS5_5ELb0ES3_mN6hipcub16HIPCUB_304000_NS21CountingInputIteratorIllEEPS6_NSA_22TransformInputIteratorIbN2at6native12_GLOBAL__N_19NonZeroOpIN3c107complexINSJ_4HalfEEEEEPKSM_lEENS0_5tupleIJPlS6_EEENSR_IJSD_SD_EEES6_PiJS6_EEE10hipError_tPvRmT3_T4_T5_T6_T7_T9_mT8_P12ihipStream_tbDpT10_ENKUlT_T0_E_clISt17integral_constantIbLb0EES1F_EEDaS1A_S1B_EUlS1A_E_NS1_11comp_targetILNS1_3genE9ELNS1_11target_archE1100ELNS1_3gpuE3ELNS1_3repE0EEENS1_30default_config_static_selectorELNS0_4arch9wavefront6targetE0EEEvT1_.numbered_sgpr, 0
	.set _ZN7rocprim17ROCPRIM_400000_NS6detail17trampoline_kernelINS0_14default_configENS1_25partition_config_selectorILNS1_17partition_subalgoE5ElNS0_10empty_typeEbEEZZNS1_14partition_implILS5_5ELb0ES3_mN6hipcub16HIPCUB_304000_NS21CountingInputIteratorIllEEPS6_NSA_22TransformInputIteratorIbN2at6native12_GLOBAL__N_19NonZeroOpIN3c107complexINSJ_4HalfEEEEEPKSM_lEENS0_5tupleIJPlS6_EEENSR_IJSD_SD_EEES6_PiJS6_EEE10hipError_tPvRmT3_T4_T5_T6_T7_T9_mT8_P12ihipStream_tbDpT10_ENKUlT_T0_E_clISt17integral_constantIbLb0EES1F_EEDaS1A_S1B_EUlS1A_E_NS1_11comp_targetILNS1_3genE9ELNS1_11target_archE1100ELNS1_3gpuE3ELNS1_3repE0EEENS1_30default_config_static_selectorELNS0_4arch9wavefront6targetE0EEEvT1_.num_named_barrier, 0
	.set _ZN7rocprim17ROCPRIM_400000_NS6detail17trampoline_kernelINS0_14default_configENS1_25partition_config_selectorILNS1_17partition_subalgoE5ElNS0_10empty_typeEbEEZZNS1_14partition_implILS5_5ELb0ES3_mN6hipcub16HIPCUB_304000_NS21CountingInputIteratorIllEEPS6_NSA_22TransformInputIteratorIbN2at6native12_GLOBAL__N_19NonZeroOpIN3c107complexINSJ_4HalfEEEEEPKSM_lEENS0_5tupleIJPlS6_EEENSR_IJSD_SD_EEES6_PiJS6_EEE10hipError_tPvRmT3_T4_T5_T6_T7_T9_mT8_P12ihipStream_tbDpT10_ENKUlT_T0_E_clISt17integral_constantIbLb0EES1F_EEDaS1A_S1B_EUlS1A_E_NS1_11comp_targetILNS1_3genE9ELNS1_11target_archE1100ELNS1_3gpuE3ELNS1_3repE0EEENS1_30default_config_static_selectorELNS0_4arch9wavefront6targetE0EEEvT1_.private_seg_size, 0
	.set _ZN7rocprim17ROCPRIM_400000_NS6detail17trampoline_kernelINS0_14default_configENS1_25partition_config_selectorILNS1_17partition_subalgoE5ElNS0_10empty_typeEbEEZZNS1_14partition_implILS5_5ELb0ES3_mN6hipcub16HIPCUB_304000_NS21CountingInputIteratorIllEEPS6_NSA_22TransformInputIteratorIbN2at6native12_GLOBAL__N_19NonZeroOpIN3c107complexINSJ_4HalfEEEEEPKSM_lEENS0_5tupleIJPlS6_EEENSR_IJSD_SD_EEES6_PiJS6_EEE10hipError_tPvRmT3_T4_T5_T6_T7_T9_mT8_P12ihipStream_tbDpT10_ENKUlT_T0_E_clISt17integral_constantIbLb0EES1F_EEDaS1A_S1B_EUlS1A_E_NS1_11comp_targetILNS1_3genE9ELNS1_11target_archE1100ELNS1_3gpuE3ELNS1_3repE0EEENS1_30default_config_static_selectorELNS0_4arch9wavefront6targetE0EEEvT1_.uses_vcc, 0
	.set _ZN7rocprim17ROCPRIM_400000_NS6detail17trampoline_kernelINS0_14default_configENS1_25partition_config_selectorILNS1_17partition_subalgoE5ElNS0_10empty_typeEbEEZZNS1_14partition_implILS5_5ELb0ES3_mN6hipcub16HIPCUB_304000_NS21CountingInputIteratorIllEEPS6_NSA_22TransformInputIteratorIbN2at6native12_GLOBAL__N_19NonZeroOpIN3c107complexINSJ_4HalfEEEEEPKSM_lEENS0_5tupleIJPlS6_EEENSR_IJSD_SD_EEES6_PiJS6_EEE10hipError_tPvRmT3_T4_T5_T6_T7_T9_mT8_P12ihipStream_tbDpT10_ENKUlT_T0_E_clISt17integral_constantIbLb0EES1F_EEDaS1A_S1B_EUlS1A_E_NS1_11comp_targetILNS1_3genE9ELNS1_11target_archE1100ELNS1_3gpuE3ELNS1_3repE0EEENS1_30default_config_static_selectorELNS0_4arch9wavefront6targetE0EEEvT1_.uses_flat_scratch, 0
	.set _ZN7rocprim17ROCPRIM_400000_NS6detail17trampoline_kernelINS0_14default_configENS1_25partition_config_selectorILNS1_17partition_subalgoE5ElNS0_10empty_typeEbEEZZNS1_14partition_implILS5_5ELb0ES3_mN6hipcub16HIPCUB_304000_NS21CountingInputIteratorIllEEPS6_NSA_22TransformInputIteratorIbN2at6native12_GLOBAL__N_19NonZeroOpIN3c107complexINSJ_4HalfEEEEEPKSM_lEENS0_5tupleIJPlS6_EEENSR_IJSD_SD_EEES6_PiJS6_EEE10hipError_tPvRmT3_T4_T5_T6_T7_T9_mT8_P12ihipStream_tbDpT10_ENKUlT_T0_E_clISt17integral_constantIbLb0EES1F_EEDaS1A_S1B_EUlS1A_E_NS1_11comp_targetILNS1_3genE9ELNS1_11target_archE1100ELNS1_3gpuE3ELNS1_3repE0EEENS1_30default_config_static_selectorELNS0_4arch9wavefront6targetE0EEEvT1_.has_dyn_sized_stack, 0
	.set _ZN7rocprim17ROCPRIM_400000_NS6detail17trampoline_kernelINS0_14default_configENS1_25partition_config_selectorILNS1_17partition_subalgoE5ElNS0_10empty_typeEbEEZZNS1_14partition_implILS5_5ELb0ES3_mN6hipcub16HIPCUB_304000_NS21CountingInputIteratorIllEEPS6_NSA_22TransformInputIteratorIbN2at6native12_GLOBAL__N_19NonZeroOpIN3c107complexINSJ_4HalfEEEEEPKSM_lEENS0_5tupleIJPlS6_EEENSR_IJSD_SD_EEES6_PiJS6_EEE10hipError_tPvRmT3_T4_T5_T6_T7_T9_mT8_P12ihipStream_tbDpT10_ENKUlT_T0_E_clISt17integral_constantIbLb0EES1F_EEDaS1A_S1B_EUlS1A_E_NS1_11comp_targetILNS1_3genE9ELNS1_11target_archE1100ELNS1_3gpuE3ELNS1_3repE0EEENS1_30default_config_static_selectorELNS0_4arch9wavefront6targetE0EEEvT1_.has_recursion, 0
	.set _ZN7rocprim17ROCPRIM_400000_NS6detail17trampoline_kernelINS0_14default_configENS1_25partition_config_selectorILNS1_17partition_subalgoE5ElNS0_10empty_typeEbEEZZNS1_14partition_implILS5_5ELb0ES3_mN6hipcub16HIPCUB_304000_NS21CountingInputIteratorIllEEPS6_NSA_22TransformInputIteratorIbN2at6native12_GLOBAL__N_19NonZeroOpIN3c107complexINSJ_4HalfEEEEEPKSM_lEENS0_5tupleIJPlS6_EEENSR_IJSD_SD_EEES6_PiJS6_EEE10hipError_tPvRmT3_T4_T5_T6_T7_T9_mT8_P12ihipStream_tbDpT10_ENKUlT_T0_E_clISt17integral_constantIbLb0EES1F_EEDaS1A_S1B_EUlS1A_E_NS1_11comp_targetILNS1_3genE9ELNS1_11target_archE1100ELNS1_3gpuE3ELNS1_3repE0EEENS1_30default_config_static_selectorELNS0_4arch9wavefront6targetE0EEEvT1_.has_indirect_call, 0
	.section	.AMDGPU.csdata,"",@progbits
; Kernel info:
; codeLenInByte = 0
; TotalNumSgprs: 0
; NumVgprs: 0
; ScratchSize: 0
; MemoryBound: 0
; FloatMode: 240
; IeeeMode: 1
; LDSByteSize: 0 bytes/workgroup (compile time only)
; SGPRBlocks: 0
; VGPRBlocks: 0
; NumSGPRsForWavesPerEU: 1
; NumVGPRsForWavesPerEU: 1
; Occupancy: 16
; WaveLimiterHint : 0
; COMPUTE_PGM_RSRC2:SCRATCH_EN: 0
; COMPUTE_PGM_RSRC2:USER_SGPR: 2
; COMPUTE_PGM_RSRC2:TRAP_HANDLER: 0
; COMPUTE_PGM_RSRC2:TGID_X_EN: 1
; COMPUTE_PGM_RSRC2:TGID_Y_EN: 0
; COMPUTE_PGM_RSRC2:TGID_Z_EN: 0
; COMPUTE_PGM_RSRC2:TIDIG_COMP_CNT: 0
	.section	.text._ZN7rocprim17ROCPRIM_400000_NS6detail17trampoline_kernelINS0_14default_configENS1_25partition_config_selectorILNS1_17partition_subalgoE5ElNS0_10empty_typeEbEEZZNS1_14partition_implILS5_5ELb0ES3_mN6hipcub16HIPCUB_304000_NS21CountingInputIteratorIllEEPS6_NSA_22TransformInputIteratorIbN2at6native12_GLOBAL__N_19NonZeroOpIN3c107complexINSJ_4HalfEEEEEPKSM_lEENS0_5tupleIJPlS6_EEENSR_IJSD_SD_EEES6_PiJS6_EEE10hipError_tPvRmT3_T4_T5_T6_T7_T9_mT8_P12ihipStream_tbDpT10_ENKUlT_T0_E_clISt17integral_constantIbLb0EES1F_EEDaS1A_S1B_EUlS1A_E_NS1_11comp_targetILNS1_3genE8ELNS1_11target_archE1030ELNS1_3gpuE2ELNS1_3repE0EEENS1_30default_config_static_selectorELNS0_4arch9wavefront6targetE0EEEvT1_,"axG",@progbits,_ZN7rocprim17ROCPRIM_400000_NS6detail17trampoline_kernelINS0_14default_configENS1_25partition_config_selectorILNS1_17partition_subalgoE5ElNS0_10empty_typeEbEEZZNS1_14partition_implILS5_5ELb0ES3_mN6hipcub16HIPCUB_304000_NS21CountingInputIteratorIllEEPS6_NSA_22TransformInputIteratorIbN2at6native12_GLOBAL__N_19NonZeroOpIN3c107complexINSJ_4HalfEEEEEPKSM_lEENS0_5tupleIJPlS6_EEENSR_IJSD_SD_EEES6_PiJS6_EEE10hipError_tPvRmT3_T4_T5_T6_T7_T9_mT8_P12ihipStream_tbDpT10_ENKUlT_T0_E_clISt17integral_constantIbLb0EES1F_EEDaS1A_S1B_EUlS1A_E_NS1_11comp_targetILNS1_3genE8ELNS1_11target_archE1030ELNS1_3gpuE2ELNS1_3repE0EEENS1_30default_config_static_selectorELNS0_4arch9wavefront6targetE0EEEvT1_,comdat
	.globl	_ZN7rocprim17ROCPRIM_400000_NS6detail17trampoline_kernelINS0_14default_configENS1_25partition_config_selectorILNS1_17partition_subalgoE5ElNS0_10empty_typeEbEEZZNS1_14partition_implILS5_5ELb0ES3_mN6hipcub16HIPCUB_304000_NS21CountingInputIteratorIllEEPS6_NSA_22TransformInputIteratorIbN2at6native12_GLOBAL__N_19NonZeroOpIN3c107complexINSJ_4HalfEEEEEPKSM_lEENS0_5tupleIJPlS6_EEENSR_IJSD_SD_EEES6_PiJS6_EEE10hipError_tPvRmT3_T4_T5_T6_T7_T9_mT8_P12ihipStream_tbDpT10_ENKUlT_T0_E_clISt17integral_constantIbLb0EES1F_EEDaS1A_S1B_EUlS1A_E_NS1_11comp_targetILNS1_3genE8ELNS1_11target_archE1030ELNS1_3gpuE2ELNS1_3repE0EEENS1_30default_config_static_selectorELNS0_4arch9wavefront6targetE0EEEvT1_ ; -- Begin function _ZN7rocprim17ROCPRIM_400000_NS6detail17trampoline_kernelINS0_14default_configENS1_25partition_config_selectorILNS1_17partition_subalgoE5ElNS0_10empty_typeEbEEZZNS1_14partition_implILS5_5ELb0ES3_mN6hipcub16HIPCUB_304000_NS21CountingInputIteratorIllEEPS6_NSA_22TransformInputIteratorIbN2at6native12_GLOBAL__N_19NonZeroOpIN3c107complexINSJ_4HalfEEEEEPKSM_lEENS0_5tupleIJPlS6_EEENSR_IJSD_SD_EEES6_PiJS6_EEE10hipError_tPvRmT3_T4_T5_T6_T7_T9_mT8_P12ihipStream_tbDpT10_ENKUlT_T0_E_clISt17integral_constantIbLb0EES1F_EEDaS1A_S1B_EUlS1A_E_NS1_11comp_targetILNS1_3genE8ELNS1_11target_archE1030ELNS1_3gpuE2ELNS1_3repE0EEENS1_30default_config_static_selectorELNS0_4arch9wavefront6targetE0EEEvT1_
	.p2align	8
	.type	_ZN7rocprim17ROCPRIM_400000_NS6detail17trampoline_kernelINS0_14default_configENS1_25partition_config_selectorILNS1_17partition_subalgoE5ElNS0_10empty_typeEbEEZZNS1_14partition_implILS5_5ELb0ES3_mN6hipcub16HIPCUB_304000_NS21CountingInputIteratorIllEEPS6_NSA_22TransformInputIteratorIbN2at6native12_GLOBAL__N_19NonZeroOpIN3c107complexINSJ_4HalfEEEEEPKSM_lEENS0_5tupleIJPlS6_EEENSR_IJSD_SD_EEES6_PiJS6_EEE10hipError_tPvRmT3_T4_T5_T6_T7_T9_mT8_P12ihipStream_tbDpT10_ENKUlT_T0_E_clISt17integral_constantIbLb0EES1F_EEDaS1A_S1B_EUlS1A_E_NS1_11comp_targetILNS1_3genE8ELNS1_11target_archE1030ELNS1_3gpuE2ELNS1_3repE0EEENS1_30default_config_static_selectorELNS0_4arch9wavefront6targetE0EEEvT1_,@function
_ZN7rocprim17ROCPRIM_400000_NS6detail17trampoline_kernelINS0_14default_configENS1_25partition_config_selectorILNS1_17partition_subalgoE5ElNS0_10empty_typeEbEEZZNS1_14partition_implILS5_5ELb0ES3_mN6hipcub16HIPCUB_304000_NS21CountingInputIteratorIllEEPS6_NSA_22TransformInputIteratorIbN2at6native12_GLOBAL__N_19NonZeroOpIN3c107complexINSJ_4HalfEEEEEPKSM_lEENS0_5tupleIJPlS6_EEENSR_IJSD_SD_EEES6_PiJS6_EEE10hipError_tPvRmT3_T4_T5_T6_T7_T9_mT8_P12ihipStream_tbDpT10_ENKUlT_T0_E_clISt17integral_constantIbLb0EES1F_EEDaS1A_S1B_EUlS1A_E_NS1_11comp_targetILNS1_3genE8ELNS1_11target_archE1030ELNS1_3gpuE2ELNS1_3repE0EEENS1_30default_config_static_selectorELNS0_4arch9wavefront6targetE0EEEvT1_: ; @_ZN7rocprim17ROCPRIM_400000_NS6detail17trampoline_kernelINS0_14default_configENS1_25partition_config_selectorILNS1_17partition_subalgoE5ElNS0_10empty_typeEbEEZZNS1_14partition_implILS5_5ELb0ES3_mN6hipcub16HIPCUB_304000_NS21CountingInputIteratorIllEEPS6_NSA_22TransformInputIteratorIbN2at6native12_GLOBAL__N_19NonZeroOpIN3c107complexINSJ_4HalfEEEEEPKSM_lEENS0_5tupleIJPlS6_EEENSR_IJSD_SD_EEES6_PiJS6_EEE10hipError_tPvRmT3_T4_T5_T6_T7_T9_mT8_P12ihipStream_tbDpT10_ENKUlT_T0_E_clISt17integral_constantIbLb0EES1F_EEDaS1A_S1B_EUlS1A_E_NS1_11comp_targetILNS1_3genE8ELNS1_11target_archE1030ELNS1_3gpuE2ELNS1_3repE0EEENS1_30default_config_static_selectorELNS0_4arch9wavefront6targetE0EEEvT1_
; %bb.0:
	.section	.rodata,"a",@progbits
	.p2align	6, 0x0
	.amdhsa_kernel _ZN7rocprim17ROCPRIM_400000_NS6detail17trampoline_kernelINS0_14default_configENS1_25partition_config_selectorILNS1_17partition_subalgoE5ElNS0_10empty_typeEbEEZZNS1_14partition_implILS5_5ELb0ES3_mN6hipcub16HIPCUB_304000_NS21CountingInputIteratorIllEEPS6_NSA_22TransformInputIteratorIbN2at6native12_GLOBAL__N_19NonZeroOpIN3c107complexINSJ_4HalfEEEEEPKSM_lEENS0_5tupleIJPlS6_EEENSR_IJSD_SD_EEES6_PiJS6_EEE10hipError_tPvRmT3_T4_T5_T6_T7_T9_mT8_P12ihipStream_tbDpT10_ENKUlT_T0_E_clISt17integral_constantIbLb0EES1F_EEDaS1A_S1B_EUlS1A_E_NS1_11comp_targetILNS1_3genE8ELNS1_11target_archE1030ELNS1_3gpuE2ELNS1_3repE0EEENS1_30default_config_static_selectorELNS0_4arch9wavefront6targetE0EEEvT1_
		.amdhsa_group_segment_fixed_size 0
		.amdhsa_private_segment_fixed_size 0
		.amdhsa_kernarg_size 120
		.amdhsa_user_sgpr_count 2
		.amdhsa_user_sgpr_dispatch_ptr 0
		.amdhsa_user_sgpr_queue_ptr 0
		.amdhsa_user_sgpr_kernarg_segment_ptr 1
		.amdhsa_user_sgpr_dispatch_id 0
		.amdhsa_user_sgpr_private_segment_size 0
		.amdhsa_wavefront_size32 1
		.amdhsa_uses_dynamic_stack 0
		.amdhsa_enable_private_segment 0
		.amdhsa_system_sgpr_workgroup_id_x 1
		.amdhsa_system_sgpr_workgroup_id_y 0
		.amdhsa_system_sgpr_workgroup_id_z 0
		.amdhsa_system_sgpr_workgroup_info 0
		.amdhsa_system_vgpr_workitem_id 0
		.amdhsa_next_free_vgpr 1
		.amdhsa_next_free_sgpr 1
		.amdhsa_reserve_vcc 0
		.amdhsa_float_round_mode_32 0
		.amdhsa_float_round_mode_16_64 0
		.amdhsa_float_denorm_mode_32 3
		.amdhsa_float_denorm_mode_16_64 3
		.amdhsa_fp16_overflow 0
		.amdhsa_workgroup_processor_mode 1
		.amdhsa_memory_ordered 1
		.amdhsa_forward_progress 1
		.amdhsa_inst_pref_size 0
		.amdhsa_round_robin_scheduling 0
		.amdhsa_exception_fp_ieee_invalid_op 0
		.amdhsa_exception_fp_denorm_src 0
		.amdhsa_exception_fp_ieee_div_zero 0
		.amdhsa_exception_fp_ieee_overflow 0
		.amdhsa_exception_fp_ieee_underflow 0
		.amdhsa_exception_fp_ieee_inexact 0
		.amdhsa_exception_int_div_zero 0
	.end_amdhsa_kernel
	.section	.text._ZN7rocprim17ROCPRIM_400000_NS6detail17trampoline_kernelINS0_14default_configENS1_25partition_config_selectorILNS1_17partition_subalgoE5ElNS0_10empty_typeEbEEZZNS1_14partition_implILS5_5ELb0ES3_mN6hipcub16HIPCUB_304000_NS21CountingInputIteratorIllEEPS6_NSA_22TransformInputIteratorIbN2at6native12_GLOBAL__N_19NonZeroOpIN3c107complexINSJ_4HalfEEEEEPKSM_lEENS0_5tupleIJPlS6_EEENSR_IJSD_SD_EEES6_PiJS6_EEE10hipError_tPvRmT3_T4_T5_T6_T7_T9_mT8_P12ihipStream_tbDpT10_ENKUlT_T0_E_clISt17integral_constantIbLb0EES1F_EEDaS1A_S1B_EUlS1A_E_NS1_11comp_targetILNS1_3genE8ELNS1_11target_archE1030ELNS1_3gpuE2ELNS1_3repE0EEENS1_30default_config_static_selectorELNS0_4arch9wavefront6targetE0EEEvT1_,"axG",@progbits,_ZN7rocprim17ROCPRIM_400000_NS6detail17trampoline_kernelINS0_14default_configENS1_25partition_config_selectorILNS1_17partition_subalgoE5ElNS0_10empty_typeEbEEZZNS1_14partition_implILS5_5ELb0ES3_mN6hipcub16HIPCUB_304000_NS21CountingInputIteratorIllEEPS6_NSA_22TransformInputIteratorIbN2at6native12_GLOBAL__N_19NonZeroOpIN3c107complexINSJ_4HalfEEEEEPKSM_lEENS0_5tupleIJPlS6_EEENSR_IJSD_SD_EEES6_PiJS6_EEE10hipError_tPvRmT3_T4_T5_T6_T7_T9_mT8_P12ihipStream_tbDpT10_ENKUlT_T0_E_clISt17integral_constantIbLb0EES1F_EEDaS1A_S1B_EUlS1A_E_NS1_11comp_targetILNS1_3genE8ELNS1_11target_archE1030ELNS1_3gpuE2ELNS1_3repE0EEENS1_30default_config_static_selectorELNS0_4arch9wavefront6targetE0EEEvT1_,comdat
.Lfunc_end669:
	.size	_ZN7rocprim17ROCPRIM_400000_NS6detail17trampoline_kernelINS0_14default_configENS1_25partition_config_selectorILNS1_17partition_subalgoE5ElNS0_10empty_typeEbEEZZNS1_14partition_implILS5_5ELb0ES3_mN6hipcub16HIPCUB_304000_NS21CountingInputIteratorIllEEPS6_NSA_22TransformInputIteratorIbN2at6native12_GLOBAL__N_19NonZeroOpIN3c107complexINSJ_4HalfEEEEEPKSM_lEENS0_5tupleIJPlS6_EEENSR_IJSD_SD_EEES6_PiJS6_EEE10hipError_tPvRmT3_T4_T5_T6_T7_T9_mT8_P12ihipStream_tbDpT10_ENKUlT_T0_E_clISt17integral_constantIbLb0EES1F_EEDaS1A_S1B_EUlS1A_E_NS1_11comp_targetILNS1_3genE8ELNS1_11target_archE1030ELNS1_3gpuE2ELNS1_3repE0EEENS1_30default_config_static_selectorELNS0_4arch9wavefront6targetE0EEEvT1_, .Lfunc_end669-_ZN7rocprim17ROCPRIM_400000_NS6detail17trampoline_kernelINS0_14default_configENS1_25partition_config_selectorILNS1_17partition_subalgoE5ElNS0_10empty_typeEbEEZZNS1_14partition_implILS5_5ELb0ES3_mN6hipcub16HIPCUB_304000_NS21CountingInputIteratorIllEEPS6_NSA_22TransformInputIteratorIbN2at6native12_GLOBAL__N_19NonZeroOpIN3c107complexINSJ_4HalfEEEEEPKSM_lEENS0_5tupleIJPlS6_EEENSR_IJSD_SD_EEES6_PiJS6_EEE10hipError_tPvRmT3_T4_T5_T6_T7_T9_mT8_P12ihipStream_tbDpT10_ENKUlT_T0_E_clISt17integral_constantIbLb0EES1F_EEDaS1A_S1B_EUlS1A_E_NS1_11comp_targetILNS1_3genE8ELNS1_11target_archE1030ELNS1_3gpuE2ELNS1_3repE0EEENS1_30default_config_static_selectorELNS0_4arch9wavefront6targetE0EEEvT1_
                                        ; -- End function
	.set _ZN7rocprim17ROCPRIM_400000_NS6detail17trampoline_kernelINS0_14default_configENS1_25partition_config_selectorILNS1_17partition_subalgoE5ElNS0_10empty_typeEbEEZZNS1_14partition_implILS5_5ELb0ES3_mN6hipcub16HIPCUB_304000_NS21CountingInputIteratorIllEEPS6_NSA_22TransformInputIteratorIbN2at6native12_GLOBAL__N_19NonZeroOpIN3c107complexINSJ_4HalfEEEEEPKSM_lEENS0_5tupleIJPlS6_EEENSR_IJSD_SD_EEES6_PiJS6_EEE10hipError_tPvRmT3_T4_T5_T6_T7_T9_mT8_P12ihipStream_tbDpT10_ENKUlT_T0_E_clISt17integral_constantIbLb0EES1F_EEDaS1A_S1B_EUlS1A_E_NS1_11comp_targetILNS1_3genE8ELNS1_11target_archE1030ELNS1_3gpuE2ELNS1_3repE0EEENS1_30default_config_static_selectorELNS0_4arch9wavefront6targetE0EEEvT1_.num_vgpr, 0
	.set _ZN7rocprim17ROCPRIM_400000_NS6detail17trampoline_kernelINS0_14default_configENS1_25partition_config_selectorILNS1_17partition_subalgoE5ElNS0_10empty_typeEbEEZZNS1_14partition_implILS5_5ELb0ES3_mN6hipcub16HIPCUB_304000_NS21CountingInputIteratorIllEEPS6_NSA_22TransformInputIteratorIbN2at6native12_GLOBAL__N_19NonZeroOpIN3c107complexINSJ_4HalfEEEEEPKSM_lEENS0_5tupleIJPlS6_EEENSR_IJSD_SD_EEES6_PiJS6_EEE10hipError_tPvRmT3_T4_T5_T6_T7_T9_mT8_P12ihipStream_tbDpT10_ENKUlT_T0_E_clISt17integral_constantIbLb0EES1F_EEDaS1A_S1B_EUlS1A_E_NS1_11comp_targetILNS1_3genE8ELNS1_11target_archE1030ELNS1_3gpuE2ELNS1_3repE0EEENS1_30default_config_static_selectorELNS0_4arch9wavefront6targetE0EEEvT1_.num_agpr, 0
	.set _ZN7rocprim17ROCPRIM_400000_NS6detail17trampoline_kernelINS0_14default_configENS1_25partition_config_selectorILNS1_17partition_subalgoE5ElNS0_10empty_typeEbEEZZNS1_14partition_implILS5_5ELb0ES3_mN6hipcub16HIPCUB_304000_NS21CountingInputIteratorIllEEPS6_NSA_22TransformInputIteratorIbN2at6native12_GLOBAL__N_19NonZeroOpIN3c107complexINSJ_4HalfEEEEEPKSM_lEENS0_5tupleIJPlS6_EEENSR_IJSD_SD_EEES6_PiJS6_EEE10hipError_tPvRmT3_T4_T5_T6_T7_T9_mT8_P12ihipStream_tbDpT10_ENKUlT_T0_E_clISt17integral_constantIbLb0EES1F_EEDaS1A_S1B_EUlS1A_E_NS1_11comp_targetILNS1_3genE8ELNS1_11target_archE1030ELNS1_3gpuE2ELNS1_3repE0EEENS1_30default_config_static_selectorELNS0_4arch9wavefront6targetE0EEEvT1_.numbered_sgpr, 0
	.set _ZN7rocprim17ROCPRIM_400000_NS6detail17trampoline_kernelINS0_14default_configENS1_25partition_config_selectorILNS1_17partition_subalgoE5ElNS0_10empty_typeEbEEZZNS1_14partition_implILS5_5ELb0ES3_mN6hipcub16HIPCUB_304000_NS21CountingInputIteratorIllEEPS6_NSA_22TransformInputIteratorIbN2at6native12_GLOBAL__N_19NonZeroOpIN3c107complexINSJ_4HalfEEEEEPKSM_lEENS0_5tupleIJPlS6_EEENSR_IJSD_SD_EEES6_PiJS6_EEE10hipError_tPvRmT3_T4_T5_T6_T7_T9_mT8_P12ihipStream_tbDpT10_ENKUlT_T0_E_clISt17integral_constantIbLb0EES1F_EEDaS1A_S1B_EUlS1A_E_NS1_11comp_targetILNS1_3genE8ELNS1_11target_archE1030ELNS1_3gpuE2ELNS1_3repE0EEENS1_30default_config_static_selectorELNS0_4arch9wavefront6targetE0EEEvT1_.num_named_barrier, 0
	.set _ZN7rocprim17ROCPRIM_400000_NS6detail17trampoline_kernelINS0_14default_configENS1_25partition_config_selectorILNS1_17partition_subalgoE5ElNS0_10empty_typeEbEEZZNS1_14partition_implILS5_5ELb0ES3_mN6hipcub16HIPCUB_304000_NS21CountingInputIteratorIllEEPS6_NSA_22TransformInputIteratorIbN2at6native12_GLOBAL__N_19NonZeroOpIN3c107complexINSJ_4HalfEEEEEPKSM_lEENS0_5tupleIJPlS6_EEENSR_IJSD_SD_EEES6_PiJS6_EEE10hipError_tPvRmT3_T4_T5_T6_T7_T9_mT8_P12ihipStream_tbDpT10_ENKUlT_T0_E_clISt17integral_constantIbLb0EES1F_EEDaS1A_S1B_EUlS1A_E_NS1_11comp_targetILNS1_3genE8ELNS1_11target_archE1030ELNS1_3gpuE2ELNS1_3repE0EEENS1_30default_config_static_selectorELNS0_4arch9wavefront6targetE0EEEvT1_.private_seg_size, 0
	.set _ZN7rocprim17ROCPRIM_400000_NS6detail17trampoline_kernelINS0_14default_configENS1_25partition_config_selectorILNS1_17partition_subalgoE5ElNS0_10empty_typeEbEEZZNS1_14partition_implILS5_5ELb0ES3_mN6hipcub16HIPCUB_304000_NS21CountingInputIteratorIllEEPS6_NSA_22TransformInputIteratorIbN2at6native12_GLOBAL__N_19NonZeroOpIN3c107complexINSJ_4HalfEEEEEPKSM_lEENS0_5tupleIJPlS6_EEENSR_IJSD_SD_EEES6_PiJS6_EEE10hipError_tPvRmT3_T4_T5_T6_T7_T9_mT8_P12ihipStream_tbDpT10_ENKUlT_T0_E_clISt17integral_constantIbLb0EES1F_EEDaS1A_S1B_EUlS1A_E_NS1_11comp_targetILNS1_3genE8ELNS1_11target_archE1030ELNS1_3gpuE2ELNS1_3repE0EEENS1_30default_config_static_selectorELNS0_4arch9wavefront6targetE0EEEvT1_.uses_vcc, 0
	.set _ZN7rocprim17ROCPRIM_400000_NS6detail17trampoline_kernelINS0_14default_configENS1_25partition_config_selectorILNS1_17partition_subalgoE5ElNS0_10empty_typeEbEEZZNS1_14partition_implILS5_5ELb0ES3_mN6hipcub16HIPCUB_304000_NS21CountingInputIteratorIllEEPS6_NSA_22TransformInputIteratorIbN2at6native12_GLOBAL__N_19NonZeroOpIN3c107complexINSJ_4HalfEEEEEPKSM_lEENS0_5tupleIJPlS6_EEENSR_IJSD_SD_EEES6_PiJS6_EEE10hipError_tPvRmT3_T4_T5_T6_T7_T9_mT8_P12ihipStream_tbDpT10_ENKUlT_T0_E_clISt17integral_constantIbLb0EES1F_EEDaS1A_S1B_EUlS1A_E_NS1_11comp_targetILNS1_3genE8ELNS1_11target_archE1030ELNS1_3gpuE2ELNS1_3repE0EEENS1_30default_config_static_selectorELNS0_4arch9wavefront6targetE0EEEvT1_.uses_flat_scratch, 0
	.set _ZN7rocprim17ROCPRIM_400000_NS6detail17trampoline_kernelINS0_14default_configENS1_25partition_config_selectorILNS1_17partition_subalgoE5ElNS0_10empty_typeEbEEZZNS1_14partition_implILS5_5ELb0ES3_mN6hipcub16HIPCUB_304000_NS21CountingInputIteratorIllEEPS6_NSA_22TransformInputIteratorIbN2at6native12_GLOBAL__N_19NonZeroOpIN3c107complexINSJ_4HalfEEEEEPKSM_lEENS0_5tupleIJPlS6_EEENSR_IJSD_SD_EEES6_PiJS6_EEE10hipError_tPvRmT3_T4_T5_T6_T7_T9_mT8_P12ihipStream_tbDpT10_ENKUlT_T0_E_clISt17integral_constantIbLb0EES1F_EEDaS1A_S1B_EUlS1A_E_NS1_11comp_targetILNS1_3genE8ELNS1_11target_archE1030ELNS1_3gpuE2ELNS1_3repE0EEENS1_30default_config_static_selectorELNS0_4arch9wavefront6targetE0EEEvT1_.has_dyn_sized_stack, 0
	.set _ZN7rocprim17ROCPRIM_400000_NS6detail17trampoline_kernelINS0_14default_configENS1_25partition_config_selectorILNS1_17partition_subalgoE5ElNS0_10empty_typeEbEEZZNS1_14partition_implILS5_5ELb0ES3_mN6hipcub16HIPCUB_304000_NS21CountingInputIteratorIllEEPS6_NSA_22TransformInputIteratorIbN2at6native12_GLOBAL__N_19NonZeroOpIN3c107complexINSJ_4HalfEEEEEPKSM_lEENS0_5tupleIJPlS6_EEENSR_IJSD_SD_EEES6_PiJS6_EEE10hipError_tPvRmT3_T4_T5_T6_T7_T9_mT8_P12ihipStream_tbDpT10_ENKUlT_T0_E_clISt17integral_constantIbLb0EES1F_EEDaS1A_S1B_EUlS1A_E_NS1_11comp_targetILNS1_3genE8ELNS1_11target_archE1030ELNS1_3gpuE2ELNS1_3repE0EEENS1_30default_config_static_selectorELNS0_4arch9wavefront6targetE0EEEvT1_.has_recursion, 0
	.set _ZN7rocprim17ROCPRIM_400000_NS6detail17trampoline_kernelINS0_14default_configENS1_25partition_config_selectorILNS1_17partition_subalgoE5ElNS0_10empty_typeEbEEZZNS1_14partition_implILS5_5ELb0ES3_mN6hipcub16HIPCUB_304000_NS21CountingInputIteratorIllEEPS6_NSA_22TransformInputIteratorIbN2at6native12_GLOBAL__N_19NonZeroOpIN3c107complexINSJ_4HalfEEEEEPKSM_lEENS0_5tupleIJPlS6_EEENSR_IJSD_SD_EEES6_PiJS6_EEE10hipError_tPvRmT3_T4_T5_T6_T7_T9_mT8_P12ihipStream_tbDpT10_ENKUlT_T0_E_clISt17integral_constantIbLb0EES1F_EEDaS1A_S1B_EUlS1A_E_NS1_11comp_targetILNS1_3genE8ELNS1_11target_archE1030ELNS1_3gpuE2ELNS1_3repE0EEENS1_30default_config_static_selectorELNS0_4arch9wavefront6targetE0EEEvT1_.has_indirect_call, 0
	.section	.AMDGPU.csdata,"",@progbits
; Kernel info:
; codeLenInByte = 0
; TotalNumSgprs: 0
; NumVgprs: 0
; ScratchSize: 0
; MemoryBound: 0
; FloatMode: 240
; IeeeMode: 1
; LDSByteSize: 0 bytes/workgroup (compile time only)
; SGPRBlocks: 0
; VGPRBlocks: 0
; NumSGPRsForWavesPerEU: 1
; NumVGPRsForWavesPerEU: 1
; Occupancy: 16
; WaveLimiterHint : 0
; COMPUTE_PGM_RSRC2:SCRATCH_EN: 0
; COMPUTE_PGM_RSRC2:USER_SGPR: 2
; COMPUTE_PGM_RSRC2:TRAP_HANDLER: 0
; COMPUTE_PGM_RSRC2:TGID_X_EN: 1
; COMPUTE_PGM_RSRC2:TGID_Y_EN: 0
; COMPUTE_PGM_RSRC2:TGID_Z_EN: 0
; COMPUTE_PGM_RSRC2:TIDIG_COMP_CNT: 0
	.section	.text._ZN7rocprim17ROCPRIM_400000_NS6detail17trampoline_kernelINS0_14default_configENS1_25partition_config_selectorILNS1_17partition_subalgoE5ElNS0_10empty_typeEbEEZZNS1_14partition_implILS5_5ELb0ES3_mN6hipcub16HIPCUB_304000_NS21CountingInputIteratorIllEEPS6_NSA_22TransformInputIteratorIbN2at6native12_GLOBAL__N_19NonZeroOpIN3c107complexINSJ_4HalfEEEEEPKSM_lEENS0_5tupleIJPlS6_EEENSR_IJSD_SD_EEES6_PiJS6_EEE10hipError_tPvRmT3_T4_T5_T6_T7_T9_mT8_P12ihipStream_tbDpT10_ENKUlT_T0_E_clISt17integral_constantIbLb1EES1F_EEDaS1A_S1B_EUlS1A_E_NS1_11comp_targetILNS1_3genE0ELNS1_11target_archE4294967295ELNS1_3gpuE0ELNS1_3repE0EEENS1_30default_config_static_selectorELNS0_4arch9wavefront6targetE0EEEvT1_,"axG",@progbits,_ZN7rocprim17ROCPRIM_400000_NS6detail17trampoline_kernelINS0_14default_configENS1_25partition_config_selectorILNS1_17partition_subalgoE5ElNS0_10empty_typeEbEEZZNS1_14partition_implILS5_5ELb0ES3_mN6hipcub16HIPCUB_304000_NS21CountingInputIteratorIllEEPS6_NSA_22TransformInputIteratorIbN2at6native12_GLOBAL__N_19NonZeroOpIN3c107complexINSJ_4HalfEEEEEPKSM_lEENS0_5tupleIJPlS6_EEENSR_IJSD_SD_EEES6_PiJS6_EEE10hipError_tPvRmT3_T4_T5_T6_T7_T9_mT8_P12ihipStream_tbDpT10_ENKUlT_T0_E_clISt17integral_constantIbLb1EES1F_EEDaS1A_S1B_EUlS1A_E_NS1_11comp_targetILNS1_3genE0ELNS1_11target_archE4294967295ELNS1_3gpuE0ELNS1_3repE0EEENS1_30default_config_static_selectorELNS0_4arch9wavefront6targetE0EEEvT1_,comdat
	.globl	_ZN7rocprim17ROCPRIM_400000_NS6detail17trampoline_kernelINS0_14default_configENS1_25partition_config_selectorILNS1_17partition_subalgoE5ElNS0_10empty_typeEbEEZZNS1_14partition_implILS5_5ELb0ES3_mN6hipcub16HIPCUB_304000_NS21CountingInputIteratorIllEEPS6_NSA_22TransformInputIteratorIbN2at6native12_GLOBAL__N_19NonZeroOpIN3c107complexINSJ_4HalfEEEEEPKSM_lEENS0_5tupleIJPlS6_EEENSR_IJSD_SD_EEES6_PiJS6_EEE10hipError_tPvRmT3_T4_T5_T6_T7_T9_mT8_P12ihipStream_tbDpT10_ENKUlT_T0_E_clISt17integral_constantIbLb1EES1F_EEDaS1A_S1B_EUlS1A_E_NS1_11comp_targetILNS1_3genE0ELNS1_11target_archE4294967295ELNS1_3gpuE0ELNS1_3repE0EEENS1_30default_config_static_selectorELNS0_4arch9wavefront6targetE0EEEvT1_ ; -- Begin function _ZN7rocprim17ROCPRIM_400000_NS6detail17trampoline_kernelINS0_14default_configENS1_25partition_config_selectorILNS1_17partition_subalgoE5ElNS0_10empty_typeEbEEZZNS1_14partition_implILS5_5ELb0ES3_mN6hipcub16HIPCUB_304000_NS21CountingInputIteratorIllEEPS6_NSA_22TransformInputIteratorIbN2at6native12_GLOBAL__N_19NonZeroOpIN3c107complexINSJ_4HalfEEEEEPKSM_lEENS0_5tupleIJPlS6_EEENSR_IJSD_SD_EEES6_PiJS6_EEE10hipError_tPvRmT3_T4_T5_T6_T7_T9_mT8_P12ihipStream_tbDpT10_ENKUlT_T0_E_clISt17integral_constantIbLb1EES1F_EEDaS1A_S1B_EUlS1A_E_NS1_11comp_targetILNS1_3genE0ELNS1_11target_archE4294967295ELNS1_3gpuE0ELNS1_3repE0EEENS1_30default_config_static_selectorELNS0_4arch9wavefront6targetE0EEEvT1_
	.p2align	8
	.type	_ZN7rocprim17ROCPRIM_400000_NS6detail17trampoline_kernelINS0_14default_configENS1_25partition_config_selectorILNS1_17partition_subalgoE5ElNS0_10empty_typeEbEEZZNS1_14partition_implILS5_5ELb0ES3_mN6hipcub16HIPCUB_304000_NS21CountingInputIteratorIllEEPS6_NSA_22TransformInputIteratorIbN2at6native12_GLOBAL__N_19NonZeroOpIN3c107complexINSJ_4HalfEEEEEPKSM_lEENS0_5tupleIJPlS6_EEENSR_IJSD_SD_EEES6_PiJS6_EEE10hipError_tPvRmT3_T4_T5_T6_T7_T9_mT8_P12ihipStream_tbDpT10_ENKUlT_T0_E_clISt17integral_constantIbLb1EES1F_EEDaS1A_S1B_EUlS1A_E_NS1_11comp_targetILNS1_3genE0ELNS1_11target_archE4294967295ELNS1_3gpuE0ELNS1_3repE0EEENS1_30default_config_static_selectorELNS0_4arch9wavefront6targetE0EEEvT1_,@function
_ZN7rocprim17ROCPRIM_400000_NS6detail17trampoline_kernelINS0_14default_configENS1_25partition_config_selectorILNS1_17partition_subalgoE5ElNS0_10empty_typeEbEEZZNS1_14partition_implILS5_5ELb0ES3_mN6hipcub16HIPCUB_304000_NS21CountingInputIteratorIllEEPS6_NSA_22TransformInputIteratorIbN2at6native12_GLOBAL__N_19NonZeroOpIN3c107complexINSJ_4HalfEEEEEPKSM_lEENS0_5tupleIJPlS6_EEENSR_IJSD_SD_EEES6_PiJS6_EEE10hipError_tPvRmT3_T4_T5_T6_T7_T9_mT8_P12ihipStream_tbDpT10_ENKUlT_T0_E_clISt17integral_constantIbLb1EES1F_EEDaS1A_S1B_EUlS1A_E_NS1_11comp_targetILNS1_3genE0ELNS1_11target_archE4294967295ELNS1_3gpuE0ELNS1_3repE0EEENS1_30default_config_static_selectorELNS0_4arch9wavefront6targetE0EEEvT1_: ; @_ZN7rocprim17ROCPRIM_400000_NS6detail17trampoline_kernelINS0_14default_configENS1_25partition_config_selectorILNS1_17partition_subalgoE5ElNS0_10empty_typeEbEEZZNS1_14partition_implILS5_5ELb0ES3_mN6hipcub16HIPCUB_304000_NS21CountingInputIteratorIllEEPS6_NSA_22TransformInputIteratorIbN2at6native12_GLOBAL__N_19NonZeroOpIN3c107complexINSJ_4HalfEEEEEPKSM_lEENS0_5tupleIJPlS6_EEENSR_IJSD_SD_EEES6_PiJS6_EEE10hipError_tPvRmT3_T4_T5_T6_T7_T9_mT8_P12ihipStream_tbDpT10_ENKUlT_T0_E_clISt17integral_constantIbLb1EES1F_EEDaS1A_S1B_EUlS1A_E_NS1_11comp_targetILNS1_3genE0ELNS1_11target_archE4294967295ELNS1_3gpuE0ELNS1_3repE0EEENS1_30default_config_static_selectorELNS0_4arch9wavefront6targetE0EEEvT1_
; %bb.0:
	.section	.rodata,"a",@progbits
	.p2align	6, 0x0
	.amdhsa_kernel _ZN7rocprim17ROCPRIM_400000_NS6detail17trampoline_kernelINS0_14default_configENS1_25partition_config_selectorILNS1_17partition_subalgoE5ElNS0_10empty_typeEbEEZZNS1_14partition_implILS5_5ELb0ES3_mN6hipcub16HIPCUB_304000_NS21CountingInputIteratorIllEEPS6_NSA_22TransformInputIteratorIbN2at6native12_GLOBAL__N_19NonZeroOpIN3c107complexINSJ_4HalfEEEEEPKSM_lEENS0_5tupleIJPlS6_EEENSR_IJSD_SD_EEES6_PiJS6_EEE10hipError_tPvRmT3_T4_T5_T6_T7_T9_mT8_P12ihipStream_tbDpT10_ENKUlT_T0_E_clISt17integral_constantIbLb1EES1F_EEDaS1A_S1B_EUlS1A_E_NS1_11comp_targetILNS1_3genE0ELNS1_11target_archE4294967295ELNS1_3gpuE0ELNS1_3repE0EEENS1_30default_config_static_selectorELNS0_4arch9wavefront6targetE0EEEvT1_
		.amdhsa_group_segment_fixed_size 0
		.amdhsa_private_segment_fixed_size 0
		.amdhsa_kernarg_size 136
		.amdhsa_user_sgpr_count 2
		.amdhsa_user_sgpr_dispatch_ptr 0
		.amdhsa_user_sgpr_queue_ptr 0
		.amdhsa_user_sgpr_kernarg_segment_ptr 1
		.amdhsa_user_sgpr_dispatch_id 0
		.amdhsa_user_sgpr_private_segment_size 0
		.amdhsa_wavefront_size32 1
		.amdhsa_uses_dynamic_stack 0
		.amdhsa_enable_private_segment 0
		.amdhsa_system_sgpr_workgroup_id_x 1
		.amdhsa_system_sgpr_workgroup_id_y 0
		.amdhsa_system_sgpr_workgroup_id_z 0
		.amdhsa_system_sgpr_workgroup_info 0
		.amdhsa_system_vgpr_workitem_id 0
		.amdhsa_next_free_vgpr 1
		.amdhsa_next_free_sgpr 1
		.amdhsa_reserve_vcc 0
		.amdhsa_float_round_mode_32 0
		.amdhsa_float_round_mode_16_64 0
		.amdhsa_float_denorm_mode_32 3
		.amdhsa_float_denorm_mode_16_64 3
		.amdhsa_fp16_overflow 0
		.amdhsa_workgroup_processor_mode 1
		.amdhsa_memory_ordered 1
		.amdhsa_forward_progress 1
		.amdhsa_inst_pref_size 0
		.amdhsa_round_robin_scheduling 0
		.amdhsa_exception_fp_ieee_invalid_op 0
		.amdhsa_exception_fp_denorm_src 0
		.amdhsa_exception_fp_ieee_div_zero 0
		.amdhsa_exception_fp_ieee_overflow 0
		.amdhsa_exception_fp_ieee_underflow 0
		.amdhsa_exception_fp_ieee_inexact 0
		.amdhsa_exception_int_div_zero 0
	.end_amdhsa_kernel
	.section	.text._ZN7rocprim17ROCPRIM_400000_NS6detail17trampoline_kernelINS0_14default_configENS1_25partition_config_selectorILNS1_17partition_subalgoE5ElNS0_10empty_typeEbEEZZNS1_14partition_implILS5_5ELb0ES3_mN6hipcub16HIPCUB_304000_NS21CountingInputIteratorIllEEPS6_NSA_22TransformInputIteratorIbN2at6native12_GLOBAL__N_19NonZeroOpIN3c107complexINSJ_4HalfEEEEEPKSM_lEENS0_5tupleIJPlS6_EEENSR_IJSD_SD_EEES6_PiJS6_EEE10hipError_tPvRmT3_T4_T5_T6_T7_T9_mT8_P12ihipStream_tbDpT10_ENKUlT_T0_E_clISt17integral_constantIbLb1EES1F_EEDaS1A_S1B_EUlS1A_E_NS1_11comp_targetILNS1_3genE0ELNS1_11target_archE4294967295ELNS1_3gpuE0ELNS1_3repE0EEENS1_30default_config_static_selectorELNS0_4arch9wavefront6targetE0EEEvT1_,"axG",@progbits,_ZN7rocprim17ROCPRIM_400000_NS6detail17trampoline_kernelINS0_14default_configENS1_25partition_config_selectorILNS1_17partition_subalgoE5ElNS0_10empty_typeEbEEZZNS1_14partition_implILS5_5ELb0ES3_mN6hipcub16HIPCUB_304000_NS21CountingInputIteratorIllEEPS6_NSA_22TransformInputIteratorIbN2at6native12_GLOBAL__N_19NonZeroOpIN3c107complexINSJ_4HalfEEEEEPKSM_lEENS0_5tupleIJPlS6_EEENSR_IJSD_SD_EEES6_PiJS6_EEE10hipError_tPvRmT3_T4_T5_T6_T7_T9_mT8_P12ihipStream_tbDpT10_ENKUlT_T0_E_clISt17integral_constantIbLb1EES1F_EEDaS1A_S1B_EUlS1A_E_NS1_11comp_targetILNS1_3genE0ELNS1_11target_archE4294967295ELNS1_3gpuE0ELNS1_3repE0EEENS1_30default_config_static_selectorELNS0_4arch9wavefront6targetE0EEEvT1_,comdat
.Lfunc_end670:
	.size	_ZN7rocprim17ROCPRIM_400000_NS6detail17trampoline_kernelINS0_14default_configENS1_25partition_config_selectorILNS1_17partition_subalgoE5ElNS0_10empty_typeEbEEZZNS1_14partition_implILS5_5ELb0ES3_mN6hipcub16HIPCUB_304000_NS21CountingInputIteratorIllEEPS6_NSA_22TransformInputIteratorIbN2at6native12_GLOBAL__N_19NonZeroOpIN3c107complexINSJ_4HalfEEEEEPKSM_lEENS0_5tupleIJPlS6_EEENSR_IJSD_SD_EEES6_PiJS6_EEE10hipError_tPvRmT3_T4_T5_T6_T7_T9_mT8_P12ihipStream_tbDpT10_ENKUlT_T0_E_clISt17integral_constantIbLb1EES1F_EEDaS1A_S1B_EUlS1A_E_NS1_11comp_targetILNS1_3genE0ELNS1_11target_archE4294967295ELNS1_3gpuE0ELNS1_3repE0EEENS1_30default_config_static_selectorELNS0_4arch9wavefront6targetE0EEEvT1_, .Lfunc_end670-_ZN7rocprim17ROCPRIM_400000_NS6detail17trampoline_kernelINS0_14default_configENS1_25partition_config_selectorILNS1_17partition_subalgoE5ElNS0_10empty_typeEbEEZZNS1_14partition_implILS5_5ELb0ES3_mN6hipcub16HIPCUB_304000_NS21CountingInputIteratorIllEEPS6_NSA_22TransformInputIteratorIbN2at6native12_GLOBAL__N_19NonZeroOpIN3c107complexINSJ_4HalfEEEEEPKSM_lEENS0_5tupleIJPlS6_EEENSR_IJSD_SD_EEES6_PiJS6_EEE10hipError_tPvRmT3_T4_T5_T6_T7_T9_mT8_P12ihipStream_tbDpT10_ENKUlT_T0_E_clISt17integral_constantIbLb1EES1F_EEDaS1A_S1B_EUlS1A_E_NS1_11comp_targetILNS1_3genE0ELNS1_11target_archE4294967295ELNS1_3gpuE0ELNS1_3repE0EEENS1_30default_config_static_selectorELNS0_4arch9wavefront6targetE0EEEvT1_
                                        ; -- End function
	.set _ZN7rocprim17ROCPRIM_400000_NS6detail17trampoline_kernelINS0_14default_configENS1_25partition_config_selectorILNS1_17partition_subalgoE5ElNS0_10empty_typeEbEEZZNS1_14partition_implILS5_5ELb0ES3_mN6hipcub16HIPCUB_304000_NS21CountingInputIteratorIllEEPS6_NSA_22TransformInputIteratorIbN2at6native12_GLOBAL__N_19NonZeroOpIN3c107complexINSJ_4HalfEEEEEPKSM_lEENS0_5tupleIJPlS6_EEENSR_IJSD_SD_EEES6_PiJS6_EEE10hipError_tPvRmT3_T4_T5_T6_T7_T9_mT8_P12ihipStream_tbDpT10_ENKUlT_T0_E_clISt17integral_constantIbLb1EES1F_EEDaS1A_S1B_EUlS1A_E_NS1_11comp_targetILNS1_3genE0ELNS1_11target_archE4294967295ELNS1_3gpuE0ELNS1_3repE0EEENS1_30default_config_static_selectorELNS0_4arch9wavefront6targetE0EEEvT1_.num_vgpr, 0
	.set _ZN7rocprim17ROCPRIM_400000_NS6detail17trampoline_kernelINS0_14default_configENS1_25partition_config_selectorILNS1_17partition_subalgoE5ElNS0_10empty_typeEbEEZZNS1_14partition_implILS5_5ELb0ES3_mN6hipcub16HIPCUB_304000_NS21CountingInputIteratorIllEEPS6_NSA_22TransformInputIteratorIbN2at6native12_GLOBAL__N_19NonZeroOpIN3c107complexINSJ_4HalfEEEEEPKSM_lEENS0_5tupleIJPlS6_EEENSR_IJSD_SD_EEES6_PiJS6_EEE10hipError_tPvRmT3_T4_T5_T6_T7_T9_mT8_P12ihipStream_tbDpT10_ENKUlT_T0_E_clISt17integral_constantIbLb1EES1F_EEDaS1A_S1B_EUlS1A_E_NS1_11comp_targetILNS1_3genE0ELNS1_11target_archE4294967295ELNS1_3gpuE0ELNS1_3repE0EEENS1_30default_config_static_selectorELNS0_4arch9wavefront6targetE0EEEvT1_.num_agpr, 0
	.set _ZN7rocprim17ROCPRIM_400000_NS6detail17trampoline_kernelINS0_14default_configENS1_25partition_config_selectorILNS1_17partition_subalgoE5ElNS0_10empty_typeEbEEZZNS1_14partition_implILS5_5ELb0ES3_mN6hipcub16HIPCUB_304000_NS21CountingInputIteratorIllEEPS6_NSA_22TransformInputIteratorIbN2at6native12_GLOBAL__N_19NonZeroOpIN3c107complexINSJ_4HalfEEEEEPKSM_lEENS0_5tupleIJPlS6_EEENSR_IJSD_SD_EEES6_PiJS6_EEE10hipError_tPvRmT3_T4_T5_T6_T7_T9_mT8_P12ihipStream_tbDpT10_ENKUlT_T0_E_clISt17integral_constantIbLb1EES1F_EEDaS1A_S1B_EUlS1A_E_NS1_11comp_targetILNS1_3genE0ELNS1_11target_archE4294967295ELNS1_3gpuE0ELNS1_3repE0EEENS1_30default_config_static_selectorELNS0_4arch9wavefront6targetE0EEEvT1_.numbered_sgpr, 0
	.set _ZN7rocprim17ROCPRIM_400000_NS6detail17trampoline_kernelINS0_14default_configENS1_25partition_config_selectorILNS1_17partition_subalgoE5ElNS0_10empty_typeEbEEZZNS1_14partition_implILS5_5ELb0ES3_mN6hipcub16HIPCUB_304000_NS21CountingInputIteratorIllEEPS6_NSA_22TransformInputIteratorIbN2at6native12_GLOBAL__N_19NonZeroOpIN3c107complexINSJ_4HalfEEEEEPKSM_lEENS0_5tupleIJPlS6_EEENSR_IJSD_SD_EEES6_PiJS6_EEE10hipError_tPvRmT3_T4_T5_T6_T7_T9_mT8_P12ihipStream_tbDpT10_ENKUlT_T0_E_clISt17integral_constantIbLb1EES1F_EEDaS1A_S1B_EUlS1A_E_NS1_11comp_targetILNS1_3genE0ELNS1_11target_archE4294967295ELNS1_3gpuE0ELNS1_3repE0EEENS1_30default_config_static_selectorELNS0_4arch9wavefront6targetE0EEEvT1_.num_named_barrier, 0
	.set _ZN7rocprim17ROCPRIM_400000_NS6detail17trampoline_kernelINS0_14default_configENS1_25partition_config_selectorILNS1_17partition_subalgoE5ElNS0_10empty_typeEbEEZZNS1_14partition_implILS5_5ELb0ES3_mN6hipcub16HIPCUB_304000_NS21CountingInputIteratorIllEEPS6_NSA_22TransformInputIteratorIbN2at6native12_GLOBAL__N_19NonZeroOpIN3c107complexINSJ_4HalfEEEEEPKSM_lEENS0_5tupleIJPlS6_EEENSR_IJSD_SD_EEES6_PiJS6_EEE10hipError_tPvRmT3_T4_T5_T6_T7_T9_mT8_P12ihipStream_tbDpT10_ENKUlT_T0_E_clISt17integral_constantIbLb1EES1F_EEDaS1A_S1B_EUlS1A_E_NS1_11comp_targetILNS1_3genE0ELNS1_11target_archE4294967295ELNS1_3gpuE0ELNS1_3repE0EEENS1_30default_config_static_selectorELNS0_4arch9wavefront6targetE0EEEvT1_.private_seg_size, 0
	.set _ZN7rocprim17ROCPRIM_400000_NS6detail17trampoline_kernelINS0_14default_configENS1_25partition_config_selectorILNS1_17partition_subalgoE5ElNS0_10empty_typeEbEEZZNS1_14partition_implILS5_5ELb0ES3_mN6hipcub16HIPCUB_304000_NS21CountingInputIteratorIllEEPS6_NSA_22TransformInputIteratorIbN2at6native12_GLOBAL__N_19NonZeroOpIN3c107complexINSJ_4HalfEEEEEPKSM_lEENS0_5tupleIJPlS6_EEENSR_IJSD_SD_EEES6_PiJS6_EEE10hipError_tPvRmT3_T4_T5_T6_T7_T9_mT8_P12ihipStream_tbDpT10_ENKUlT_T0_E_clISt17integral_constantIbLb1EES1F_EEDaS1A_S1B_EUlS1A_E_NS1_11comp_targetILNS1_3genE0ELNS1_11target_archE4294967295ELNS1_3gpuE0ELNS1_3repE0EEENS1_30default_config_static_selectorELNS0_4arch9wavefront6targetE0EEEvT1_.uses_vcc, 0
	.set _ZN7rocprim17ROCPRIM_400000_NS6detail17trampoline_kernelINS0_14default_configENS1_25partition_config_selectorILNS1_17partition_subalgoE5ElNS0_10empty_typeEbEEZZNS1_14partition_implILS5_5ELb0ES3_mN6hipcub16HIPCUB_304000_NS21CountingInputIteratorIllEEPS6_NSA_22TransformInputIteratorIbN2at6native12_GLOBAL__N_19NonZeroOpIN3c107complexINSJ_4HalfEEEEEPKSM_lEENS0_5tupleIJPlS6_EEENSR_IJSD_SD_EEES6_PiJS6_EEE10hipError_tPvRmT3_T4_T5_T6_T7_T9_mT8_P12ihipStream_tbDpT10_ENKUlT_T0_E_clISt17integral_constantIbLb1EES1F_EEDaS1A_S1B_EUlS1A_E_NS1_11comp_targetILNS1_3genE0ELNS1_11target_archE4294967295ELNS1_3gpuE0ELNS1_3repE0EEENS1_30default_config_static_selectorELNS0_4arch9wavefront6targetE0EEEvT1_.uses_flat_scratch, 0
	.set _ZN7rocprim17ROCPRIM_400000_NS6detail17trampoline_kernelINS0_14default_configENS1_25partition_config_selectorILNS1_17partition_subalgoE5ElNS0_10empty_typeEbEEZZNS1_14partition_implILS5_5ELb0ES3_mN6hipcub16HIPCUB_304000_NS21CountingInputIteratorIllEEPS6_NSA_22TransformInputIteratorIbN2at6native12_GLOBAL__N_19NonZeroOpIN3c107complexINSJ_4HalfEEEEEPKSM_lEENS0_5tupleIJPlS6_EEENSR_IJSD_SD_EEES6_PiJS6_EEE10hipError_tPvRmT3_T4_T5_T6_T7_T9_mT8_P12ihipStream_tbDpT10_ENKUlT_T0_E_clISt17integral_constantIbLb1EES1F_EEDaS1A_S1B_EUlS1A_E_NS1_11comp_targetILNS1_3genE0ELNS1_11target_archE4294967295ELNS1_3gpuE0ELNS1_3repE0EEENS1_30default_config_static_selectorELNS0_4arch9wavefront6targetE0EEEvT1_.has_dyn_sized_stack, 0
	.set _ZN7rocprim17ROCPRIM_400000_NS6detail17trampoline_kernelINS0_14default_configENS1_25partition_config_selectorILNS1_17partition_subalgoE5ElNS0_10empty_typeEbEEZZNS1_14partition_implILS5_5ELb0ES3_mN6hipcub16HIPCUB_304000_NS21CountingInputIteratorIllEEPS6_NSA_22TransformInputIteratorIbN2at6native12_GLOBAL__N_19NonZeroOpIN3c107complexINSJ_4HalfEEEEEPKSM_lEENS0_5tupleIJPlS6_EEENSR_IJSD_SD_EEES6_PiJS6_EEE10hipError_tPvRmT3_T4_T5_T6_T7_T9_mT8_P12ihipStream_tbDpT10_ENKUlT_T0_E_clISt17integral_constantIbLb1EES1F_EEDaS1A_S1B_EUlS1A_E_NS1_11comp_targetILNS1_3genE0ELNS1_11target_archE4294967295ELNS1_3gpuE0ELNS1_3repE0EEENS1_30default_config_static_selectorELNS0_4arch9wavefront6targetE0EEEvT1_.has_recursion, 0
	.set _ZN7rocprim17ROCPRIM_400000_NS6detail17trampoline_kernelINS0_14default_configENS1_25partition_config_selectorILNS1_17partition_subalgoE5ElNS0_10empty_typeEbEEZZNS1_14partition_implILS5_5ELb0ES3_mN6hipcub16HIPCUB_304000_NS21CountingInputIteratorIllEEPS6_NSA_22TransformInputIteratorIbN2at6native12_GLOBAL__N_19NonZeroOpIN3c107complexINSJ_4HalfEEEEEPKSM_lEENS0_5tupleIJPlS6_EEENSR_IJSD_SD_EEES6_PiJS6_EEE10hipError_tPvRmT3_T4_T5_T6_T7_T9_mT8_P12ihipStream_tbDpT10_ENKUlT_T0_E_clISt17integral_constantIbLb1EES1F_EEDaS1A_S1B_EUlS1A_E_NS1_11comp_targetILNS1_3genE0ELNS1_11target_archE4294967295ELNS1_3gpuE0ELNS1_3repE0EEENS1_30default_config_static_selectorELNS0_4arch9wavefront6targetE0EEEvT1_.has_indirect_call, 0
	.section	.AMDGPU.csdata,"",@progbits
; Kernel info:
; codeLenInByte = 0
; TotalNumSgprs: 0
; NumVgprs: 0
; ScratchSize: 0
; MemoryBound: 0
; FloatMode: 240
; IeeeMode: 1
; LDSByteSize: 0 bytes/workgroup (compile time only)
; SGPRBlocks: 0
; VGPRBlocks: 0
; NumSGPRsForWavesPerEU: 1
; NumVGPRsForWavesPerEU: 1
; Occupancy: 16
; WaveLimiterHint : 0
; COMPUTE_PGM_RSRC2:SCRATCH_EN: 0
; COMPUTE_PGM_RSRC2:USER_SGPR: 2
; COMPUTE_PGM_RSRC2:TRAP_HANDLER: 0
; COMPUTE_PGM_RSRC2:TGID_X_EN: 1
; COMPUTE_PGM_RSRC2:TGID_Y_EN: 0
; COMPUTE_PGM_RSRC2:TGID_Z_EN: 0
; COMPUTE_PGM_RSRC2:TIDIG_COMP_CNT: 0
	.section	.text._ZN7rocprim17ROCPRIM_400000_NS6detail17trampoline_kernelINS0_14default_configENS1_25partition_config_selectorILNS1_17partition_subalgoE5ElNS0_10empty_typeEbEEZZNS1_14partition_implILS5_5ELb0ES3_mN6hipcub16HIPCUB_304000_NS21CountingInputIteratorIllEEPS6_NSA_22TransformInputIteratorIbN2at6native12_GLOBAL__N_19NonZeroOpIN3c107complexINSJ_4HalfEEEEEPKSM_lEENS0_5tupleIJPlS6_EEENSR_IJSD_SD_EEES6_PiJS6_EEE10hipError_tPvRmT3_T4_T5_T6_T7_T9_mT8_P12ihipStream_tbDpT10_ENKUlT_T0_E_clISt17integral_constantIbLb1EES1F_EEDaS1A_S1B_EUlS1A_E_NS1_11comp_targetILNS1_3genE5ELNS1_11target_archE942ELNS1_3gpuE9ELNS1_3repE0EEENS1_30default_config_static_selectorELNS0_4arch9wavefront6targetE0EEEvT1_,"axG",@progbits,_ZN7rocprim17ROCPRIM_400000_NS6detail17trampoline_kernelINS0_14default_configENS1_25partition_config_selectorILNS1_17partition_subalgoE5ElNS0_10empty_typeEbEEZZNS1_14partition_implILS5_5ELb0ES3_mN6hipcub16HIPCUB_304000_NS21CountingInputIteratorIllEEPS6_NSA_22TransformInputIteratorIbN2at6native12_GLOBAL__N_19NonZeroOpIN3c107complexINSJ_4HalfEEEEEPKSM_lEENS0_5tupleIJPlS6_EEENSR_IJSD_SD_EEES6_PiJS6_EEE10hipError_tPvRmT3_T4_T5_T6_T7_T9_mT8_P12ihipStream_tbDpT10_ENKUlT_T0_E_clISt17integral_constantIbLb1EES1F_EEDaS1A_S1B_EUlS1A_E_NS1_11comp_targetILNS1_3genE5ELNS1_11target_archE942ELNS1_3gpuE9ELNS1_3repE0EEENS1_30default_config_static_selectorELNS0_4arch9wavefront6targetE0EEEvT1_,comdat
	.globl	_ZN7rocprim17ROCPRIM_400000_NS6detail17trampoline_kernelINS0_14default_configENS1_25partition_config_selectorILNS1_17partition_subalgoE5ElNS0_10empty_typeEbEEZZNS1_14partition_implILS5_5ELb0ES3_mN6hipcub16HIPCUB_304000_NS21CountingInputIteratorIllEEPS6_NSA_22TransformInputIteratorIbN2at6native12_GLOBAL__N_19NonZeroOpIN3c107complexINSJ_4HalfEEEEEPKSM_lEENS0_5tupleIJPlS6_EEENSR_IJSD_SD_EEES6_PiJS6_EEE10hipError_tPvRmT3_T4_T5_T6_T7_T9_mT8_P12ihipStream_tbDpT10_ENKUlT_T0_E_clISt17integral_constantIbLb1EES1F_EEDaS1A_S1B_EUlS1A_E_NS1_11comp_targetILNS1_3genE5ELNS1_11target_archE942ELNS1_3gpuE9ELNS1_3repE0EEENS1_30default_config_static_selectorELNS0_4arch9wavefront6targetE0EEEvT1_ ; -- Begin function _ZN7rocprim17ROCPRIM_400000_NS6detail17trampoline_kernelINS0_14default_configENS1_25partition_config_selectorILNS1_17partition_subalgoE5ElNS0_10empty_typeEbEEZZNS1_14partition_implILS5_5ELb0ES3_mN6hipcub16HIPCUB_304000_NS21CountingInputIteratorIllEEPS6_NSA_22TransformInputIteratorIbN2at6native12_GLOBAL__N_19NonZeroOpIN3c107complexINSJ_4HalfEEEEEPKSM_lEENS0_5tupleIJPlS6_EEENSR_IJSD_SD_EEES6_PiJS6_EEE10hipError_tPvRmT3_T4_T5_T6_T7_T9_mT8_P12ihipStream_tbDpT10_ENKUlT_T0_E_clISt17integral_constantIbLb1EES1F_EEDaS1A_S1B_EUlS1A_E_NS1_11comp_targetILNS1_3genE5ELNS1_11target_archE942ELNS1_3gpuE9ELNS1_3repE0EEENS1_30default_config_static_selectorELNS0_4arch9wavefront6targetE0EEEvT1_
	.p2align	8
	.type	_ZN7rocprim17ROCPRIM_400000_NS6detail17trampoline_kernelINS0_14default_configENS1_25partition_config_selectorILNS1_17partition_subalgoE5ElNS0_10empty_typeEbEEZZNS1_14partition_implILS5_5ELb0ES3_mN6hipcub16HIPCUB_304000_NS21CountingInputIteratorIllEEPS6_NSA_22TransformInputIteratorIbN2at6native12_GLOBAL__N_19NonZeroOpIN3c107complexINSJ_4HalfEEEEEPKSM_lEENS0_5tupleIJPlS6_EEENSR_IJSD_SD_EEES6_PiJS6_EEE10hipError_tPvRmT3_T4_T5_T6_T7_T9_mT8_P12ihipStream_tbDpT10_ENKUlT_T0_E_clISt17integral_constantIbLb1EES1F_EEDaS1A_S1B_EUlS1A_E_NS1_11comp_targetILNS1_3genE5ELNS1_11target_archE942ELNS1_3gpuE9ELNS1_3repE0EEENS1_30default_config_static_selectorELNS0_4arch9wavefront6targetE0EEEvT1_,@function
_ZN7rocprim17ROCPRIM_400000_NS6detail17trampoline_kernelINS0_14default_configENS1_25partition_config_selectorILNS1_17partition_subalgoE5ElNS0_10empty_typeEbEEZZNS1_14partition_implILS5_5ELb0ES3_mN6hipcub16HIPCUB_304000_NS21CountingInputIteratorIllEEPS6_NSA_22TransformInputIteratorIbN2at6native12_GLOBAL__N_19NonZeroOpIN3c107complexINSJ_4HalfEEEEEPKSM_lEENS0_5tupleIJPlS6_EEENSR_IJSD_SD_EEES6_PiJS6_EEE10hipError_tPvRmT3_T4_T5_T6_T7_T9_mT8_P12ihipStream_tbDpT10_ENKUlT_T0_E_clISt17integral_constantIbLb1EES1F_EEDaS1A_S1B_EUlS1A_E_NS1_11comp_targetILNS1_3genE5ELNS1_11target_archE942ELNS1_3gpuE9ELNS1_3repE0EEENS1_30default_config_static_selectorELNS0_4arch9wavefront6targetE0EEEvT1_: ; @_ZN7rocprim17ROCPRIM_400000_NS6detail17trampoline_kernelINS0_14default_configENS1_25partition_config_selectorILNS1_17partition_subalgoE5ElNS0_10empty_typeEbEEZZNS1_14partition_implILS5_5ELb0ES3_mN6hipcub16HIPCUB_304000_NS21CountingInputIteratorIllEEPS6_NSA_22TransformInputIteratorIbN2at6native12_GLOBAL__N_19NonZeroOpIN3c107complexINSJ_4HalfEEEEEPKSM_lEENS0_5tupleIJPlS6_EEENSR_IJSD_SD_EEES6_PiJS6_EEE10hipError_tPvRmT3_T4_T5_T6_T7_T9_mT8_P12ihipStream_tbDpT10_ENKUlT_T0_E_clISt17integral_constantIbLb1EES1F_EEDaS1A_S1B_EUlS1A_E_NS1_11comp_targetILNS1_3genE5ELNS1_11target_archE942ELNS1_3gpuE9ELNS1_3repE0EEENS1_30default_config_static_selectorELNS0_4arch9wavefront6targetE0EEEvT1_
; %bb.0:
	.section	.rodata,"a",@progbits
	.p2align	6, 0x0
	.amdhsa_kernel _ZN7rocprim17ROCPRIM_400000_NS6detail17trampoline_kernelINS0_14default_configENS1_25partition_config_selectorILNS1_17partition_subalgoE5ElNS0_10empty_typeEbEEZZNS1_14partition_implILS5_5ELb0ES3_mN6hipcub16HIPCUB_304000_NS21CountingInputIteratorIllEEPS6_NSA_22TransformInputIteratorIbN2at6native12_GLOBAL__N_19NonZeroOpIN3c107complexINSJ_4HalfEEEEEPKSM_lEENS0_5tupleIJPlS6_EEENSR_IJSD_SD_EEES6_PiJS6_EEE10hipError_tPvRmT3_T4_T5_T6_T7_T9_mT8_P12ihipStream_tbDpT10_ENKUlT_T0_E_clISt17integral_constantIbLb1EES1F_EEDaS1A_S1B_EUlS1A_E_NS1_11comp_targetILNS1_3genE5ELNS1_11target_archE942ELNS1_3gpuE9ELNS1_3repE0EEENS1_30default_config_static_selectorELNS0_4arch9wavefront6targetE0EEEvT1_
		.amdhsa_group_segment_fixed_size 0
		.amdhsa_private_segment_fixed_size 0
		.amdhsa_kernarg_size 136
		.amdhsa_user_sgpr_count 2
		.amdhsa_user_sgpr_dispatch_ptr 0
		.amdhsa_user_sgpr_queue_ptr 0
		.amdhsa_user_sgpr_kernarg_segment_ptr 1
		.amdhsa_user_sgpr_dispatch_id 0
		.amdhsa_user_sgpr_private_segment_size 0
		.amdhsa_wavefront_size32 1
		.amdhsa_uses_dynamic_stack 0
		.amdhsa_enable_private_segment 0
		.amdhsa_system_sgpr_workgroup_id_x 1
		.amdhsa_system_sgpr_workgroup_id_y 0
		.amdhsa_system_sgpr_workgroup_id_z 0
		.amdhsa_system_sgpr_workgroup_info 0
		.amdhsa_system_vgpr_workitem_id 0
		.amdhsa_next_free_vgpr 1
		.amdhsa_next_free_sgpr 1
		.amdhsa_reserve_vcc 0
		.amdhsa_float_round_mode_32 0
		.amdhsa_float_round_mode_16_64 0
		.amdhsa_float_denorm_mode_32 3
		.amdhsa_float_denorm_mode_16_64 3
		.amdhsa_fp16_overflow 0
		.amdhsa_workgroup_processor_mode 1
		.amdhsa_memory_ordered 1
		.amdhsa_forward_progress 1
		.amdhsa_inst_pref_size 0
		.amdhsa_round_robin_scheduling 0
		.amdhsa_exception_fp_ieee_invalid_op 0
		.amdhsa_exception_fp_denorm_src 0
		.amdhsa_exception_fp_ieee_div_zero 0
		.amdhsa_exception_fp_ieee_overflow 0
		.amdhsa_exception_fp_ieee_underflow 0
		.amdhsa_exception_fp_ieee_inexact 0
		.amdhsa_exception_int_div_zero 0
	.end_amdhsa_kernel
	.section	.text._ZN7rocprim17ROCPRIM_400000_NS6detail17trampoline_kernelINS0_14default_configENS1_25partition_config_selectorILNS1_17partition_subalgoE5ElNS0_10empty_typeEbEEZZNS1_14partition_implILS5_5ELb0ES3_mN6hipcub16HIPCUB_304000_NS21CountingInputIteratorIllEEPS6_NSA_22TransformInputIteratorIbN2at6native12_GLOBAL__N_19NonZeroOpIN3c107complexINSJ_4HalfEEEEEPKSM_lEENS0_5tupleIJPlS6_EEENSR_IJSD_SD_EEES6_PiJS6_EEE10hipError_tPvRmT3_T4_T5_T6_T7_T9_mT8_P12ihipStream_tbDpT10_ENKUlT_T0_E_clISt17integral_constantIbLb1EES1F_EEDaS1A_S1B_EUlS1A_E_NS1_11comp_targetILNS1_3genE5ELNS1_11target_archE942ELNS1_3gpuE9ELNS1_3repE0EEENS1_30default_config_static_selectorELNS0_4arch9wavefront6targetE0EEEvT1_,"axG",@progbits,_ZN7rocprim17ROCPRIM_400000_NS6detail17trampoline_kernelINS0_14default_configENS1_25partition_config_selectorILNS1_17partition_subalgoE5ElNS0_10empty_typeEbEEZZNS1_14partition_implILS5_5ELb0ES3_mN6hipcub16HIPCUB_304000_NS21CountingInputIteratorIllEEPS6_NSA_22TransformInputIteratorIbN2at6native12_GLOBAL__N_19NonZeroOpIN3c107complexINSJ_4HalfEEEEEPKSM_lEENS0_5tupleIJPlS6_EEENSR_IJSD_SD_EEES6_PiJS6_EEE10hipError_tPvRmT3_T4_T5_T6_T7_T9_mT8_P12ihipStream_tbDpT10_ENKUlT_T0_E_clISt17integral_constantIbLb1EES1F_EEDaS1A_S1B_EUlS1A_E_NS1_11comp_targetILNS1_3genE5ELNS1_11target_archE942ELNS1_3gpuE9ELNS1_3repE0EEENS1_30default_config_static_selectorELNS0_4arch9wavefront6targetE0EEEvT1_,comdat
.Lfunc_end671:
	.size	_ZN7rocprim17ROCPRIM_400000_NS6detail17trampoline_kernelINS0_14default_configENS1_25partition_config_selectorILNS1_17partition_subalgoE5ElNS0_10empty_typeEbEEZZNS1_14partition_implILS5_5ELb0ES3_mN6hipcub16HIPCUB_304000_NS21CountingInputIteratorIllEEPS6_NSA_22TransformInputIteratorIbN2at6native12_GLOBAL__N_19NonZeroOpIN3c107complexINSJ_4HalfEEEEEPKSM_lEENS0_5tupleIJPlS6_EEENSR_IJSD_SD_EEES6_PiJS6_EEE10hipError_tPvRmT3_T4_T5_T6_T7_T9_mT8_P12ihipStream_tbDpT10_ENKUlT_T0_E_clISt17integral_constantIbLb1EES1F_EEDaS1A_S1B_EUlS1A_E_NS1_11comp_targetILNS1_3genE5ELNS1_11target_archE942ELNS1_3gpuE9ELNS1_3repE0EEENS1_30default_config_static_selectorELNS0_4arch9wavefront6targetE0EEEvT1_, .Lfunc_end671-_ZN7rocprim17ROCPRIM_400000_NS6detail17trampoline_kernelINS0_14default_configENS1_25partition_config_selectorILNS1_17partition_subalgoE5ElNS0_10empty_typeEbEEZZNS1_14partition_implILS5_5ELb0ES3_mN6hipcub16HIPCUB_304000_NS21CountingInputIteratorIllEEPS6_NSA_22TransformInputIteratorIbN2at6native12_GLOBAL__N_19NonZeroOpIN3c107complexINSJ_4HalfEEEEEPKSM_lEENS0_5tupleIJPlS6_EEENSR_IJSD_SD_EEES6_PiJS6_EEE10hipError_tPvRmT3_T4_T5_T6_T7_T9_mT8_P12ihipStream_tbDpT10_ENKUlT_T0_E_clISt17integral_constantIbLb1EES1F_EEDaS1A_S1B_EUlS1A_E_NS1_11comp_targetILNS1_3genE5ELNS1_11target_archE942ELNS1_3gpuE9ELNS1_3repE0EEENS1_30default_config_static_selectorELNS0_4arch9wavefront6targetE0EEEvT1_
                                        ; -- End function
	.set _ZN7rocprim17ROCPRIM_400000_NS6detail17trampoline_kernelINS0_14default_configENS1_25partition_config_selectorILNS1_17partition_subalgoE5ElNS0_10empty_typeEbEEZZNS1_14partition_implILS5_5ELb0ES3_mN6hipcub16HIPCUB_304000_NS21CountingInputIteratorIllEEPS6_NSA_22TransformInputIteratorIbN2at6native12_GLOBAL__N_19NonZeroOpIN3c107complexINSJ_4HalfEEEEEPKSM_lEENS0_5tupleIJPlS6_EEENSR_IJSD_SD_EEES6_PiJS6_EEE10hipError_tPvRmT3_T4_T5_T6_T7_T9_mT8_P12ihipStream_tbDpT10_ENKUlT_T0_E_clISt17integral_constantIbLb1EES1F_EEDaS1A_S1B_EUlS1A_E_NS1_11comp_targetILNS1_3genE5ELNS1_11target_archE942ELNS1_3gpuE9ELNS1_3repE0EEENS1_30default_config_static_selectorELNS0_4arch9wavefront6targetE0EEEvT1_.num_vgpr, 0
	.set _ZN7rocprim17ROCPRIM_400000_NS6detail17trampoline_kernelINS0_14default_configENS1_25partition_config_selectorILNS1_17partition_subalgoE5ElNS0_10empty_typeEbEEZZNS1_14partition_implILS5_5ELb0ES3_mN6hipcub16HIPCUB_304000_NS21CountingInputIteratorIllEEPS6_NSA_22TransformInputIteratorIbN2at6native12_GLOBAL__N_19NonZeroOpIN3c107complexINSJ_4HalfEEEEEPKSM_lEENS0_5tupleIJPlS6_EEENSR_IJSD_SD_EEES6_PiJS6_EEE10hipError_tPvRmT3_T4_T5_T6_T7_T9_mT8_P12ihipStream_tbDpT10_ENKUlT_T0_E_clISt17integral_constantIbLb1EES1F_EEDaS1A_S1B_EUlS1A_E_NS1_11comp_targetILNS1_3genE5ELNS1_11target_archE942ELNS1_3gpuE9ELNS1_3repE0EEENS1_30default_config_static_selectorELNS0_4arch9wavefront6targetE0EEEvT1_.num_agpr, 0
	.set _ZN7rocprim17ROCPRIM_400000_NS6detail17trampoline_kernelINS0_14default_configENS1_25partition_config_selectorILNS1_17partition_subalgoE5ElNS0_10empty_typeEbEEZZNS1_14partition_implILS5_5ELb0ES3_mN6hipcub16HIPCUB_304000_NS21CountingInputIteratorIllEEPS6_NSA_22TransformInputIteratorIbN2at6native12_GLOBAL__N_19NonZeroOpIN3c107complexINSJ_4HalfEEEEEPKSM_lEENS0_5tupleIJPlS6_EEENSR_IJSD_SD_EEES6_PiJS6_EEE10hipError_tPvRmT3_T4_T5_T6_T7_T9_mT8_P12ihipStream_tbDpT10_ENKUlT_T0_E_clISt17integral_constantIbLb1EES1F_EEDaS1A_S1B_EUlS1A_E_NS1_11comp_targetILNS1_3genE5ELNS1_11target_archE942ELNS1_3gpuE9ELNS1_3repE0EEENS1_30default_config_static_selectorELNS0_4arch9wavefront6targetE0EEEvT1_.numbered_sgpr, 0
	.set _ZN7rocprim17ROCPRIM_400000_NS6detail17trampoline_kernelINS0_14default_configENS1_25partition_config_selectorILNS1_17partition_subalgoE5ElNS0_10empty_typeEbEEZZNS1_14partition_implILS5_5ELb0ES3_mN6hipcub16HIPCUB_304000_NS21CountingInputIteratorIllEEPS6_NSA_22TransformInputIteratorIbN2at6native12_GLOBAL__N_19NonZeroOpIN3c107complexINSJ_4HalfEEEEEPKSM_lEENS0_5tupleIJPlS6_EEENSR_IJSD_SD_EEES6_PiJS6_EEE10hipError_tPvRmT3_T4_T5_T6_T7_T9_mT8_P12ihipStream_tbDpT10_ENKUlT_T0_E_clISt17integral_constantIbLb1EES1F_EEDaS1A_S1B_EUlS1A_E_NS1_11comp_targetILNS1_3genE5ELNS1_11target_archE942ELNS1_3gpuE9ELNS1_3repE0EEENS1_30default_config_static_selectorELNS0_4arch9wavefront6targetE0EEEvT1_.num_named_barrier, 0
	.set _ZN7rocprim17ROCPRIM_400000_NS6detail17trampoline_kernelINS0_14default_configENS1_25partition_config_selectorILNS1_17partition_subalgoE5ElNS0_10empty_typeEbEEZZNS1_14partition_implILS5_5ELb0ES3_mN6hipcub16HIPCUB_304000_NS21CountingInputIteratorIllEEPS6_NSA_22TransformInputIteratorIbN2at6native12_GLOBAL__N_19NonZeroOpIN3c107complexINSJ_4HalfEEEEEPKSM_lEENS0_5tupleIJPlS6_EEENSR_IJSD_SD_EEES6_PiJS6_EEE10hipError_tPvRmT3_T4_T5_T6_T7_T9_mT8_P12ihipStream_tbDpT10_ENKUlT_T0_E_clISt17integral_constantIbLb1EES1F_EEDaS1A_S1B_EUlS1A_E_NS1_11comp_targetILNS1_3genE5ELNS1_11target_archE942ELNS1_3gpuE9ELNS1_3repE0EEENS1_30default_config_static_selectorELNS0_4arch9wavefront6targetE0EEEvT1_.private_seg_size, 0
	.set _ZN7rocprim17ROCPRIM_400000_NS6detail17trampoline_kernelINS0_14default_configENS1_25partition_config_selectorILNS1_17partition_subalgoE5ElNS0_10empty_typeEbEEZZNS1_14partition_implILS5_5ELb0ES3_mN6hipcub16HIPCUB_304000_NS21CountingInputIteratorIllEEPS6_NSA_22TransformInputIteratorIbN2at6native12_GLOBAL__N_19NonZeroOpIN3c107complexINSJ_4HalfEEEEEPKSM_lEENS0_5tupleIJPlS6_EEENSR_IJSD_SD_EEES6_PiJS6_EEE10hipError_tPvRmT3_T4_T5_T6_T7_T9_mT8_P12ihipStream_tbDpT10_ENKUlT_T0_E_clISt17integral_constantIbLb1EES1F_EEDaS1A_S1B_EUlS1A_E_NS1_11comp_targetILNS1_3genE5ELNS1_11target_archE942ELNS1_3gpuE9ELNS1_3repE0EEENS1_30default_config_static_selectorELNS0_4arch9wavefront6targetE0EEEvT1_.uses_vcc, 0
	.set _ZN7rocprim17ROCPRIM_400000_NS6detail17trampoline_kernelINS0_14default_configENS1_25partition_config_selectorILNS1_17partition_subalgoE5ElNS0_10empty_typeEbEEZZNS1_14partition_implILS5_5ELb0ES3_mN6hipcub16HIPCUB_304000_NS21CountingInputIteratorIllEEPS6_NSA_22TransformInputIteratorIbN2at6native12_GLOBAL__N_19NonZeroOpIN3c107complexINSJ_4HalfEEEEEPKSM_lEENS0_5tupleIJPlS6_EEENSR_IJSD_SD_EEES6_PiJS6_EEE10hipError_tPvRmT3_T4_T5_T6_T7_T9_mT8_P12ihipStream_tbDpT10_ENKUlT_T0_E_clISt17integral_constantIbLb1EES1F_EEDaS1A_S1B_EUlS1A_E_NS1_11comp_targetILNS1_3genE5ELNS1_11target_archE942ELNS1_3gpuE9ELNS1_3repE0EEENS1_30default_config_static_selectorELNS0_4arch9wavefront6targetE0EEEvT1_.uses_flat_scratch, 0
	.set _ZN7rocprim17ROCPRIM_400000_NS6detail17trampoline_kernelINS0_14default_configENS1_25partition_config_selectorILNS1_17partition_subalgoE5ElNS0_10empty_typeEbEEZZNS1_14partition_implILS5_5ELb0ES3_mN6hipcub16HIPCUB_304000_NS21CountingInputIteratorIllEEPS6_NSA_22TransformInputIteratorIbN2at6native12_GLOBAL__N_19NonZeroOpIN3c107complexINSJ_4HalfEEEEEPKSM_lEENS0_5tupleIJPlS6_EEENSR_IJSD_SD_EEES6_PiJS6_EEE10hipError_tPvRmT3_T4_T5_T6_T7_T9_mT8_P12ihipStream_tbDpT10_ENKUlT_T0_E_clISt17integral_constantIbLb1EES1F_EEDaS1A_S1B_EUlS1A_E_NS1_11comp_targetILNS1_3genE5ELNS1_11target_archE942ELNS1_3gpuE9ELNS1_3repE0EEENS1_30default_config_static_selectorELNS0_4arch9wavefront6targetE0EEEvT1_.has_dyn_sized_stack, 0
	.set _ZN7rocprim17ROCPRIM_400000_NS6detail17trampoline_kernelINS0_14default_configENS1_25partition_config_selectorILNS1_17partition_subalgoE5ElNS0_10empty_typeEbEEZZNS1_14partition_implILS5_5ELb0ES3_mN6hipcub16HIPCUB_304000_NS21CountingInputIteratorIllEEPS6_NSA_22TransformInputIteratorIbN2at6native12_GLOBAL__N_19NonZeroOpIN3c107complexINSJ_4HalfEEEEEPKSM_lEENS0_5tupleIJPlS6_EEENSR_IJSD_SD_EEES6_PiJS6_EEE10hipError_tPvRmT3_T4_T5_T6_T7_T9_mT8_P12ihipStream_tbDpT10_ENKUlT_T0_E_clISt17integral_constantIbLb1EES1F_EEDaS1A_S1B_EUlS1A_E_NS1_11comp_targetILNS1_3genE5ELNS1_11target_archE942ELNS1_3gpuE9ELNS1_3repE0EEENS1_30default_config_static_selectorELNS0_4arch9wavefront6targetE0EEEvT1_.has_recursion, 0
	.set _ZN7rocprim17ROCPRIM_400000_NS6detail17trampoline_kernelINS0_14default_configENS1_25partition_config_selectorILNS1_17partition_subalgoE5ElNS0_10empty_typeEbEEZZNS1_14partition_implILS5_5ELb0ES3_mN6hipcub16HIPCUB_304000_NS21CountingInputIteratorIllEEPS6_NSA_22TransformInputIteratorIbN2at6native12_GLOBAL__N_19NonZeroOpIN3c107complexINSJ_4HalfEEEEEPKSM_lEENS0_5tupleIJPlS6_EEENSR_IJSD_SD_EEES6_PiJS6_EEE10hipError_tPvRmT3_T4_T5_T6_T7_T9_mT8_P12ihipStream_tbDpT10_ENKUlT_T0_E_clISt17integral_constantIbLb1EES1F_EEDaS1A_S1B_EUlS1A_E_NS1_11comp_targetILNS1_3genE5ELNS1_11target_archE942ELNS1_3gpuE9ELNS1_3repE0EEENS1_30default_config_static_selectorELNS0_4arch9wavefront6targetE0EEEvT1_.has_indirect_call, 0
	.section	.AMDGPU.csdata,"",@progbits
; Kernel info:
; codeLenInByte = 0
; TotalNumSgprs: 0
; NumVgprs: 0
; ScratchSize: 0
; MemoryBound: 0
; FloatMode: 240
; IeeeMode: 1
; LDSByteSize: 0 bytes/workgroup (compile time only)
; SGPRBlocks: 0
; VGPRBlocks: 0
; NumSGPRsForWavesPerEU: 1
; NumVGPRsForWavesPerEU: 1
; Occupancy: 16
; WaveLimiterHint : 0
; COMPUTE_PGM_RSRC2:SCRATCH_EN: 0
; COMPUTE_PGM_RSRC2:USER_SGPR: 2
; COMPUTE_PGM_RSRC2:TRAP_HANDLER: 0
; COMPUTE_PGM_RSRC2:TGID_X_EN: 1
; COMPUTE_PGM_RSRC2:TGID_Y_EN: 0
; COMPUTE_PGM_RSRC2:TGID_Z_EN: 0
; COMPUTE_PGM_RSRC2:TIDIG_COMP_CNT: 0
	.section	.text._ZN7rocprim17ROCPRIM_400000_NS6detail17trampoline_kernelINS0_14default_configENS1_25partition_config_selectorILNS1_17partition_subalgoE5ElNS0_10empty_typeEbEEZZNS1_14partition_implILS5_5ELb0ES3_mN6hipcub16HIPCUB_304000_NS21CountingInputIteratorIllEEPS6_NSA_22TransformInputIteratorIbN2at6native12_GLOBAL__N_19NonZeroOpIN3c107complexINSJ_4HalfEEEEEPKSM_lEENS0_5tupleIJPlS6_EEENSR_IJSD_SD_EEES6_PiJS6_EEE10hipError_tPvRmT3_T4_T5_T6_T7_T9_mT8_P12ihipStream_tbDpT10_ENKUlT_T0_E_clISt17integral_constantIbLb1EES1F_EEDaS1A_S1B_EUlS1A_E_NS1_11comp_targetILNS1_3genE4ELNS1_11target_archE910ELNS1_3gpuE8ELNS1_3repE0EEENS1_30default_config_static_selectorELNS0_4arch9wavefront6targetE0EEEvT1_,"axG",@progbits,_ZN7rocprim17ROCPRIM_400000_NS6detail17trampoline_kernelINS0_14default_configENS1_25partition_config_selectorILNS1_17partition_subalgoE5ElNS0_10empty_typeEbEEZZNS1_14partition_implILS5_5ELb0ES3_mN6hipcub16HIPCUB_304000_NS21CountingInputIteratorIllEEPS6_NSA_22TransformInputIteratorIbN2at6native12_GLOBAL__N_19NonZeroOpIN3c107complexINSJ_4HalfEEEEEPKSM_lEENS0_5tupleIJPlS6_EEENSR_IJSD_SD_EEES6_PiJS6_EEE10hipError_tPvRmT3_T4_T5_T6_T7_T9_mT8_P12ihipStream_tbDpT10_ENKUlT_T0_E_clISt17integral_constantIbLb1EES1F_EEDaS1A_S1B_EUlS1A_E_NS1_11comp_targetILNS1_3genE4ELNS1_11target_archE910ELNS1_3gpuE8ELNS1_3repE0EEENS1_30default_config_static_selectorELNS0_4arch9wavefront6targetE0EEEvT1_,comdat
	.globl	_ZN7rocprim17ROCPRIM_400000_NS6detail17trampoline_kernelINS0_14default_configENS1_25partition_config_selectorILNS1_17partition_subalgoE5ElNS0_10empty_typeEbEEZZNS1_14partition_implILS5_5ELb0ES3_mN6hipcub16HIPCUB_304000_NS21CountingInputIteratorIllEEPS6_NSA_22TransformInputIteratorIbN2at6native12_GLOBAL__N_19NonZeroOpIN3c107complexINSJ_4HalfEEEEEPKSM_lEENS0_5tupleIJPlS6_EEENSR_IJSD_SD_EEES6_PiJS6_EEE10hipError_tPvRmT3_T4_T5_T6_T7_T9_mT8_P12ihipStream_tbDpT10_ENKUlT_T0_E_clISt17integral_constantIbLb1EES1F_EEDaS1A_S1B_EUlS1A_E_NS1_11comp_targetILNS1_3genE4ELNS1_11target_archE910ELNS1_3gpuE8ELNS1_3repE0EEENS1_30default_config_static_selectorELNS0_4arch9wavefront6targetE0EEEvT1_ ; -- Begin function _ZN7rocprim17ROCPRIM_400000_NS6detail17trampoline_kernelINS0_14default_configENS1_25partition_config_selectorILNS1_17partition_subalgoE5ElNS0_10empty_typeEbEEZZNS1_14partition_implILS5_5ELb0ES3_mN6hipcub16HIPCUB_304000_NS21CountingInputIteratorIllEEPS6_NSA_22TransformInputIteratorIbN2at6native12_GLOBAL__N_19NonZeroOpIN3c107complexINSJ_4HalfEEEEEPKSM_lEENS0_5tupleIJPlS6_EEENSR_IJSD_SD_EEES6_PiJS6_EEE10hipError_tPvRmT3_T4_T5_T6_T7_T9_mT8_P12ihipStream_tbDpT10_ENKUlT_T0_E_clISt17integral_constantIbLb1EES1F_EEDaS1A_S1B_EUlS1A_E_NS1_11comp_targetILNS1_3genE4ELNS1_11target_archE910ELNS1_3gpuE8ELNS1_3repE0EEENS1_30default_config_static_selectorELNS0_4arch9wavefront6targetE0EEEvT1_
	.p2align	8
	.type	_ZN7rocprim17ROCPRIM_400000_NS6detail17trampoline_kernelINS0_14default_configENS1_25partition_config_selectorILNS1_17partition_subalgoE5ElNS0_10empty_typeEbEEZZNS1_14partition_implILS5_5ELb0ES3_mN6hipcub16HIPCUB_304000_NS21CountingInputIteratorIllEEPS6_NSA_22TransformInputIteratorIbN2at6native12_GLOBAL__N_19NonZeroOpIN3c107complexINSJ_4HalfEEEEEPKSM_lEENS0_5tupleIJPlS6_EEENSR_IJSD_SD_EEES6_PiJS6_EEE10hipError_tPvRmT3_T4_T5_T6_T7_T9_mT8_P12ihipStream_tbDpT10_ENKUlT_T0_E_clISt17integral_constantIbLb1EES1F_EEDaS1A_S1B_EUlS1A_E_NS1_11comp_targetILNS1_3genE4ELNS1_11target_archE910ELNS1_3gpuE8ELNS1_3repE0EEENS1_30default_config_static_selectorELNS0_4arch9wavefront6targetE0EEEvT1_,@function
_ZN7rocprim17ROCPRIM_400000_NS6detail17trampoline_kernelINS0_14default_configENS1_25partition_config_selectorILNS1_17partition_subalgoE5ElNS0_10empty_typeEbEEZZNS1_14partition_implILS5_5ELb0ES3_mN6hipcub16HIPCUB_304000_NS21CountingInputIteratorIllEEPS6_NSA_22TransformInputIteratorIbN2at6native12_GLOBAL__N_19NonZeroOpIN3c107complexINSJ_4HalfEEEEEPKSM_lEENS0_5tupleIJPlS6_EEENSR_IJSD_SD_EEES6_PiJS6_EEE10hipError_tPvRmT3_T4_T5_T6_T7_T9_mT8_P12ihipStream_tbDpT10_ENKUlT_T0_E_clISt17integral_constantIbLb1EES1F_EEDaS1A_S1B_EUlS1A_E_NS1_11comp_targetILNS1_3genE4ELNS1_11target_archE910ELNS1_3gpuE8ELNS1_3repE0EEENS1_30default_config_static_selectorELNS0_4arch9wavefront6targetE0EEEvT1_: ; @_ZN7rocprim17ROCPRIM_400000_NS6detail17trampoline_kernelINS0_14default_configENS1_25partition_config_selectorILNS1_17partition_subalgoE5ElNS0_10empty_typeEbEEZZNS1_14partition_implILS5_5ELb0ES3_mN6hipcub16HIPCUB_304000_NS21CountingInputIteratorIllEEPS6_NSA_22TransformInputIteratorIbN2at6native12_GLOBAL__N_19NonZeroOpIN3c107complexINSJ_4HalfEEEEEPKSM_lEENS0_5tupleIJPlS6_EEENSR_IJSD_SD_EEES6_PiJS6_EEE10hipError_tPvRmT3_T4_T5_T6_T7_T9_mT8_P12ihipStream_tbDpT10_ENKUlT_T0_E_clISt17integral_constantIbLb1EES1F_EEDaS1A_S1B_EUlS1A_E_NS1_11comp_targetILNS1_3genE4ELNS1_11target_archE910ELNS1_3gpuE8ELNS1_3repE0EEENS1_30default_config_static_selectorELNS0_4arch9wavefront6targetE0EEEvT1_
; %bb.0:
	.section	.rodata,"a",@progbits
	.p2align	6, 0x0
	.amdhsa_kernel _ZN7rocprim17ROCPRIM_400000_NS6detail17trampoline_kernelINS0_14default_configENS1_25partition_config_selectorILNS1_17partition_subalgoE5ElNS0_10empty_typeEbEEZZNS1_14partition_implILS5_5ELb0ES3_mN6hipcub16HIPCUB_304000_NS21CountingInputIteratorIllEEPS6_NSA_22TransformInputIteratorIbN2at6native12_GLOBAL__N_19NonZeroOpIN3c107complexINSJ_4HalfEEEEEPKSM_lEENS0_5tupleIJPlS6_EEENSR_IJSD_SD_EEES6_PiJS6_EEE10hipError_tPvRmT3_T4_T5_T6_T7_T9_mT8_P12ihipStream_tbDpT10_ENKUlT_T0_E_clISt17integral_constantIbLb1EES1F_EEDaS1A_S1B_EUlS1A_E_NS1_11comp_targetILNS1_3genE4ELNS1_11target_archE910ELNS1_3gpuE8ELNS1_3repE0EEENS1_30default_config_static_selectorELNS0_4arch9wavefront6targetE0EEEvT1_
		.amdhsa_group_segment_fixed_size 0
		.amdhsa_private_segment_fixed_size 0
		.amdhsa_kernarg_size 136
		.amdhsa_user_sgpr_count 2
		.amdhsa_user_sgpr_dispatch_ptr 0
		.amdhsa_user_sgpr_queue_ptr 0
		.amdhsa_user_sgpr_kernarg_segment_ptr 1
		.amdhsa_user_sgpr_dispatch_id 0
		.amdhsa_user_sgpr_private_segment_size 0
		.amdhsa_wavefront_size32 1
		.amdhsa_uses_dynamic_stack 0
		.amdhsa_enable_private_segment 0
		.amdhsa_system_sgpr_workgroup_id_x 1
		.amdhsa_system_sgpr_workgroup_id_y 0
		.amdhsa_system_sgpr_workgroup_id_z 0
		.amdhsa_system_sgpr_workgroup_info 0
		.amdhsa_system_vgpr_workitem_id 0
		.amdhsa_next_free_vgpr 1
		.amdhsa_next_free_sgpr 1
		.amdhsa_reserve_vcc 0
		.amdhsa_float_round_mode_32 0
		.amdhsa_float_round_mode_16_64 0
		.amdhsa_float_denorm_mode_32 3
		.amdhsa_float_denorm_mode_16_64 3
		.amdhsa_fp16_overflow 0
		.amdhsa_workgroup_processor_mode 1
		.amdhsa_memory_ordered 1
		.amdhsa_forward_progress 1
		.amdhsa_inst_pref_size 0
		.amdhsa_round_robin_scheduling 0
		.amdhsa_exception_fp_ieee_invalid_op 0
		.amdhsa_exception_fp_denorm_src 0
		.amdhsa_exception_fp_ieee_div_zero 0
		.amdhsa_exception_fp_ieee_overflow 0
		.amdhsa_exception_fp_ieee_underflow 0
		.amdhsa_exception_fp_ieee_inexact 0
		.amdhsa_exception_int_div_zero 0
	.end_amdhsa_kernel
	.section	.text._ZN7rocprim17ROCPRIM_400000_NS6detail17trampoline_kernelINS0_14default_configENS1_25partition_config_selectorILNS1_17partition_subalgoE5ElNS0_10empty_typeEbEEZZNS1_14partition_implILS5_5ELb0ES3_mN6hipcub16HIPCUB_304000_NS21CountingInputIteratorIllEEPS6_NSA_22TransformInputIteratorIbN2at6native12_GLOBAL__N_19NonZeroOpIN3c107complexINSJ_4HalfEEEEEPKSM_lEENS0_5tupleIJPlS6_EEENSR_IJSD_SD_EEES6_PiJS6_EEE10hipError_tPvRmT3_T4_T5_T6_T7_T9_mT8_P12ihipStream_tbDpT10_ENKUlT_T0_E_clISt17integral_constantIbLb1EES1F_EEDaS1A_S1B_EUlS1A_E_NS1_11comp_targetILNS1_3genE4ELNS1_11target_archE910ELNS1_3gpuE8ELNS1_3repE0EEENS1_30default_config_static_selectorELNS0_4arch9wavefront6targetE0EEEvT1_,"axG",@progbits,_ZN7rocprim17ROCPRIM_400000_NS6detail17trampoline_kernelINS0_14default_configENS1_25partition_config_selectorILNS1_17partition_subalgoE5ElNS0_10empty_typeEbEEZZNS1_14partition_implILS5_5ELb0ES3_mN6hipcub16HIPCUB_304000_NS21CountingInputIteratorIllEEPS6_NSA_22TransformInputIteratorIbN2at6native12_GLOBAL__N_19NonZeroOpIN3c107complexINSJ_4HalfEEEEEPKSM_lEENS0_5tupleIJPlS6_EEENSR_IJSD_SD_EEES6_PiJS6_EEE10hipError_tPvRmT3_T4_T5_T6_T7_T9_mT8_P12ihipStream_tbDpT10_ENKUlT_T0_E_clISt17integral_constantIbLb1EES1F_EEDaS1A_S1B_EUlS1A_E_NS1_11comp_targetILNS1_3genE4ELNS1_11target_archE910ELNS1_3gpuE8ELNS1_3repE0EEENS1_30default_config_static_selectorELNS0_4arch9wavefront6targetE0EEEvT1_,comdat
.Lfunc_end672:
	.size	_ZN7rocprim17ROCPRIM_400000_NS6detail17trampoline_kernelINS0_14default_configENS1_25partition_config_selectorILNS1_17partition_subalgoE5ElNS0_10empty_typeEbEEZZNS1_14partition_implILS5_5ELb0ES3_mN6hipcub16HIPCUB_304000_NS21CountingInputIteratorIllEEPS6_NSA_22TransformInputIteratorIbN2at6native12_GLOBAL__N_19NonZeroOpIN3c107complexINSJ_4HalfEEEEEPKSM_lEENS0_5tupleIJPlS6_EEENSR_IJSD_SD_EEES6_PiJS6_EEE10hipError_tPvRmT3_T4_T5_T6_T7_T9_mT8_P12ihipStream_tbDpT10_ENKUlT_T0_E_clISt17integral_constantIbLb1EES1F_EEDaS1A_S1B_EUlS1A_E_NS1_11comp_targetILNS1_3genE4ELNS1_11target_archE910ELNS1_3gpuE8ELNS1_3repE0EEENS1_30default_config_static_selectorELNS0_4arch9wavefront6targetE0EEEvT1_, .Lfunc_end672-_ZN7rocprim17ROCPRIM_400000_NS6detail17trampoline_kernelINS0_14default_configENS1_25partition_config_selectorILNS1_17partition_subalgoE5ElNS0_10empty_typeEbEEZZNS1_14partition_implILS5_5ELb0ES3_mN6hipcub16HIPCUB_304000_NS21CountingInputIteratorIllEEPS6_NSA_22TransformInputIteratorIbN2at6native12_GLOBAL__N_19NonZeroOpIN3c107complexINSJ_4HalfEEEEEPKSM_lEENS0_5tupleIJPlS6_EEENSR_IJSD_SD_EEES6_PiJS6_EEE10hipError_tPvRmT3_T4_T5_T6_T7_T9_mT8_P12ihipStream_tbDpT10_ENKUlT_T0_E_clISt17integral_constantIbLb1EES1F_EEDaS1A_S1B_EUlS1A_E_NS1_11comp_targetILNS1_3genE4ELNS1_11target_archE910ELNS1_3gpuE8ELNS1_3repE0EEENS1_30default_config_static_selectorELNS0_4arch9wavefront6targetE0EEEvT1_
                                        ; -- End function
	.set _ZN7rocprim17ROCPRIM_400000_NS6detail17trampoline_kernelINS0_14default_configENS1_25partition_config_selectorILNS1_17partition_subalgoE5ElNS0_10empty_typeEbEEZZNS1_14partition_implILS5_5ELb0ES3_mN6hipcub16HIPCUB_304000_NS21CountingInputIteratorIllEEPS6_NSA_22TransformInputIteratorIbN2at6native12_GLOBAL__N_19NonZeroOpIN3c107complexINSJ_4HalfEEEEEPKSM_lEENS0_5tupleIJPlS6_EEENSR_IJSD_SD_EEES6_PiJS6_EEE10hipError_tPvRmT3_T4_T5_T6_T7_T9_mT8_P12ihipStream_tbDpT10_ENKUlT_T0_E_clISt17integral_constantIbLb1EES1F_EEDaS1A_S1B_EUlS1A_E_NS1_11comp_targetILNS1_3genE4ELNS1_11target_archE910ELNS1_3gpuE8ELNS1_3repE0EEENS1_30default_config_static_selectorELNS0_4arch9wavefront6targetE0EEEvT1_.num_vgpr, 0
	.set _ZN7rocprim17ROCPRIM_400000_NS6detail17trampoline_kernelINS0_14default_configENS1_25partition_config_selectorILNS1_17partition_subalgoE5ElNS0_10empty_typeEbEEZZNS1_14partition_implILS5_5ELb0ES3_mN6hipcub16HIPCUB_304000_NS21CountingInputIteratorIllEEPS6_NSA_22TransformInputIteratorIbN2at6native12_GLOBAL__N_19NonZeroOpIN3c107complexINSJ_4HalfEEEEEPKSM_lEENS0_5tupleIJPlS6_EEENSR_IJSD_SD_EEES6_PiJS6_EEE10hipError_tPvRmT3_T4_T5_T6_T7_T9_mT8_P12ihipStream_tbDpT10_ENKUlT_T0_E_clISt17integral_constantIbLb1EES1F_EEDaS1A_S1B_EUlS1A_E_NS1_11comp_targetILNS1_3genE4ELNS1_11target_archE910ELNS1_3gpuE8ELNS1_3repE0EEENS1_30default_config_static_selectorELNS0_4arch9wavefront6targetE0EEEvT1_.num_agpr, 0
	.set _ZN7rocprim17ROCPRIM_400000_NS6detail17trampoline_kernelINS0_14default_configENS1_25partition_config_selectorILNS1_17partition_subalgoE5ElNS0_10empty_typeEbEEZZNS1_14partition_implILS5_5ELb0ES3_mN6hipcub16HIPCUB_304000_NS21CountingInputIteratorIllEEPS6_NSA_22TransformInputIteratorIbN2at6native12_GLOBAL__N_19NonZeroOpIN3c107complexINSJ_4HalfEEEEEPKSM_lEENS0_5tupleIJPlS6_EEENSR_IJSD_SD_EEES6_PiJS6_EEE10hipError_tPvRmT3_T4_T5_T6_T7_T9_mT8_P12ihipStream_tbDpT10_ENKUlT_T0_E_clISt17integral_constantIbLb1EES1F_EEDaS1A_S1B_EUlS1A_E_NS1_11comp_targetILNS1_3genE4ELNS1_11target_archE910ELNS1_3gpuE8ELNS1_3repE0EEENS1_30default_config_static_selectorELNS0_4arch9wavefront6targetE0EEEvT1_.numbered_sgpr, 0
	.set _ZN7rocprim17ROCPRIM_400000_NS6detail17trampoline_kernelINS0_14default_configENS1_25partition_config_selectorILNS1_17partition_subalgoE5ElNS0_10empty_typeEbEEZZNS1_14partition_implILS5_5ELb0ES3_mN6hipcub16HIPCUB_304000_NS21CountingInputIteratorIllEEPS6_NSA_22TransformInputIteratorIbN2at6native12_GLOBAL__N_19NonZeroOpIN3c107complexINSJ_4HalfEEEEEPKSM_lEENS0_5tupleIJPlS6_EEENSR_IJSD_SD_EEES6_PiJS6_EEE10hipError_tPvRmT3_T4_T5_T6_T7_T9_mT8_P12ihipStream_tbDpT10_ENKUlT_T0_E_clISt17integral_constantIbLb1EES1F_EEDaS1A_S1B_EUlS1A_E_NS1_11comp_targetILNS1_3genE4ELNS1_11target_archE910ELNS1_3gpuE8ELNS1_3repE0EEENS1_30default_config_static_selectorELNS0_4arch9wavefront6targetE0EEEvT1_.num_named_barrier, 0
	.set _ZN7rocprim17ROCPRIM_400000_NS6detail17trampoline_kernelINS0_14default_configENS1_25partition_config_selectorILNS1_17partition_subalgoE5ElNS0_10empty_typeEbEEZZNS1_14partition_implILS5_5ELb0ES3_mN6hipcub16HIPCUB_304000_NS21CountingInputIteratorIllEEPS6_NSA_22TransformInputIteratorIbN2at6native12_GLOBAL__N_19NonZeroOpIN3c107complexINSJ_4HalfEEEEEPKSM_lEENS0_5tupleIJPlS6_EEENSR_IJSD_SD_EEES6_PiJS6_EEE10hipError_tPvRmT3_T4_T5_T6_T7_T9_mT8_P12ihipStream_tbDpT10_ENKUlT_T0_E_clISt17integral_constantIbLb1EES1F_EEDaS1A_S1B_EUlS1A_E_NS1_11comp_targetILNS1_3genE4ELNS1_11target_archE910ELNS1_3gpuE8ELNS1_3repE0EEENS1_30default_config_static_selectorELNS0_4arch9wavefront6targetE0EEEvT1_.private_seg_size, 0
	.set _ZN7rocprim17ROCPRIM_400000_NS6detail17trampoline_kernelINS0_14default_configENS1_25partition_config_selectorILNS1_17partition_subalgoE5ElNS0_10empty_typeEbEEZZNS1_14partition_implILS5_5ELb0ES3_mN6hipcub16HIPCUB_304000_NS21CountingInputIteratorIllEEPS6_NSA_22TransformInputIteratorIbN2at6native12_GLOBAL__N_19NonZeroOpIN3c107complexINSJ_4HalfEEEEEPKSM_lEENS0_5tupleIJPlS6_EEENSR_IJSD_SD_EEES6_PiJS6_EEE10hipError_tPvRmT3_T4_T5_T6_T7_T9_mT8_P12ihipStream_tbDpT10_ENKUlT_T0_E_clISt17integral_constantIbLb1EES1F_EEDaS1A_S1B_EUlS1A_E_NS1_11comp_targetILNS1_3genE4ELNS1_11target_archE910ELNS1_3gpuE8ELNS1_3repE0EEENS1_30default_config_static_selectorELNS0_4arch9wavefront6targetE0EEEvT1_.uses_vcc, 0
	.set _ZN7rocprim17ROCPRIM_400000_NS6detail17trampoline_kernelINS0_14default_configENS1_25partition_config_selectorILNS1_17partition_subalgoE5ElNS0_10empty_typeEbEEZZNS1_14partition_implILS5_5ELb0ES3_mN6hipcub16HIPCUB_304000_NS21CountingInputIteratorIllEEPS6_NSA_22TransformInputIteratorIbN2at6native12_GLOBAL__N_19NonZeroOpIN3c107complexINSJ_4HalfEEEEEPKSM_lEENS0_5tupleIJPlS6_EEENSR_IJSD_SD_EEES6_PiJS6_EEE10hipError_tPvRmT3_T4_T5_T6_T7_T9_mT8_P12ihipStream_tbDpT10_ENKUlT_T0_E_clISt17integral_constantIbLb1EES1F_EEDaS1A_S1B_EUlS1A_E_NS1_11comp_targetILNS1_3genE4ELNS1_11target_archE910ELNS1_3gpuE8ELNS1_3repE0EEENS1_30default_config_static_selectorELNS0_4arch9wavefront6targetE0EEEvT1_.uses_flat_scratch, 0
	.set _ZN7rocprim17ROCPRIM_400000_NS6detail17trampoline_kernelINS0_14default_configENS1_25partition_config_selectorILNS1_17partition_subalgoE5ElNS0_10empty_typeEbEEZZNS1_14partition_implILS5_5ELb0ES3_mN6hipcub16HIPCUB_304000_NS21CountingInputIteratorIllEEPS6_NSA_22TransformInputIteratorIbN2at6native12_GLOBAL__N_19NonZeroOpIN3c107complexINSJ_4HalfEEEEEPKSM_lEENS0_5tupleIJPlS6_EEENSR_IJSD_SD_EEES6_PiJS6_EEE10hipError_tPvRmT3_T4_T5_T6_T7_T9_mT8_P12ihipStream_tbDpT10_ENKUlT_T0_E_clISt17integral_constantIbLb1EES1F_EEDaS1A_S1B_EUlS1A_E_NS1_11comp_targetILNS1_3genE4ELNS1_11target_archE910ELNS1_3gpuE8ELNS1_3repE0EEENS1_30default_config_static_selectorELNS0_4arch9wavefront6targetE0EEEvT1_.has_dyn_sized_stack, 0
	.set _ZN7rocprim17ROCPRIM_400000_NS6detail17trampoline_kernelINS0_14default_configENS1_25partition_config_selectorILNS1_17partition_subalgoE5ElNS0_10empty_typeEbEEZZNS1_14partition_implILS5_5ELb0ES3_mN6hipcub16HIPCUB_304000_NS21CountingInputIteratorIllEEPS6_NSA_22TransformInputIteratorIbN2at6native12_GLOBAL__N_19NonZeroOpIN3c107complexINSJ_4HalfEEEEEPKSM_lEENS0_5tupleIJPlS6_EEENSR_IJSD_SD_EEES6_PiJS6_EEE10hipError_tPvRmT3_T4_T5_T6_T7_T9_mT8_P12ihipStream_tbDpT10_ENKUlT_T0_E_clISt17integral_constantIbLb1EES1F_EEDaS1A_S1B_EUlS1A_E_NS1_11comp_targetILNS1_3genE4ELNS1_11target_archE910ELNS1_3gpuE8ELNS1_3repE0EEENS1_30default_config_static_selectorELNS0_4arch9wavefront6targetE0EEEvT1_.has_recursion, 0
	.set _ZN7rocprim17ROCPRIM_400000_NS6detail17trampoline_kernelINS0_14default_configENS1_25partition_config_selectorILNS1_17partition_subalgoE5ElNS0_10empty_typeEbEEZZNS1_14partition_implILS5_5ELb0ES3_mN6hipcub16HIPCUB_304000_NS21CountingInputIteratorIllEEPS6_NSA_22TransformInputIteratorIbN2at6native12_GLOBAL__N_19NonZeroOpIN3c107complexINSJ_4HalfEEEEEPKSM_lEENS0_5tupleIJPlS6_EEENSR_IJSD_SD_EEES6_PiJS6_EEE10hipError_tPvRmT3_T4_T5_T6_T7_T9_mT8_P12ihipStream_tbDpT10_ENKUlT_T0_E_clISt17integral_constantIbLb1EES1F_EEDaS1A_S1B_EUlS1A_E_NS1_11comp_targetILNS1_3genE4ELNS1_11target_archE910ELNS1_3gpuE8ELNS1_3repE0EEENS1_30default_config_static_selectorELNS0_4arch9wavefront6targetE0EEEvT1_.has_indirect_call, 0
	.section	.AMDGPU.csdata,"",@progbits
; Kernel info:
; codeLenInByte = 0
; TotalNumSgprs: 0
; NumVgprs: 0
; ScratchSize: 0
; MemoryBound: 0
; FloatMode: 240
; IeeeMode: 1
; LDSByteSize: 0 bytes/workgroup (compile time only)
; SGPRBlocks: 0
; VGPRBlocks: 0
; NumSGPRsForWavesPerEU: 1
; NumVGPRsForWavesPerEU: 1
; Occupancy: 16
; WaveLimiterHint : 0
; COMPUTE_PGM_RSRC2:SCRATCH_EN: 0
; COMPUTE_PGM_RSRC2:USER_SGPR: 2
; COMPUTE_PGM_RSRC2:TRAP_HANDLER: 0
; COMPUTE_PGM_RSRC2:TGID_X_EN: 1
; COMPUTE_PGM_RSRC2:TGID_Y_EN: 0
; COMPUTE_PGM_RSRC2:TGID_Z_EN: 0
; COMPUTE_PGM_RSRC2:TIDIG_COMP_CNT: 0
	.section	.text._ZN7rocprim17ROCPRIM_400000_NS6detail17trampoline_kernelINS0_14default_configENS1_25partition_config_selectorILNS1_17partition_subalgoE5ElNS0_10empty_typeEbEEZZNS1_14partition_implILS5_5ELb0ES3_mN6hipcub16HIPCUB_304000_NS21CountingInputIteratorIllEEPS6_NSA_22TransformInputIteratorIbN2at6native12_GLOBAL__N_19NonZeroOpIN3c107complexINSJ_4HalfEEEEEPKSM_lEENS0_5tupleIJPlS6_EEENSR_IJSD_SD_EEES6_PiJS6_EEE10hipError_tPvRmT3_T4_T5_T6_T7_T9_mT8_P12ihipStream_tbDpT10_ENKUlT_T0_E_clISt17integral_constantIbLb1EES1F_EEDaS1A_S1B_EUlS1A_E_NS1_11comp_targetILNS1_3genE3ELNS1_11target_archE908ELNS1_3gpuE7ELNS1_3repE0EEENS1_30default_config_static_selectorELNS0_4arch9wavefront6targetE0EEEvT1_,"axG",@progbits,_ZN7rocprim17ROCPRIM_400000_NS6detail17trampoline_kernelINS0_14default_configENS1_25partition_config_selectorILNS1_17partition_subalgoE5ElNS0_10empty_typeEbEEZZNS1_14partition_implILS5_5ELb0ES3_mN6hipcub16HIPCUB_304000_NS21CountingInputIteratorIllEEPS6_NSA_22TransformInputIteratorIbN2at6native12_GLOBAL__N_19NonZeroOpIN3c107complexINSJ_4HalfEEEEEPKSM_lEENS0_5tupleIJPlS6_EEENSR_IJSD_SD_EEES6_PiJS6_EEE10hipError_tPvRmT3_T4_T5_T6_T7_T9_mT8_P12ihipStream_tbDpT10_ENKUlT_T0_E_clISt17integral_constantIbLb1EES1F_EEDaS1A_S1B_EUlS1A_E_NS1_11comp_targetILNS1_3genE3ELNS1_11target_archE908ELNS1_3gpuE7ELNS1_3repE0EEENS1_30default_config_static_selectorELNS0_4arch9wavefront6targetE0EEEvT1_,comdat
	.globl	_ZN7rocprim17ROCPRIM_400000_NS6detail17trampoline_kernelINS0_14default_configENS1_25partition_config_selectorILNS1_17partition_subalgoE5ElNS0_10empty_typeEbEEZZNS1_14partition_implILS5_5ELb0ES3_mN6hipcub16HIPCUB_304000_NS21CountingInputIteratorIllEEPS6_NSA_22TransformInputIteratorIbN2at6native12_GLOBAL__N_19NonZeroOpIN3c107complexINSJ_4HalfEEEEEPKSM_lEENS0_5tupleIJPlS6_EEENSR_IJSD_SD_EEES6_PiJS6_EEE10hipError_tPvRmT3_T4_T5_T6_T7_T9_mT8_P12ihipStream_tbDpT10_ENKUlT_T0_E_clISt17integral_constantIbLb1EES1F_EEDaS1A_S1B_EUlS1A_E_NS1_11comp_targetILNS1_3genE3ELNS1_11target_archE908ELNS1_3gpuE7ELNS1_3repE0EEENS1_30default_config_static_selectorELNS0_4arch9wavefront6targetE0EEEvT1_ ; -- Begin function _ZN7rocprim17ROCPRIM_400000_NS6detail17trampoline_kernelINS0_14default_configENS1_25partition_config_selectorILNS1_17partition_subalgoE5ElNS0_10empty_typeEbEEZZNS1_14partition_implILS5_5ELb0ES3_mN6hipcub16HIPCUB_304000_NS21CountingInputIteratorIllEEPS6_NSA_22TransformInputIteratorIbN2at6native12_GLOBAL__N_19NonZeroOpIN3c107complexINSJ_4HalfEEEEEPKSM_lEENS0_5tupleIJPlS6_EEENSR_IJSD_SD_EEES6_PiJS6_EEE10hipError_tPvRmT3_T4_T5_T6_T7_T9_mT8_P12ihipStream_tbDpT10_ENKUlT_T0_E_clISt17integral_constantIbLb1EES1F_EEDaS1A_S1B_EUlS1A_E_NS1_11comp_targetILNS1_3genE3ELNS1_11target_archE908ELNS1_3gpuE7ELNS1_3repE0EEENS1_30default_config_static_selectorELNS0_4arch9wavefront6targetE0EEEvT1_
	.p2align	8
	.type	_ZN7rocprim17ROCPRIM_400000_NS6detail17trampoline_kernelINS0_14default_configENS1_25partition_config_selectorILNS1_17partition_subalgoE5ElNS0_10empty_typeEbEEZZNS1_14partition_implILS5_5ELb0ES3_mN6hipcub16HIPCUB_304000_NS21CountingInputIteratorIllEEPS6_NSA_22TransformInputIteratorIbN2at6native12_GLOBAL__N_19NonZeroOpIN3c107complexINSJ_4HalfEEEEEPKSM_lEENS0_5tupleIJPlS6_EEENSR_IJSD_SD_EEES6_PiJS6_EEE10hipError_tPvRmT3_T4_T5_T6_T7_T9_mT8_P12ihipStream_tbDpT10_ENKUlT_T0_E_clISt17integral_constantIbLb1EES1F_EEDaS1A_S1B_EUlS1A_E_NS1_11comp_targetILNS1_3genE3ELNS1_11target_archE908ELNS1_3gpuE7ELNS1_3repE0EEENS1_30default_config_static_selectorELNS0_4arch9wavefront6targetE0EEEvT1_,@function
_ZN7rocprim17ROCPRIM_400000_NS6detail17trampoline_kernelINS0_14default_configENS1_25partition_config_selectorILNS1_17partition_subalgoE5ElNS0_10empty_typeEbEEZZNS1_14partition_implILS5_5ELb0ES3_mN6hipcub16HIPCUB_304000_NS21CountingInputIteratorIllEEPS6_NSA_22TransformInputIteratorIbN2at6native12_GLOBAL__N_19NonZeroOpIN3c107complexINSJ_4HalfEEEEEPKSM_lEENS0_5tupleIJPlS6_EEENSR_IJSD_SD_EEES6_PiJS6_EEE10hipError_tPvRmT3_T4_T5_T6_T7_T9_mT8_P12ihipStream_tbDpT10_ENKUlT_T0_E_clISt17integral_constantIbLb1EES1F_EEDaS1A_S1B_EUlS1A_E_NS1_11comp_targetILNS1_3genE3ELNS1_11target_archE908ELNS1_3gpuE7ELNS1_3repE0EEENS1_30default_config_static_selectorELNS0_4arch9wavefront6targetE0EEEvT1_: ; @_ZN7rocprim17ROCPRIM_400000_NS6detail17trampoline_kernelINS0_14default_configENS1_25partition_config_selectorILNS1_17partition_subalgoE5ElNS0_10empty_typeEbEEZZNS1_14partition_implILS5_5ELb0ES3_mN6hipcub16HIPCUB_304000_NS21CountingInputIteratorIllEEPS6_NSA_22TransformInputIteratorIbN2at6native12_GLOBAL__N_19NonZeroOpIN3c107complexINSJ_4HalfEEEEEPKSM_lEENS0_5tupleIJPlS6_EEENSR_IJSD_SD_EEES6_PiJS6_EEE10hipError_tPvRmT3_T4_T5_T6_T7_T9_mT8_P12ihipStream_tbDpT10_ENKUlT_T0_E_clISt17integral_constantIbLb1EES1F_EEDaS1A_S1B_EUlS1A_E_NS1_11comp_targetILNS1_3genE3ELNS1_11target_archE908ELNS1_3gpuE7ELNS1_3repE0EEENS1_30default_config_static_selectorELNS0_4arch9wavefront6targetE0EEEvT1_
; %bb.0:
	.section	.rodata,"a",@progbits
	.p2align	6, 0x0
	.amdhsa_kernel _ZN7rocprim17ROCPRIM_400000_NS6detail17trampoline_kernelINS0_14default_configENS1_25partition_config_selectorILNS1_17partition_subalgoE5ElNS0_10empty_typeEbEEZZNS1_14partition_implILS5_5ELb0ES3_mN6hipcub16HIPCUB_304000_NS21CountingInputIteratorIllEEPS6_NSA_22TransformInputIteratorIbN2at6native12_GLOBAL__N_19NonZeroOpIN3c107complexINSJ_4HalfEEEEEPKSM_lEENS0_5tupleIJPlS6_EEENSR_IJSD_SD_EEES6_PiJS6_EEE10hipError_tPvRmT3_T4_T5_T6_T7_T9_mT8_P12ihipStream_tbDpT10_ENKUlT_T0_E_clISt17integral_constantIbLb1EES1F_EEDaS1A_S1B_EUlS1A_E_NS1_11comp_targetILNS1_3genE3ELNS1_11target_archE908ELNS1_3gpuE7ELNS1_3repE0EEENS1_30default_config_static_selectorELNS0_4arch9wavefront6targetE0EEEvT1_
		.amdhsa_group_segment_fixed_size 0
		.amdhsa_private_segment_fixed_size 0
		.amdhsa_kernarg_size 136
		.amdhsa_user_sgpr_count 2
		.amdhsa_user_sgpr_dispatch_ptr 0
		.amdhsa_user_sgpr_queue_ptr 0
		.amdhsa_user_sgpr_kernarg_segment_ptr 1
		.amdhsa_user_sgpr_dispatch_id 0
		.amdhsa_user_sgpr_private_segment_size 0
		.amdhsa_wavefront_size32 1
		.amdhsa_uses_dynamic_stack 0
		.amdhsa_enable_private_segment 0
		.amdhsa_system_sgpr_workgroup_id_x 1
		.amdhsa_system_sgpr_workgroup_id_y 0
		.amdhsa_system_sgpr_workgroup_id_z 0
		.amdhsa_system_sgpr_workgroup_info 0
		.amdhsa_system_vgpr_workitem_id 0
		.amdhsa_next_free_vgpr 1
		.amdhsa_next_free_sgpr 1
		.amdhsa_reserve_vcc 0
		.amdhsa_float_round_mode_32 0
		.amdhsa_float_round_mode_16_64 0
		.amdhsa_float_denorm_mode_32 3
		.amdhsa_float_denorm_mode_16_64 3
		.amdhsa_fp16_overflow 0
		.amdhsa_workgroup_processor_mode 1
		.amdhsa_memory_ordered 1
		.amdhsa_forward_progress 1
		.amdhsa_inst_pref_size 0
		.amdhsa_round_robin_scheduling 0
		.amdhsa_exception_fp_ieee_invalid_op 0
		.amdhsa_exception_fp_denorm_src 0
		.amdhsa_exception_fp_ieee_div_zero 0
		.amdhsa_exception_fp_ieee_overflow 0
		.amdhsa_exception_fp_ieee_underflow 0
		.amdhsa_exception_fp_ieee_inexact 0
		.amdhsa_exception_int_div_zero 0
	.end_amdhsa_kernel
	.section	.text._ZN7rocprim17ROCPRIM_400000_NS6detail17trampoline_kernelINS0_14default_configENS1_25partition_config_selectorILNS1_17partition_subalgoE5ElNS0_10empty_typeEbEEZZNS1_14partition_implILS5_5ELb0ES3_mN6hipcub16HIPCUB_304000_NS21CountingInputIteratorIllEEPS6_NSA_22TransformInputIteratorIbN2at6native12_GLOBAL__N_19NonZeroOpIN3c107complexINSJ_4HalfEEEEEPKSM_lEENS0_5tupleIJPlS6_EEENSR_IJSD_SD_EEES6_PiJS6_EEE10hipError_tPvRmT3_T4_T5_T6_T7_T9_mT8_P12ihipStream_tbDpT10_ENKUlT_T0_E_clISt17integral_constantIbLb1EES1F_EEDaS1A_S1B_EUlS1A_E_NS1_11comp_targetILNS1_3genE3ELNS1_11target_archE908ELNS1_3gpuE7ELNS1_3repE0EEENS1_30default_config_static_selectorELNS0_4arch9wavefront6targetE0EEEvT1_,"axG",@progbits,_ZN7rocprim17ROCPRIM_400000_NS6detail17trampoline_kernelINS0_14default_configENS1_25partition_config_selectorILNS1_17partition_subalgoE5ElNS0_10empty_typeEbEEZZNS1_14partition_implILS5_5ELb0ES3_mN6hipcub16HIPCUB_304000_NS21CountingInputIteratorIllEEPS6_NSA_22TransformInputIteratorIbN2at6native12_GLOBAL__N_19NonZeroOpIN3c107complexINSJ_4HalfEEEEEPKSM_lEENS0_5tupleIJPlS6_EEENSR_IJSD_SD_EEES6_PiJS6_EEE10hipError_tPvRmT3_T4_T5_T6_T7_T9_mT8_P12ihipStream_tbDpT10_ENKUlT_T0_E_clISt17integral_constantIbLb1EES1F_EEDaS1A_S1B_EUlS1A_E_NS1_11comp_targetILNS1_3genE3ELNS1_11target_archE908ELNS1_3gpuE7ELNS1_3repE0EEENS1_30default_config_static_selectorELNS0_4arch9wavefront6targetE0EEEvT1_,comdat
.Lfunc_end673:
	.size	_ZN7rocprim17ROCPRIM_400000_NS6detail17trampoline_kernelINS0_14default_configENS1_25partition_config_selectorILNS1_17partition_subalgoE5ElNS0_10empty_typeEbEEZZNS1_14partition_implILS5_5ELb0ES3_mN6hipcub16HIPCUB_304000_NS21CountingInputIteratorIllEEPS6_NSA_22TransformInputIteratorIbN2at6native12_GLOBAL__N_19NonZeroOpIN3c107complexINSJ_4HalfEEEEEPKSM_lEENS0_5tupleIJPlS6_EEENSR_IJSD_SD_EEES6_PiJS6_EEE10hipError_tPvRmT3_T4_T5_T6_T7_T9_mT8_P12ihipStream_tbDpT10_ENKUlT_T0_E_clISt17integral_constantIbLb1EES1F_EEDaS1A_S1B_EUlS1A_E_NS1_11comp_targetILNS1_3genE3ELNS1_11target_archE908ELNS1_3gpuE7ELNS1_3repE0EEENS1_30default_config_static_selectorELNS0_4arch9wavefront6targetE0EEEvT1_, .Lfunc_end673-_ZN7rocprim17ROCPRIM_400000_NS6detail17trampoline_kernelINS0_14default_configENS1_25partition_config_selectorILNS1_17partition_subalgoE5ElNS0_10empty_typeEbEEZZNS1_14partition_implILS5_5ELb0ES3_mN6hipcub16HIPCUB_304000_NS21CountingInputIteratorIllEEPS6_NSA_22TransformInputIteratorIbN2at6native12_GLOBAL__N_19NonZeroOpIN3c107complexINSJ_4HalfEEEEEPKSM_lEENS0_5tupleIJPlS6_EEENSR_IJSD_SD_EEES6_PiJS6_EEE10hipError_tPvRmT3_T4_T5_T6_T7_T9_mT8_P12ihipStream_tbDpT10_ENKUlT_T0_E_clISt17integral_constantIbLb1EES1F_EEDaS1A_S1B_EUlS1A_E_NS1_11comp_targetILNS1_3genE3ELNS1_11target_archE908ELNS1_3gpuE7ELNS1_3repE0EEENS1_30default_config_static_selectorELNS0_4arch9wavefront6targetE0EEEvT1_
                                        ; -- End function
	.set _ZN7rocprim17ROCPRIM_400000_NS6detail17trampoline_kernelINS0_14default_configENS1_25partition_config_selectorILNS1_17partition_subalgoE5ElNS0_10empty_typeEbEEZZNS1_14partition_implILS5_5ELb0ES3_mN6hipcub16HIPCUB_304000_NS21CountingInputIteratorIllEEPS6_NSA_22TransformInputIteratorIbN2at6native12_GLOBAL__N_19NonZeroOpIN3c107complexINSJ_4HalfEEEEEPKSM_lEENS0_5tupleIJPlS6_EEENSR_IJSD_SD_EEES6_PiJS6_EEE10hipError_tPvRmT3_T4_T5_T6_T7_T9_mT8_P12ihipStream_tbDpT10_ENKUlT_T0_E_clISt17integral_constantIbLb1EES1F_EEDaS1A_S1B_EUlS1A_E_NS1_11comp_targetILNS1_3genE3ELNS1_11target_archE908ELNS1_3gpuE7ELNS1_3repE0EEENS1_30default_config_static_selectorELNS0_4arch9wavefront6targetE0EEEvT1_.num_vgpr, 0
	.set _ZN7rocprim17ROCPRIM_400000_NS6detail17trampoline_kernelINS0_14default_configENS1_25partition_config_selectorILNS1_17partition_subalgoE5ElNS0_10empty_typeEbEEZZNS1_14partition_implILS5_5ELb0ES3_mN6hipcub16HIPCUB_304000_NS21CountingInputIteratorIllEEPS6_NSA_22TransformInputIteratorIbN2at6native12_GLOBAL__N_19NonZeroOpIN3c107complexINSJ_4HalfEEEEEPKSM_lEENS0_5tupleIJPlS6_EEENSR_IJSD_SD_EEES6_PiJS6_EEE10hipError_tPvRmT3_T4_T5_T6_T7_T9_mT8_P12ihipStream_tbDpT10_ENKUlT_T0_E_clISt17integral_constantIbLb1EES1F_EEDaS1A_S1B_EUlS1A_E_NS1_11comp_targetILNS1_3genE3ELNS1_11target_archE908ELNS1_3gpuE7ELNS1_3repE0EEENS1_30default_config_static_selectorELNS0_4arch9wavefront6targetE0EEEvT1_.num_agpr, 0
	.set _ZN7rocprim17ROCPRIM_400000_NS6detail17trampoline_kernelINS0_14default_configENS1_25partition_config_selectorILNS1_17partition_subalgoE5ElNS0_10empty_typeEbEEZZNS1_14partition_implILS5_5ELb0ES3_mN6hipcub16HIPCUB_304000_NS21CountingInputIteratorIllEEPS6_NSA_22TransformInputIteratorIbN2at6native12_GLOBAL__N_19NonZeroOpIN3c107complexINSJ_4HalfEEEEEPKSM_lEENS0_5tupleIJPlS6_EEENSR_IJSD_SD_EEES6_PiJS6_EEE10hipError_tPvRmT3_T4_T5_T6_T7_T9_mT8_P12ihipStream_tbDpT10_ENKUlT_T0_E_clISt17integral_constantIbLb1EES1F_EEDaS1A_S1B_EUlS1A_E_NS1_11comp_targetILNS1_3genE3ELNS1_11target_archE908ELNS1_3gpuE7ELNS1_3repE0EEENS1_30default_config_static_selectorELNS0_4arch9wavefront6targetE0EEEvT1_.numbered_sgpr, 0
	.set _ZN7rocprim17ROCPRIM_400000_NS6detail17trampoline_kernelINS0_14default_configENS1_25partition_config_selectorILNS1_17partition_subalgoE5ElNS0_10empty_typeEbEEZZNS1_14partition_implILS5_5ELb0ES3_mN6hipcub16HIPCUB_304000_NS21CountingInputIteratorIllEEPS6_NSA_22TransformInputIteratorIbN2at6native12_GLOBAL__N_19NonZeroOpIN3c107complexINSJ_4HalfEEEEEPKSM_lEENS0_5tupleIJPlS6_EEENSR_IJSD_SD_EEES6_PiJS6_EEE10hipError_tPvRmT3_T4_T5_T6_T7_T9_mT8_P12ihipStream_tbDpT10_ENKUlT_T0_E_clISt17integral_constantIbLb1EES1F_EEDaS1A_S1B_EUlS1A_E_NS1_11comp_targetILNS1_3genE3ELNS1_11target_archE908ELNS1_3gpuE7ELNS1_3repE0EEENS1_30default_config_static_selectorELNS0_4arch9wavefront6targetE0EEEvT1_.num_named_barrier, 0
	.set _ZN7rocprim17ROCPRIM_400000_NS6detail17trampoline_kernelINS0_14default_configENS1_25partition_config_selectorILNS1_17partition_subalgoE5ElNS0_10empty_typeEbEEZZNS1_14partition_implILS5_5ELb0ES3_mN6hipcub16HIPCUB_304000_NS21CountingInputIteratorIllEEPS6_NSA_22TransformInputIteratorIbN2at6native12_GLOBAL__N_19NonZeroOpIN3c107complexINSJ_4HalfEEEEEPKSM_lEENS0_5tupleIJPlS6_EEENSR_IJSD_SD_EEES6_PiJS6_EEE10hipError_tPvRmT3_T4_T5_T6_T7_T9_mT8_P12ihipStream_tbDpT10_ENKUlT_T0_E_clISt17integral_constantIbLb1EES1F_EEDaS1A_S1B_EUlS1A_E_NS1_11comp_targetILNS1_3genE3ELNS1_11target_archE908ELNS1_3gpuE7ELNS1_3repE0EEENS1_30default_config_static_selectorELNS0_4arch9wavefront6targetE0EEEvT1_.private_seg_size, 0
	.set _ZN7rocprim17ROCPRIM_400000_NS6detail17trampoline_kernelINS0_14default_configENS1_25partition_config_selectorILNS1_17partition_subalgoE5ElNS0_10empty_typeEbEEZZNS1_14partition_implILS5_5ELb0ES3_mN6hipcub16HIPCUB_304000_NS21CountingInputIteratorIllEEPS6_NSA_22TransformInputIteratorIbN2at6native12_GLOBAL__N_19NonZeroOpIN3c107complexINSJ_4HalfEEEEEPKSM_lEENS0_5tupleIJPlS6_EEENSR_IJSD_SD_EEES6_PiJS6_EEE10hipError_tPvRmT3_T4_T5_T6_T7_T9_mT8_P12ihipStream_tbDpT10_ENKUlT_T0_E_clISt17integral_constantIbLb1EES1F_EEDaS1A_S1B_EUlS1A_E_NS1_11comp_targetILNS1_3genE3ELNS1_11target_archE908ELNS1_3gpuE7ELNS1_3repE0EEENS1_30default_config_static_selectorELNS0_4arch9wavefront6targetE0EEEvT1_.uses_vcc, 0
	.set _ZN7rocprim17ROCPRIM_400000_NS6detail17trampoline_kernelINS0_14default_configENS1_25partition_config_selectorILNS1_17partition_subalgoE5ElNS0_10empty_typeEbEEZZNS1_14partition_implILS5_5ELb0ES3_mN6hipcub16HIPCUB_304000_NS21CountingInputIteratorIllEEPS6_NSA_22TransformInputIteratorIbN2at6native12_GLOBAL__N_19NonZeroOpIN3c107complexINSJ_4HalfEEEEEPKSM_lEENS0_5tupleIJPlS6_EEENSR_IJSD_SD_EEES6_PiJS6_EEE10hipError_tPvRmT3_T4_T5_T6_T7_T9_mT8_P12ihipStream_tbDpT10_ENKUlT_T0_E_clISt17integral_constantIbLb1EES1F_EEDaS1A_S1B_EUlS1A_E_NS1_11comp_targetILNS1_3genE3ELNS1_11target_archE908ELNS1_3gpuE7ELNS1_3repE0EEENS1_30default_config_static_selectorELNS0_4arch9wavefront6targetE0EEEvT1_.uses_flat_scratch, 0
	.set _ZN7rocprim17ROCPRIM_400000_NS6detail17trampoline_kernelINS0_14default_configENS1_25partition_config_selectorILNS1_17partition_subalgoE5ElNS0_10empty_typeEbEEZZNS1_14partition_implILS5_5ELb0ES3_mN6hipcub16HIPCUB_304000_NS21CountingInputIteratorIllEEPS6_NSA_22TransformInputIteratorIbN2at6native12_GLOBAL__N_19NonZeroOpIN3c107complexINSJ_4HalfEEEEEPKSM_lEENS0_5tupleIJPlS6_EEENSR_IJSD_SD_EEES6_PiJS6_EEE10hipError_tPvRmT3_T4_T5_T6_T7_T9_mT8_P12ihipStream_tbDpT10_ENKUlT_T0_E_clISt17integral_constantIbLb1EES1F_EEDaS1A_S1B_EUlS1A_E_NS1_11comp_targetILNS1_3genE3ELNS1_11target_archE908ELNS1_3gpuE7ELNS1_3repE0EEENS1_30default_config_static_selectorELNS0_4arch9wavefront6targetE0EEEvT1_.has_dyn_sized_stack, 0
	.set _ZN7rocprim17ROCPRIM_400000_NS6detail17trampoline_kernelINS0_14default_configENS1_25partition_config_selectorILNS1_17partition_subalgoE5ElNS0_10empty_typeEbEEZZNS1_14partition_implILS5_5ELb0ES3_mN6hipcub16HIPCUB_304000_NS21CountingInputIteratorIllEEPS6_NSA_22TransformInputIteratorIbN2at6native12_GLOBAL__N_19NonZeroOpIN3c107complexINSJ_4HalfEEEEEPKSM_lEENS0_5tupleIJPlS6_EEENSR_IJSD_SD_EEES6_PiJS6_EEE10hipError_tPvRmT3_T4_T5_T6_T7_T9_mT8_P12ihipStream_tbDpT10_ENKUlT_T0_E_clISt17integral_constantIbLb1EES1F_EEDaS1A_S1B_EUlS1A_E_NS1_11comp_targetILNS1_3genE3ELNS1_11target_archE908ELNS1_3gpuE7ELNS1_3repE0EEENS1_30default_config_static_selectorELNS0_4arch9wavefront6targetE0EEEvT1_.has_recursion, 0
	.set _ZN7rocprim17ROCPRIM_400000_NS6detail17trampoline_kernelINS0_14default_configENS1_25partition_config_selectorILNS1_17partition_subalgoE5ElNS0_10empty_typeEbEEZZNS1_14partition_implILS5_5ELb0ES3_mN6hipcub16HIPCUB_304000_NS21CountingInputIteratorIllEEPS6_NSA_22TransformInputIteratorIbN2at6native12_GLOBAL__N_19NonZeroOpIN3c107complexINSJ_4HalfEEEEEPKSM_lEENS0_5tupleIJPlS6_EEENSR_IJSD_SD_EEES6_PiJS6_EEE10hipError_tPvRmT3_T4_T5_T6_T7_T9_mT8_P12ihipStream_tbDpT10_ENKUlT_T0_E_clISt17integral_constantIbLb1EES1F_EEDaS1A_S1B_EUlS1A_E_NS1_11comp_targetILNS1_3genE3ELNS1_11target_archE908ELNS1_3gpuE7ELNS1_3repE0EEENS1_30default_config_static_selectorELNS0_4arch9wavefront6targetE0EEEvT1_.has_indirect_call, 0
	.section	.AMDGPU.csdata,"",@progbits
; Kernel info:
; codeLenInByte = 0
; TotalNumSgprs: 0
; NumVgprs: 0
; ScratchSize: 0
; MemoryBound: 0
; FloatMode: 240
; IeeeMode: 1
; LDSByteSize: 0 bytes/workgroup (compile time only)
; SGPRBlocks: 0
; VGPRBlocks: 0
; NumSGPRsForWavesPerEU: 1
; NumVGPRsForWavesPerEU: 1
; Occupancy: 16
; WaveLimiterHint : 0
; COMPUTE_PGM_RSRC2:SCRATCH_EN: 0
; COMPUTE_PGM_RSRC2:USER_SGPR: 2
; COMPUTE_PGM_RSRC2:TRAP_HANDLER: 0
; COMPUTE_PGM_RSRC2:TGID_X_EN: 1
; COMPUTE_PGM_RSRC2:TGID_Y_EN: 0
; COMPUTE_PGM_RSRC2:TGID_Z_EN: 0
; COMPUTE_PGM_RSRC2:TIDIG_COMP_CNT: 0
	.section	.text._ZN7rocprim17ROCPRIM_400000_NS6detail17trampoline_kernelINS0_14default_configENS1_25partition_config_selectorILNS1_17partition_subalgoE5ElNS0_10empty_typeEbEEZZNS1_14partition_implILS5_5ELb0ES3_mN6hipcub16HIPCUB_304000_NS21CountingInputIteratorIllEEPS6_NSA_22TransformInputIteratorIbN2at6native12_GLOBAL__N_19NonZeroOpIN3c107complexINSJ_4HalfEEEEEPKSM_lEENS0_5tupleIJPlS6_EEENSR_IJSD_SD_EEES6_PiJS6_EEE10hipError_tPvRmT3_T4_T5_T6_T7_T9_mT8_P12ihipStream_tbDpT10_ENKUlT_T0_E_clISt17integral_constantIbLb1EES1F_EEDaS1A_S1B_EUlS1A_E_NS1_11comp_targetILNS1_3genE2ELNS1_11target_archE906ELNS1_3gpuE6ELNS1_3repE0EEENS1_30default_config_static_selectorELNS0_4arch9wavefront6targetE0EEEvT1_,"axG",@progbits,_ZN7rocprim17ROCPRIM_400000_NS6detail17trampoline_kernelINS0_14default_configENS1_25partition_config_selectorILNS1_17partition_subalgoE5ElNS0_10empty_typeEbEEZZNS1_14partition_implILS5_5ELb0ES3_mN6hipcub16HIPCUB_304000_NS21CountingInputIteratorIllEEPS6_NSA_22TransformInputIteratorIbN2at6native12_GLOBAL__N_19NonZeroOpIN3c107complexINSJ_4HalfEEEEEPKSM_lEENS0_5tupleIJPlS6_EEENSR_IJSD_SD_EEES6_PiJS6_EEE10hipError_tPvRmT3_T4_T5_T6_T7_T9_mT8_P12ihipStream_tbDpT10_ENKUlT_T0_E_clISt17integral_constantIbLb1EES1F_EEDaS1A_S1B_EUlS1A_E_NS1_11comp_targetILNS1_3genE2ELNS1_11target_archE906ELNS1_3gpuE6ELNS1_3repE0EEENS1_30default_config_static_selectorELNS0_4arch9wavefront6targetE0EEEvT1_,comdat
	.globl	_ZN7rocprim17ROCPRIM_400000_NS6detail17trampoline_kernelINS0_14default_configENS1_25partition_config_selectorILNS1_17partition_subalgoE5ElNS0_10empty_typeEbEEZZNS1_14partition_implILS5_5ELb0ES3_mN6hipcub16HIPCUB_304000_NS21CountingInputIteratorIllEEPS6_NSA_22TransformInputIteratorIbN2at6native12_GLOBAL__N_19NonZeroOpIN3c107complexINSJ_4HalfEEEEEPKSM_lEENS0_5tupleIJPlS6_EEENSR_IJSD_SD_EEES6_PiJS6_EEE10hipError_tPvRmT3_T4_T5_T6_T7_T9_mT8_P12ihipStream_tbDpT10_ENKUlT_T0_E_clISt17integral_constantIbLb1EES1F_EEDaS1A_S1B_EUlS1A_E_NS1_11comp_targetILNS1_3genE2ELNS1_11target_archE906ELNS1_3gpuE6ELNS1_3repE0EEENS1_30default_config_static_selectorELNS0_4arch9wavefront6targetE0EEEvT1_ ; -- Begin function _ZN7rocprim17ROCPRIM_400000_NS6detail17trampoline_kernelINS0_14default_configENS1_25partition_config_selectorILNS1_17partition_subalgoE5ElNS0_10empty_typeEbEEZZNS1_14partition_implILS5_5ELb0ES3_mN6hipcub16HIPCUB_304000_NS21CountingInputIteratorIllEEPS6_NSA_22TransformInputIteratorIbN2at6native12_GLOBAL__N_19NonZeroOpIN3c107complexINSJ_4HalfEEEEEPKSM_lEENS0_5tupleIJPlS6_EEENSR_IJSD_SD_EEES6_PiJS6_EEE10hipError_tPvRmT3_T4_T5_T6_T7_T9_mT8_P12ihipStream_tbDpT10_ENKUlT_T0_E_clISt17integral_constantIbLb1EES1F_EEDaS1A_S1B_EUlS1A_E_NS1_11comp_targetILNS1_3genE2ELNS1_11target_archE906ELNS1_3gpuE6ELNS1_3repE0EEENS1_30default_config_static_selectorELNS0_4arch9wavefront6targetE0EEEvT1_
	.p2align	8
	.type	_ZN7rocprim17ROCPRIM_400000_NS6detail17trampoline_kernelINS0_14default_configENS1_25partition_config_selectorILNS1_17partition_subalgoE5ElNS0_10empty_typeEbEEZZNS1_14partition_implILS5_5ELb0ES3_mN6hipcub16HIPCUB_304000_NS21CountingInputIteratorIllEEPS6_NSA_22TransformInputIteratorIbN2at6native12_GLOBAL__N_19NonZeroOpIN3c107complexINSJ_4HalfEEEEEPKSM_lEENS0_5tupleIJPlS6_EEENSR_IJSD_SD_EEES6_PiJS6_EEE10hipError_tPvRmT3_T4_T5_T6_T7_T9_mT8_P12ihipStream_tbDpT10_ENKUlT_T0_E_clISt17integral_constantIbLb1EES1F_EEDaS1A_S1B_EUlS1A_E_NS1_11comp_targetILNS1_3genE2ELNS1_11target_archE906ELNS1_3gpuE6ELNS1_3repE0EEENS1_30default_config_static_selectorELNS0_4arch9wavefront6targetE0EEEvT1_,@function
_ZN7rocprim17ROCPRIM_400000_NS6detail17trampoline_kernelINS0_14default_configENS1_25partition_config_selectorILNS1_17partition_subalgoE5ElNS0_10empty_typeEbEEZZNS1_14partition_implILS5_5ELb0ES3_mN6hipcub16HIPCUB_304000_NS21CountingInputIteratorIllEEPS6_NSA_22TransformInputIteratorIbN2at6native12_GLOBAL__N_19NonZeroOpIN3c107complexINSJ_4HalfEEEEEPKSM_lEENS0_5tupleIJPlS6_EEENSR_IJSD_SD_EEES6_PiJS6_EEE10hipError_tPvRmT3_T4_T5_T6_T7_T9_mT8_P12ihipStream_tbDpT10_ENKUlT_T0_E_clISt17integral_constantIbLb1EES1F_EEDaS1A_S1B_EUlS1A_E_NS1_11comp_targetILNS1_3genE2ELNS1_11target_archE906ELNS1_3gpuE6ELNS1_3repE0EEENS1_30default_config_static_selectorELNS0_4arch9wavefront6targetE0EEEvT1_: ; @_ZN7rocprim17ROCPRIM_400000_NS6detail17trampoline_kernelINS0_14default_configENS1_25partition_config_selectorILNS1_17partition_subalgoE5ElNS0_10empty_typeEbEEZZNS1_14partition_implILS5_5ELb0ES3_mN6hipcub16HIPCUB_304000_NS21CountingInputIteratorIllEEPS6_NSA_22TransformInputIteratorIbN2at6native12_GLOBAL__N_19NonZeroOpIN3c107complexINSJ_4HalfEEEEEPKSM_lEENS0_5tupleIJPlS6_EEENSR_IJSD_SD_EEES6_PiJS6_EEE10hipError_tPvRmT3_T4_T5_T6_T7_T9_mT8_P12ihipStream_tbDpT10_ENKUlT_T0_E_clISt17integral_constantIbLb1EES1F_EEDaS1A_S1B_EUlS1A_E_NS1_11comp_targetILNS1_3genE2ELNS1_11target_archE906ELNS1_3gpuE6ELNS1_3repE0EEENS1_30default_config_static_selectorELNS0_4arch9wavefront6targetE0EEEvT1_
; %bb.0:
	.section	.rodata,"a",@progbits
	.p2align	6, 0x0
	.amdhsa_kernel _ZN7rocprim17ROCPRIM_400000_NS6detail17trampoline_kernelINS0_14default_configENS1_25partition_config_selectorILNS1_17partition_subalgoE5ElNS0_10empty_typeEbEEZZNS1_14partition_implILS5_5ELb0ES3_mN6hipcub16HIPCUB_304000_NS21CountingInputIteratorIllEEPS6_NSA_22TransformInputIteratorIbN2at6native12_GLOBAL__N_19NonZeroOpIN3c107complexINSJ_4HalfEEEEEPKSM_lEENS0_5tupleIJPlS6_EEENSR_IJSD_SD_EEES6_PiJS6_EEE10hipError_tPvRmT3_T4_T5_T6_T7_T9_mT8_P12ihipStream_tbDpT10_ENKUlT_T0_E_clISt17integral_constantIbLb1EES1F_EEDaS1A_S1B_EUlS1A_E_NS1_11comp_targetILNS1_3genE2ELNS1_11target_archE906ELNS1_3gpuE6ELNS1_3repE0EEENS1_30default_config_static_selectorELNS0_4arch9wavefront6targetE0EEEvT1_
		.amdhsa_group_segment_fixed_size 0
		.amdhsa_private_segment_fixed_size 0
		.amdhsa_kernarg_size 136
		.amdhsa_user_sgpr_count 2
		.amdhsa_user_sgpr_dispatch_ptr 0
		.amdhsa_user_sgpr_queue_ptr 0
		.amdhsa_user_sgpr_kernarg_segment_ptr 1
		.amdhsa_user_sgpr_dispatch_id 0
		.amdhsa_user_sgpr_private_segment_size 0
		.amdhsa_wavefront_size32 1
		.amdhsa_uses_dynamic_stack 0
		.amdhsa_enable_private_segment 0
		.amdhsa_system_sgpr_workgroup_id_x 1
		.amdhsa_system_sgpr_workgroup_id_y 0
		.amdhsa_system_sgpr_workgroup_id_z 0
		.amdhsa_system_sgpr_workgroup_info 0
		.amdhsa_system_vgpr_workitem_id 0
		.amdhsa_next_free_vgpr 1
		.amdhsa_next_free_sgpr 1
		.amdhsa_reserve_vcc 0
		.amdhsa_float_round_mode_32 0
		.amdhsa_float_round_mode_16_64 0
		.amdhsa_float_denorm_mode_32 3
		.amdhsa_float_denorm_mode_16_64 3
		.amdhsa_fp16_overflow 0
		.amdhsa_workgroup_processor_mode 1
		.amdhsa_memory_ordered 1
		.amdhsa_forward_progress 1
		.amdhsa_inst_pref_size 0
		.amdhsa_round_robin_scheduling 0
		.amdhsa_exception_fp_ieee_invalid_op 0
		.amdhsa_exception_fp_denorm_src 0
		.amdhsa_exception_fp_ieee_div_zero 0
		.amdhsa_exception_fp_ieee_overflow 0
		.amdhsa_exception_fp_ieee_underflow 0
		.amdhsa_exception_fp_ieee_inexact 0
		.amdhsa_exception_int_div_zero 0
	.end_amdhsa_kernel
	.section	.text._ZN7rocprim17ROCPRIM_400000_NS6detail17trampoline_kernelINS0_14default_configENS1_25partition_config_selectorILNS1_17partition_subalgoE5ElNS0_10empty_typeEbEEZZNS1_14partition_implILS5_5ELb0ES3_mN6hipcub16HIPCUB_304000_NS21CountingInputIteratorIllEEPS6_NSA_22TransformInputIteratorIbN2at6native12_GLOBAL__N_19NonZeroOpIN3c107complexINSJ_4HalfEEEEEPKSM_lEENS0_5tupleIJPlS6_EEENSR_IJSD_SD_EEES6_PiJS6_EEE10hipError_tPvRmT3_T4_T5_T6_T7_T9_mT8_P12ihipStream_tbDpT10_ENKUlT_T0_E_clISt17integral_constantIbLb1EES1F_EEDaS1A_S1B_EUlS1A_E_NS1_11comp_targetILNS1_3genE2ELNS1_11target_archE906ELNS1_3gpuE6ELNS1_3repE0EEENS1_30default_config_static_selectorELNS0_4arch9wavefront6targetE0EEEvT1_,"axG",@progbits,_ZN7rocprim17ROCPRIM_400000_NS6detail17trampoline_kernelINS0_14default_configENS1_25partition_config_selectorILNS1_17partition_subalgoE5ElNS0_10empty_typeEbEEZZNS1_14partition_implILS5_5ELb0ES3_mN6hipcub16HIPCUB_304000_NS21CountingInputIteratorIllEEPS6_NSA_22TransformInputIteratorIbN2at6native12_GLOBAL__N_19NonZeroOpIN3c107complexINSJ_4HalfEEEEEPKSM_lEENS0_5tupleIJPlS6_EEENSR_IJSD_SD_EEES6_PiJS6_EEE10hipError_tPvRmT3_T4_T5_T6_T7_T9_mT8_P12ihipStream_tbDpT10_ENKUlT_T0_E_clISt17integral_constantIbLb1EES1F_EEDaS1A_S1B_EUlS1A_E_NS1_11comp_targetILNS1_3genE2ELNS1_11target_archE906ELNS1_3gpuE6ELNS1_3repE0EEENS1_30default_config_static_selectorELNS0_4arch9wavefront6targetE0EEEvT1_,comdat
.Lfunc_end674:
	.size	_ZN7rocprim17ROCPRIM_400000_NS6detail17trampoline_kernelINS0_14default_configENS1_25partition_config_selectorILNS1_17partition_subalgoE5ElNS0_10empty_typeEbEEZZNS1_14partition_implILS5_5ELb0ES3_mN6hipcub16HIPCUB_304000_NS21CountingInputIteratorIllEEPS6_NSA_22TransformInputIteratorIbN2at6native12_GLOBAL__N_19NonZeroOpIN3c107complexINSJ_4HalfEEEEEPKSM_lEENS0_5tupleIJPlS6_EEENSR_IJSD_SD_EEES6_PiJS6_EEE10hipError_tPvRmT3_T4_T5_T6_T7_T9_mT8_P12ihipStream_tbDpT10_ENKUlT_T0_E_clISt17integral_constantIbLb1EES1F_EEDaS1A_S1B_EUlS1A_E_NS1_11comp_targetILNS1_3genE2ELNS1_11target_archE906ELNS1_3gpuE6ELNS1_3repE0EEENS1_30default_config_static_selectorELNS0_4arch9wavefront6targetE0EEEvT1_, .Lfunc_end674-_ZN7rocprim17ROCPRIM_400000_NS6detail17trampoline_kernelINS0_14default_configENS1_25partition_config_selectorILNS1_17partition_subalgoE5ElNS0_10empty_typeEbEEZZNS1_14partition_implILS5_5ELb0ES3_mN6hipcub16HIPCUB_304000_NS21CountingInputIteratorIllEEPS6_NSA_22TransformInputIteratorIbN2at6native12_GLOBAL__N_19NonZeroOpIN3c107complexINSJ_4HalfEEEEEPKSM_lEENS0_5tupleIJPlS6_EEENSR_IJSD_SD_EEES6_PiJS6_EEE10hipError_tPvRmT3_T4_T5_T6_T7_T9_mT8_P12ihipStream_tbDpT10_ENKUlT_T0_E_clISt17integral_constantIbLb1EES1F_EEDaS1A_S1B_EUlS1A_E_NS1_11comp_targetILNS1_3genE2ELNS1_11target_archE906ELNS1_3gpuE6ELNS1_3repE0EEENS1_30default_config_static_selectorELNS0_4arch9wavefront6targetE0EEEvT1_
                                        ; -- End function
	.set _ZN7rocprim17ROCPRIM_400000_NS6detail17trampoline_kernelINS0_14default_configENS1_25partition_config_selectorILNS1_17partition_subalgoE5ElNS0_10empty_typeEbEEZZNS1_14partition_implILS5_5ELb0ES3_mN6hipcub16HIPCUB_304000_NS21CountingInputIteratorIllEEPS6_NSA_22TransformInputIteratorIbN2at6native12_GLOBAL__N_19NonZeroOpIN3c107complexINSJ_4HalfEEEEEPKSM_lEENS0_5tupleIJPlS6_EEENSR_IJSD_SD_EEES6_PiJS6_EEE10hipError_tPvRmT3_T4_T5_T6_T7_T9_mT8_P12ihipStream_tbDpT10_ENKUlT_T0_E_clISt17integral_constantIbLb1EES1F_EEDaS1A_S1B_EUlS1A_E_NS1_11comp_targetILNS1_3genE2ELNS1_11target_archE906ELNS1_3gpuE6ELNS1_3repE0EEENS1_30default_config_static_selectorELNS0_4arch9wavefront6targetE0EEEvT1_.num_vgpr, 0
	.set _ZN7rocprim17ROCPRIM_400000_NS6detail17trampoline_kernelINS0_14default_configENS1_25partition_config_selectorILNS1_17partition_subalgoE5ElNS0_10empty_typeEbEEZZNS1_14partition_implILS5_5ELb0ES3_mN6hipcub16HIPCUB_304000_NS21CountingInputIteratorIllEEPS6_NSA_22TransformInputIteratorIbN2at6native12_GLOBAL__N_19NonZeroOpIN3c107complexINSJ_4HalfEEEEEPKSM_lEENS0_5tupleIJPlS6_EEENSR_IJSD_SD_EEES6_PiJS6_EEE10hipError_tPvRmT3_T4_T5_T6_T7_T9_mT8_P12ihipStream_tbDpT10_ENKUlT_T0_E_clISt17integral_constantIbLb1EES1F_EEDaS1A_S1B_EUlS1A_E_NS1_11comp_targetILNS1_3genE2ELNS1_11target_archE906ELNS1_3gpuE6ELNS1_3repE0EEENS1_30default_config_static_selectorELNS0_4arch9wavefront6targetE0EEEvT1_.num_agpr, 0
	.set _ZN7rocprim17ROCPRIM_400000_NS6detail17trampoline_kernelINS0_14default_configENS1_25partition_config_selectorILNS1_17partition_subalgoE5ElNS0_10empty_typeEbEEZZNS1_14partition_implILS5_5ELb0ES3_mN6hipcub16HIPCUB_304000_NS21CountingInputIteratorIllEEPS6_NSA_22TransformInputIteratorIbN2at6native12_GLOBAL__N_19NonZeroOpIN3c107complexINSJ_4HalfEEEEEPKSM_lEENS0_5tupleIJPlS6_EEENSR_IJSD_SD_EEES6_PiJS6_EEE10hipError_tPvRmT3_T4_T5_T6_T7_T9_mT8_P12ihipStream_tbDpT10_ENKUlT_T0_E_clISt17integral_constantIbLb1EES1F_EEDaS1A_S1B_EUlS1A_E_NS1_11comp_targetILNS1_3genE2ELNS1_11target_archE906ELNS1_3gpuE6ELNS1_3repE0EEENS1_30default_config_static_selectorELNS0_4arch9wavefront6targetE0EEEvT1_.numbered_sgpr, 0
	.set _ZN7rocprim17ROCPRIM_400000_NS6detail17trampoline_kernelINS0_14default_configENS1_25partition_config_selectorILNS1_17partition_subalgoE5ElNS0_10empty_typeEbEEZZNS1_14partition_implILS5_5ELb0ES3_mN6hipcub16HIPCUB_304000_NS21CountingInputIteratorIllEEPS6_NSA_22TransformInputIteratorIbN2at6native12_GLOBAL__N_19NonZeroOpIN3c107complexINSJ_4HalfEEEEEPKSM_lEENS0_5tupleIJPlS6_EEENSR_IJSD_SD_EEES6_PiJS6_EEE10hipError_tPvRmT3_T4_T5_T6_T7_T9_mT8_P12ihipStream_tbDpT10_ENKUlT_T0_E_clISt17integral_constantIbLb1EES1F_EEDaS1A_S1B_EUlS1A_E_NS1_11comp_targetILNS1_3genE2ELNS1_11target_archE906ELNS1_3gpuE6ELNS1_3repE0EEENS1_30default_config_static_selectorELNS0_4arch9wavefront6targetE0EEEvT1_.num_named_barrier, 0
	.set _ZN7rocprim17ROCPRIM_400000_NS6detail17trampoline_kernelINS0_14default_configENS1_25partition_config_selectorILNS1_17partition_subalgoE5ElNS0_10empty_typeEbEEZZNS1_14partition_implILS5_5ELb0ES3_mN6hipcub16HIPCUB_304000_NS21CountingInputIteratorIllEEPS6_NSA_22TransformInputIteratorIbN2at6native12_GLOBAL__N_19NonZeroOpIN3c107complexINSJ_4HalfEEEEEPKSM_lEENS0_5tupleIJPlS6_EEENSR_IJSD_SD_EEES6_PiJS6_EEE10hipError_tPvRmT3_T4_T5_T6_T7_T9_mT8_P12ihipStream_tbDpT10_ENKUlT_T0_E_clISt17integral_constantIbLb1EES1F_EEDaS1A_S1B_EUlS1A_E_NS1_11comp_targetILNS1_3genE2ELNS1_11target_archE906ELNS1_3gpuE6ELNS1_3repE0EEENS1_30default_config_static_selectorELNS0_4arch9wavefront6targetE0EEEvT1_.private_seg_size, 0
	.set _ZN7rocprim17ROCPRIM_400000_NS6detail17trampoline_kernelINS0_14default_configENS1_25partition_config_selectorILNS1_17partition_subalgoE5ElNS0_10empty_typeEbEEZZNS1_14partition_implILS5_5ELb0ES3_mN6hipcub16HIPCUB_304000_NS21CountingInputIteratorIllEEPS6_NSA_22TransformInputIteratorIbN2at6native12_GLOBAL__N_19NonZeroOpIN3c107complexINSJ_4HalfEEEEEPKSM_lEENS0_5tupleIJPlS6_EEENSR_IJSD_SD_EEES6_PiJS6_EEE10hipError_tPvRmT3_T4_T5_T6_T7_T9_mT8_P12ihipStream_tbDpT10_ENKUlT_T0_E_clISt17integral_constantIbLb1EES1F_EEDaS1A_S1B_EUlS1A_E_NS1_11comp_targetILNS1_3genE2ELNS1_11target_archE906ELNS1_3gpuE6ELNS1_3repE0EEENS1_30default_config_static_selectorELNS0_4arch9wavefront6targetE0EEEvT1_.uses_vcc, 0
	.set _ZN7rocprim17ROCPRIM_400000_NS6detail17trampoline_kernelINS0_14default_configENS1_25partition_config_selectorILNS1_17partition_subalgoE5ElNS0_10empty_typeEbEEZZNS1_14partition_implILS5_5ELb0ES3_mN6hipcub16HIPCUB_304000_NS21CountingInputIteratorIllEEPS6_NSA_22TransformInputIteratorIbN2at6native12_GLOBAL__N_19NonZeroOpIN3c107complexINSJ_4HalfEEEEEPKSM_lEENS0_5tupleIJPlS6_EEENSR_IJSD_SD_EEES6_PiJS6_EEE10hipError_tPvRmT3_T4_T5_T6_T7_T9_mT8_P12ihipStream_tbDpT10_ENKUlT_T0_E_clISt17integral_constantIbLb1EES1F_EEDaS1A_S1B_EUlS1A_E_NS1_11comp_targetILNS1_3genE2ELNS1_11target_archE906ELNS1_3gpuE6ELNS1_3repE0EEENS1_30default_config_static_selectorELNS0_4arch9wavefront6targetE0EEEvT1_.uses_flat_scratch, 0
	.set _ZN7rocprim17ROCPRIM_400000_NS6detail17trampoline_kernelINS0_14default_configENS1_25partition_config_selectorILNS1_17partition_subalgoE5ElNS0_10empty_typeEbEEZZNS1_14partition_implILS5_5ELb0ES3_mN6hipcub16HIPCUB_304000_NS21CountingInputIteratorIllEEPS6_NSA_22TransformInputIteratorIbN2at6native12_GLOBAL__N_19NonZeroOpIN3c107complexINSJ_4HalfEEEEEPKSM_lEENS0_5tupleIJPlS6_EEENSR_IJSD_SD_EEES6_PiJS6_EEE10hipError_tPvRmT3_T4_T5_T6_T7_T9_mT8_P12ihipStream_tbDpT10_ENKUlT_T0_E_clISt17integral_constantIbLb1EES1F_EEDaS1A_S1B_EUlS1A_E_NS1_11comp_targetILNS1_3genE2ELNS1_11target_archE906ELNS1_3gpuE6ELNS1_3repE0EEENS1_30default_config_static_selectorELNS0_4arch9wavefront6targetE0EEEvT1_.has_dyn_sized_stack, 0
	.set _ZN7rocprim17ROCPRIM_400000_NS6detail17trampoline_kernelINS0_14default_configENS1_25partition_config_selectorILNS1_17partition_subalgoE5ElNS0_10empty_typeEbEEZZNS1_14partition_implILS5_5ELb0ES3_mN6hipcub16HIPCUB_304000_NS21CountingInputIteratorIllEEPS6_NSA_22TransformInputIteratorIbN2at6native12_GLOBAL__N_19NonZeroOpIN3c107complexINSJ_4HalfEEEEEPKSM_lEENS0_5tupleIJPlS6_EEENSR_IJSD_SD_EEES6_PiJS6_EEE10hipError_tPvRmT3_T4_T5_T6_T7_T9_mT8_P12ihipStream_tbDpT10_ENKUlT_T0_E_clISt17integral_constantIbLb1EES1F_EEDaS1A_S1B_EUlS1A_E_NS1_11comp_targetILNS1_3genE2ELNS1_11target_archE906ELNS1_3gpuE6ELNS1_3repE0EEENS1_30default_config_static_selectorELNS0_4arch9wavefront6targetE0EEEvT1_.has_recursion, 0
	.set _ZN7rocprim17ROCPRIM_400000_NS6detail17trampoline_kernelINS0_14default_configENS1_25partition_config_selectorILNS1_17partition_subalgoE5ElNS0_10empty_typeEbEEZZNS1_14partition_implILS5_5ELb0ES3_mN6hipcub16HIPCUB_304000_NS21CountingInputIteratorIllEEPS6_NSA_22TransformInputIteratorIbN2at6native12_GLOBAL__N_19NonZeroOpIN3c107complexINSJ_4HalfEEEEEPKSM_lEENS0_5tupleIJPlS6_EEENSR_IJSD_SD_EEES6_PiJS6_EEE10hipError_tPvRmT3_T4_T5_T6_T7_T9_mT8_P12ihipStream_tbDpT10_ENKUlT_T0_E_clISt17integral_constantIbLb1EES1F_EEDaS1A_S1B_EUlS1A_E_NS1_11comp_targetILNS1_3genE2ELNS1_11target_archE906ELNS1_3gpuE6ELNS1_3repE0EEENS1_30default_config_static_selectorELNS0_4arch9wavefront6targetE0EEEvT1_.has_indirect_call, 0
	.section	.AMDGPU.csdata,"",@progbits
; Kernel info:
; codeLenInByte = 0
; TotalNumSgprs: 0
; NumVgprs: 0
; ScratchSize: 0
; MemoryBound: 0
; FloatMode: 240
; IeeeMode: 1
; LDSByteSize: 0 bytes/workgroup (compile time only)
; SGPRBlocks: 0
; VGPRBlocks: 0
; NumSGPRsForWavesPerEU: 1
; NumVGPRsForWavesPerEU: 1
; Occupancy: 16
; WaveLimiterHint : 0
; COMPUTE_PGM_RSRC2:SCRATCH_EN: 0
; COMPUTE_PGM_RSRC2:USER_SGPR: 2
; COMPUTE_PGM_RSRC2:TRAP_HANDLER: 0
; COMPUTE_PGM_RSRC2:TGID_X_EN: 1
; COMPUTE_PGM_RSRC2:TGID_Y_EN: 0
; COMPUTE_PGM_RSRC2:TGID_Z_EN: 0
; COMPUTE_PGM_RSRC2:TIDIG_COMP_CNT: 0
	.section	.text._ZN7rocprim17ROCPRIM_400000_NS6detail17trampoline_kernelINS0_14default_configENS1_25partition_config_selectorILNS1_17partition_subalgoE5ElNS0_10empty_typeEbEEZZNS1_14partition_implILS5_5ELb0ES3_mN6hipcub16HIPCUB_304000_NS21CountingInputIteratorIllEEPS6_NSA_22TransformInputIteratorIbN2at6native12_GLOBAL__N_19NonZeroOpIN3c107complexINSJ_4HalfEEEEEPKSM_lEENS0_5tupleIJPlS6_EEENSR_IJSD_SD_EEES6_PiJS6_EEE10hipError_tPvRmT3_T4_T5_T6_T7_T9_mT8_P12ihipStream_tbDpT10_ENKUlT_T0_E_clISt17integral_constantIbLb1EES1F_EEDaS1A_S1B_EUlS1A_E_NS1_11comp_targetILNS1_3genE10ELNS1_11target_archE1200ELNS1_3gpuE4ELNS1_3repE0EEENS1_30default_config_static_selectorELNS0_4arch9wavefront6targetE0EEEvT1_,"axG",@progbits,_ZN7rocprim17ROCPRIM_400000_NS6detail17trampoline_kernelINS0_14default_configENS1_25partition_config_selectorILNS1_17partition_subalgoE5ElNS0_10empty_typeEbEEZZNS1_14partition_implILS5_5ELb0ES3_mN6hipcub16HIPCUB_304000_NS21CountingInputIteratorIllEEPS6_NSA_22TransformInputIteratorIbN2at6native12_GLOBAL__N_19NonZeroOpIN3c107complexINSJ_4HalfEEEEEPKSM_lEENS0_5tupleIJPlS6_EEENSR_IJSD_SD_EEES6_PiJS6_EEE10hipError_tPvRmT3_T4_T5_T6_T7_T9_mT8_P12ihipStream_tbDpT10_ENKUlT_T0_E_clISt17integral_constantIbLb1EES1F_EEDaS1A_S1B_EUlS1A_E_NS1_11comp_targetILNS1_3genE10ELNS1_11target_archE1200ELNS1_3gpuE4ELNS1_3repE0EEENS1_30default_config_static_selectorELNS0_4arch9wavefront6targetE0EEEvT1_,comdat
	.globl	_ZN7rocprim17ROCPRIM_400000_NS6detail17trampoline_kernelINS0_14default_configENS1_25partition_config_selectorILNS1_17partition_subalgoE5ElNS0_10empty_typeEbEEZZNS1_14partition_implILS5_5ELb0ES3_mN6hipcub16HIPCUB_304000_NS21CountingInputIteratorIllEEPS6_NSA_22TransformInputIteratorIbN2at6native12_GLOBAL__N_19NonZeroOpIN3c107complexINSJ_4HalfEEEEEPKSM_lEENS0_5tupleIJPlS6_EEENSR_IJSD_SD_EEES6_PiJS6_EEE10hipError_tPvRmT3_T4_T5_T6_T7_T9_mT8_P12ihipStream_tbDpT10_ENKUlT_T0_E_clISt17integral_constantIbLb1EES1F_EEDaS1A_S1B_EUlS1A_E_NS1_11comp_targetILNS1_3genE10ELNS1_11target_archE1200ELNS1_3gpuE4ELNS1_3repE0EEENS1_30default_config_static_selectorELNS0_4arch9wavefront6targetE0EEEvT1_ ; -- Begin function _ZN7rocprim17ROCPRIM_400000_NS6detail17trampoline_kernelINS0_14default_configENS1_25partition_config_selectorILNS1_17partition_subalgoE5ElNS0_10empty_typeEbEEZZNS1_14partition_implILS5_5ELb0ES3_mN6hipcub16HIPCUB_304000_NS21CountingInputIteratorIllEEPS6_NSA_22TransformInputIteratorIbN2at6native12_GLOBAL__N_19NonZeroOpIN3c107complexINSJ_4HalfEEEEEPKSM_lEENS0_5tupleIJPlS6_EEENSR_IJSD_SD_EEES6_PiJS6_EEE10hipError_tPvRmT3_T4_T5_T6_T7_T9_mT8_P12ihipStream_tbDpT10_ENKUlT_T0_E_clISt17integral_constantIbLb1EES1F_EEDaS1A_S1B_EUlS1A_E_NS1_11comp_targetILNS1_3genE10ELNS1_11target_archE1200ELNS1_3gpuE4ELNS1_3repE0EEENS1_30default_config_static_selectorELNS0_4arch9wavefront6targetE0EEEvT1_
	.p2align	8
	.type	_ZN7rocprim17ROCPRIM_400000_NS6detail17trampoline_kernelINS0_14default_configENS1_25partition_config_selectorILNS1_17partition_subalgoE5ElNS0_10empty_typeEbEEZZNS1_14partition_implILS5_5ELb0ES3_mN6hipcub16HIPCUB_304000_NS21CountingInputIteratorIllEEPS6_NSA_22TransformInputIteratorIbN2at6native12_GLOBAL__N_19NonZeroOpIN3c107complexINSJ_4HalfEEEEEPKSM_lEENS0_5tupleIJPlS6_EEENSR_IJSD_SD_EEES6_PiJS6_EEE10hipError_tPvRmT3_T4_T5_T6_T7_T9_mT8_P12ihipStream_tbDpT10_ENKUlT_T0_E_clISt17integral_constantIbLb1EES1F_EEDaS1A_S1B_EUlS1A_E_NS1_11comp_targetILNS1_3genE10ELNS1_11target_archE1200ELNS1_3gpuE4ELNS1_3repE0EEENS1_30default_config_static_selectorELNS0_4arch9wavefront6targetE0EEEvT1_,@function
_ZN7rocprim17ROCPRIM_400000_NS6detail17trampoline_kernelINS0_14default_configENS1_25partition_config_selectorILNS1_17partition_subalgoE5ElNS0_10empty_typeEbEEZZNS1_14partition_implILS5_5ELb0ES3_mN6hipcub16HIPCUB_304000_NS21CountingInputIteratorIllEEPS6_NSA_22TransformInputIteratorIbN2at6native12_GLOBAL__N_19NonZeroOpIN3c107complexINSJ_4HalfEEEEEPKSM_lEENS0_5tupleIJPlS6_EEENSR_IJSD_SD_EEES6_PiJS6_EEE10hipError_tPvRmT3_T4_T5_T6_T7_T9_mT8_P12ihipStream_tbDpT10_ENKUlT_T0_E_clISt17integral_constantIbLb1EES1F_EEDaS1A_S1B_EUlS1A_E_NS1_11comp_targetILNS1_3genE10ELNS1_11target_archE1200ELNS1_3gpuE4ELNS1_3repE0EEENS1_30default_config_static_selectorELNS0_4arch9wavefront6targetE0EEEvT1_: ; @_ZN7rocprim17ROCPRIM_400000_NS6detail17trampoline_kernelINS0_14default_configENS1_25partition_config_selectorILNS1_17partition_subalgoE5ElNS0_10empty_typeEbEEZZNS1_14partition_implILS5_5ELb0ES3_mN6hipcub16HIPCUB_304000_NS21CountingInputIteratorIllEEPS6_NSA_22TransformInputIteratorIbN2at6native12_GLOBAL__N_19NonZeroOpIN3c107complexINSJ_4HalfEEEEEPKSM_lEENS0_5tupleIJPlS6_EEENSR_IJSD_SD_EEES6_PiJS6_EEE10hipError_tPvRmT3_T4_T5_T6_T7_T9_mT8_P12ihipStream_tbDpT10_ENKUlT_T0_E_clISt17integral_constantIbLb1EES1F_EEDaS1A_S1B_EUlS1A_E_NS1_11comp_targetILNS1_3genE10ELNS1_11target_archE1200ELNS1_3gpuE4ELNS1_3repE0EEENS1_30default_config_static_selectorELNS0_4arch9wavefront6targetE0EEEvT1_
; %bb.0:
	s_endpgm
	.section	.rodata,"a",@progbits
	.p2align	6, 0x0
	.amdhsa_kernel _ZN7rocprim17ROCPRIM_400000_NS6detail17trampoline_kernelINS0_14default_configENS1_25partition_config_selectorILNS1_17partition_subalgoE5ElNS0_10empty_typeEbEEZZNS1_14partition_implILS5_5ELb0ES3_mN6hipcub16HIPCUB_304000_NS21CountingInputIteratorIllEEPS6_NSA_22TransformInputIteratorIbN2at6native12_GLOBAL__N_19NonZeroOpIN3c107complexINSJ_4HalfEEEEEPKSM_lEENS0_5tupleIJPlS6_EEENSR_IJSD_SD_EEES6_PiJS6_EEE10hipError_tPvRmT3_T4_T5_T6_T7_T9_mT8_P12ihipStream_tbDpT10_ENKUlT_T0_E_clISt17integral_constantIbLb1EES1F_EEDaS1A_S1B_EUlS1A_E_NS1_11comp_targetILNS1_3genE10ELNS1_11target_archE1200ELNS1_3gpuE4ELNS1_3repE0EEENS1_30default_config_static_selectorELNS0_4arch9wavefront6targetE0EEEvT1_
		.amdhsa_group_segment_fixed_size 0
		.amdhsa_private_segment_fixed_size 0
		.amdhsa_kernarg_size 136
		.amdhsa_user_sgpr_count 2
		.amdhsa_user_sgpr_dispatch_ptr 0
		.amdhsa_user_sgpr_queue_ptr 0
		.amdhsa_user_sgpr_kernarg_segment_ptr 1
		.amdhsa_user_sgpr_dispatch_id 0
		.amdhsa_user_sgpr_private_segment_size 0
		.amdhsa_wavefront_size32 1
		.amdhsa_uses_dynamic_stack 0
		.amdhsa_enable_private_segment 0
		.amdhsa_system_sgpr_workgroup_id_x 1
		.amdhsa_system_sgpr_workgroup_id_y 0
		.amdhsa_system_sgpr_workgroup_id_z 0
		.amdhsa_system_sgpr_workgroup_info 0
		.amdhsa_system_vgpr_workitem_id 0
		.amdhsa_next_free_vgpr 1
		.amdhsa_next_free_sgpr 1
		.amdhsa_reserve_vcc 0
		.amdhsa_float_round_mode_32 0
		.amdhsa_float_round_mode_16_64 0
		.amdhsa_float_denorm_mode_32 3
		.amdhsa_float_denorm_mode_16_64 3
		.amdhsa_fp16_overflow 0
		.amdhsa_workgroup_processor_mode 1
		.amdhsa_memory_ordered 1
		.amdhsa_forward_progress 1
		.amdhsa_inst_pref_size 1
		.amdhsa_round_robin_scheduling 0
		.amdhsa_exception_fp_ieee_invalid_op 0
		.amdhsa_exception_fp_denorm_src 0
		.amdhsa_exception_fp_ieee_div_zero 0
		.amdhsa_exception_fp_ieee_overflow 0
		.amdhsa_exception_fp_ieee_underflow 0
		.amdhsa_exception_fp_ieee_inexact 0
		.amdhsa_exception_int_div_zero 0
	.end_amdhsa_kernel
	.section	.text._ZN7rocprim17ROCPRIM_400000_NS6detail17trampoline_kernelINS0_14default_configENS1_25partition_config_selectorILNS1_17partition_subalgoE5ElNS0_10empty_typeEbEEZZNS1_14partition_implILS5_5ELb0ES3_mN6hipcub16HIPCUB_304000_NS21CountingInputIteratorIllEEPS6_NSA_22TransformInputIteratorIbN2at6native12_GLOBAL__N_19NonZeroOpIN3c107complexINSJ_4HalfEEEEEPKSM_lEENS0_5tupleIJPlS6_EEENSR_IJSD_SD_EEES6_PiJS6_EEE10hipError_tPvRmT3_T4_T5_T6_T7_T9_mT8_P12ihipStream_tbDpT10_ENKUlT_T0_E_clISt17integral_constantIbLb1EES1F_EEDaS1A_S1B_EUlS1A_E_NS1_11comp_targetILNS1_3genE10ELNS1_11target_archE1200ELNS1_3gpuE4ELNS1_3repE0EEENS1_30default_config_static_selectorELNS0_4arch9wavefront6targetE0EEEvT1_,"axG",@progbits,_ZN7rocprim17ROCPRIM_400000_NS6detail17trampoline_kernelINS0_14default_configENS1_25partition_config_selectorILNS1_17partition_subalgoE5ElNS0_10empty_typeEbEEZZNS1_14partition_implILS5_5ELb0ES3_mN6hipcub16HIPCUB_304000_NS21CountingInputIteratorIllEEPS6_NSA_22TransformInputIteratorIbN2at6native12_GLOBAL__N_19NonZeroOpIN3c107complexINSJ_4HalfEEEEEPKSM_lEENS0_5tupleIJPlS6_EEENSR_IJSD_SD_EEES6_PiJS6_EEE10hipError_tPvRmT3_T4_T5_T6_T7_T9_mT8_P12ihipStream_tbDpT10_ENKUlT_T0_E_clISt17integral_constantIbLb1EES1F_EEDaS1A_S1B_EUlS1A_E_NS1_11comp_targetILNS1_3genE10ELNS1_11target_archE1200ELNS1_3gpuE4ELNS1_3repE0EEENS1_30default_config_static_selectorELNS0_4arch9wavefront6targetE0EEEvT1_,comdat
.Lfunc_end675:
	.size	_ZN7rocprim17ROCPRIM_400000_NS6detail17trampoline_kernelINS0_14default_configENS1_25partition_config_selectorILNS1_17partition_subalgoE5ElNS0_10empty_typeEbEEZZNS1_14partition_implILS5_5ELb0ES3_mN6hipcub16HIPCUB_304000_NS21CountingInputIteratorIllEEPS6_NSA_22TransformInputIteratorIbN2at6native12_GLOBAL__N_19NonZeroOpIN3c107complexINSJ_4HalfEEEEEPKSM_lEENS0_5tupleIJPlS6_EEENSR_IJSD_SD_EEES6_PiJS6_EEE10hipError_tPvRmT3_T4_T5_T6_T7_T9_mT8_P12ihipStream_tbDpT10_ENKUlT_T0_E_clISt17integral_constantIbLb1EES1F_EEDaS1A_S1B_EUlS1A_E_NS1_11comp_targetILNS1_3genE10ELNS1_11target_archE1200ELNS1_3gpuE4ELNS1_3repE0EEENS1_30default_config_static_selectorELNS0_4arch9wavefront6targetE0EEEvT1_, .Lfunc_end675-_ZN7rocprim17ROCPRIM_400000_NS6detail17trampoline_kernelINS0_14default_configENS1_25partition_config_selectorILNS1_17partition_subalgoE5ElNS0_10empty_typeEbEEZZNS1_14partition_implILS5_5ELb0ES3_mN6hipcub16HIPCUB_304000_NS21CountingInputIteratorIllEEPS6_NSA_22TransformInputIteratorIbN2at6native12_GLOBAL__N_19NonZeroOpIN3c107complexINSJ_4HalfEEEEEPKSM_lEENS0_5tupleIJPlS6_EEENSR_IJSD_SD_EEES6_PiJS6_EEE10hipError_tPvRmT3_T4_T5_T6_T7_T9_mT8_P12ihipStream_tbDpT10_ENKUlT_T0_E_clISt17integral_constantIbLb1EES1F_EEDaS1A_S1B_EUlS1A_E_NS1_11comp_targetILNS1_3genE10ELNS1_11target_archE1200ELNS1_3gpuE4ELNS1_3repE0EEENS1_30default_config_static_selectorELNS0_4arch9wavefront6targetE0EEEvT1_
                                        ; -- End function
	.set _ZN7rocprim17ROCPRIM_400000_NS6detail17trampoline_kernelINS0_14default_configENS1_25partition_config_selectorILNS1_17partition_subalgoE5ElNS0_10empty_typeEbEEZZNS1_14partition_implILS5_5ELb0ES3_mN6hipcub16HIPCUB_304000_NS21CountingInputIteratorIllEEPS6_NSA_22TransformInputIteratorIbN2at6native12_GLOBAL__N_19NonZeroOpIN3c107complexINSJ_4HalfEEEEEPKSM_lEENS0_5tupleIJPlS6_EEENSR_IJSD_SD_EEES6_PiJS6_EEE10hipError_tPvRmT3_T4_T5_T6_T7_T9_mT8_P12ihipStream_tbDpT10_ENKUlT_T0_E_clISt17integral_constantIbLb1EES1F_EEDaS1A_S1B_EUlS1A_E_NS1_11comp_targetILNS1_3genE10ELNS1_11target_archE1200ELNS1_3gpuE4ELNS1_3repE0EEENS1_30default_config_static_selectorELNS0_4arch9wavefront6targetE0EEEvT1_.num_vgpr, 0
	.set _ZN7rocprim17ROCPRIM_400000_NS6detail17trampoline_kernelINS0_14default_configENS1_25partition_config_selectorILNS1_17partition_subalgoE5ElNS0_10empty_typeEbEEZZNS1_14partition_implILS5_5ELb0ES3_mN6hipcub16HIPCUB_304000_NS21CountingInputIteratorIllEEPS6_NSA_22TransformInputIteratorIbN2at6native12_GLOBAL__N_19NonZeroOpIN3c107complexINSJ_4HalfEEEEEPKSM_lEENS0_5tupleIJPlS6_EEENSR_IJSD_SD_EEES6_PiJS6_EEE10hipError_tPvRmT3_T4_T5_T6_T7_T9_mT8_P12ihipStream_tbDpT10_ENKUlT_T0_E_clISt17integral_constantIbLb1EES1F_EEDaS1A_S1B_EUlS1A_E_NS1_11comp_targetILNS1_3genE10ELNS1_11target_archE1200ELNS1_3gpuE4ELNS1_3repE0EEENS1_30default_config_static_selectorELNS0_4arch9wavefront6targetE0EEEvT1_.num_agpr, 0
	.set _ZN7rocprim17ROCPRIM_400000_NS6detail17trampoline_kernelINS0_14default_configENS1_25partition_config_selectorILNS1_17partition_subalgoE5ElNS0_10empty_typeEbEEZZNS1_14partition_implILS5_5ELb0ES3_mN6hipcub16HIPCUB_304000_NS21CountingInputIteratorIllEEPS6_NSA_22TransformInputIteratorIbN2at6native12_GLOBAL__N_19NonZeroOpIN3c107complexINSJ_4HalfEEEEEPKSM_lEENS0_5tupleIJPlS6_EEENSR_IJSD_SD_EEES6_PiJS6_EEE10hipError_tPvRmT3_T4_T5_T6_T7_T9_mT8_P12ihipStream_tbDpT10_ENKUlT_T0_E_clISt17integral_constantIbLb1EES1F_EEDaS1A_S1B_EUlS1A_E_NS1_11comp_targetILNS1_3genE10ELNS1_11target_archE1200ELNS1_3gpuE4ELNS1_3repE0EEENS1_30default_config_static_selectorELNS0_4arch9wavefront6targetE0EEEvT1_.numbered_sgpr, 0
	.set _ZN7rocprim17ROCPRIM_400000_NS6detail17trampoline_kernelINS0_14default_configENS1_25partition_config_selectorILNS1_17partition_subalgoE5ElNS0_10empty_typeEbEEZZNS1_14partition_implILS5_5ELb0ES3_mN6hipcub16HIPCUB_304000_NS21CountingInputIteratorIllEEPS6_NSA_22TransformInputIteratorIbN2at6native12_GLOBAL__N_19NonZeroOpIN3c107complexINSJ_4HalfEEEEEPKSM_lEENS0_5tupleIJPlS6_EEENSR_IJSD_SD_EEES6_PiJS6_EEE10hipError_tPvRmT3_T4_T5_T6_T7_T9_mT8_P12ihipStream_tbDpT10_ENKUlT_T0_E_clISt17integral_constantIbLb1EES1F_EEDaS1A_S1B_EUlS1A_E_NS1_11comp_targetILNS1_3genE10ELNS1_11target_archE1200ELNS1_3gpuE4ELNS1_3repE0EEENS1_30default_config_static_selectorELNS0_4arch9wavefront6targetE0EEEvT1_.num_named_barrier, 0
	.set _ZN7rocprim17ROCPRIM_400000_NS6detail17trampoline_kernelINS0_14default_configENS1_25partition_config_selectorILNS1_17partition_subalgoE5ElNS0_10empty_typeEbEEZZNS1_14partition_implILS5_5ELb0ES3_mN6hipcub16HIPCUB_304000_NS21CountingInputIteratorIllEEPS6_NSA_22TransformInputIteratorIbN2at6native12_GLOBAL__N_19NonZeroOpIN3c107complexINSJ_4HalfEEEEEPKSM_lEENS0_5tupleIJPlS6_EEENSR_IJSD_SD_EEES6_PiJS6_EEE10hipError_tPvRmT3_T4_T5_T6_T7_T9_mT8_P12ihipStream_tbDpT10_ENKUlT_T0_E_clISt17integral_constantIbLb1EES1F_EEDaS1A_S1B_EUlS1A_E_NS1_11comp_targetILNS1_3genE10ELNS1_11target_archE1200ELNS1_3gpuE4ELNS1_3repE0EEENS1_30default_config_static_selectorELNS0_4arch9wavefront6targetE0EEEvT1_.private_seg_size, 0
	.set _ZN7rocprim17ROCPRIM_400000_NS6detail17trampoline_kernelINS0_14default_configENS1_25partition_config_selectorILNS1_17partition_subalgoE5ElNS0_10empty_typeEbEEZZNS1_14partition_implILS5_5ELb0ES3_mN6hipcub16HIPCUB_304000_NS21CountingInputIteratorIllEEPS6_NSA_22TransformInputIteratorIbN2at6native12_GLOBAL__N_19NonZeroOpIN3c107complexINSJ_4HalfEEEEEPKSM_lEENS0_5tupleIJPlS6_EEENSR_IJSD_SD_EEES6_PiJS6_EEE10hipError_tPvRmT3_T4_T5_T6_T7_T9_mT8_P12ihipStream_tbDpT10_ENKUlT_T0_E_clISt17integral_constantIbLb1EES1F_EEDaS1A_S1B_EUlS1A_E_NS1_11comp_targetILNS1_3genE10ELNS1_11target_archE1200ELNS1_3gpuE4ELNS1_3repE0EEENS1_30default_config_static_selectorELNS0_4arch9wavefront6targetE0EEEvT1_.uses_vcc, 0
	.set _ZN7rocprim17ROCPRIM_400000_NS6detail17trampoline_kernelINS0_14default_configENS1_25partition_config_selectorILNS1_17partition_subalgoE5ElNS0_10empty_typeEbEEZZNS1_14partition_implILS5_5ELb0ES3_mN6hipcub16HIPCUB_304000_NS21CountingInputIteratorIllEEPS6_NSA_22TransformInputIteratorIbN2at6native12_GLOBAL__N_19NonZeroOpIN3c107complexINSJ_4HalfEEEEEPKSM_lEENS0_5tupleIJPlS6_EEENSR_IJSD_SD_EEES6_PiJS6_EEE10hipError_tPvRmT3_T4_T5_T6_T7_T9_mT8_P12ihipStream_tbDpT10_ENKUlT_T0_E_clISt17integral_constantIbLb1EES1F_EEDaS1A_S1B_EUlS1A_E_NS1_11comp_targetILNS1_3genE10ELNS1_11target_archE1200ELNS1_3gpuE4ELNS1_3repE0EEENS1_30default_config_static_selectorELNS0_4arch9wavefront6targetE0EEEvT1_.uses_flat_scratch, 0
	.set _ZN7rocprim17ROCPRIM_400000_NS6detail17trampoline_kernelINS0_14default_configENS1_25partition_config_selectorILNS1_17partition_subalgoE5ElNS0_10empty_typeEbEEZZNS1_14partition_implILS5_5ELb0ES3_mN6hipcub16HIPCUB_304000_NS21CountingInputIteratorIllEEPS6_NSA_22TransformInputIteratorIbN2at6native12_GLOBAL__N_19NonZeroOpIN3c107complexINSJ_4HalfEEEEEPKSM_lEENS0_5tupleIJPlS6_EEENSR_IJSD_SD_EEES6_PiJS6_EEE10hipError_tPvRmT3_T4_T5_T6_T7_T9_mT8_P12ihipStream_tbDpT10_ENKUlT_T0_E_clISt17integral_constantIbLb1EES1F_EEDaS1A_S1B_EUlS1A_E_NS1_11comp_targetILNS1_3genE10ELNS1_11target_archE1200ELNS1_3gpuE4ELNS1_3repE0EEENS1_30default_config_static_selectorELNS0_4arch9wavefront6targetE0EEEvT1_.has_dyn_sized_stack, 0
	.set _ZN7rocprim17ROCPRIM_400000_NS6detail17trampoline_kernelINS0_14default_configENS1_25partition_config_selectorILNS1_17partition_subalgoE5ElNS0_10empty_typeEbEEZZNS1_14partition_implILS5_5ELb0ES3_mN6hipcub16HIPCUB_304000_NS21CountingInputIteratorIllEEPS6_NSA_22TransformInputIteratorIbN2at6native12_GLOBAL__N_19NonZeroOpIN3c107complexINSJ_4HalfEEEEEPKSM_lEENS0_5tupleIJPlS6_EEENSR_IJSD_SD_EEES6_PiJS6_EEE10hipError_tPvRmT3_T4_T5_T6_T7_T9_mT8_P12ihipStream_tbDpT10_ENKUlT_T0_E_clISt17integral_constantIbLb1EES1F_EEDaS1A_S1B_EUlS1A_E_NS1_11comp_targetILNS1_3genE10ELNS1_11target_archE1200ELNS1_3gpuE4ELNS1_3repE0EEENS1_30default_config_static_selectorELNS0_4arch9wavefront6targetE0EEEvT1_.has_recursion, 0
	.set _ZN7rocprim17ROCPRIM_400000_NS6detail17trampoline_kernelINS0_14default_configENS1_25partition_config_selectorILNS1_17partition_subalgoE5ElNS0_10empty_typeEbEEZZNS1_14partition_implILS5_5ELb0ES3_mN6hipcub16HIPCUB_304000_NS21CountingInputIteratorIllEEPS6_NSA_22TransformInputIteratorIbN2at6native12_GLOBAL__N_19NonZeroOpIN3c107complexINSJ_4HalfEEEEEPKSM_lEENS0_5tupleIJPlS6_EEENSR_IJSD_SD_EEES6_PiJS6_EEE10hipError_tPvRmT3_T4_T5_T6_T7_T9_mT8_P12ihipStream_tbDpT10_ENKUlT_T0_E_clISt17integral_constantIbLb1EES1F_EEDaS1A_S1B_EUlS1A_E_NS1_11comp_targetILNS1_3genE10ELNS1_11target_archE1200ELNS1_3gpuE4ELNS1_3repE0EEENS1_30default_config_static_selectorELNS0_4arch9wavefront6targetE0EEEvT1_.has_indirect_call, 0
	.section	.AMDGPU.csdata,"",@progbits
; Kernel info:
; codeLenInByte = 4
; TotalNumSgprs: 0
; NumVgprs: 0
; ScratchSize: 0
; MemoryBound: 0
; FloatMode: 240
; IeeeMode: 1
; LDSByteSize: 0 bytes/workgroup (compile time only)
; SGPRBlocks: 0
; VGPRBlocks: 0
; NumSGPRsForWavesPerEU: 1
; NumVGPRsForWavesPerEU: 1
; Occupancy: 16
; WaveLimiterHint : 0
; COMPUTE_PGM_RSRC2:SCRATCH_EN: 0
; COMPUTE_PGM_RSRC2:USER_SGPR: 2
; COMPUTE_PGM_RSRC2:TRAP_HANDLER: 0
; COMPUTE_PGM_RSRC2:TGID_X_EN: 1
; COMPUTE_PGM_RSRC2:TGID_Y_EN: 0
; COMPUTE_PGM_RSRC2:TGID_Z_EN: 0
; COMPUTE_PGM_RSRC2:TIDIG_COMP_CNT: 0
	.section	.text._ZN7rocprim17ROCPRIM_400000_NS6detail17trampoline_kernelINS0_14default_configENS1_25partition_config_selectorILNS1_17partition_subalgoE5ElNS0_10empty_typeEbEEZZNS1_14partition_implILS5_5ELb0ES3_mN6hipcub16HIPCUB_304000_NS21CountingInputIteratorIllEEPS6_NSA_22TransformInputIteratorIbN2at6native12_GLOBAL__N_19NonZeroOpIN3c107complexINSJ_4HalfEEEEEPKSM_lEENS0_5tupleIJPlS6_EEENSR_IJSD_SD_EEES6_PiJS6_EEE10hipError_tPvRmT3_T4_T5_T6_T7_T9_mT8_P12ihipStream_tbDpT10_ENKUlT_T0_E_clISt17integral_constantIbLb1EES1F_EEDaS1A_S1B_EUlS1A_E_NS1_11comp_targetILNS1_3genE9ELNS1_11target_archE1100ELNS1_3gpuE3ELNS1_3repE0EEENS1_30default_config_static_selectorELNS0_4arch9wavefront6targetE0EEEvT1_,"axG",@progbits,_ZN7rocprim17ROCPRIM_400000_NS6detail17trampoline_kernelINS0_14default_configENS1_25partition_config_selectorILNS1_17partition_subalgoE5ElNS0_10empty_typeEbEEZZNS1_14partition_implILS5_5ELb0ES3_mN6hipcub16HIPCUB_304000_NS21CountingInputIteratorIllEEPS6_NSA_22TransformInputIteratorIbN2at6native12_GLOBAL__N_19NonZeroOpIN3c107complexINSJ_4HalfEEEEEPKSM_lEENS0_5tupleIJPlS6_EEENSR_IJSD_SD_EEES6_PiJS6_EEE10hipError_tPvRmT3_T4_T5_T6_T7_T9_mT8_P12ihipStream_tbDpT10_ENKUlT_T0_E_clISt17integral_constantIbLb1EES1F_EEDaS1A_S1B_EUlS1A_E_NS1_11comp_targetILNS1_3genE9ELNS1_11target_archE1100ELNS1_3gpuE3ELNS1_3repE0EEENS1_30default_config_static_selectorELNS0_4arch9wavefront6targetE0EEEvT1_,comdat
	.globl	_ZN7rocprim17ROCPRIM_400000_NS6detail17trampoline_kernelINS0_14default_configENS1_25partition_config_selectorILNS1_17partition_subalgoE5ElNS0_10empty_typeEbEEZZNS1_14partition_implILS5_5ELb0ES3_mN6hipcub16HIPCUB_304000_NS21CountingInputIteratorIllEEPS6_NSA_22TransformInputIteratorIbN2at6native12_GLOBAL__N_19NonZeroOpIN3c107complexINSJ_4HalfEEEEEPKSM_lEENS0_5tupleIJPlS6_EEENSR_IJSD_SD_EEES6_PiJS6_EEE10hipError_tPvRmT3_T4_T5_T6_T7_T9_mT8_P12ihipStream_tbDpT10_ENKUlT_T0_E_clISt17integral_constantIbLb1EES1F_EEDaS1A_S1B_EUlS1A_E_NS1_11comp_targetILNS1_3genE9ELNS1_11target_archE1100ELNS1_3gpuE3ELNS1_3repE0EEENS1_30default_config_static_selectorELNS0_4arch9wavefront6targetE0EEEvT1_ ; -- Begin function _ZN7rocprim17ROCPRIM_400000_NS6detail17trampoline_kernelINS0_14default_configENS1_25partition_config_selectorILNS1_17partition_subalgoE5ElNS0_10empty_typeEbEEZZNS1_14partition_implILS5_5ELb0ES3_mN6hipcub16HIPCUB_304000_NS21CountingInputIteratorIllEEPS6_NSA_22TransformInputIteratorIbN2at6native12_GLOBAL__N_19NonZeroOpIN3c107complexINSJ_4HalfEEEEEPKSM_lEENS0_5tupleIJPlS6_EEENSR_IJSD_SD_EEES6_PiJS6_EEE10hipError_tPvRmT3_T4_T5_T6_T7_T9_mT8_P12ihipStream_tbDpT10_ENKUlT_T0_E_clISt17integral_constantIbLb1EES1F_EEDaS1A_S1B_EUlS1A_E_NS1_11comp_targetILNS1_3genE9ELNS1_11target_archE1100ELNS1_3gpuE3ELNS1_3repE0EEENS1_30default_config_static_selectorELNS0_4arch9wavefront6targetE0EEEvT1_
	.p2align	8
	.type	_ZN7rocprim17ROCPRIM_400000_NS6detail17trampoline_kernelINS0_14default_configENS1_25partition_config_selectorILNS1_17partition_subalgoE5ElNS0_10empty_typeEbEEZZNS1_14partition_implILS5_5ELb0ES3_mN6hipcub16HIPCUB_304000_NS21CountingInputIteratorIllEEPS6_NSA_22TransformInputIteratorIbN2at6native12_GLOBAL__N_19NonZeroOpIN3c107complexINSJ_4HalfEEEEEPKSM_lEENS0_5tupleIJPlS6_EEENSR_IJSD_SD_EEES6_PiJS6_EEE10hipError_tPvRmT3_T4_T5_T6_T7_T9_mT8_P12ihipStream_tbDpT10_ENKUlT_T0_E_clISt17integral_constantIbLb1EES1F_EEDaS1A_S1B_EUlS1A_E_NS1_11comp_targetILNS1_3genE9ELNS1_11target_archE1100ELNS1_3gpuE3ELNS1_3repE0EEENS1_30default_config_static_selectorELNS0_4arch9wavefront6targetE0EEEvT1_,@function
_ZN7rocprim17ROCPRIM_400000_NS6detail17trampoline_kernelINS0_14default_configENS1_25partition_config_selectorILNS1_17partition_subalgoE5ElNS0_10empty_typeEbEEZZNS1_14partition_implILS5_5ELb0ES3_mN6hipcub16HIPCUB_304000_NS21CountingInputIteratorIllEEPS6_NSA_22TransformInputIteratorIbN2at6native12_GLOBAL__N_19NonZeroOpIN3c107complexINSJ_4HalfEEEEEPKSM_lEENS0_5tupleIJPlS6_EEENSR_IJSD_SD_EEES6_PiJS6_EEE10hipError_tPvRmT3_T4_T5_T6_T7_T9_mT8_P12ihipStream_tbDpT10_ENKUlT_T0_E_clISt17integral_constantIbLb1EES1F_EEDaS1A_S1B_EUlS1A_E_NS1_11comp_targetILNS1_3genE9ELNS1_11target_archE1100ELNS1_3gpuE3ELNS1_3repE0EEENS1_30default_config_static_selectorELNS0_4arch9wavefront6targetE0EEEvT1_: ; @_ZN7rocprim17ROCPRIM_400000_NS6detail17trampoline_kernelINS0_14default_configENS1_25partition_config_selectorILNS1_17partition_subalgoE5ElNS0_10empty_typeEbEEZZNS1_14partition_implILS5_5ELb0ES3_mN6hipcub16HIPCUB_304000_NS21CountingInputIteratorIllEEPS6_NSA_22TransformInputIteratorIbN2at6native12_GLOBAL__N_19NonZeroOpIN3c107complexINSJ_4HalfEEEEEPKSM_lEENS0_5tupleIJPlS6_EEENSR_IJSD_SD_EEES6_PiJS6_EEE10hipError_tPvRmT3_T4_T5_T6_T7_T9_mT8_P12ihipStream_tbDpT10_ENKUlT_T0_E_clISt17integral_constantIbLb1EES1F_EEDaS1A_S1B_EUlS1A_E_NS1_11comp_targetILNS1_3genE9ELNS1_11target_archE1100ELNS1_3gpuE3ELNS1_3repE0EEENS1_30default_config_static_selectorELNS0_4arch9wavefront6targetE0EEEvT1_
; %bb.0:
	.section	.rodata,"a",@progbits
	.p2align	6, 0x0
	.amdhsa_kernel _ZN7rocprim17ROCPRIM_400000_NS6detail17trampoline_kernelINS0_14default_configENS1_25partition_config_selectorILNS1_17partition_subalgoE5ElNS0_10empty_typeEbEEZZNS1_14partition_implILS5_5ELb0ES3_mN6hipcub16HIPCUB_304000_NS21CountingInputIteratorIllEEPS6_NSA_22TransformInputIteratorIbN2at6native12_GLOBAL__N_19NonZeroOpIN3c107complexINSJ_4HalfEEEEEPKSM_lEENS0_5tupleIJPlS6_EEENSR_IJSD_SD_EEES6_PiJS6_EEE10hipError_tPvRmT3_T4_T5_T6_T7_T9_mT8_P12ihipStream_tbDpT10_ENKUlT_T0_E_clISt17integral_constantIbLb1EES1F_EEDaS1A_S1B_EUlS1A_E_NS1_11comp_targetILNS1_3genE9ELNS1_11target_archE1100ELNS1_3gpuE3ELNS1_3repE0EEENS1_30default_config_static_selectorELNS0_4arch9wavefront6targetE0EEEvT1_
		.amdhsa_group_segment_fixed_size 0
		.amdhsa_private_segment_fixed_size 0
		.amdhsa_kernarg_size 136
		.amdhsa_user_sgpr_count 2
		.amdhsa_user_sgpr_dispatch_ptr 0
		.amdhsa_user_sgpr_queue_ptr 0
		.amdhsa_user_sgpr_kernarg_segment_ptr 1
		.amdhsa_user_sgpr_dispatch_id 0
		.amdhsa_user_sgpr_private_segment_size 0
		.amdhsa_wavefront_size32 1
		.amdhsa_uses_dynamic_stack 0
		.amdhsa_enable_private_segment 0
		.amdhsa_system_sgpr_workgroup_id_x 1
		.amdhsa_system_sgpr_workgroup_id_y 0
		.amdhsa_system_sgpr_workgroup_id_z 0
		.amdhsa_system_sgpr_workgroup_info 0
		.amdhsa_system_vgpr_workitem_id 0
		.amdhsa_next_free_vgpr 1
		.amdhsa_next_free_sgpr 1
		.amdhsa_reserve_vcc 0
		.amdhsa_float_round_mode_32 0
		.amdhsa_float_round_mode_16_64 0
		.amdhsa_float_denorm_mode_32 3
		.amdhsa_float_denorm_mode_16_64 3
		.amdhsa_fp16_overflow 0
		.amdhsa_workgroup_processor_mode 1
		.amdhsa_memory_ordered 1
		.amdhsa_forward_progress 1
		.amdhsa_inst_pref_size 0
		.amdhsa_round_robin_scheduling 0
		.amdhsa_exception_fp_ieee_invalid_op 0
		.amdhsa_exception_fp_denorm_src 0
		.amdhsa_exception_fp_ieee_div_zero 0
		.amdhsa_exception_fp_ieee_overflow 0
		.amdhsa_exception_fp_ieee_underflow 0
		.amdhsa_exception_fp_ieee_inexact 0
		.amdhsa_exception_int_div_zero 0
	.end_amdhsa_kernel
	.section	.text._ZN7rocprim17ROCPRIM_400000_NS6detail17trampoline_kernelINS0_14default_configENS1_25partition_config_selectorILNS1_17partition_subalgoE5ElNS0_10empty_typeEbEEZZNS1_14partition_implILS5_5ELb0ES3_mN6hipcub16HIPCUB_304000_NS21CountingInputIteratorIllEEPS6_NSA_22TransformInputIteratorIbN2at6native12_GLOBAL__N_19NonZeroOpIN3c107complexINSJ_4HalfEEEEEPKSM_lEENS0_5tupleIJPlS6_EEENSR_IJSD_SD_EEES6_PiJS6_EEE10hipError_tPvRmT3_T4_T5_T6_T7_T9_mT8_P12ihipStream_tbDpT10_ENKUlT_T0_E_clISt17integral_constantIbLb1EES1F_EEDaS1A_S1B_EUlS1A_E_NS1_11comp_targetILNS1_3genE9ELNS1_11target_archE1100ELNS1_3gpuE3ELNS1_3repE0EEENS1_30default_config_static_selectorELNS0_4arch9wavefront6targetE0EEEvT1_,"axG",@progbits,_ZN7rocprim17ROCPRIM_400000_NS6detail17trampoline_kernelINS0_14default_configENS1_25partition_config_selectorILNS1_17partition_subalgoE5ElNS0_10empty_typeEbEEZZNS1_14partition_implILS5_5ELb0ES3_mN6hipcub16HIPCUB_304000_NS21CountingInputIteratorIllEEPS6_NSA_22TransformInputIteratorIbN2at6native12_GLOBAL__N_19NonZeroOpIN3c107complexINSJ_4HalfEEEEEPKSM_lEENS0_5tupleIJPlS6_EEENSR_IJSD_SD_EEES6_PiJS6_EEE10hipError_tPvRmT3_T4_T5_T6_T7_T9_mT8_P12ihipStream_tbDpT10_ENKUlT_T0_E_clISt17integral_constantIbLb1EES1F_EEDaS1A_S1B_EUlS1A_E_NS1_11comp_targetILNS1_3genE9ELNS1_11target_archE1100ELNS1_3gpuE3ELNS1_3repE0EEENS1_30default_config_static_selectorELNS0_4arch9wavefront6targetE0EEEvT1_,comdat
.Lfunc_end676:
	.size	_ZN7rocprim17ROCPRIM_400000_NS6detail17trampoline_kernelINS0_14default_configENS1_25partition_config_selectorILNS1_17partition_subalgoE5ElNS0_10empty_typeEbEEZZNS1_14partition_implILS5_5ELb0ES3_mN6hipcub16HIPCUB_304000_NS21CountingInputIteratorIllEEPS6_NSA_22TransformInputIteratorIbN2at6native12_GLOBAL__N_19NonZeroOpIN3c107complexINSJ_4HalfEEEEEPKSM_lEENS0_5tupleIJPlS6_EEENSR_IJSD_SD_EEES6_PiJS6_EEE10hipError_tPvRmT3_T4_T5_T6_T7_T9_mT8_P12ihipStream_tbDpT10_ENKUlT_T0_E_clISt17integral_constantIbLb1EES1F_EEDaS1A_S1B_EUlS1A_E_NS1_11comp_targetILNS1_3genE9ELNS1_11target_archE1100ELNS1_3gpuE3ELNS1_3repE0EEENS1_30default_config_static_selectorELNS0_4arch9wavefront6targetE0EEEvT1_, .Lfunc_end676-_ZN7rocprim17ROCPRIM_400000_NS6detail17trampoline_kernelINS0_14default_configENS1_25partition_config_selectorILNS1_17partition_subalgoE5ElNS0_10empty_typeEbEEZZNS1_14partition_implILS5_5ELb0ES3_mN6hipcub16HIPCUB_304000_NS21CountingInputIteratorIllEEPS6_NSA_22TransformInputIteratorIbN2at6native12_GLOBAL__N_19NonZeroOpIN3c107complexINSJ_4HalfEEEEEPKSM_lEENS0_5tupleIJPlS6_EEENSR_IJSD_SD_EEES6_PiJS6_EEE10hipError_tPvRmT3_T4_T5_T6_T7_T9_mT8_P12ihipStream_tbDpT10_ENKUlT_T0_E_clISt17integral_constantIbLb1EES1F_EEDaS1A_S1B_EUlS1A_E_NS1_11comp_targetILNS1_3genE9ELNS1_11target_archE1100ELNS1_3gpuE3ELNS1_3repE0EEENS1_30default_config_static_selectorELNS0_4arch9wavefront6targetE0EEEvT1_
                                        ; -- End function
	.set _ZN7rocprim17ROCPRIM_400000_NS6detail17trampoline_kernelINS0_14default_configENS1_25partition_config_selectorILNS1_17partition_subalgoE5ElNS0_10empty_typeEbEEZZNS1_14partition_implILS5_5ELb0ES3_mN6hipcub16HIPCUB_304000_NS21CountingInputIteratorIllEEPS6_NSA_22TransformInputIteratorIbN2at6native12_GLOBAL__N_19NonZeroOpIN3c107complexINSJ_4HalfEEEEEPKSM_lEENS0_5tupleIJPlS6_EEENSR_IJSD_SD_EEES6_PiJS6_EEE10hipError_tPvRmT3_T4_T5_T6_T7_T9_mT8_P12ihipStream_tbDpT10_ENKUlT_T0_E_clISt17integral_constantIbLb1EES1F_EEDaS1A_S1B_EUlS1A_E_NS1_11comp_targetILNS1_3genE9ELNS1_11target_archE1100ELNS1_3gpuE3ELNS1_3repE0EEENS1_30default_config_static_selectorELNS0_4arch9wavefront6targetE0EEEvT1_.num_vgpr, 0
	.set _ZN7rocprim17ROCPRIM_400000_NS6detail17trampoline_kernelINS0_14default_configENS1_25partition_config_selectorILNS1_17partition_subalgoE5ElNS0_10empty_typeEbEEZZNS1_14partition_implILS5_5ELb0ES3_mN6hipcub16HIPCUB_304000_NS21CountingInputIteratorIllEEPS6_NSA_22TransformInputIteratorIbN2at6native12_GLOBAL__N_19NonZeroOpIN3c107complexINSJ_4HalfEEEEEPKSM_lEENS0_5tupleIJPlS6_EEENSR_IJSD_SD_EEES6_PiJS6_EEE10hipError_tPvRmT3_T4_T5_T6_T7_T9_mT8_P12ihipStream_tbDpT10_ENKUlT_T0_E_clISt17integral_constantIbLb1EES1F_EEDaS1A_S1B_EUlS1A_E_NS1_11comp_targetILNS1_3genE9ELNS1_11target_archE1100ELNS1_3gpuE3ELNS1_3repE0EEENS1_30default_config_static_selectorELNS0_4arch9wavefront6targetE0EEEvT1_.num_agpr, 0
	.set _ZN7rocprim17ROCPRIM_400000_NS6detail17trampoline_kernelINS0_14default_configENS1_25partition_config_selectorILNS1_17partition_subalgoE5ElNS0_10empty_typeEbEEZZNS1_14partition_implILS5_5ELb0ES3_mN6hipcub16HIPCUB_304000_NS21CountingInputIteratorIllEEPS6_NSA_22TransformInputIteratorIbN2at6native12_GLOBAL__N_19NonZeroOpIN3c107complexINSJ_4HalfEEEEEPKSM_lEENS0_5tupleIJPlS6_EEENSR_IJSD_SD_EEES6_PiJS6_EEE10hipError_tPvRmT3_T4_T5_T6_T7_T9_mT8_P12ihipStream_tbDpT10_ENKUlT_T0_E_clISt17integral_constantIbLb1EES1F_EEDaS1A_S1B_EUlS1A_E_NS1_11comp_targetILNS1_3genE9ELNS1_11target_archE1100ELNS1_3gpuE3ELNS1_3repE0EEENS1_30default_config_static_selectorELNS0_4arch9wavefront6targetE0EEEvT1_.numbered_sgpr, 0
	.set _ZN7rocprim17ROCPRIM_400000_NS6detail17trampoline_kernelINS0_14default_configENS1_25partition_config_selectorILNS1_17partition_subalgoE5ElNS0_10empty_typeEbEEZZNS1_14partition_implILS5_5ELb0ES3_mN6hipcub16HIPCUB_304000_NS21CountingInputIteratorIllEEPS6_NSA_22TransformInputIteratorIbN2at6native12_GLOBAL__N_19NonZeroOpIN3c107complexINSJ_4HalfEEEEEPKSM_lEENS0_5tupleIJPlS6_EEENSR_IJSD_SD_EEES6_PiJS6_EEE10hipError_tPvRmT3_T4_T5_T6_T7_T9_mT8_P12ihipStream_tbDpT10_ENKUlT_T0_E_clISt17integral_constantIbLb1EES1F_EEDaS1A_S1B_EUlS1A_E_NS1_11comp_targetILNS1_3genE9ELNS1_11target_archE1100ELNS1_3gpuE3ELNS1_3repE0EEENS1_30default_config_static_selectorELNS0_4arch9wavefront6targetE0EEEvT1_.num_named_barrier, 0
	.set _ZN7rocprim17ROCPRIM_400000_NS6detail17trampoline_kernelINS0_14default_configENS1_25partition_config_selectorILNS1_17partition_subalgoE5ElNS0_10empty_typeEbEEZZNS1_14partition_implILS5_5ELb0ES3_mN6hipcub16HIPCUB_304000_NS21CountingInputIteratorIllEEPS6_NSA_22TransformInputIteratorIbN2at6native12_GLOBAL__N_19NonZeroOpIN3c107complexINSJ_4HalfEEEEEPKSM_lEENS0_5tupleIJPlS6_EEENSR_IJSD_SD_EEES6_PiJS6_EEE10hipError_tPvRmT3_T4_T5_T6_T7_T9_mT8_P12ihipStream_tbDpT10_ENKUlT_T0_E_clISt17integral_constantIbLb1EES1F_EEDaS1A_S1B_EUlS1A_E_NS1_11comp_targetILNS1_3genE9ELNS1_11target_archE1100ELNS1_3gpuE3ELNS1_3repE0EEENS1_30default_config_static_selectorELNS0_4arch9wavefront6targetE0EEEvT1_.private_seg_size, 0
	.set _ZN7rocprim17ROCPRIM_400000_NS6detail17trampoline_kernelINS0_14default_configENS1_25partition_config_selectorILNS1_17partition_subalgoE5ElNS0_10empty_typeEbEEZZNS1_14partition_implILS5_5ELb0ES3_mN6hipcub16HIPCUB_304000_NS21CountingInputIteratorIllEEPS6_NSA_22TransformInputIteratorIbN2at6native12_GLOBAL__N_19NonZeroOpIN3c107complexINSJ_4HalfEEEEEPKSM_lEENS0_5tupleIJPlS6_EEENSR_IJSD_SD_EEES6_PiJS6_EEE10hipError_tPvRmT3_T4_T5_T6_T7_T9_mT8_P12ihipStream_tbDpT10_ENKUlT_T0_E_clISt17integral_constantIbLb1EES1F_EEDaS1A_S1B_EUlS1A_E_NS1_11comp_targetILNS1_3genE9ELNS1_11target_archE1100ELNS1_3gpuE3ELNS1_3repE0EEENS1_30default_config_static_selectorELNS0_4arch9wavefront6targetE0EEEvT1_.uses_vcc, 0
	.set _ZN7rocprim17ROCPRIM_400000_NS6detail17trampoline_kernelINS0_14default_configENS1_25partition_config_selectorILNS1_17partition_subalgoE5ElNS0_10empty_typeEbEEZZNS1_14partition_implILS5_5ELb0ES3_mN6hipcub16HIPCUB_304000_NS21CountingInputIteratorIllEEPS6_NSA_22TransformInputIteratorIbN2at6native12_GLOBAL__N_19NonZeroOpIN3c107complexINSJ_4HalfEEEEEPKSM_lEENS0_5tupleIJPlS6_EEENSR_IJSD_SD_EEES6_PiJS6_EEE10hipError_tPvRmT3_T4_T5_T6_T7_T9_mT8_P12ihipStream_tbDpT10_ENKUlT_T0_E_clISt17integral_constantIbLb1EES1F_EEDaS1A_S1B_EUlS1A_E_NS1_11comp_targetILNS1_3genE9ELNS1_11target_archE1100ELNS1_3gpuE3ELNS1_3repE0EEENS1_30default_config_static_selectorELNS0_4arch9wavefront6targetE0EEEvT1_.uses_flat_scratch, 0
	.set _ZN7rocprim17ROCPRIM_400000_NS6detail17trampoline_kernelINS0_14default_configENS1_25partition_config_selectorILNS1_17partition_subalgoE5ElNS0_10empty_typeEbEEZZNS1_14partition_implILS5_5ELb0ES3_mN6hipcub16HIPCUB_304000_NS21CountingInputIteratorIllEEPS6_NSA_22TransformInputIteratorIbN2at6native12_GLOBAL__N_19NonZeroOpIN3c107complexINSJ_4HalfEEEEEPKSM_lEENS0_5tupleIJPlS6_EEENSR_IJSD_SD_EEES6_PiJS6_EEE10hipError_tPvRmT3_T4_T5_T6_T7_T9_mT8_P12ihipStream_tbDpT10_ENKUlT_T0_E_clISt17integral_constantIbLb1EES1F_EEDaS1A_S1B_EUlS1A_E_NS1_11comp_targetILNS1_3genE9ELNS1_11target_archE1100ELNS1_3gpuE3ELNS1_3repE0EEENS1_30default_config_static_selectorELNS0_4arch9wavefront6targetE0EEEvT1_.has_dyn_sized_stack, 0
	.set _ZN7rocprim17ROCPRIM_400000_NS6detail17trampoline_kernelINS0_14default_configENS1_25partition_config_selectorILNS1_17partition_subalgoE5ElNS0_10empty_typeEbEEZZNS1_14partition_implILS5_5ELb0ES3_mN6hipcub16HIPCUB_304000_NS21CountingInputIteratorIllEEPS6_NSA_22TransformInputIteratorIbN2at6native12_GLOBAL__N_19NonZeroOpIN3c107complexINSJ_4HalfEEEEEPKSM_lEENS0_5tupleIJPlS6_EEENSR_IJSD_SD_EEES6_PiJS6_EEE10hipError_tPvRmT3_T4_T5_T6_T7_T9_mT8_P12ihipStream_tbDpT10_ENKUlT_T0_E_clISt17integral_constantIbLb1EES1F_EEDaS1A_S1B_EUlS1A_E_NS1_11comp_targetILNS1_3genE9ELNS1_11target_archE1100ELNS1_3gpuE3ELNS1_3repE0EEENS1_30default_config_static_selectorELNS0_4arch9wavefront6targetE0EEEvT1_.has_recursion, 0
	.set _ZN7rocprim17ROCPRIM_400000_NS6detail17trampoline_kernelINS0_14default_configENS1_25partition_config_selectorILNS1_17partition_subalgoE5ElNS0_10empty_typeEbEEZZNS1_14partition_implILS5_5ELb0ES3_mN6hipcub16HIPCUB_304000_NS21CountingInputIteratorIllEEPS6_NSA_22TransformInputIteratorIbN2at6native12_GLOBAL__N_19NonZeroOpIN3c107complexINSJ_4HalfEEEEEPKSM_lEENS0_5tupleIJPlS6_EEENSR_IJSD_SD_EEES6_PiJS6_EEE10hipError_tPvRmT3_T4_T5_T6_T7_T9_mT8_P12ihipStream_tbDpT10_ENKUlT_T0_E_clISt17integral_constantIbLb1EES1F_EEDaS1A_S1B_EUlS1A_E_NS1_11comp_targetILNS1_3genE9ELNS1_11target_archE1100ELNS1_3gpuE3ELNS1_3repE0EEENS1_30default_config_static_selectorELNS0_4arch9wavefront6targetE0EEEvT1_.has_indirect_call, 0
	.section	.AMDGPU.csdata,"",@progbits
; Kernel info:
; codeLenInByte = 0
; TotalNumSgprs: 0
; NumVgprs: 0
; ScratchSize: 0
; MemoryBound: 0
; FloatMode: 240
; IeeeMode: 1
; LDSByteSize: 0 bytes/workgroup (compile time only)
; SGPRBlocks: 0
; VGPRBlocks: 0
; NumSGPRsForWavesPerEU: 1
; NumVGPRsForWavesPerEU: 1
; Occupancy: 16
; WaveLimiterHint : 0
; COMPUTE_PGM_RSRC2:SCRATCH_EN: 0
; COMPUTE_PGM_RSRC2:USER_SGPR: 2
; COMPUTE_PGM_RSRC2:TRAP_HANDLER: 0
; COMPUTE_PGM_RSRC2:TGID_X_EN: 1
; COMPUTE_PGM_RSRC2:TGID_Y_EN: 0
; COMPUTE_PGM_RSRC2:TGID_Z_EN: 0
; COMPUTE_PGM_RSRC2:TIDIG_COMP_CNT: 0
	.section	.text._ZN7rocprim17ROCPRIM_400000_NS6detail17trampoline_kernelINS0_14default_configENS1_25partition_config_selectorILNS1_17partition_subalgoE5ElNS0_10empty_typeEbEEZZNS1_14partition_implILS5_5ELb0ES3_mN6hipcub16HIPCUB_304000_NS21CountingInputIteratorIllEEPS6_NSA_22TransformInputIteratorIbN2at6native12_GLOBAL__N_19NonZeroOpIN3c107complexINSJ_4HalfEEEEEPKSM_lEENS0_5tupleIJPlS6_EEENSR_IJSD_SD_EEES6_PiJS6_EEE10hipError_tPvRmT3_T4_T5_T6_T7_T9_mT8_P12ihipStream_tbDpT10_ENKUlT_T0_E_clISt17integral_constantIbLb1EES1F_EEDaS1A_S1B_EUlS1A_E_NS1_11comp_targetILNS1_3genE8ELNS1_11target_archE1030ELNS1_3gpuE2ELNS1_3repE0EEENS1_30default_config_static_selectorELNS0_4arch9wavefront6targetE0EEEvT1_,"axG",@progbits,_ZN7rocprim17ROCPRIM_400000_NS6detail17trampoline_kernelINS0_14default_configENS1_25partition_config_selectorILNS1_17partition_subalgoE5ElNS0_10empty_typeEbEEZZNS1_14partition_implILS5_5ELb0ES3_mN6hipcub16HIPCUB_304000_NS21CountingInputIteratorIllEEPS6_NSA_22TransformInputIteratorIbN2at6native12_GLOBAL__N_19NonZeroOpIN3c107complexINSJ_4HalfEEEEEPKSM_lEENS0_5tupleIJPlS6_EEENSR_IJSD_SD_EEES6_PiJS6_EEE10hipError_tPvRmT3_T4_T5_T6_T7_T9_mT8_P12ihipStream_tbDpT10_ENKUlT_T0_E_clISt17integral_constantIbLb1EES1F_EEDaS1A_S1B_EUlS1A_E_NS1_11comp_targetILNS1_3genE8ELNS1_11target_archE1030ELNS1_3gpuE2ELNS1_3repE0EEENS1_30default_config_static_selectorELNS0_4arch9wavefront6targetE0EEEvT1_,comdat
	.globl	_ZN7rocprim17ROCPRIM_400000_NS6detail17trampoline_kernelINS0_14default_configENS1_25partition_config_selectorILNS1_17partition_subalgoE5ElNS0_10empty_typeEbEEZZNS1_14partition_implILS5_5ELb0ES3_mN6hipcub16HIPCUB_304000_NS21CountingInputIteratorIllEEPS6_NSA_22TransformInputIteratorIbN2at6native12_GLOBAL__N_19NonZeroOpIN3c107complexINSJ_4HalfEEEEEPKSM_lEENS0_5tupleIJPlS6_EEENSR_IJSD_SD_EEES6_PiJS6_EEE10hipError_tPvRmT3_T4_T5_T6_T7_T9_mT8_P12ihipStream_tbDpT10_ENKUlT_T0_E_clISt17integral_constantIbLb1EES1F_EEDaS1A_S1B_EUlS1A_E_NS1_11comp_targetILNS1_3genE8ELNS1_11target_archE1030ELNS1_3gpuE2ELNS1_3repE0EEENS1_30default_config_static_selectorELNS0_4arch9wavefront6targetE0EEEvT1_ ; -- Begin function _ZN7rocprim17ROCPRIM_400000_NS6detail17trampoline_kernelINS0_14default_configENS1_25partition_config_selectorILNS1_17partition_subalgoE5ElNS0_10empty_typeEbEEZZNS1_14partition_implILS5_5ELb0ES3_mN6hipcub16HIPCUB_304000_NS21CountingInputIteratorIllEEPS6_NSA_22TransformInputIteratorIbN2at6native12_GLOBAL__N_19NonZeroOpIN3c107complexINSJ_4HalfEEEEEPKSM_lEENS0_5tupleIJPlS6_EEENSR_IJSD_SD_EEES6_PiJS6_EEE10hipError_tPvRmT3_T4_T5_T6_T7_T9_mT8_P12ihipStream_tbDpT10_ENKUlT_T0_E_clISt17integral_constantIbLb1EES1F_EEDaS1A_S1B_EUlS1A_E_NS1_11comp_targetILNS1_3genE8ELNS1_11target_archE1030ELNS1_3gpuE2ELNS1_3repE0EEENS1_30default_config_static_selectorELNS0_4arch9wavefront6targetE0EEEvT1_
	.p2align	8
	.type	_ZN7rocprim17ROCPRIM_400000_NS6detail17trampoline_kernelINS0_14default_configENS1_25partition_config_selectorILNS1_17partition_subalgoE5ElNS0_10empty_typeEbEEZZNS1_14partition_implILS5_5ELb0ES3_mN6hipcub16HIPCUB_304000_NS21CountingInputIteratorIllEEPS6_NSA_22TransformInputIteratorIbN2at6native12_GLOBAL__N_19NonZeroOpIN3c107complexINSJ_4HalfEEEEEPKSM_lEENS0_5tupleIJPlS6_EEENSR_IJSD_SD_EEES6_PiJS6_EEE10hipError_tPvRmT3_T4_T5_T6_T7_T9_mT8_P12ihipStream_tbDpT10_ENKUlT_T0_E_clISt17integral_constantIbLb1EES1F_EEDaS1A_S1B_EUlS1A_E_NS1_11comp_targetILNS1_3genE8ELNS1_11target_archE1030ELNS1_3gpuE2ELNS1_3repE0EEENS1_30default_config_static_selectorELNS0_4arch9wavefront6targetE0EEEvT1_,@function
_ZN7rocprim17ROCPRIM_400000_NS6detail17trampoline_kernelINS0_14default_configENS1_25partition_config_selectorILNS1_17partition_subalgoE5ElNS0_10empty_typeEbEEZZNS1_14partition_implILS5_5ELb0ES3_mN6hipcub16HIPCUB_304000_NS21CountingInputIteratorIllEEPS6_NSA_22TransformInputIteratorIbN2at6native12_GLOBAL__N_19NonZeroOpIN3c107complexINSJ_4HalfEEEEEPKSM_lEENS0_5tupleIJPlS6_EEENSR_IJSD_SD_EEES6_PiJS6_EEE10hipError_tPvRmT3_T4_T5_T6_T7_T9_mT8_P12ihipStream_tbDpT10_ENKUlT_T0_E_clISt17integral_constantIbLb1EES1F_EEDaS1A_S1B_EUlS1A_E_NS1_11comp_targetILNS1_3genE8ELNS1_11target_archE1030ELNS1_3gpuE2ELNS1_3repE0EEENS1_30default_config_static_selectorELNS0_4arch9wavefront6targetE0EEEvT1_: ; @_ZN7rocprim17ROCPRIM_400000_NS6detail17trampoline_kernelINS0_14default_configENS1_25partition_config_selectorILNS1_17partition_subalgoE5ElNS0_10empty_typeEbEEZZNS1_14partition_implILS5_5ELb0ES3_mN6hipcub16HIPCUB_304000_NS21CountingInputIteratorIllEEPS6_NSA_22TransformInputIteratorIbN2at6native12_GLOBAL__N_19NonZeroOpIN3c107complexINSJ_4HalfEEEEEPKSM_lEENS0_5tupleIJPlS6_EEENSR_IJSD_SD_EEES6_PiJS6_EEE10hipError_tPvRmT3_T4_T5_T6_T7_T9_mT8_P12ihipStream_tbDpT10_ENKUlT_T0_E_clISt17integral_constantIbLb1EES1F_EEDaS1A_S1B_EUlS1A_E_NS1_11comp_targetILNS1_3genE8ELNS1_11target_archE1030ELNS1_3gpuE2ELNS1_3repE0EEENS1_30default_config_static_selectorELNS0_4arch9wavefront6targetE0EEEvT1_
; %bb.0:
	.section	.rodata,"a",@progbits
	.p2align	6, 0x0
	.amdhsa_kernel _ZN7rocprim17ROCPRIM_400000_NS6detail17trampoline_kernelINS0_14default_configENS1_25partition_config_selectorILNS1_17partition_subalgoE5ElNS0_10empty_typeEbEEZZNS1_14partition_implILS5_5ELb0ES3_mN6hipcub16HIPCUB_304000_NS21CountingInputIteratorIllEEPS6_NSA_22TransformInputIteratorIbN2at6native12_GLOBAL__N_19NonZeroOpIN3c107complexINSJ_4HalfEEEEEPKSM_lEENS0_5tupleIJPlS6_EEENSR_IJSD_SD_EEES6_PiJS6_EEE10hipError_tPvRmT3_T4_T5_T6_T7_T9_mT8_P12ihipStream_tbDpT10_ENKUlT_T0_E_clISt17integral_constantIbLb1EES1F_EEDaS1A_S1B_EUlS1A_E_NS1_11comp_targetILNS1_3genE8ELNS1_11target_archE1030ELNS1_3gpuE2ELNS1_3repE0EEENS1_30default_config_static_selectorELNS0_4arch9wavefront6targetE0EEEvT1_
		.amdhsa_group_segment_fixed_size 0
		.amdhsa_private_segment_fixed_size 0
		.amdhsa_kernarg_size 136
		.amdhsa_user_sgpr_count 2
		.amdhsa_user_sgpr_dispatch_ptr 0
		.amdhsa_user_sgpr_queue_ptr 0
		.amdhsa_user_sgpr_kernarg_segment_ptr 1
		.amdhsa_user_sgpr_dispatch_id 0
		.amdhsa_user_sgpr_private_segment_size 0
		.amdhsa_wavefront_size32 1
		.amdhsa_uses_dynamic_stack 0
		.amdhsa_enable_private_segment 0
		.amdhsa_system_sgpr_workgroup_id_x 1
		.amdhsa_system_sgpr_workgroup_id_y 0
		.amdhsa_system_sgpr_workgroup_id_z 0
		.amdhsa_system_sgpr_workgroup_info 0
		.amdhsa_system_vgpr_workitem_id 0
		.amdhsa_next_free_vgpr 1
		.amdhsa_next_free_sgpr 1
		.amdhsa_reserve_vcc 0
		.amdhsa_float_round_mode_32 0
		.amdhsa_float_round_mode_16_64 0
		.amdhsa_float_denorm_mode_32 3
		.amdhsa_float_denorm_mode_16_64 3
		.amdhsa_fp16_overflow 0
		.amdhsa_workgroup_processor_mode 1
		.amdhsa_memory_ordered 1
		.amdhsa_forward_progress 1
		.amdhsa_inst_pref_size 0
		.amdhsa_round_robin_scheduling 0
		.amdhsa_exception_fp_ieee_invalid_op 0
		.amdhsa_exception_fp_denorm_src 0
		.amdhsa_exception_fp_ieee_div_zero 0
		.amdhsa_exception_fp_ieee_overflow 0
		.amdhsa_exception_fp_ieee_underflow 0
		.amdhsa_exception_fp_ieee_inexact 0
		.amdhsa_exception_int_div_zero 0
	.end_amdhsa_kernel
	.section	.text._ZN7rocprim17ROCPRIM_400000_NS6detail17trampoline_kernelINS0_14default_configENS1_25partition_config_selectorILNS1_17partition_subalgoE5ElNS0_10empty_typeEbEEZZNS1_14partition_implILS5_5ELb0ES3_mN6hipcub16HIPCUB_304000_NS21CountingInputIteratorIllEEPS6_NSA_22TransformInputIteratorIbN2at6native12_GLOBAL__N_19NonZeroOpIN3c107complexINSJ_4HalfEEEEEPKSM_lEENS0_5tupleIJPlS6_EEENSR_IJSD_SD_EEES6_PiJS6_EEE10hipError_tPvRmT3_T4_T5_T6_T7_T9_mT8_P12ihipStream_tbDpT10_ENKUlT_T0_E_clISt17integral_constantIbLb1EES1F_EEDaS1A_S1B_EUlS1A_E_NS1_11comp_targetILNS1_3genE8ELNS1_11target_archE1030ELNS1_3gpuE2ELNS1_3repE0EEENS1_30default_config_static_selectorELNS0_4arch9wavefront6targetE0EEEvT1_,"axG",@progbits,_ZN7rocprim17ROCPRIM_400000_NS6detail17trampoline_kernelINS0_14default_configENS1_25partition_config_selectorILNS1_17partition_subalgoE5ElNS0_10empty_typeEbEEZZNS1_14partition_implILS5_5ELb0ES3_mN6hipcub16HIPCUB_304000_NS21CountingInputIteratorIllEEPS6_NSA_22TransformInputIteratorIbN2at6native12_GLOBAL__N_19NonZeroOpIN3c107complexINSJ_4HalfEEEEEPKSM_lEENS0_5tupleIJPlS6_EEENSR_IJSD_SD_EEES6_PiJS6_EEE10hipError_tPvRmT3_T4_T5_T6_T7_T9_mT8_P12ihipStream_tbDpT10_ENKUlT_T0_E_clISt17integral_constantIbLb1EES1F_EEDaS1A_S1B_EUlS1A_E_NS1_11comp_targetILNS1_3genE8ELNS1_11target_archE1030ELNS1_3gpuE2ELNS1_3repE0EEENS1_30default_config_static_selectorELNS0_4arch9wavefront6targetE0EEEvT1_,comdat
.Lfunc_end677:
	.size	_ZN7rocprim17ROCPRIM_400000_NS6detail17trampoline_kernelINS0_14default_configENS1_25partition_config_selectorILNS1_17partition_subalgoE5ElNS0_10empty_typeEbEEZZNS1_14partition_implILS5_5ELb0ES3_mN6hipcub16HIPCUB_304000_NS21CountingInputIteratorIllEEPS6_NSA_22TransformInputIteratorIbN2at6native12_GLOBAL__N_19NonZeroOpIN3c107complexINSJ_4HalfEEEEEPKSM_lEENS0_5tupleIJPlS6_EEENSR_IJSD_SD_EEES6_PiJS6_EEE10hipError_tPvRmT3_T4_T5_T6_T7_T9_mT8_P12ihipStream_tbDpT10_ENKUlT_T0_E_clISt17integral_constantIbLb1EES1F_EEDaS1A_S1B_EUlS1A_E_NS1_11comp_targetILNS1_3genE8ELNS1_11target_archE1030ELNS1_3gpuE2ELNS1_3repE0EEENS1_30default_config_static_selectorELNS0_4arch9wavefront6targetE0EEEvT1_, .Lfunc_end677-_ZN7rocprim17ROCPRIM_400000_NS6detail17trampoline_kernelINS0_14default_configENS1_25partition_config_selectorILNS1_17partition_subalgoE5ElNS0_10empty_typeEbEEZZNS1_14partition_implILS5_5ELb0ES3_mN6hipcub16HIPCUB_304000_NS21CountingInputIteratorIllEEPS6_NSA_22TransformInputIteratorIbN2at6native12_GLOBAL__N_19NonZeroOpIN3c107complexINSJ_4HalfEEEEEPKSM_lEENS0_5tupleIJPlS6_EEENSR_IJSD_SD_EEES6_PiJS6_EEE10hipError_tPvRmT3_T4_T5_T6_T7_T9_mT8_P12ihipStream_tbDpT10_ENKUlT_T0_E_clISt17integral_constantIbLb1EES1F_EEDaS1A_S1B_EUlS1A_E_NS1_11comp_targetILNS1_3genE8ELNS1_11target_archE1030ELNS1_3gpuE2ELNS1_3repE0EEENS1_30default_config_static_selectorELNS0_4arch9wavefront6targetE0EEEvT1_
                                        ; -- End function
	.set _ZN7rocprim17ROCPRIM_400000_NS6detail17trampoline_kernelINS0_14default_configENS1_25partition_config_selectorILNS1_17partition_subalgoE5ElNS0_10empty_typeEbEEZZNS1_14partition_implILS5_5ELb0ES3_mN6hipcub16HIPCUB_304000_NS21CountingInputIteratorIllEEPS6_NSA_22TransformInputIteratorIbN2at6native12_GLOBAL__N_19NonZeroOpIN3c107complexINSJ_4HalfEEEEEPKSM_lEENS0_5tupleIJPlS6_EEENSR_IJSD_SD_EEES6_PiJS6_EEE10hipError_tPvRmT3_T4_T5_T6_T7_T9_mT8_P12ihipStream_tbDpT10_ENKUlT_T0_E_clISt17integral_constantIbLb1EES1F_EEDaS1A_S1B_EUlS1A_E_NS1_11comp_targetILNS1_3genE8ELNS1_11target_archE1030ELNS1_3gpuE2ELNS1_3repE0EEENS1_30default_config_static_selectorELNS0_4arch9wavefront6targetE0EEEvT1_.num_vgpr, 0
	.set _ZN7rocprim17ROCPRIM_400000_NS6detail17trampoline_kernelINS0_14default_configENS1_25partition_config_selectorILNS1_17partition_subalgoE5ElNS0_10empty_typeEbEEZZNS1_14partition_implILS5_5ELb0ES3_mN6hipcub16HIPCUB_304000_NS21CountingInputIteratorIllEEPS6_NSA_22TransformInputIteratorIbN2at6native12_GLOBAL__N_19NonZeroOpIN3c107complexINSJ_4HalfEEEEEPKSM_lEENS0_5tupleIJPlS6_EEENSR_IJSD_SD_EEES6_PiJS6_EEE10hipError_tPvRmT3_T4_T5_T6_T7_T9_mT8_P12ihipStream_tbDpT10_ENKUlT_T0_E_clISt17integral_constantIbLb1EES1F_EEDaS1A_S1B_EUlS1A_E_NS1_11comp_targetILNS1_3genE8ELNS1_11target_archE1030ELNS1_3gpuE2ELNS1_3repE0EEENS1_30default_config_static_selectorELNS0_4arch9wavefront6targetE0EEEvT1_.num_agpr, 0
	.set _ZN7rocprim17ROCPRIM_400000_NS6detail17trampoline_kernelINS0_14default_configENS1_25partition_config_selectorILNS1_17partition_subalgoE5ElNS0_10empty_typeEbEEZZNS1_14partition_implILS5_5ELb0ES3_mN6hipcub16HIPCUB_304000_NS21CountingInputIteratorIllEEPS6_NSA_22TransformInputIteratorIbN2at6native12_GLOBAL__N_19NonZeroOpIN3c107complexINSJ_4HalfEEEEEPKSM_lEENS0_5tupleIJPlS6_EEENSR_IJSD_SD_EEES6_PiJS6_EEE10hipError_tPvRmT3_T4_T5_T6_T7_T9_mT8_P12ihipStream_tbDpT10_ENKUlT_T0_E_clISt17integral_constantIbLb1EES1F_EEDaS1A_S1B_EUlS1A_E_NS1_11comp_targetILNS1_3genE8ELNS1_11target_archE1030ELNS1_3gpuE2ELNS1_3repE0EEENS1_30default_config_static_selectorELNS0_4arch9wavefront6targetE0EEEvT1_.numbered_sgpr, 0
	.set _ZN7rocprim17ROCPRIM_400000_NS6detail17trampoline_kernelINS0_14default_configENS1_25partition_config_selectorILNS1_17partition_subalgoE5ElNS0_10empty_typeEbEEZZNS1_14partition_implILS5_5ELb0ES3_mN6hipcub16HIPCUB_304000_NS21CountingInputIteratorIllEEPS6_NSA_22TransformInputIteratorIbN2at6native12_GLOBAL__N_19NonZeroOpIN3c107complexINSJ_4HalfEEEEEPKSM_lEENS0_5tupleIJPlS6_EEENSR_IJSD_SD_EEES6_PiJS6_EEE10hipError_tPvRmT3_T4_T5_T6_T7_T9_mT8_P12ihipStream_tbDpT10_ENKUlT_T0_E_clISt17integral_constantIbLb1EES1F_EEDaS1A_S1B_EUlS1A_E_NS1_11comp_targetILNS1_3genE8ELNS1_11target_archE1030ELNS1_3gpuE2ELNS1_3repE0EEENS1_30default_config_static_selectorELNS0_4arch9wavefront6targetE0EEEvT1_.num_named_barrier, 0
	.set _ZN7rocprim17ROCPRIM_400000_NS6detail17trampoline_kernelINS0_14default_configENS1_25partition_config_selectorILNS1_17partition_subalgoE5ElNS0_10empty_typeEbEEZZNS1_14partition_implILS5_5ELb0ES3_mN6hipcub16HIPCUB_304000_NS21CountingInputIteratorIllEEPS6_NSA_22TransformInputIteratorIbN2at6native12_GLOBAL__N_19NonZeroOpIN3c107complexINSJ_4HalfEEEEEPKSM_lEENS0_5tupleIJPlS6_EEENSR_IJSD_SD_EEES6_PiJS6_EEE10hipError_tPvRmT3_T4_T5_T6_T7_T9_mT8_P12ihipStream_tbDpT10_ENKUlT_T0_E_clISt17integral_constantIbLb1EES1F_EEDaS1A_S1B_EUlS1A_E_NS1_11comp_targetILNS1_3genE8ELNS1_11target_archE1030ELNS1_3gpuE2ELNS1_3repE0EEENS1_30default_config_static_selectorELNS0_4arch9wavefront6targetE0EEEvT1_.private_seg_size, 0
	.set _ZN7rocprim17ROCPRIM_400000_NS6detail17trampoline_kernelINS0_14default_configENS1_25partition_config_selectorILNS1_17partition_subalgoE5ElNS0_10empty_typeEbEEZZNS1_14partition_implILS5_5ELb0ES3_mN6hipcub16HIPCUB_304000_NS21CountingInputIteratorIllEEPS6_NSA_22TransformInputIteratorIbN2at6native12_GLOBAL__N_19NonZeroOpIN3c107complexINSJ_4HalfEEEEEPKSM_lEENS0_5tupleIJPlS6_EEENSR_IJSD_SD_EEES6_PiJS6_EEE10hipError_tPvRmT3_T4_T5_T6_T7_T9_mT8_P12ihipStream_tbDpT10_ENKUlT_T0_E_clISt17integral_constantIbLb1EES1F_EEDaS1A_S1B_EUlS1A_E_NS1_11comp_targetILNS1_3genE8ELNS1_11target_archE1030ELNS1_3gpuE2ELNS1_3repE0EEENS1_30default_config_static_selectorELNS0_4arch9wavefront6targetE0EEEvT1_.uses_vcc, 0
	.set _ZN7rocprim17ROCPRIM_400000_NS6detail17trampoline_kernelINS0_14default_configENS1_25partition_config_selectorILNS1_17partition_subalgoE5ElNS0_10empty_typeEbEEZZNS1_14partition_implILS5_5ELb0ES3_mN6hipcub16HIPCUB_304000_NS21CountingInputIteratorIllEEPS6_NSA_22TransformInputIteratorIbN2at6native12_GLOBAL__N_19NonZeroOpIN3c107complexINSJ_4HalfEEEEEPKSM_lEENS0_5tupleIJPlS6_EEENSR_IJSD_SD_EEES6_PiJS6_EEE10hipError_tPvRmT3_T4_T5_T6_T7_T9_mT8_P12ihipStream_tbDpT10_ENKUlT_T0_E_clISt17integral_constantIbLb1EES1F_EEDaS1A_S1B_EUlS1A_E_NS1_11comp_targetILNS1_3genE8ELNS1_11target_archE1030ELNS1_3gpuE2ELNS1_3repE0EEENS1_30default_config_static_selectorELNS0_4arch9wavefront6targetE0EEEvT1_.uses_flat_scratch, 0
	.set _ZN7rocprim17ROCPRIM_400000_NS6detail17trampoline_kernelINS0_14default_configENS1_25partition_config_selectorILNS1_17partition_subalgoE5ElNS0_10empty_typeEbEEZZNS1_14partition_implILS5_5ELb0ES3_mN6hipcub16HIPCUB_304000_NS21CountingInputIteratorIllEEPS6_NSA_22TransformInputIteratorIbN2at6native12_GLOBAL__N_19NonZeroOpIN3c107complexINSJ_4HalfEEEEEPKSM_lEENS0_5tupleIJPlS6_EEENSR_IJSD_SD_EEES6_PiJS6_EEE10hipError_tPvRmT3_T4_T5_T6_T7_T9_mT8_P12ihipStream_tbDpT10_ENKUlT_T0_E_clISt17integral_constantIbLb1EES1F_EEDaS1A_S1B_EUlS1A_E_NS1_11comp_targetILNS1_3genE8ELNS1_11target_archE1030ELNS1_3gpuE2ELNS1_3repE0EEENS1_30default_config_static_selectorELNS0_4arch9wavefront6targetE0EEEvT1_.has_dyn_sized_stack, 0
	.set _ZN7rocprim17ROCPRIM_400000_NS6detail17trampoline_kernelINS0_14default_configENS1_25partition_config_selectorILNS1_17partition_subalgoE5ElNS0_10empty_typeEbEEZZNS1_14partition_implILS5_5ELb0ES3_mN6hipcub16HIPCUB_304000_NS21CountingInputIteratorIllEEPS6_NSA_22TransformInputIteratorIbN2at6native12_GLOBAL__N_19NonZeroOpIN3c107complexINSJ_4HalfEEEEEPKSM_lEENS0_5tupleIJPlS6_EEENSR_IJSD_SD_EEES6_PiJS6_EEE10hipError_tPvRmT3_T4_T5_T6_T7_T9_mT8_P12ihipStream_tbDpT10_ENKUlT_T0_E_clISt17integral_constantIbLb1EES1F_EEDaS1A_S1B_EUlS1A_E_NS1_11comp_targetILNS1_3genE8ELNS1_11target_archE1030ELNS1_3gpuE2ELNS1_3repE0EEENS1_30default_config_static_selectorELNS0_4arch9wavefront6targetE0EEEvT1_.has_recursion, 0
	.set _ZN7rocprim17ROCPRIM_400000_NS6detail17trampoline_kernelINS0_14default_configENS1_25partition_config_selectorILNS1_17partition_subalgoE5ElNS0_10empty_typeEbEEZZNS1_14partition_implILS5_5ELb0ES3_mN6hipcub16HIPCUB_304000_NS21CountingInputIteratorIllEEPS6_NSA_22TransformInputIteratorIbN2at6native12_GLOBAL__N_19NonZeroOpIN3c107complexINSJ_4HalfEEEEEPKSM_lEENS0_5tupleIJPlS6_EEENSR_IJSD_SD_EEES6_PiJS6_EEE10hipError_tPvRmT3_T4_T5_T6_T7_T9_mT8_P12ihipStream_tbDpT10_ENKUlT_T0_E_clISt17integral_constantIbLb1EES1F_EEDaS1A_S1B_EUlS1A_E_NS1_11comp_targetILNS1_3genE8ELNS1_11target_archE1030ELNS1_3gpuE2ELNS1_3repE0EEENS1_30default_config_static_selectorELNS0_4arch9wavefront6targetE0EEEvT1_.has_indirect_call, 0
	.section	.AMDGPU.csdata,"",@progbits
; Kernel info:
; codeLenInByte = 0
; TotalNumSgprs: 0
; NumVgprs: 0
; ScratchSize: 0
; MemoryBound: 0
; FloatMode: 240
; IeeeMode: 1
; LDSByteSize: 0 bytes/workgroup (compile time only)
; SGPRBlocks: 0
; VGPRBlocks: 0
; NumSGPRsForWavesPerEU: 1
; NumVGPRsForWavesPerEU: 1
; Occupancy: 16
; WaveLimiterHint : 0
; COMPUTE_PGM_RSRC2:SCRATCH_EN: 0
; COMPUTE_PGM_RSRC2:USER_SGPR: 2
; COMPUTE_PGM_RSRC2:TRAP_HANDLER: 0
; COMPUTE_PGM_RSRC2:TGID_X_EN: 1
; COMPUTE_PGM_RSRC2:TGID_Y_EN: 0
; COMPUTE_PGM_RSRC2:TGID_Z_EN: 0
; COMPUTE_PGM_RSRC2:TIDIG_COMP_CNT: 0
	.section	.text._ZN7rocprim17ROCPRIM_400000_NS6detail17trampoline_kernelINS0_14default_configENS1_25partition_config_selectorILNS1_17partition_subalgoE5ElNS0_10empty_typeEbEEZZNS1_14partition_implILS5_5ELb0ES3_mN6hipcub16HIPCUB_304000_NS21CountingInputIteratorIllEEPS6_NSA_22TransformInputIteratorIbN2at6native12_GLOBAL__N_19NonZeroOpIN3c107complexINSJ_4HalfEEEEEPKSM_lEENS0_5tupleIJPlS6_EEENSR_IJSD_SD_EEES6_PiJS6_EEE10hipError_tPvRmT3_T4_T5_T6_T7_T9_mT8_P12ihipStream_tbDpT10_ENKUlT_T0_E_clISt17integral_constantIbLb1EES1E_IbLb0EEEEDaS1A_S1B_EUlS1A_E_NS1_11comp_targetILNS1_3genE0ELNS1_11target_archE4294967295ELNS1_3gpuE0ELNS1_3repE0EEENS1_30default_config_static_selectorELNS0_4arch9wavefront6targetE0EEEvT1_,"axG",@progbits,_ZN7rocprim17ROCPRIM_400000_NS6detail17trampoline_kernelINS0_14default_configENS1_25partition_config_selectorILNS1_17partition_subalgoE5ElNS0_10empty_typeEbEEZZNS1_14partition_implILS5_5ELb0ES3_mN6hipcub16HIPCUB_304000_NS21CountingInputIteratorIllEEPS6_NSA_22TransformInputIteratorIbN2at6native12_GLOBAL__N_19NonZeroOpIN3c107complexINSJ_4HalfEEEEEPKSM_lEENS0_5tupleIJPlS6_EEENSR_IJSD_SD_EEES6_PiJS6_EEE10hipError_tPvRmT3_T4_T5_T6_T7_T9_mT8_P12ihipStream_tbDpT10_ENKUlT_T0_E_clISt17integral_constantIbLb1EES1E_IbLb0EEEEDaS1A_S1B_EUlS1A_E_NS1_11comp_targetILNS1_3genE0ELNS1_11target_archE4294967295ELNS1_3gpuE0ELNS1_3repE0EEENS1_30default_config_static_selectorELNS0_4arch9wavefront6targetE0EEEvT1_,comdat
	.globl	_ZN7rocprim17ROCPRIM_400000_NS6detail17trampoline_kernelINS0_14default_configENS1_25partition_config_selectorILNS1_17partition_subalgoE5ElNS0_10empty_typeEbEEZZNS1_14partition_implILS5_5ELb0ES3_mN6hipcub16HIPCUB_304000_NS21CountingInputIteratorIllEEPS6_NSA_22TransformInputIteratorIbN2at6native12_GLOBAL__N_19NonZeroOpIN3c107complexINSJ_4HalfEEEEEPKSM_lEENS0_5tupleIJPlS6_EEENSR_IJSD_SD_EEES6_PiJS6_EEE10hipError_tPvRmT3_T4_T5_T6_T7_T9_mT8_P12ihipStream_tbDpT10_ENKUlT_T0_E_clISt17integral_constantIbLb1EES1E_IbLb0EEEEDaS1A_S1B_EUlS1A_E_NS1_11comp_targetILNS1_3genE0ELNS1_11target_archE4294967295ELNS1_3gpuE0ELNS1_3repE0EEENS1_30default_config_static_selectorELNS0_4arch9wavefront6targetE0EEEvT1_ ; -- Begin function _ZN7rocprim17ROCPRIM_400000_NS6detail17trampoline_kernelINS0_14default_configENS1_25partition_config_selectorILNS1_17partition_subalgoE5ElNS0_10empty_typeEbEEZZNS1_14partition_implILS5_5ELb0ES3_mN6hipcub16HIPCUB_304000_NS21CountingInputIteratorIllEEPS6_NSA_22TransformInputIteratorIbN2at6native12_GLOBAL__N_19NonZeroOpIN3c107complexINSJ_4HalfEEEEEPKSM_lEENS0_5tupleIJPlS6_EEENSR_IJSD_SD_EEES6_PiJS6_EEE10hipError_tPvRmT3_T4_T5_T6_T7_T9_mT8_P12ihipStream_tbDpT10_ENKUlT_T0_E_clISt17integral_constantIbLb1EES1E_IbLb0EEEEDaS1A_S1B_EUlS1A_E_NS1_11comp_targetILNS1_3genE0ELNS1_11target_archE4294967295ELNS1_3gpuE0ELNS1_3repE0EEENS1_30default_config_static_selectorELNS0_4arch9wavefront6targetE0EEEvT1_
	.p2align	8
	.type	_ZN7rocprim17ROCPRIM_400000_NS6detail17trampoline_kernelINS0_14default_configENS1_25partition_config_selectorILNS1_17partition_subalgoE5ElNS0_10empty_typeEbEEZZNS1_14partition_implILS5_5ELb0ES3_mN6hipcub16HIPCUB_304000_NS21CountingInputIteratorIllEEPS6_NSA_22TransformInputIteratorIbN2at6native12_GLOBAL__N_19NonZeroOpIN3c107complexINSJ_4HalfEEEEEPKSM_lEENS0_5tupleIJPlS6_EEENSR_IJSD_SD_EEES6_PiJS6_EEE10hipError_tPvRmT3_T4_T5_T6_T7_T9_mT8_P12ihipStream_tbDpT10_ENKUlT_T0_E_clISt17integral_constantIbLb1EES1E_IbLb0EEEEDaS1A_S1B_EUlS1A_E_NS1_11comp_targetILNS1_3genE0ELNS1_11target_archE4294967295ELNS1_3gpuE0ELNS1_3repE0EEENS1_30default_config_static_selectorELNS0_4arch9wavefront6targetE0EEEvT1_,@function
_ZN7rocprim17ROCPRIM_400000_NS6detail17trampoline_kernelINS0_14default_configENS1_25partition_config_selectorILNS1_17partition_subalgoE5ElNS0_10empty_typeEbEEZZNS1_14partition_implILS5_5ELb0ES3_mN6hipcub16HIPCUB_304000_NS21CountingInputIteratorIllEEPS6_NSA_22TransformInputIteratorIbN2at6native12_GLOBAL__N_19NonZeroOpIN3c107complexINSJ_4HalfEEEEEPKSM_lEENS0_5tupleIJPlS6_EEENSR_IJSD_SD_EEES6_PiJS6_EEE10hipError_tPvRmT3_T4_T5_T6_T7_T9_mT8_P12ihipStream_tbDpT10_ENKUlT_T0_E_clISt17integral_constantIbLb1EES1E_IbLb0EEEEDaS1A_S1B_EUlS1A_E_NS1_11comp_targetILNS1_3genE0ELNS1_11target_archE4294967295ELNS1_3gpuE0ELNS1_3repE0EEENS1_30default_config_static_selectorELNS0_4arch9wavefront6targetE0EEEvT1_: ; @_ZN7rocprim17ROCPRIM_400000_NS6detail17trampoline_kernelINS0_14default_configENS1_25partition_config_selectorILNS1_17partition_subalgoE5ElNS0_10empty_typeEbEEZZNS1_14partition_implILS5_5ELb0ES3_mN6hipcub16HIPCUB_304000_NS21CountingInputIteratorIllEEPS6_NSA_22TransformInputIteratorIbN2at6native12_GLOBAL__N_19NonZeroOpIN3c107complexINSJ_4HalfEEEEEPKSM_lEENS0_5tupleIJPlS6_EEENSR_IJSD_SD_EEES6_PiJS6_EEE10hipError_tPvRmT3_T4_T5_T6_T7_T9_mT8_P12ihipStream_tbDpT10_ENKUlT_T0_E_clISt17integral_constantIbLb1EES1E_IbLb0EEEEDaS1A_S1B_EUlS1A_E_NS1_11comp_targetILNS1_3genE0ELNS1_11target_archE4294967295ELNS1_3gpuE0ELNS1_3repE0EEENS1_30default_config_static_selectorELNS0_4arch9wavefront6targetE0EEEvT1_
; %bb.0:
	.section	.rodata,"a",@progbits
	.p2align	6, 0x0
	.amdhsa_kernel _ZN7rocprim17ROCPRIM_400000_NS6detail17trampoline_kernelINS0_14default_configENS1_25partition_config_selectorILNS1_17partition_subalgoE5ElNS0_10empty_typeEbEEZZNS1_14partition_implILS5_5ELb0ES3_mN6hipcub16HIPCUB_304000_NS21CountingInputIteratorIllEEPS6_NSA_22TransformInputIteratorIbN2at6native12_GLOBAL__N_19NonZeroOpIN3c107complexINSJ_4HalfEEEEEPKSM_lEENS0_5tupleIJPlS6_EEENSR_IJSD_SD_EEES6_PiJS6_EEE10hipError_tPvRmT3_T4_T5_T6_T7_T9_mT8_P12ihipStream_tbDpT10_ENKUlT_T0_E_clISt17integral_constantIbLb1EES1E_IbLb0EEEEDaS1A_S1B_EUlS1A_E_NS1_11comp_targetILNS1_3genE0ELNS1_11target_archE4294967295ELNS1_3gpuE0ELNS1_3repE0EEENS1_30default_config_static_selectorELNS0_4arch9wavefront6targetE0EEEvT1_
		.amdhsa_group_segment_fixed_size 0
		.amdhsa_private_segment_fixed_size 0
		.amdhsa_kernarg_size 120
		.amdhsa_user_sgpr_count 2
		.amdhsa_user_sgpr_dispatch_ptr 0
		.amdhsa_user_sgpr_queue_ptr 0
		.amdhsa_user_sgpr_kernarg_segment_ptr 1
		.amdhsa_user_sgpr_dispatch_id 0
		.amdhsa_user_sgpr_private_segment_size 0
		.amdhsa_wavefront_size32 1
		.amdhsa_uses_dynamic_stack 0
		.amdhsa_enable_private_segment 0
		.amdhsa_system_sgpr_workgroup_id_x 1
		.amdhsa_system_sgpr_workgroup_id_y 0
		.amdhsa_system_sgpr_workgroup_id_z 0
		.amdhsa_system_sgpr_workgroup_info 0
		.amdhsa_system_vgpr_workitem_id 0
		.amdhsa_next_free_vgpr 1
		.amdhsa_next_free_sgpr 1
		.amdhsa_reserve_vcc 0
		.amdhsa_float_round_mode_32 0
		.amdhsa_float_round_mode_16_64 0
		.amdhsa_float_denorm_mode_32 3
		.amdhsa_float_denorm_mode_16_64 3
		.amdhsa_fp16_overflow 0
		.amdhsa_workgroup_processor_mode 1
		.amdhsa_memory_ordered 1
		.amdhsa_forward_progress 1
		.amdhsa_inst_pref_size 0
		.amdhsa_round_robin_scheduling 0
		.amdhsa_exception_fp_ieee_invalid_op 0
		.amdhsa_exception_fp_denorm_src 0
		.amdhsa_exception_fp_ieee_div_zero 0
		.amdhsa_exception_fp_ieee_overflow 0
		.amdhsa_exception_fp_ieee_underflow 0
		.amdhsa_exception_fp_ieee_inexact 0
		.amdhsa_exception_int_div_zero 0
	.end_amdhsa_kernel
	.section	.text._ZN7rocprim17ROCPRIM_400000_NS6detail17trampoline_kernelINS0_14default_configENS1_25partition_config_selectorILNS1_17partition_subalgoE5ElNS0_10empty_typeEbEEZZNS1_14partition_implILS5_5ELb0ES3_mN6hipcub16HIPCUB_304000_NS21CountingInputIteratorIllEEPS6_NSA_22TransformInputIteratorIbN2at6native12_GLOBAL__N_19NonZeroOpIN3c107complexINSJ_4HalfEEEEEPKSM_lEENS0_5tupleIJPlS6_EEENSR_IJSD_SD_EEES6_PiJS6_EEE10hipError_tPvRmT3_T4_T5_T6_T7_T9_mT8_P12ihipStream_tbDpT10_ENKUlT_T0_E_clISt17integral_constantIbLb1EES1E_IbLb0EEEEDaS1A_S1B_EUlS1A_E_NS1_11comp_targetILNS1_3genE0ELNS1_11target_archE4294967295ELNS1_3gpuE0ELNS1_3repE0EEENS1_30default_config_static_selectorELNS0_4arch9wavefront6targetE0EEEvT1_,"axG",@progbits,_ZN7rocprim17ROCPRIM_400000_NS6detail17trampoline_kernelINS0_14default_configENS1_25partition_config_selectorILNS1_17partition_subalgoE5ElNS0_10empty_typeEbEEZZNS1_14partition_implILS5_5ELb0ES3_mN6hipcub16HIPCUB_304000_NS21CountingInputIteratorIllEEPS6_NSA_22TransformInputIteratorIbN2at6native12_GLOBAL__N_19NonZeroOpIN3c107complexINSJ_4HalfEEEEEPKSM_lEENS0_5tupleIJPlS6_EEENSR_IJSD_SD_EEES6_PiJS6_EEE10hipError_tPvRmT3_T4_T5_T6_T7_T9_mT8_P12ihipStream_tbDpT10_ENKUlT_T0_E_clISt17integral_constantIbLb1EES1E_IbLb0EEEEDaS1A_S1B_EUlS1A_E_NS1_11comp_targetILNS1_3genE0ELNS1_11target_archE4294967295ELNS1_3gpuE0ELNS1_3repE0EEENS1_30default_config_static_selectorELNS0_4arch9wavefront6targetE0EEEvT1_,comdat
.Lfunc_end678:
	.size	_ZN7rocprim17ROCPRIM_400000_NS6detail17trampoline_kernelINS0_14default_configENS1_25partition_config_selectorILNS1_17partition_subalgoE5ElNS0_10empty_typeEbEEZZNS1_14partition_implILS5_5ELb0ES3_mN6hipcub16HIPCUB_304000_NS21CountingInputIteratorIllEEPS6_NSA_22TransformInputIteratorIbN2at6native12_GLOBAL__N_19NonZeroOpIN3c107complexINSJ_4HalfEEEEEPKSM_lEENS0_5tupleIJPlS6_EEENSR_IJSD_SD_EEES6_PiJS6_EEE10hipError_tPvRmT3_T4_T5_T6_T7_T9_mT8_P12ihipStream_tbDpT10_ENKUlT_T0_E_clISt17integral_constantIbLb1EES1E_IbLb0EEEEDaS1A_S1B_EUlS1A_E_NS1_11comp_targetILNS1_3genE0ELNS1_11target_archE4294967295ELNS1_3gpuE0ELNS1_3repE0EEENS1_30default_config_static_selectorELNS0_4arch9wavefront6targetE0EEEvT1_, .Lfunc_end678-_ZN7rocprim17ROCPRIM_400000_NS6detail17trampoline_kernelINS0_14default_configENS1_25partition_config_selectorILNS1_17partition_subalgoE5ElNS0_10empty_typeEbEEZZNS1_14partition_implILS5_5ELb0ES3_mN6hipcub16HIPCUB_304000_NS21CountingInputIteratorIllEEPS6_NSA_22TransformInputIteratorIbN2at6native12_GLOBAL__N_19NonZeroOpIN3c107complexINSJ_4HalfEEEEEPKSM_lEENS0_5tupleIJPlS6_EEENSR_IJSD_SD_EEES6_PiJS6_EEE10hipError_tPvRmT3_T4_T5_T6_T7_T9_mT8_P12ihipStream_tbDpT10_ENKUlT_T0_E_clISt17integral_constantIbLb1EES1E_IbLb0EEEEDaS1A_S1B_EUlS1A_E_NS1_11comp_targetILNS1_3genE0ELNS1_11target_archE4294967295ELNS1_3gpuE0ELNS1_3repE0EEENS1_30default_config_static_selectorELNS0_4arch9wavefront6targetE0EEEvT1_
                                        ; -- End function
	.set _ZN7rocprim17ROCPRIM_400000_NS6detail17trampoline_kernelINS0_14default_configENS1_25partition_config_selectorILNS1_17partition_subalgoE5ElNS0_10empty_typeEbEEZZNS1_14partition_implILS5_5ELb0ES3_mN6hipcub16HIPCUB_304000_NS21CountingInputIteratorIllEEPS6_NSA_22TransformInputIteratorIbN2at6native12_GLOBAL__N_19NonZeroOpIN3c107complexINSJ_4HalfEEEEEPKSM_lEENS0_5tupleIJPlS6_EEENSR_IJSD_SD_EEES6_PiJS6_EEE10hipError_tPvRmT3_T4_T5_T6_T7_T9_mT8_P12ihipStream_tbDpT10_ENKUlT_T0_E_clISt17integral_constantIbLb1EES1E_IbLb0EEEEDaS1A_S1B_EUlS1A_E_NS1_11comp_targetILNS1_3genE0ELNS1_11target_archE4294967295ELNS1_3gpuE0ELNS1_3repE0EEENS1_30default_config_static_selectorELNS0_4arch9wavefront6targetE0EEEvT1_.num_vgpr, 0
	.set _ZN7rocprim17ROCPRIM_400000_NS6detail17trampoline_kernelINS0_14default_configENS1_25partition_config_selectorILNS1_17partition_subalgoE5ElNS0_10empty_typeEbEEZZNS1_14partition_implILS5_5ELb0ES3_mN6hipcub16HIPCUB_304000_NS21CountingInputIteratorIllEEPS6_NSA_22TransformInputIteratorIbN2at6native12_GLOBAL__N_19NonZeroOpIN3c107complexINSJ_4HalfEEEEEPKSM_lEENS0_5tupleIJPlS6_EEENSR_IJSD_SD_EEES6_PiJS6_EEE10hipError_tPvRmT3_T4_T5_T6_T7_T9_mT8_P12ihipStream_tbDpT10_ENKUlT_T0_E_clISt17integral_constantIbLb1EES1E_IbLb0EEEEDaS1A_S1B_EUlS1A_E_NS1_11comp_targetILNS1_3genE0ELNS1_11target_archE4294967295ELNS1_3gpuE0ELNS1_3repE0EEENS1_30default_config_static_selectorELNS0_4arch9wavefront6targetE0EEEvT1_.num_agpr, 0
	.set _ZN7rocprim17ROCPRIM_400000_NS6detail17trampoline_kernelINS0_14default_configENS1_25partition_config_selectorILNS1_17partition_subalgoE5ElNS0_10empty_typeEbEEZZNS1_14partition_implILS5_5ELb0ES3_mN6hipcub16HIPCUB_304000_NS21CountingInputIteratorIllEEPS6_NSA_22TransformInputIteratorIbN2at6native12_GLOBAL__N_19NonZeroOpIN3c107complexINSJ_4HalfEEEEEPKSM_lEENS0_5tupleIJPlS6_EEENSR_IJSD_SD_EEES6_PiJS6_EEE10hipError_tPvRmT3_T4_T5_T6_T7_T9_mT8_P12ihipStream_tbDpT10_ENKUlT_T0_E_clISt17integral_constantIbLb1EES1E_IbLb0EEEEDaS1A_S1B_EUlS1A_E_NS1_11comp_targetILNS1_3genE0ELNS1_11target_archE4294967295ELNS1_3gpuE0ELNS1_3repE0EEENS1_30default_config_static_selectorELNS0_4arch9wavefront6targetE0EEEvT1_.numbered_sgpr, 0
	.set _ZN7rocprim17ROCPRIM_400000_NS6detail17trampoline_kernelINS0_14default_configENS1_25partition_config_selectorILNS1_17partition_subalgoE5ElNS0_10empty_typeEbEEZZNS1_14partition_implILS5_5ELb0ES3_mN6hipcub16HIPCUB_304000_NS21CountingInputIteratorIllEEPS6_NSA_22TransformInputIteratorIbN2at6native12_GLOBAL__N_19NonZeroOpIN3c107complexINSJ_4HalfEEEEEPKSM_lEENS0_5tupleIJPlS6_EEENSR_IJSD_SD_EEES6_PiJS6_EEE10hipError_tPvRmT3_T4_T5_T6_T7_T9_mT8_P12ihipStream_tbDpT10_ENKUlT_T0_E_clISt17integral_constantIbLb1EES1E_IbLb0EEEEDaS1A_S1B_EUlS1A_E_NS1_11comp_targetILNS1_3genE0ELNS1_11target_archE4294967295ELNS1_3gpuE0ELNS1_3repE0EEENS1_30default_config_static_selectorELNS0_4arch9wavefront6targetE0EEEvT1_.num_named_barrier, 0
	.set _ZN7rocprim17ROCPRIM_400000_NS6detail17trampoline_kernelINS0_14default_configENS1_25partition_config_selectorILNS1_17partition_subalgoE5ElNS0_10empty_typeEbEEZZNS1_14partition_implILS5_5ELb0ES3_mN6hipcub16HIPCUB_304000_NS21CountingInputIteratorIllEEPS6_NSA_22TransformInputIteratorIbN2at6native12_GLOBAL__N_19NonZeroOpIN3c107complexINSJ_4HalfEEEEEPKSM_lEENS0_5tupleIJPlS6_EEENSR_IJSD_SD_EEES6_PiJS6_EEE10hipError_tPvRmT3_T4_T5_T6_T7_T9_mT8_P12ihipStream_tbDpT10_ENKUlT_T0_E_clISt17integral_constantIbLb1EES1E_IbLb0EEEEDaS1A_S1B_EUlS1A_E_NS1_11comp_targetILNS1_3genE0ELNS1_11target_archE4294967295ELNS1_3gpuE0ELNS1_3repE0EEENS1_30default_config_static_selectorELNS0_4arch9wavefront6targetE0EEEvT1_.private_seg_size, 0
	.set _ZN7rocprim17ROCPRIM_400000_NS6detail17trampoline_kernelINS0_14default_configENS1_25partition_config_selectorILNS1_17partition_subalgoE5ElNS0_10empty_typeEbEEZZNS1_14partition_implILS5_5ELb0ES3_mN6hipcub16HIPCUB_304000_NS21CountingInputIteratorIllEEPS6_NSA_22TransformInputIteratorIbN2at6native12_GLOBAL__N_19NonZeroOpIN3c107complexINSJ_4HalfEEEEEPKSM_lEENS0_5tupleIJPlS6_EEENSR_IJSD_SD_EEES6_PiJS6_EEE10hipError_tPvRmT3_T4_T5_T6_T7_T9_mT8_P12ihipStream_tbDpT10_ENKUlT_T0_E_clISt17integral_constantIbLb1EES1E_IbLb0EEEEDaS1A_S1B_EUlS1A_E_NS1_11comp_targetILNS1_3genE0ELNS1_11target_archE4294967295ELNS1_3gpuE0ELNS1_3repE0EEENS1_30default_config_static_selectorELNS0_4arch9wavefront6targetE0EEEvT1_.uses_vcc, 0
	.set _ZN7rocprim17ROCPRIM_400000_NS6detail17trampoline_kernelINS0_14default_configENS1_25partition_config_selectorILNS1_17partition_subalgoE5ElNS0_10empty_typeEbEEZZNS1_14partition_implILS5_5ELb0ES3_mN6hipcub16HIPCUB_304000_NS21CountingInputIteratorIllEEPS6_NSA_22TransformInputIteratorIbN2at6native12_GLOBAL__N_19NonZeroOpIN3c107complexINSJ_4HalfEEEEEPKSM_lEENS0_5tupleIJPlS6_EEENSR_IJSD_SD_EEES6_PiJS6_EEE10hipError_tPvRmT3_T4_T5_T6_T7_T9_mT8_P12ihipStream_tbDpT10_ENKUlT_T0_E_clISt17integral_constantIbLb1EES1E_IbLb0EEEEDaS1A_S1B_EUlS1A_E_NS1_11comp_targetILNS1_3genE0ELNS1_11target_archE4294967295ELNS1_3gpuE0ELNS1_3repE0EEENS1_30default_config_static_selectorELNS0_4arch9wavefront6targetE0EEEvT1_.uses_flat_scratch, 0
	.set _ZN7rocprim17ROCPRIM_400000_NS6detail17trampoline_kernelINS0_14default_configENS1_25partition_config_selectorILNS1_17partition_subalgoE5ElNS0_10empty_typeEbEEZZNS1_14partition_implILS5_5ELb0ES3_mN6hipcub16HIPCUB_304000_NS21CountingInputIteratorIllEEPS6_NSA_22TransformInputIteratorIbN2at6native12_GLOBAL__N_19NonZeroOpIN3c107complexINSJ_4HalfEEEEEPKSM_lEENS0_5tupleIJPlS6_EEENSR_IJSD_SD_EEES6_PiJS6_EEE10hipError_tPvRmT3_T4_T5_T6_T7_T9_mT8_P12ihipStream_tbDpT10_ENKUlT_T0_E_clISt17integral_constantIbLb1EES1E_IbLb0EEEEDaS1A_S1B_EUlS1A_E_NS1_11comp_targetILNS1_3genE0ELNS1_11target_archE4294967295ELNS1_3gpuE0ELNS1_3repE0EEENS1_30default_config_static_selectorELNS0_4arch9wavefront6targetE0EEEvT1_.has_dyn_sized_stack, 0
	.set _ZN7rocprim17ROCPRIM_400000_NS6detail17trampoline_kernelINS0_14default_configENS1_25partition_config_selectorILNS1_17partition_subalgoE5ElNS0_10empty_typeEbEEZZNS1_14partition_implILS5_5ELb0ES3_mN6hipcub16HIPCUB_304000_NS21CountingInputIteratorIllEEPS6_NSA_22TransformInputIteratorIbN2at6native12_GLOBAL__N_19NonZeroOpIN3c107complexINSJ_4HalfEEEEEPKSM_lEENS0_5tupleIJPlS6_EEENSR_IJSD_SD_EEES6_PiJS6_EEE10hipError_tPvRmT3_T4_T5_T6_T7_T9_mT8_P12ihipStream_tbDpT10_ENKUlT_T0_E_clISt17integral_constantIbLb1EES1E_IbLb0EEEEDaS1A_S1B_EUlS1A_E_NS1_11comp_targetILNS1_3genE0ELNS1_11target_archE4294967295ELNS1_3gpuE0ELNS1_3repE0EEENS1_30default_config_static_selectorELNS0_4arch9wavefront6targetE0EEEvT1_.has_recursion, 0
	.set _ZN7rocprim17ROCPRIM_400000_NS6detail17trampoline_kernelINS0_14default_configENS1_25partition_config_selectorILNS1_17partition_subalgoE5ElNS0_10empty_typeEbEEZZNS1_14partition_implILS5_5ELb0ES3_mN6hipcub16HIPCUB_304000_NS21CountingInputIteratorIllEEPS6_NSA_22TransformInputIteratorIbN2at6native12_GLOBAL__N_19NonZeroOpIN3c107complexINSJ_4HalfEEEEEPKSM_lEENS0_5tupleIJPlS6_EEENSR_IJSD_SD_EEES6_PiJS6_EEE10hipError_tPvRmT3_T4_T5_T6_T7_T9_mT8_P12ihipStream_tbDpT10_ENKUlT_T0_E_clISt17integral_constantIbLb1EES1E_IbLb0EEEEDaS1A_S1B_EUlS1A_E_NS1_11comp_targetILNS1_3genE0ELNS1_11target_archE4294967295ELNS1_3gpuE0ELNS1_3repE0EEENS1_30default_config_static_selectorELNS0_4arch9wavefront6targetE0EEEvT1_.has_indirect_call, 0
	.section	.AMDGPU.csdata,"",@progbits
; Kernel info:
; codeLenInByte = 0
; TotalNumSgprs: 0
; NumVgprs: 0
; ScratchSize: 0
; MemoryBound: 0
; FloatMode: 240
; IeeeMode: 1
; LDSByteSize: 0 bytes/workgroup (compile time only)
; SGPRBlocks: 0
; VGPRBlocks: 0
; NumSGPRsForWavesPerEU: 1
; NumVGPRsForWavesPerEU: 1
; Occupancy: 16
; WaveLimiterHint : 0
; COMPUTE_PGM_RSRC2:SCRATCH_EN: 0
; COMPUTE_PGM_RSRC2:USER_SGPR: 2
; COMPUTE_PGM_RSRC2:TRAP_HANDLER: 0
; COMPUTE_PGM_RSRC2:TGID_X_EN: 1
; COMPUTE_PGM_RSRC2:TGID_Y_EN: 0
; COMPUTE_PGM_RSRC2:TGID_Z_EN: 0
; COMPUTE_PGM_RSRC2:TIDIG_COMP_CNT: 0
	.section	.text._ZN7rocprim17ROCPRIM_400000_NS6detail17trampoline_kernelINS0_14default_configENS1_25partition_config_selectorILNS1_17partition_subalgoE5ElNS0_10empty_typeEbEEZZNS1_14partition_implILS5_5ELb0ES3_mN6hipcub16HIPCUB_304000_NS21CountingInputIteratorIllEEPS6_NSA_22TransformInputIteratorIbN2at6native12_GLOBAL__N_19NonZeroOpIN3c107complexINSJ_4HalfEEEEEPKSM_lEENS0_5tupleIJPlS6_EEENSR_IJSD_SD_EEES6_PiJS6_EEE10hipError_tPvRmT3_T4_T5_T6_T7_T9_mT8_P12ihipStream_tbDpT10_ENKUlT_T0_E_clISt17integral_constantIbLb1EES1E_IbLb0EEEEDaS1A_S1B_EUlS1A_E_NS1_11comp_targetILNS1_3genE5ELNS1_11target_archE942ELNS1_3gpuE9ELNS1_3repE0EEENS1_30default_config_static_selectorELNS0_4arch9wavefront6targetE0EEEvT1_,"axG",@progbits,_ZN7rocprim17ROCPRIM_400000_NS6detail17trampoline_kernelINS0_14default_configENS1_25partition_config_selectorILNS1_17partition_subalgoE5ElNS0_10empty_typeEbEEZZNS1_14partition_implILS5_5ELb0ES3_mN6hipcub16HIPCUB_304000_NS21CountingInputIteratorIllEEPS6_NSA_22TransformInputIteratorIbN2at6native12_GLOBAL__N_19NonZeroOpIN3c107complexINSJ_4HalfEEEEEPKSM_lEENS0_5tupleIJPlS6_EEENSR_IJSD_SD_EEES6_PiJS6_EEE10hipError_tPvRmT3_T4_T5_T6_T7_T9_mT8_P12ihipStream_tbDpT10_ENKUlT_T0_E_clISt17integral_constantIbLb1EES1E_IbLb0EEEEDaS1A_S1B_EUlS1A_E_NS1_11comp_targetILNS1_3genE5ELNS1_11target_archE942ELNS1_3gpuE9ELNS1_3repE0EEENS1_30default_config_static_selectorELNS0_4arch9wavefront6targetE0EEEvT1_,comdat
	.globl	_ZN7rocprim17ROCPRIM_400000_NS6detail17trampoline_kernelINS0_14default_configENS1_25partition_config_selectorILNS1_17partition_subalgoE5ElNS0_10empty_typeEbEEZZNS1_14partition_implILS5_5ELb0ES3_mN6hipcub16HIPCUB_304000_NS21CountingInputIteratorIllEEPS6_NSA_22TransformInputIteratorIbN2at6native12_GLOBAL__N_19NonZeroOpIN3c107complexINSJ_4HalfEEEEEPKSM_lEENS0_5tupleIJPlS6_EEENSR_IJSD_SD_EEES6_PiJS6_EEE10hipError_tPvRmT3_T4_T5_T6_T7_T9_mT8_P12ihipStream_tbDpT10_ENKUlT_T0_E_clISt17integral_constantIbLb1EES1E_IbLb0EEEEDaS1A_S1B_EUlS1A_E_NS1_11comp_targetILNS1_3genE5ELNS1_11target_archE942ELNS1_3gpuE9ELNS1_3repE0EEENS1_30default_config_static_selectorELNS0_4arch9wavefront6targetE0EEEvT1_ ; -- Begin function _ZN7rocprim17ROCPRIM_400000_NS6detail17trampoline_kernelINS0_14default_configENS1_25partition_config_selectorILNS1_17partition_subalgoE5ElNS0_10empty_typeEbEEZZNS1_14partition_implILS5_5ELb0ES3_mN6hipcub16HIPCUB_304000_NS21CountingInputIteratorIllEEPS6_NSA_22TransformInputIteratorIbN2at6native12_GLOBAL__N_19NonZeroOpIN3c107complexINSJ_4HalfEEEEEPKSM_lEENS0_5tupleIJPlS6_EEENSR_IJSD_SD_EEES6_PiJS6_EEE10hipError_tPvRmT3_T4_T5_T6_T7_T9_mT8_P12ihipStream_tbDpT10_ENKUlT_T0_E_clISt17integral_constantIbLb1EES1E_IbLb0EEEEDaS1A_S1B_EUlS1A_E_NS1_11comp_targetILNS1_3genE5ELNS1_11target_archE942ELNS1_3gpuE9ELNS1_3repE0EEENS1_30default_config_static_selectorELNS0_4arch9wavefront6targetE0EEEvT1_
	.p2align	8
	.type	_ZN7rocprim17ROCPRIM_400000_NS6detail17trampoline_kernelINS0_14default_configENS1_25partition_config_selectorILNS1_17partition_subalgoE5ElNS0_10empty_typeEbEEZZNS1_14partition_implILS5_5ELb0ES3_mN6hipcub16HIPCUB_304000_NS21CountingInputIteratorIllEEPS6_NSA_22TransformInputIteratorIbN2at6native12_GLOBAL__N_19NonZeroOpIN3c107complexINSJ_4HalfEEEEEPKSM_lEENS0_5tupleIJPlS6_EEENSR_IJSD_SD_EEES6_PiJS6_EEE10hipError_tPvRmT3_T4_T5_T6_T7_T9_mT8_P12ihipStream_tbDpT10_ENKUlT_T0_E_clISt17integral_constantIbLb1EES1E_IbLb0EEEEDaS1A_S1B_EUlS1A_E_NS1_11comp_targetILNS1_3genE5ELNS1_11target_archE942ELNS1_3gpuE9ELNS1_3repE0EEENS1_30default_config_static_selectorELNS0_4arch9wavefront6targetE0EEEvT1_,@function
_ZN7rocprim17ROCPRIM_400000_NS6detail17trampoline_kernelINS0_14default_configENS1_25partition_config_selectorILNS1_17partition_subalgoE5ElNS0_10empty_typeEbEEZZNS1_14partition_implILS5_5ELb0ES3_mN6hipcub16HIPCUB_304000_NS21CountingInputIteratorIllEEPS6_NSA_22TransformInputIteratorIbN2at6native12_GLOBAL__N_19NonZeroOpIN3c107complexINSJ_4HalfEEEEEPKSM_lEENS0_5tupleIJPlS6_EEENSR_IJSD_SD_EEES6_PiJS6_EEE10hipError_tPvRmT3_T4_T5_T6_T7_T9_mT8_P12ihipStream_tbDpT10_ENKUlT_T0_E_clISt17integral_constantIbLb1EES1E_IbLb0EEEEDaS1A_S1B_EUlS1A_E_NS1_11comp_targetILNS1_3genE5ELNS1_11target_archE942ELNS1_3gpuE9ELNS1_3repE0EEENS1_30default_config_static_selectorELNS0_4arch9wavefront6targetE0EEEvT1_: ; @_ZN7rocprim17ROCPRIM_400000_NS6detail17trampoline_kernelINS0_14default_configENS1_25partition_config_selectorILNS1_17partition_subalgoE5ElNS0_10empty_typeEbEEZZNS1_14partition_implILS5_5ELb0ES3_mN6hipcub16HIPCUB_304000_NS21CountingInputIteratorIllEEPS6_NSA_22TransformInputIteratorIbN2at6native12_GLOBAL__N_19NonZeroOpIN3c107complexINSJ_4HalfEEEEEPKSM_lEENS0_5tupleIJPlS6_EEENSR_IJSD_SD_EEES6_PiJS6_EEE10hipError_tPvRmT3_T4_T5_T6_T7_T9_mT8_P12ihipStream_tbDpT10_ENKUlT_T0_E_clISt17integral_constantIbLb1EES1E_IbLb0EEEEDaS1A_S1B_EUlS1A_E_NS1_11comp_targetILNS1_3genE5ELNS1_11target_archE942ELNS1_3gpuE9ELNS1_3repE0EEENS1_30default_config_static_selectorELNS0_4arch9wavefront6targetE0EEEvT1_
; %bb.0:
	.section	.rodata,"a",@progbits
	.p2align	6, 0x0
	.amdhsa_kernel _ZN7rocprim17ROCPRIM_400000_NS6detail17trampoline_kernelINS0_14default_configENS1_25partition_config_selectorILNS1_17partition_subalgoE5ElNS0_10empty_typeEbEEZZNS1_14partition_implILS5_5ELb0ES3_mN6hipcub16HIPCUB_304000_NS21CountingInputIteratorIllEEPS6_NSA_22TransformInputIteratorIbN2at6native12_GLOBAL__N_19NonZeroOpIN3c107complexINSJ_4HalfEEEEEPKSM_lEENS0_5tupleIJPlS6_EEENSR_IJSD_SD_EEES6_PiJS6_EEE10hipError_tPvRmT3_T4_T5_T6_T7_T9_mT8_P12ihipStream_tbDpT10_ENKUlT_T0_E_clISt17integral_constantIbLb1EES1E_IbLb0EEEEDaS1A_S1B_EUlS1A_E_NS1_11comp_targetILNS1_3genE5ELNS1_11target_archE942ELNS1_3gpuE9ELNS1_3repE0EEENS1_30default_config_static_selectorELNS0_4arch9wavefront6targetE0EEEvT1_
		.amdhsa_group_segment_fixed_size 0
		.amdhsa_private_segment_fixed_size 0
		.amdhsa_kernarg_size 120
		.amdhsa_user_sgpr_count 2
		.amdhsa_user_sgpr_dispatch_ptr 0
		.amdhsa_user_sgpr_queue_ptr 0
		.amdhsa_user_sgpr_kernarg_segment_ptr 1
		.amdhsa_user_sgpr_dispatch_id 0
		.amdhsa_user_sgpr_private_segment_size 0
		.amdhsa_wavefront_size32 1
		.amdhsa_uses_dynamic_stack 0
		.amdhsa_enable_private_segment 0
		.amdhsa_system_sgpr_workgroup_id_x 1
		.amdhsa_system_sgpr_workgroup_id_y 0
		.amdhsa_system_sgpr_workgroup_id_z 0
		.amdhsa_system_sgpr_workgroup_info 0
		.amdhsa_system_vgpr_workitem_id 0
		.amdhsa_next_free_vgpr 1
		.amdhsa_next_free_sgpr 1
		.amdhsa_reserve_vcc 0
		.amdhsa_float_round_mode_32 0
		.amdhsa_float_round_mode_16_64 0
		.amdhsa_float_denorm_mode_32 3
		.amdhsa_float_denorm_mode_16_64 3
		.amdhsa_fp16_overflow 0
		.amdhsa_workgroup_processor_mode 1
		.amdhsa_memory_ordered 1
		.amdhsa_forward_progress 1
		.amdhsa_inst_pref_size 0
		.amdhsa_round_robin_scheduling 0
		.amdhsa_exception_fp_ieee_invalid_op 0
		.amdhsa_exception_fp_denorm_src 0
		.amdhsa_exception_fp_ieee_div_zero 0
		.amdhsa_exception_fp_ieee_overflow 0
		.amdhsa_exception_fp_ieee_underflow 0
		.amdhsa_exception_fp_ieee_inexact 0
		.amdhsa_exception_int_div_zero 0
	.end_amdhsa_kernel
	.section	.text._ZN7rocprim17ROCPRIM_400000_NS6detail17trampoline_kernelINS0_14default_configENS1_25partition_config_selectorILNS1_17partition_subalgoE5ElNS0_10empty_typeEbEEZZNS1_14partition_implILS5_5ELb0ES3_mN6hipcub16HIPCUB_304000_NS21CountingInputIteratorIllEEPS6_NSA_22TransformInputIteratorIbN2at6native12_GLOBAL__N_19NonZeroOpIN3c107complexINSJ_4HalfEEEEEPKSM_lEENS0_5tupleIJPlS6_EEENSR_IJSD_SD_EEES6_PiJS6_EEE10hipError_tPvRmT3_T4_T5_T6_T7_T9_mT8_P12ihipStream_tbDpT10_ENKUlT_T0_E_clISt17integral_constantIbLb1EES1E_IbLb0EEEEDaS1A_S1B_EUlS1A_E_NS1_11comp_targetILNS1_3genE5ELNS1_11target_archE942ELNS1_3gpuE9ELNS1_3repE0EEENS1_30default_config_static_selectorELNS0_4arch9wavefront6targetE0EEEvT1_,"axG",@progbits,_ZN7rocprim17ROCPRIM_400000_NS6detail17trampoline_kernelINS0_14default_configENS1_25partition_config_selectorILNS1_17partition_subalgoE5ElNS0_10empty_typeEbEEZZNS1_14partition_implILS5_5ELb0ES3_mN6hipcub16HIPCUB_304000_NS21CountingInputIteratorIllEEPS6_NSA_22TransformInputIteratorIbN2at6native12_GLOBAL__N_19NonZeroOpIN3c107complexINSJ_4HalfEEEEEPKSM_lEENS0_5tupleIJPlS6_EEENSR_IJSD_SD_EEES6_PiJS6_EEE10hipError_tPvRmT3_T4_T5_T6_T7_T9_mT8_P12ihipStream_tbDpT10_ENKUlT_T0_E_clISt17integral_constantIbLb1EES1E_IbLb0EEEEDaS1A_S1B_EUlS1A_E_NS1_11comp_targetILNS1_3genE5ELNS1_11target_archE942ELNS1_3gpuE9ELNS1_3repE0EEENS1_30default_config_static_selectorELNS0_4arch9wavefront6targetE0EEEvT1_,comdat
.Lfunc_end679:
	.size	_ZN7rocprim17ROCPRIM_400000_NS6detail17trampoline_kernelINS0_14default_configENS1_25partition_config_selectorILNS1_17partition_subalgoE5ElNS0_10empty_typeEbEEZZNS1_14partition_implILS5_5ELb0ES3_mN6hipcub16HIPCUB_304000_NS21CountingInputIteratorIllEEPS6_NSA_22TransformInputIteratorIbN2at6native12_GLOBAL__N_19NonZeroOpIN3c107complexINSJ_4HalfEEEEEPKSM_lEENS0_5tupleIJPlS6_EEENSR_IJSD_SD_EEES6_PiJS6_EEE10hipError_tPvRmT3_T4_T5_T6_T7_T9_mT8_P12ihipStream_tbDpT10_ENKUlT_T0_E_clISt17integral_constantIbLb1EES1E_IbLb0EEEEDaS1A_S1B_EUlS1A_E_NS1_11comp_targetILNS1_3genE5ELNS1_11target_archE942ELNS1_3gpuE9ELNS1_3repE0EEENS1_30default_config_static_selectorELNS0_4arch9wavefront6targetE0EEEvT1_, .Lfunc_end679-_ZN7rocprim17ROCPRIM_400000_NS6detail17trampoline_kernelINS0_14default_configENS1_25partition_config_selectorILNS1_17partition_subalgoE5ElNS0_10empty_typeEbEEZZNS1_14partition_implILS5_5ELb0ES3_mN6hipcub16HIPCUB_304000_NS21CountingInputIteratorIllEEPS6_NSA_22TransformInputIteratorIbN2at6native12_GLOBAL__N_19NonZeroOpIN3c107complexINSJ_4HalfEEEEEPKSM_lEENS0_5tupleIJPlS6_EEENSR_IJSD_SD_EEES6_PiJS6_EEE10hipError_tPvRmT3_T4_T5_T6_T7_T9_mT8_P12ihipStream_tbDpT10_ENKUlT_T0_E_clISt17integral_constantIbLb1EES1E_IbLb0EEEEDaS1A_S1B_EUlS1A_E_NS1_11comp_targetILNS1_3genE5ELNS1_11target_archE942ELNS1_3gpuE9ELNS1_3repE0EEENS1_30default_config_static_selectorELNS0_4arch9wavefront6targetE0EEEvT1_
                                        ; -- End function
	.set _ZN7rocprim17ROCPRIM_400000_NS6detail17trampoline_kernelINS0_14default_configENS1_25partition_config_selectorILNS1_17partition_subalgoE5ElNS0_10empty_typeEbEEZZNS1_14partition_implILS5_5ELb0ES3_mN6hipcub16HIPCUB_304000_NS21CountingInputIteratorIllEEPS6_NSA_22TransformInputIteratorIbN2at6native12_GLOBAL__N_19NonZeroOpIN3c107complexINSJ_4HalfEEEEEPKSM_lEENS0_5tupleIJPlS6_EEENSR_IJSD_SD_EEES6_PiJS6_EEE10hipError_tPvRmT3_T4_T5_T6_T7_T9_mT8_P12ihipStream_tbDpT10_ENKUlT_T0_E_clISt17integral_constantIbLb1EES1E_IbLb0EEEEDaS1A_S1B_EUlS1A_E_NS1_11comp_targetILNS1_3genE5ELNS1_11target_archE942ELNS1_3gpuE9ELNS1_3repE0EEENS1_30default_config_static_selectorELNS0_4arch9wavefront6targetE0EEEvT1_.num_vgpr, 0
	.set _ZN7rocprim17ROCPRIM_400000_NS6detail17trampoline_kernelINS0_14default_configENS1_25partition_config_selectorILNS1_17partition_subalgoE5ElNS0_10empty_typeEbEEZZNS1_14partition_implILS5_5ELb0ES3_mN6hipcub16HIPCUB_304000_NS21CountingInputIteratorIllEEPS6_NSA_22TransformInputIteratorIbN2at6native12_GLOBAL__N_19NonZeroOpIN3c107complexINSJ_4HalfEEEEEPKSM_lEENS0_5tupleIJPlS6_EEENSR_IJSD_SD_EEES6_PiJS6_EEE10hipError_tPvRmT3_T4_T5_T6_T7_T9_mT8_P12ihipStream_tbDpT10_ENKUlT_T0_E_clISt17integral_constantIbLb1EES1E_IbLb0EEEEDaS1A_S1B_EUlS1A_E_NS1_11comp_targetILNS1_3genE5ELNS1_11target_archE942ELNS1_3gpuE9ELNS1_3repE0EEENS1_30default_config_static_selectorELNS0_4arch9wavefront6targetE0EEEvT1_.num_agpr, 0
	.set _ZN7rocprim17ROCPRIM_400000_NS6detail17trampoline_kernelINS0_14default_configENS1_25partition_config_selectorILNS1_17partition_subalgoE5ElNS0_10empty_typeEbEEZZNS1_14partition_implILS5_5ELb0ES3_mN6hipcub16HIPCUB_304000_NS21CountingInputIteratorIllEEPS6_NSA_22TransformInputIteratorIbN2at6native12_GLOBAL__N_19NonZeroOpIN3c107complexINSJ_4HalfEEEEEPKSM_lEENS0_5tupleIJPlS6_EEENSR_IJSD_SD_EEES6_PiJS6_EEE10hipError_tPvRmT3_T4_T5_T6_T7_T9_mT8_P12ihipStream_tbDpT10_ENKUlT_T0_E_clISt17integral_constantIbLb1EES1E_IbLb0EEEEDaS1A_S1B_EUlS1A_E_NS1_11comp_targetILNS1_3genE5ELNS1_11target_archE942ELNS1_3gpuE9ELNS1_3repE0EEENS1_30default_config_static_selectorELNS0_4arch9wavefront6targetE0EEEvT1_.numbered_sgpr, 0
	.set _ZN7rocprim17ROCPRIM_400000_NS6detail17trampoline_kernelINS0_14default_configENS1_25partition_config_selectorILNS1_17partition_subalgoE5ElNS0_10empty_typeEbEEZZNS1_14partition_implILS5_5ELb0ES3_mN6hipcub16HIPCUB_304000_NS21CountingInputIteratorIllEEPS6_NSA_22TransformInputIteratorIbN2at6native12_GLOBAL__N_19NonZeroOpIN3c107complexINSJ_4HalfEEEEEPKSM_lEENS0_5tupleIJPlS6_EEENSR_IJSD_SD_EEES6_PiJS6_EEE10hipError_tPvRmT3_T4_T5_T6_T7_T9_mT8_P12ihipStream_tbDpT10_ENKUlT_T0_E_clISt17integral_constantIbLb1EES1E_IbLb0EEEEDaS1A_S1B_EUlS1A_E_NS1_11comp_targetILNS1_3genE5ELNS1_11target_archE942ELNS1_3gpuE9ELNS1_3repE0EEENS1_30default_config_static_selectorELNS0_4arch9wavefront6targetE0EEEvT1_.num_named_barrier, 0
	.set _ZN7rocprim17ROCPRIM_400000_NS6detail17trampoline_kernelINS0_14default_configENS1_25partition_config_selectorILNS1_17partition_subalgoE5ElNS0_10empty_typeEbEEZZNS1_14partition_implILS5_5ELb0ES3_mN6hipcub16HIPCUB_304000_NS21CountingInputIteratorIllEEPS6_NSA_22TransformInputIteratorIbN2at6native12_GLOBAL__N_19NonZeroOpIN3c107complexINSJ_4HalfEEEEEPKSM_lEENS0_5tupleIJPlS6_EEENSR_IJSD_SD_EEES6_PiJS6_EEE10hipError_tPvRmT3_T4_T5_T6_T7_T9_mT8_P12ihipStream_tbDpT10_ENKUlT_T0_E_clISt17integral_constantIbLb1EES1E_IbLb0EEEEDaS1A_S1B_EUlS1A_E_NS1_11comp_targetILNS1_3genE5ELNS1_11target_archE942ELNS1_3gpuE9ELNS1_3repE0EEENS1_30default_config_static_selectorELNS0_4arch9wavefront6targetE0EEEvT1_.private_seg_size, 0
	.set _ZN7rocprim17ROCPRIM_400000_NS6detail17trampoline_kernelINS0_14default_configENS1_25partition_config_selectorILNS1_17partition_subalgoE5ElNS0_10empty_typeEbEEZZNS1_14partition_implILS5_5ELb0ES3_mN6hipcub16HIPCUB_304000_NS21CountingInputIteratorIllEEPS6_NSA_22TransformInputIteratorIbN2at6native12_GLOBAL__N_19NonZeroOpIN3c107complexINSJ_4HalfEEEEEPKSM_lEENS0_5tupleIJPlS6_EEENSR_IJSD_SD_EEES6_PiJS6_EEE10hipError_tPvRmT3_T4_T5_T6_T7_T9_mT8_P12ihipStream_tbDpT10_ENKUlT_T0_E_clISt17integral_constantIbLb1EES1E_IbLb0EEEEDaS1A_S1B_EUlS1A_E_NS1_11comp_targetILNS1_3genE5ELNS1_11target_archE942ELNS1_3gpuE9ELNS1_3repE0EEENS1_30default_config_static_selectorELNS0_4arch9wavefront6targetE0EEEvT1_.uses_vcc, 0
	.set _ZN7rocprim17ROCPRIM_400000_NS6detail17trampoline_kernelINS0_14default_configENS1_25partition_config_selectorILNS1_17partition_subalgoE5ElNS0_10empty_typeEbEEZZNS1_14partition_implILS5_5ELb0ES3_mN6hipcub16HIPCUB_304000_NS21CountingInputIteratorIllEEPS6_NSA_22TransformInputIteratorIbN2at6native12_GLOBAL__N_19NonZeroOpIN3c107complexINSJ_4HalfEEEEEPKSM_lEENS0_5tupleIJPlS6_EEENSR_IJSD_SD_EEES6_PiJS6_EEE10hipError_tPvRmT3_T4_T5_T6_T7_T9_mT8_P12ihipStream_tbDpT10_ENKUlT_T0_E_clISt17integral_constantIbLb1EES1E_IbLb0EEEEDaS1A_S1B_EUlS1A_E_NS1_11comp_targetILNS1_3genE5ELNS1_11target_archE942ELNS1_3gpuE9ELNS1_3repE0EEENS1_30default_config_static_selectorELNS0_4arch9wavefront6targetE0EEEvT1_.uses_flat_scratch, 0
	.set _ZN7rocprim17ROCPRIM_400000_NS6detail17trampoline_kernelINS0_14default_configENS1_25partition_config_selectorILNS1_17partition_subalgoE5ElNS0_10empty_typeEbEEZZNS1_14partition_implILS5_5ELb0ES3_mN6hipcub16HIPCUB_304000_NS21CountingInputIteratorIllEEPS6_NSA_22TransformInputIteratorIbN2at6native12_GLOBAL__N_19NonZeroOpIN3c107complexINSJ_4HalfEEEEEPKSM_lEENS0_5tupleIJPlS6_EEENSR_IJSD_SD_EEES6_PiJS6_EEE10hipError_tPvRmT3_T4_T5_T6_T7_T9_mT8_P12ihipStream_tbDpT10_ENKUlT_T0_E_clISt17integral_constantIbLb1EES1E_IbLb0EEEEDaS1A_S1B_EUlS1A_E_NS1_11comp_targetILNS1_3genE5ELNS1_11target_archE942ELNS1_3gpuE9ELNS1_3repE0EEENS1_30default_config_static_selectorELNS0_4arch9wavefront6targetE0EEEvT1_.has_dyn_sized_stack, 0
	.set _ZN7rocprim17ROCPRIM_400000_NS6detail17trampoline_kernelINS0_14default_configENS1_25partition_config_selectorILNS1_17partition_subalgoE5ElNS0_10empty_typeEbEEZZNS1_14partition_implILS5_5ELb0ES3_mN6hipcub16HIPCUB_304000_NS21CountingInputIteratorIllEEPS6_NSA_22TransformInputIteratorIbN2at6native12_GLOBAL__N_19NonZeroOpIN3c107complexINSJ_4HalfEEEEEPKSM_lEENS0_5tupleIJPlS6_EEENSR_IJSD_SD_EEES6_PiJS6_EEE10hipError_tPvRmT3_T4_T5_T6_T7_T9_mT8_P12ihipStream_tbDpT10_ENKUlT_T0_E_clISt17integral_constantIbLb1EES1E_IbLb0EEEEDaS1A_S1B_EUlS1A_E_NS1_11comp_targetILNS1_3genE5ELNS1_11target_archE942ELNS1_3gpuE9ELNS1_3repE0EEENS1_30default_config_static_selectorELNS0_4arch9wavefront6targetE0EEEvT1_.has_recursion, 0
	.set _ZN7rocprim17ROCPRIM_400000_NS6detail17trampoline_kernelINS0_14default_configENS1_25partition_config_selectorILNS1_17partition_subalgoE5ElNS0_10empty_typeEbEEZZNS1_14partition_implILS5_5ELb0ES3_mN6hipcub16HIPCUB_304000_NS21CountingInputIteratorIllEEPS6_NSA_22TransformInputIteratorIbN2at6native12_GLOBAL__N_19NonZeroOpIN3c107complexINSJ_4HalfEEEEEPKSM_lEENS0_5tupleIJPlS6_EEENSR_IJSD_SD_EEES6_PiJS6_EEE10hipError_tPvRmT3_T4_T5_T6_T7_T9_mT8_P12ihipStream_tbDpT10_ENKUlT_T0_E_clISt17integral_constantIbLb1EES1E_IbLb0EEEEDaS1A_S1B_EUlS1A_E_NS1_11comp_targetILNS1_3genE5ELNS1_11target_archE942ELNS1_3gpuE9ELNS1_3repE0EEENS1_30default_config_static_selectorELNS0_4arch9wavefront6targetE0EEEvT1_.has_indirect_call, 0
	.section	.AMDGPU.csdata,"",@progbits
; Kernel info:
; codeLenInByte = 0
; TotalNumSgprs: 0
; NumVgprs: 0
; ScratchSize: 0
; MemoryBound: 0
; FloatMode: 240
; IeeeMode: 1
; LDSByteSize: 0 bytes/workgroup (compile time only)
; SGPRBlocks: 0
; VGPRBlocks: 0
; NumSGPRsForWavesPerEU: 1
; NumVGPRsForWavesPerEU: 1
; Occupancy: 16
; WaveLimiterHint : 0
; COMPUTE_PGM_RSRC2:SCRATCH_EN: 0
; COMPUTE_PGM_RSRC2:USER_SGPR: 2
; COMPUTE_PGM_RSRC2:TRAP_HANDLER: 0
; COMPUTE_PGM_RSRC2:TGID_X_EN: 1
; COMPUTE_PGM_RSRC2:TGID_Y_EN: 0
; COMPUTE_PGM_RSRC2:TGID_Z_EN: 0
; COMPUTE_PGM_RSRC2:TIDIG_COMP_CNT: 0
	.section	.text._ZN7rocprim17ROCPRIM_400000_NS6detail17trampoline_kernelINS0_14default_configENS1_25partition_config_selectorILNS1_17partition_subalgoE5ElNS0_10empty_typeEbEEZZNS1_14partition_implILS5_5ELb0ES3_mN6hipcub16HIPCUB_304000_NS21CountingInputIteratorIllEEPS6_NSA_22TransformInputIteratorIbN2at6native12_GLOBAL__N_19NonZeroOpIN3c107complexINSJ_4HalfEEEEEPKSM_lEENS0_5tupleIJPlS6_EEENSR_IJSD_SD_EEES6_PiJS6_EEE10hipError_tPvRmT3_T4_T5_T6_T7_T9_mT8_P12ihipStream_tbDpT10_ENKUlT_T0_E_clISt17integral_constantIbLb1EES1E_IbLb0EEEEDaS1A_S1B_EUlS1A_E_NS1_11comp_targetILNS1_3genE4ELNS1_11target_archE910ELNS1_3gpuE8ELNS1_3repE0EEENS1_30default_config_static_selectorELNS0_4arch9wavefront6targetE0EEEvT1_,"axG",@progbits,_ZN7rocprim17ROCPRIM_400000_NS6detail17trampoline_kernelINS0_14default_configENS1_25partition_config_selectorILNS1_17partition_subalgoE5ElNS0_10empty_typeEbEEZZNS1_14partition_implILS5_5ELb0ES3_mN6hipcub16HIPCUB_304000_NS21CountingInputIteratorIllEEPS6_NSA_22TransformInputIteratorIbN2at6native12_GLOBAL__N_19NonZeroOpIN3c107complexINSJ_4HalfEEEEEPKSM_lEENS0_5tupleIJPlS6_EEENSR_IJSD_SD_EEES6_PiJS6_EEE10hipError_tPvRmT3_T4_T5_T6_T7_T9_mT8_P12ihipStream_tbDpT10_ENKUlT_T0_E_clISt17integral_constantIbLb1EES1E_IbLb0EEEEDaS1A_S1B_EUlS1A_E_NS1_11comp_targetILNS1_3genE4ELNS1_11target_archE910ELNS1_3gpuE8ELNS1_3repE0EEENS1_30default_config_static_selectorELNS0_4arch9wavefront6targetE0EEEvT1_,comdat
	.globl	_ZN7rocprim17ROCPRIM_400000_NS6detail17trampoline_kernelINS0_14default_configENS1_25partition_config_selectorILNS1_17partition_subalgoE5ElNS0_10empty_typeEbEEZZNS1_14partition_implILS5_5ELb0ES3_mN6hipcub16HIPCUB_304000_NS21CountingInputIteratorIllEEPS6_NSA_22TransformInputIteratorIbN2at6native12_GLOBAL__N_19NonZeroOpIN3c107complexINSJ_4HalfEEEEEPKSM_lEENS0_5tupleIJPlS6_EEENSR_IJSD_SD_EEES6_PiJS6_EEE10hipError_tPvRmT3_T4_T5_T6_T7_T9_mT8_P12ihipStream_tbDpT10_ENKUlT_T0_E_clISt17integral_constantIbLb1EES1E_IbLb0EEEEDaS1A_S1B_EUlS1A_E_NS1_11comp_targetILNS1_3genE4ELNS1_11target_archE910ELNS1_3gpuE8ELNS1_3repE0EEENS1_30default_config_static_selectorELNS0_4arch9wavefront6targetE0EEEvT1_ ; -- Begin function _ZN7rocprim17ROCPRIM_400000_NS6detail17trampoline_kernelINS0_14default_configENS1_25partition_config_selectorILNS1_17partition_subalgoE5ElNS0_10empty_typeEbEEZZNS1_14partition_implILS5_5ELb0ES3_mN6hipcub16HIPCUB_304000_NS21CountingInputIteratorIllEEPS6_NSA_22TransformInputIteratorIbN2at6native12_GLOBAL__N_19NonZeroOpIN3c107complexINSJ_4HalfEEEEEPKSM_lEENS0_5tupleIJPlS6_EEENSR_IJSD_SD_EEES6_PiJS6_EEE10hipError_tPvRmT3_T4_T5_T6_T7_T9_mT8_P12ihipStream_tbDpT10_ENKUlT_T0_E_clISt17integral_constantIbLb1EES1E_IbLb0EEEEDaS1A_S1B_EUlS1A_E_NS1_11comp_targetILNS1_3genE4ELNS1_11target_archE910ELNS1_3gpuE8ELNS1_3repE0EEENS1_30default_config_static_selectorELNS0_4arch9wavefront6targetE0EEEvT1_
	.p2align	8
	.type	_ZN7rocprim17ROCPRIM_400000_NS6detail17trampoline_kernelINS0_14default_configENS1_25partition_config_selectorILNS1_17partition_subalgoE5ElNS0_10empty_typeEbEEZZNS1_14partition_implILS5_5ELb0ES3_mN6hipcub16HIPCUB_304000_NS21CountingInputIteratorIllEEPS6_NSA_22TransformInputIteratorIbN2at6native12_GLOBAL__N_19NonZeroOpIN3c107complexINSJ_4HalfEEEEEPKSM_lEENS0_5tupleIJPlS6_EEENSR_IJSD_SD_EEES6_PiJS6_EEE10hipError_tPvRmT3_T4_T5_T6_T7_T9_mT8_P12ihipStream_tbDpT10_ENKUlT_T0_E_clISt17integral_constantIbLb1EES1E_IbLb0EEEEDaS1A_S1B_EUlS1A_E_NS1_11comp_targetILNS1_3genE4ELNS1_11target_archE910ELNS1_3gpuE8ELNS1_3repE0EEENS1_30default_config_static_selectorELNS0_4arch9wavefront6targetE0EEEvT1_,@function
_ZN7rocprim17ROCPRIM_400000_NS6detail17trampoline_kernelINS0_14default_configENS1_25partition_config_selectorILNS1_17partition_subalgoE5ElNS0_10empty_typeEbEEZZNS1_14partition_implILS5_5ELb0ES3_mN6hipcub16HIPCUB_304000_NS21CountingInputIteratorIllEEPS6_NSA_22TransformInputIteratorIbN2at6native12_GLOBAL__N_19NonZeroOpIN3c107complexINSJ_4HalfEEEEEPKSM_lEENS0_5tupleIJPlS6_EEENSR_IJSD_SD_EEES6_PiJS6_EEE10hipError_tPvRmT3_T4_T5_T6_T7_T9_mT8_P12ihipStream_tbDpT10_ENKUlT_T0_E_clISt17integral_constantIbLb1EES1E_IbLb0EEEEDaS1A_S1B_EUlS1A_E_NS1_11comp_targetILNS1_3genE4ELNS1_11target_archE910ELNS1_3gpuE8ELNS1_3repE0EEENS1_30default_config_static_selectorELNS0_4arch9wavefront6targetE0EEEvT1_: ; @_ZN7rocprim17ROCPRIM_400000_NS6detail17trampoline_kernelINS0_14default_configENS1_25partition_config_selectorILNS1_17partition_subalgoE5ElNS0_10empty_typeEbEEZZNS1_14partition_implILS5_5ELb0ES3_mN6hipcub16HIPCUB_304000_NS21CountingInputIteratorIllEEPS6_NSA_22TransformInputIteratorIbN2at6native12_GLOBAL__N_19NonZeroOpIN3c107complexINSJ_4HalfEEEEEPKSM_lEENS0_5tupleIJPlS6_EEENSR_IJSD_SD_EEES6_PiJS6_EEE10hipError_tPvRmT3_T4_T5_T6_T7_T9_mT8_P12ihipStream_tbDpT10_ENKUlT_T0_E_clISt17integral_constantIbLb1EES1E_IbLb0EEEEDaS1A_S1B_EUlS1A_E_NS1_11comp_targetILNS1_3genE4ELNS1_11target_archE910ELNS1_3gpuE8ELNS1_3repE0EEENS1_30default_config_static_selectorELNS0_4arch9wavefront6targetE0EEEvT1_
; %bb.0:
	.section	.rodata,"a",@progbits
	.p2align	6, 0x0
	.amdhsa_kernel _ZN7rocprim17ROCPRIM_400000_NS6detail17trampoline_kernelINS0_14default_configENS1_25partition_config_selectorILNS1_17partition_subalgoE5ElNS0_10empty_typeEbEEZZNS1_14partition_implILS5_5ELb0ES3_mN6hipcub16HIPCUB_304000_NS21CountingInputIteratorIllEEPS6_NSA_22TransformInputIteratorIbN2at6native12_GLOBAL__N_19NonZeroOpIN3c107complexINSJ_4HalfEEEEEPKSM_lEENS0_5tupleIJPlS6_EEENSR_IJSD_SD_EEES6_PiJS6_EEE10hipError_tPvRmT3_T4_T5_T6_T7_T9_mT8_P12ihipStream_tbDpT10_ENKUlT_T0_E_clISt17integral_constantIbLb1EES1E_IbLb0EEEEDaS1A_S1B_EUlS1A_E_NS1_11comp_targetILNS1_3genE4ELNS1_11target_archE910ELNS1_3gpuE8ELNS1_3repE0EEENS1_30default_config_static_selectorELNS0_4arch9wavefront6targetE0EEEvT1_
		.amdhsa_group_segment_fixed_size 0
		.amdhsa_private_segment_fixed_size 0
		.amdhsa_kernarg_size 120
		.amdhsa_user_sgpr_count 2
		.amdhsa_user_sgpr_dispatch_ptr 0
		.amdhsa_user_sgpr_queue_ptr 0
		.amdhsa_user_sgpr_kernarg_segment_ptr 1
		.amdhsa_user_sgpr_dispatch_id 0
		.amdhsa_user_sgpr_private_segment_size 0
		.amdhsa_wavefront_size32 1
		.amdhsa_uses_dynamic_stack 0
		.amdhsa_enable_private_segment 0
		.amdhsa_system_sgpr_workgroup_id_x 1
		.amdhsa_system_sgpr_workgroup_id_y 0
		.amdhsa_system_sgpr_workgroup_id_z 0
		.amdhsa_system_sgpr_workgroup_info 0
		.amdhsa_system_vgpr_workitem_id 0
		.amdhsa_next_free_vgpr 1
		.amdhsa_next_free_sgpr 1
		.amdhsa_reserve_vcc 0
		.amdhsa_float_round_mode_32 0
		.amdhsa_float_round_mode_16_64 0
		.amdhsa_float_denorm_mode_32 3
		.amdhsa_float_denorm_mode_16_64 3
		.amdhsa_fp16_overflow 0
		.amdhsa_workgroup_processor_mode 1
		.amdhsa_memory_ordered 1
		.amdhsa_forward_progress 1
		.amdhsa_inst_pref_size 0
		.amdhsa_round_robin_scheduling 0
		.amdhsa_exception_fp_ieee_invalid_op 0
		.amdhsa_exception_fp_denorm_src 0
		.amdhsa_exception_fp_ieee_div_zero 0
		.amdhsa_exception_fp_ieee_overflow 0
		.amdhsa_exception_fp_ieee_underflow 0
		.amdhsa_exception_fp_ieee_inexact 0
		.amdhsa_exception_int_div_zero 0
	.end_amdhsa_kernel
	.section	.text._ZN7rocprim17ROCPRIM_400000_NS6detail17trampoline_kernelINS0_14default_configENS1_25partition_config_selectorILNS1_17partition_subalgoE5ElNS0_10empty_typeEbEEZZNS1_14partition_implILS5_5ELb0ES3_mN6hipcub16HIPCUB_304000_NS21CountingInputIteratorIllEEPS6_NSA_22TransformInputIteratorIbN2at6native12_GLOBAL__N_19NonZeroOpIN3c107complexINSJ_4HalfEEEEEPKSM_lEENS0_5tupleIJPlS6_EEENSR_IJSD_SD_EEES6_PiJS6_EEE10hipError_tPvRmT3_T4_T5_T6_T7_T9_mT8_P12ihipStream_tbDpT10_ENKUlT_T0_E_clISt17integral_constantIbLb1EES1E_IbLb0EEEEDaS1A_S1B_EUlS1A_E_NS1_11comp_targetILNS1_3genE4ELNS1_11target_archE910ELNS1_3gpuE8ELNS1_3repE0EEENS1_30default_config_static_selectorELNS0_4arch9wavefront6targetE0EEEvT1_,"axG",@progbits,_ZN7rocprim17ROCPRIM_400000_NS6detail17trampoline_kernelINS0_14default_configENS1_25partition_config_selectorILNS1_17partition_subalgoE5ElNS0_10empty_typeEbEEZZNS1_14partition_implILS5_5ELb0ES3_mN6hipcub16HIPCUB_304000_NS21CountingInputIteratorIllEEPS6_NSA_22TransformInputIteratorIbN2at6native12_GLOBAL__N_19NonZeroOpIN3c107complexINSJ_4HalfEEEEEPKSM_lEENS0_5tupleIJPlS6_EEENSR_IJSD_SD_EEES6_PiJS6_EEE10hipError_tPvRmT3_T4_T5_T6_T7_T9_mT8_P12ihipStream_tbDpT10_ENKUlT_T0_E_clISt17integral_constantIbLb1EES1E_IbLb0EEEEDaS1A_S1B_EUlS1A_E_NS1_11comp_targetILNS1_3genE4ELNS1_11target_archE910ELNS1_3gpuE8ELNS1_3repE0EEENS1_30default_config_static_selectorELNS0_4arch9wavefront6targetE0EEEvT1_,comdat
.Lfunc_end680:
	.size	_ZN7rocprim17ROCPRIM_400000_NS6detail17trampoline_kernelINS0_14default_configENS1_25partition_config_selectorILNS1_17partition_subalgoE5ElNS0_10empty_typeEbEEZZNS1_14partition_implILS5_5ELb0ES3_mN6hipcub16HIPCUB_304000_NS21CountingInputIteratorIllEEPS6_NSA_22TransformInputIteratorIbN2at6native12_GLOBAL__N_19NonZeroOpIN3c107complexINSJ_4HalfEEEEEPKSM_lEENS0_5tupleIJPlS6_EEENSR_IJSD_SD_EEES6_PiJS6_EEE10hipError_tPvRmT3_T4_T5_T6_T7_T9_mT8_P12ihipStream_tbDpT10_ENKUlT_T0_E_clISt17integral_constantIbLb1EES1E_IbLb0EEEEDaS1A_S1B_EUlS1A_E_NS1_11comp_targetILNS1_3genE4ELNS1_11target_archE910ELNS1_3gpuE8ELNS1_3repE0EEENS1_30default_config_static_selectorELNS0_4arch9wavefront6targetE0EEEvT1_, .Lfunc_end680-_ZN7rocprim17ROCPRIM_400000_NS6detail17trampoline_kernelINS0_14default_configENS1_25partition_config_selectorILNS1_17partition_subalgoE5ElNS0_10empty_typeEbEEZZNS1_14partition_implILS5_5ELb0ES3_mN6hipcub16HIPCUB_304000_NS21CountingInputIteratorIllEEPS6_NSA_22TransformInputIteratorIbN2at6native12_GLOBAL__N_19NonZeroOpIN3c107complexINSJ_4HalfEEEEEPKSM_lEENS0_5tupleIJPlS6_EEENSR_IJSD_SD_EEES6_PiJS6_EEE10hipError_tPvRmT3_T4_T5_T6_T7_T9_mT8_P12ihipStream_tbDpT10_ENKUlT_T0_E_clISt17integral_constantIbLb1EES1E_IbLb0EEEEDaS1A_S1B_EUlS1A_E_NS1_11comp_targetILNS1_3genE4ELNS1_11target_archE910ELNS1_3gpuE8ELNS1_3repE0EEENS1_30default_config_static_selectorELNS0_4arch9wavefront6targetE0EEEvT1_
                                        ; -- End function
	.set _ZN7rocprim17ROCPRIM_400000_NS6detail17trampoline_kernelINS0_14default_configENS1_25partition_config_selectorILNS1_17partition_subalgoE5ElNS0_10empty_typeEbEEZZNS1_14partition_implILS5_5ELb0ES3_mN6hipcub16HIPCUB_304000_NS21CountingInputIteratorIllEEPS6_NSA_22TransformInputIteratorIbN2at6native12_GLOBAL__N_19NonZeroOpIN3c107complexINSJ_4HalfEEEEEPKSM_lEENS0_5tupleIJPlS6_EEENSR_IJSD_SD_EEES6_PiJS6_EEE10hipError_tPvRmT3_T4_T5_T6_T7_T9_mT8_P12ihipStream_tbDpT10_ENKUlT_T0_E_clISt17integral_constantIbLb1EES1E_IbLb0EEEEDaS1A_S1B_EUlS1A_E_NS1_11comp_targetILNS1_3genE4ELNS1_11target_archE910ELNS1_3gpuE8ELNS1_3repE0EEENS1_30default_config_static_selectorELNS0_4arch9wavefront6targetE0EEEvT1_.num_vgpr, 0
	.set _ZN7rocprim17ROCPRIM_400000_NS6detail17trampoline_kernelINS0_14default_configENS1_25partition_config_selectorILNS1_17partition_subalgoE5ElNS0_10empty_typeEbEEZZNS1_14partition_implILS5_5ELb0ES3_mN6hipcub16HIPCUB_304000_NS21CountingInputIteratorIllEEPS6_NSA_22TransformInputIteratorIbN2at6native12_GLOBAL__N_19NonZeroOpIN3c107complexINSJ_4HalfEEEEEPKSM_lEENS0_5tupleIJPlS6_EEENSR_IJSD_SD_EEES6_PiJS6_EEE10hipError_tPvRmT3_T4_T5_T6_T7_T9_mT8_P12ihipStream_tbDpT10_ENKUlT_T0_E_clISt17integral_constantIbLb1EES1E_IbLb0EEEEDaS1A_S1B_EUlS1A_E_NS1_11comp_targetILNS1_3genE4ELNS1_11target_archE910ELNS1_3gpuE8ELNS1_3repE0EEENS1_30default_config_static_selectorELNS0_4arch9wavefront6targetE0EEEvT1_.num_agpr, 0
	.set _ZN7rocprim17ROCPRIM_400000_NS6detail17trampoline_kernelINS0_14default_configENS1_25partition_config_selectorILNS1_17partition_subalgoE5ElNS0_10empty_typeEbEEZZNS1_14partition_implILS5_5ELb0ES3_mN6hipcub16HIPCUB_304000_NS21CountingInputIteratorIllEEPS6_NSA_22TransformInputIteratorIbN2at6native12_GLOBAL__N_19NonZeroOpIN3c107complexINSJ_4HalfEEEEEPKSM_lEENS0_5tupleIJPlS6_EEENSR_IJSD_SD_EEES6_PiJS6_EEE10hipError_tPvRmT3_T4_T5_T6_T7_T9_mT8_P12ihipStream_tbDpT10_ENKUlT_T0_E_clISt17integral_constantIbLb1EES1E_IbLb0EEEEDaS1A_S1B_EUlS1A_E_NS1_11comp_targetILNS1_3genE4ELNS1_11target_archE910ELNS1_3gpuE8ELNS1_3repE0EEENS1_30default_config_static_selectorELNS0_4arch9wavefront6targetE0EEEvT1_.numbered_sgpr, 0
	.set _ZN7rocprim17ROCPRIM_400000_NS6detail17trampoline_kernelINS0_14default_configENS1_25partition_config_selectorILNS1_17partition_subalgoE5ElNS0_10empty_typeEbEEZZNS1_14partition_implILS5_5ELb0ES3_mN6hipcub16HIPCUB_304000_NS21CountingInputIteratorIllEEPS6_NSA_22TransformInputIteratorIbN2at6native12_GLOBAL__N_19NonZeroOpIN3c107complexINSJ_4HalfEEEEEPKSM_lEENS0_5tupleIJPlS6_EEENSR_IJSD_SD_EEES6_PiJS6_EEE10hipError_tPvRmT3_T4_T5_T6_T7_T9_mT8_P12ihipStream_tbDpT10_ENKUlT_T0_E_clISt17integral_constantIbLb1EES1E_IbLb0EEEEDaS1A_S1B_EUlS1A_E_NS1_11comp_targetILNS1_3genE4ELNS1_11target_archE910ELNS1_3gpuE8ELNS1_3repE0EEENS1_30default_config_static_selectorELNS0_4arch9wavefront6targetE0EEEvT1_.num_named_barrier, 0
	.set _ZN7rocprim17ROCPRIM_400000_NS6detail17trampoline_kernelINS0_14default_configENS1_25partition_config_selectorILNS1_17partition_subalgoE5ElNS0_10empty_typeEbEEZZNS1_14partition_implILS5_5ELb0ES3_mN6hipcub16HIPCUB_304000_NS21CountingInputIteratorIllEEPS6_NSA_22TransformInputIteratorIbN2at6native12_GLOBAL__N_19NonZeroOpIN3c107complexINSJ_4HalfEEEEEPKSM_lEENS0_5tupleIJPlS6_EEENSR_IJSD_SD_EEES6_PiJS6_EEE10hipError_tPvRmT3_T4_T5_T6_T7_T9_mT8_P12ihipStream_tbDpT10_ENKUlT_T0_E_clISt17integral_constantIbLb1EES1E_IbLb0EEEEDaS1A_S1B_EUlS1A_E_NS1_11comp_targetILNS1_3genE4ELNS1_11target_archE910ELNS1_3gpuE8ELNS1_3repE0EEENS1_30default_config_static_selectorELNS0_4arch9wavefront6targetE0EEEvT1_.private_seg_size, 0
	.set _ZN7rocprim17ROCPRIM_400000_NS6detail17trampoline_kernelINS0_14default_configENS1_25partition_config_selectorILNS1_17partition_subalgoE5ElNS0_10empty_typeEbEEZZNS1_14partition_implILS5_5ELb0ES3_mN6hipcub16HIPCUB_304000_NS21CountingInputIteratorIllEEPS6_NSA_22TransformInputIteratorIbN2at6native12_GLOBAL__N_19NonZeroOpIN3c107complexINSJ_4HalfEEEEEPKSM_lEENS0_5tupleIJPlS6_EEENSR_IJSD_SD_EEES6_PiJS6_EEE10hipError_tPvRmT3_T4_T5_T6_T7_T9_mT8_P12ihipStream_tbDpT10_ENKUlT_T0_E_clISt17integral_constantIbLb1EES1E_IbLb0EEEEDaS1A_S1B_EUlS1A_E_NS1_11comp_targetILNS1_3genE4ELNS1_11target_archE910ELNS1_3gpuE8ELNS1_3repE0EEENS1_30default_config_static_selectorELNS0_4arch9wavefront6targetE0EEEvT1_.uses_vcc, 0
	.set _ZN7rocprim17ROCPRIM_400000_NS6detail17trampoline_kernelINS0_14default_configENS1_25partition_config_selectorILNS1_17partition_subalgoE5ElNS0_10empty_typeEbEEZZNS1_14partition_implILS5_5ELb0ES3_mN6hipcub16HIPCUB_304000_NS21CountingInputIteratorIllEEPS6_NSA_22TransformInputIteratorIbN2at6native12_GLOBAL__N_19NonZeroOpIN3c107complexINSJ_4HalfEEEEEPKSM_lEENS0_5tupleIJPlS6_EEENSR_IJSD_SD_EEES6_PiJS6_EEE10hipError_tPvRmT3_T4_T5_T6_T7_T9_mT8_P12ihipStream_tbDpT10_ENKUlT_T0_E_clISt17integral_constantIbLb1EES1E_IbLb0EEEEDaS1A_S1B_EUlS1A_E_NS1_11comp_targetILNS1_3genE4ELNS1_11target_archE910ELNS1_3gpuE8ELNS1_3repE0EEENS1_30default_config_static_selectorELNS0_4arch9wavefront6targetE0EEEvT1_.uses_flat_scratch, 0
	.set _ZN7rocprim17ROCPRIM_400000_NS6detail17trampoline_kernelINS0_14default_configENS1_25partition_config_selectorILNS1_17partition_subalgoE5ElNS0_10empty_typeEbEEZZNS1_14partition_implILS5_5ELb0ES3_mN6hipcub16HIPCUB_304000_NS21CountingInputIteratorIllEEPS6_NSA_22TransformInputIteratorIbN2at6native12_GLOBAL__N_19NonZeroOpIN3c107complexINSJ_4HalfEEEEEPKSM_lEENS0_5tupleIJPlS6_EEENSR_IJSD_SD_EEES6_PiJS6_EEE10hipError_tPvRmT3_T4_T5_T6_T7_T9_mT8_P12ihipStream_tbDpT10_ENKUlT_T0_E_clISt17integral_constantIbLb1EES1E_IbLb0EEEEDaS1A_S1B_EUlS1A_E_NS1_11comp_targetILNS1_3genE4ELNS1_11target_archE910ELNS1_3gpuE8ELNS1_3repE0EEENS1_30default_config_static_selectorELNS0_4arch9wavefront6targetE0EEEvT1_.has_dyn_sized_stack, 0
	.set _ZN7rocprim17ROCPRIM_400000_NS6detail17trampoline_kernelINS0_14default_configENS1_25partition_config_selectorILNS1_17partition_subalgoE5ElNS0_10empty_typeEbEEZZNS1_14partition_implILS5_5ELb0ES3_mN6hipcub16HIPCUB_304000_NS21CountingInputIteratorIllEEPS6_NSA_22TransformInputIteratorIbN2at6native12_GLOBAL__N_19NonZeroOpIN3c107complexINSJ_4HalfEEEEEPKSM_lEENS0_5tupleIJPlS6_EEENSR_IJSD_SD_EEES6_PiJS6_EEE10hipError_tPvRmT3_T4_T5_T6_T7_T9_mT8_P12ihipStream_tbDpT10_ENKUlT_T0_E_clISt17integral_constantIbLb1EES1E_IbLb0EEEEDaS1A_S1B_EUlS1A_E_NS1_11comp_targetILNS1_3genE4ELNS1_11target_archE910ELNS1_3gpuE8ELNS1_3repE0EEENS1_30default_config_static_selectorELNS0_4arch9wavefront6targetE0EEEvT1_.has_recursion, 0
	.set _ZN7rocprim17ROCPRIM_400000_NS6detail17trampoline_kernelINS0_14default_configENS1_25partition_config_selectorILNS1_17partition_subalgoE5ElNS0_10empty_typeEbEEZZNS1_14partition_implILS5_5ELb0ES3_mN6hipcub16HIPCUB_304000_NS21CountingInputIteratorIllEEPS6_NSA_22TransformInputIteratorIbN2at6native12_GLOBAL__N_19NonZeroOpIN3c107complexINSJ_4HalfEEEEEPKSM_lEENS0_5tupleIJPlS6_EEENSR_IJSD_SD_EEES6_PiJS6_EEE10hipError_tPvRmT3_T4_T5_T6_T7_T9_mT8_P12ihipStream_tbDpT10_ENKUlT_T0_E_clISt17integral_constantIbLb1EES1E_IbLb0EEEEDaS1A_S1B_EUlS1A_E_NS1_11comp_targetILNS1_3genE4ELNS1_11target_archE910ELNS1_3gpuE8ELNS1_3repE0EEENS1_30default_config_static_selectorELNS0_4arch9wavefront6targetE0EEEvT1_.has_indirect_call, 0
	.section	.AMDGPU.csdata,"",@progbits
; Kernel info:
; codeLenInByte = 0
; TotalNumSgprs: 0
; NumVgprs: 0
; ScratchSize: 0
; MemoryBound: 0
; FloatMode: 240
; IeeeMode: 1
; LDSByteSize: 0 bytes/workgroup (compile time only)
; SGPRBlocks: 0
; VGPRBlocks: 0
; NumSGPRsForWavesPerEU: 1
; NumVGPRsForWavesPerEU: 1
; Occupancy: 16
; WaveLimiterHint : 0
; COMPUTE_PGM_RSRC2:SCRATCH_EN: 0
; COMPUTE_PGM_RSRC2:USER_SGPR: 2
; COMPUTE_PGM_RSRC2:TRAP_HANDLER: 0
; COMPUTE_PGM_RSRC2:TGID_X_EN: 1
; COMPUTE_PGM_RSRC2:TGID_Y_EN: 0
; COMPUTE_PGM_RSRC2:TGID_Z_EN: 0
; COMPUTE_PGM_RSRC2:TIDIG_COMP_CNT: 0
	.section	.text._ZN7rocprim17ROCPRIM_400000_NS6detail17trampoline_kernelINS0_14default_configENS1_25partition_config_selectorILNS1_17partition_subalgoE5ElNS0_10empty_typeEbEEZZNS1_14partition_implILS5_5ELb0ES3_mN6hipcub16HIPCUB_304000_NS21CountingInputIteratorIllEEPS6_NSA_22TransformInputIteratorIbN2at6native12_GLOBAL__N_19NonZeroOpIN3c107complexINSJ_4HalfEEEEEPKSM_lEENS0_5tupleIJPlS6_EEENSR_IJSD_SD_EEES6_PiJS6_EEE10hipError_tPvRmT3_T4_T5_T6_T7_T9_mT8_P12ihipStream_tbDpT10_ENKUlT_T0_E_clISt17integral_constantIbLb1EES1E_IbLb0EEEEDaS1A_S1B_EUlS1A_E_NS1_11comp_targetILNS1_3genE3ELNS1_11target_archE908ELNS1_3gpuE7ELNS1_3repE0EEENS1_30default_config_static_selectorELNS0_4arch9wavefront6targetE0EEEvT1_,"axG",@progbits,_ZN7rocprim17ROCPRIM_400000_NS6detail17trampoline_kernelINS0_14default_configENS1_25partition_config_selectorILNS1_17partition_subalgoE5ElNS0_10empty_typeEbEEZZNS1_14partition_implILS5_5ELb0ES3_mN6hipcub16HIPCUB_304000_NS21CountingInputIteratorIllEEPS6_NSA_22TransformInputIteratorIbN2at6native12_GLOBAL__N_19NonZeroOpIN3c107complexINSJ_4HalfEEEEEPKSM_lEENS0_5tupleIJPlS6_EEENSR_IJSD_SD_EEES6_PiJS6_EEE10hipError_tPvRmT3_T4_T5_T6_T7_T9_mT8_P12ihipStream_tbDpT10_ENKUlT_T0_E_clISt17integral_constantIbLb1EES1E_IbLb0EEEEDaS1A_S1B_EUlS1A_E_NS1_11comp_targetILNS1_3genE3ELNS1_11target_archE908ELNS1_3gpuE7ELNS1_3repE0EEENS1_30default_config_static_selectorELNS0_4arch9wavefront6targetE0EEEvT1_,comdat
	.globl	_ZN7rocprim17ROCPRIM_400000_NS6detail17trampoline_kernelINS0_14default_configENS1_25partition_config_selectorILNS1_17partition_subalgoE5ElNS0_10empty_typeEbEEZZNS1_14partition_implILS5_5ELb0ES3_mN6hipcub16HIPCUB_304000_NS21CountingInputIteratorIllEEPS6_NSA_22TransformInputIteratorIbN2at6native12_GLOBAL__N_19NonZeroOpIN3c107complexINSJ_4HalfEEEEEPKSM_lEENS0_5tupleIJPlS6_EEENSR_IJSD_SD_EEES6_PiJS6_EEE10hipError_tPvRmT3_T4_T5_T6_T7_T9_mT8_P12ihipStream_tbDpT10_ENKUlT_T0_E_clISt17integral_constantIbLb1EES1E_IbLb0EEEEDaS1A_S1B_EUlS1A_E_NS1_11comp_targetILNS1_3genE3ELNS1_11target_archE908ELNS1_3gpuE7ELNS1_3repE0EEENS1_30default_config_static_selectorELNS0_4arch9wavefront6targetE0EEEvT1_ ; -- Begin function _ZN7rocprim17ROCPRIM_400000_NS6detail17trampoline_kernelINS0_14default_configENS1_25partition_config_selectorILNS1_17partition_subalgoE5ElNS0_10empty_typeEbEEZZNS1_14partition_implILS5_5ELb0ES3_mN6hipcub16HIPCUB_304000_NS21CountingInputIteratorIllEEPS6_NSA_22TransformInputIteratorIbN2at6native12_GLOBAL__N_19NonZeroOpIN3c107complexINSJ_4HalfEEEEEPKSM_lEENS0_5tupleIJPlS6_EEENSR_IJSD_SD_EEES6_PiJS6_EEE10hipError_tPvRmT3_T4_T5_T6_T7_T9_mT8_P12ihipStream_tbDpT10_ENKUlT_T0_E_clISt17integral_constantIbLb1EES1E_IbLb0EEEEDaS1A_S1B_EUlS1A_E_NS1_11comp_targetILNS1_3genE3ELNS1_11target_archE908ELNS1_3gpuE7ELNS1_3repE0EEENS1_30default_config_static_selectorELNS0_4arch9wavefront6targetE0EEEvT1_
	.p2align	8
	.type	_ZN7rocprim17ROCPRIM_400000_NS6detail17trampoline_kernelINS0_14default_configENS1_25partition_config_selectorILNS1_17partition_subalgoE5ElNS0_10empty_typeEbEEZZNS1_14partition_implILS5_5ELb0ES3_mN6hipcub16HIPCUB_304000_NS21CountingInputIteratorIllEEPS6_NSA_22TransformInputIteratorIbN2at6native12_GLOBAL__N_19NonZeroOpIN3c107complexINSJ_4HalfEEEEEPKSM_lEENS0_5tupleIJPlS6_EEENSR_IJSD_SD_EEES6_PiJS6_EEE10hipError_tPvRmT3_T4_T5_T6_T7_T9_mT8_P12ihipStream_tbDpT10_ENKUlT_T0_E_clISt17integral_constantIbLb1EES1E_IbLb0EEEEDaS1A_S1B_EUlS1A_E_NS1_11comp_targetILNS1_3genE3ELNS1_11target_archE908ELNS1_3gpuE7ELNS1_3repE0EEENS1_30default_config_static_selectorELNS0_4arch9wavefront6targetE0EEEvT1_,@function
_ZN7rocprim17ROCPRIM_400000_NS6detail17trampoline_kernelINS0_14default_configENS1_25partition_config_selectorILNS1_17partition_subalgoE5ElNS0_10empty_typeEbEEZZNS1_14partition_implILS5_5ELb0ES3_mN6hipcub16HIPCUB_304000_NS21CountingInputIteratorIllEEPS6_NSA_22TransformInputIteratorIbN2at6native12_GLOBAL__N_19NonZeroOpIN3c107complexINSJ_4HalfEEEEEPKSM_lEENS0_5tupleIJPlS6_EEENSR_IJSD_SD_EEES6_PiJS6_EEE10hipError_tPvRmT3_T4_T5_T6_T7_T9_mT8_P12ihipStream_tbDpT10_ENKUlT_T0_E_clISt17integral_constantIbLb1EES1E_IbLb0EEEEDaS1A_S1B_EUlS1A_E_NS1_11comp_targetILNS1_3genE3ELNS1_11target_archE908ELNS1_3gpuE7ELNS1_3repE0EEENS1_30default_config_static_selectorELNS0_4arch9wavefront6targetE0EEEvT1_: ; @_ZN7rocprim17ROCPRIM_400000_NS6detail17trampoline_kernelINS0_14default_configENS1_25partition_config_selectorILNS1_17partition_subalgoE5ElNS0_10empty_typeEbEEZZNS1_14partition_implILS5_5ELb0ES3_mN6hipcub16HIPCUB_304000_NS21CountingInputIteratorIllEEPS6_NSA_22TransformInputIteratorIbN2at6native12_GLOBAL__N_19NonZeroOpIN3c107complexINSJ_4HalfEEEEEPKSM_lEENS0_5tupleIJPlS6_EEENSR_IJSD_SD_EEES6_PiJS6_EEE10hipError_tPvRmT3_T4_T5_T6_T7_T9_mT8_P12ihipStream_tbDpT10_ENKUlT_T0_E_clISt17integral_constantIbLb1EES1E_IbLb0EEEEDaS1A_S1B_EUlS1A_E_NS1_11comp_targetILNS1_3genE3ELNS1_11target_archE908ELNS1_3gpuE7ELNS1_3repE0EEENS1_30default_config_static_selectorELNS0_4arch9wavefront6targetE0EEEvT1_
; %bb.0:
	.section	.rodata,"a",@progbits
	.p2align	6, 0x0
	.amdhsa_kernel _ZN7rocprim17ROCPRIM_400000_NS6detail17trampoline_kernelINS0_14default_configENS1_25partition_config_selectorILNS1_17partition_subalgoE5ElNS0_10empty_typeEbEEZZNS1_14partition_implILS5_5ELb0ES3_mN6hipcub16HIPCUB_304000_NS21CountingInputIteratorIllEEPS6_NSA_22TransformInputIteratorIbN2at6native12_GLOBAL__N_19NonZeroOpIN3c107complexINSJ_4HalfEEEEEPKSM_lEENS0_5tupleIJPlS6_EEENSR_IJSD_SD_EEES6_PiJS6_EEE10hipError_tPvRmT3_T4_T5_T6_T7_T9_mT8_P12ihipStream_tbDpT10_ENKUlT_T0_E_clISt17integral_constantIbLb1EES1E_IbLb0EEEEDaS1A_S1B_EUlS1A_E_NS1_11comp_targetILNS1_3genE3ELNS1_11target_archE908ELNS1_3gpuE7ELNS1_3repE0EEENS1_30default_config_static_selectorELNS0_4arch9wavefront6targetE0EEEvT1_
		.amdhsa_group_segment_fixed_size 0
		.amdhsa_private_segment_fixed_size 0
		.amdhsa_kernarg_size 120
		.amdhsa_user_sgpr_count 2
		.amdhsa_user_sgpr_dispatch_ptr 0
		.amdhsa_user_sgpr_queue_ptr 0
		.amdhsa_user_sgpr_kernarg_segment_ptr 1
		.amdhsa_user_sgpr_dispatch_id 0
		.amdhsa_user_sgpr_private_segment_size 0
		.amdhsa_wavefront_size32 1
		.amdhsa_uses_dynamic_stack 0
		.amdhsa_enable_private_segment 0
		.amdhsa_system_sgpr_workgroup_id_x 1
		.amdhsa_system_sgpr_workgroup_id_y 0
		.amdhsa_system_sgpr_workgroup_id_z 0
		.amdhsa_system_sgpr_workgroup_info 0
		.amdhsa_system_vgpr_workitem_id 0
		.amdhsa_next_free_vgpr 1
		.amdhsa_next_free_sgpr 1
		.amdhsa_reserve_vcc 0
		.amdhsa_float_round_mode_32 0
		.amdhsa_float_round_mode_16_64 0
		.amdhsa_float_denorm_mode_32 3
		.amdhsa_float_denorm_mode_16_64 3
		.amdhsa_fp16_overflow 0
		.amdhsa_workgroup_processor_mode 1
		.amdhsa_memory_ordered 1
		.amdhsa_forward_progress 1
		.amdhsa_inst_pref_size 0
		.amdhsa_round_robin_scheduling 0
		.amdhsa_exception_fp_ieee_invalid_op 0
		.amdhsa_exception_fp_denorm_src 0
		.amdhsa_exception_fp_ieee_div_zero 0
		.amdhsa_exception_fp_ieee_overflow 0
		.amdhsa_exception_fp_ieee_underflow 0
		.amdhsa_exception_fp_ieee_inexact 0
		.amdhsa_exception_int_div_zero 0
	.end_amdhsa_kernel
	.section	.text._ZN7rocprim17ROCPRIM_400000_NS6detail17trampoline_kernelINS0_14default_configENS1_25partition_config_selectorILNS1_17partition_subalgoE5ElNS0_10empty_typeEbEEZZNS1_14partition_implILS5_5ELb0ES3_mN6hipcub16HIPCUB_304000_NS21CountingInputIteratorIllEEPS6_NSA_22TransformInputIteratorIbN2at6native12_GLOBAL__N_19NonZeroOpIN3c107complexINSJ_4HalfEEEEEPKSM_lEENS0_5tupleIJPlS6_EEENSR_IJSD_SD_EEES6_PiJS6_EEE10hipError_tPvRmT3_T4_T5_T6_T7_T9_mT8_P12ihipStream_tbDpT10_ENKUlT_T0_E_clISt17integral_constantIbLb1EES1E_IbLb0EEEEDaS1A_S1B_EUlS1A_E_NS1_11comp_targetILNS1_3genE3ELNS1_11target_archE908ELNS1_3gpuE7ELNS1_3repE0EEENS1_30default_config_static_selectorELNS0_4arch9wavefront6targetE0EEEvT1_,"axG",@progbits,_ZN7rocprim17ROCPRIM_400000_NS6detail17trampoline_kernelINS0_14default_configENS1_25partition_config_selectorILNS1_17partition_subalgoE5ElNS0_10empty_typeEbEEZZNS1_14partition_implILS5_5ELb0ES3_mN6hipcub16HIPCUB_304000_NS21CountingInputIteratorIllEEPS6_NSA_22TransformInputIteratorIbN2at6native12_GLOBAL__N_19NonZeroOpIN3c107complexINSJ_4HalfEEEEEPKSM_lEENS0_5tupleIJPlS6_EEENSR_IJSD_SD_EEES6_PiJS6_EEE10hipError_tPvRmT3_T4_T5_T6_T7_T9_mT8_P12ihipStream_tbDpT10_ENKUlT_T0_E_clISt17integral_constantIbLb1EES1E_IbLb0EEEEDaS1A_S1B_EUlS1A_E_NS1_11comp_targetILNS1_3genE3ELNS1_11target_archE908ELNS1_3gpuE7ELNS1_3repE0EEENS1_30default_config_static_selectorELNS0_4arch9wavefront6targetE0EEEvT1_,comdat
.Lfunc_end681:
	.size	_ZN7rocprim17ROCPRIM_400000_NS6detail17trampoline_kernelINS0_14default_configENS1_25partition_config_selectorILNS1_17partition_subalgoE5ElNS0_10empty_typeEbEEZZNS1_14partition_implILS5_5ELb0ES3_mN6hipcub16HIPCUB_304000_NS21CountingInputIteratorIllEEPS6_NSA_22TransformInputIteratorIbN2at6native12_GLOBAL__N_19NonZeroOpIN3c107complexINSJ_4HalfEEEEEPKSM_lEENS0_5tupleIJPlS6_EEENSR_IJSD_SD_EEES6_PiJS6_EEE10hipError_tPvRmT3_T4_T5_T6_T7_T9_mT8_P12ihipStream_tbDpT10_ENKUlT_T0_E_clISt17integral_constantIbLb1EES1E_IbLb0EEEEDaS1A_S1B_EUlS1A_E_NS1_11comp_targetILNS1_3genE3ELNS1_11target_archE908ELNS1_3gpuE7ELNS1_3repE0EEENS1_30default_config_static_selectorELNS0_4arch9wavefront6targetE0EEEvT1_, .Lfunc_end681-_ZN7rocprim17ROCPRIM_400000_NS6detail17trampoline_kernelINS0_14default_configENS1_25partition_config_selectorILNS1_17partition_subalgoE5ElNS0_10empty_typeEbEEZZNS1_14partition_implILS5_5ELb0ES3_mN6hipcub16HIPCUB_304000_NS21CountingInputIteratorIllEEPS6_NSA_22TransformInputIteratorIbN2at6native12_GLOBAL__N_19NonZeroOpIN3c107complexINSJ_4HalfEEEEEPKSM_lEENS0_5tupleIJPlS6_EEENSR_IJSD_SD_EEES6_PiJS6_EEE10hipError_tPvRmT3_T4_T5_T6_T7_T9_mT8_P12ihipStream_tbDpT10_ENKUlT_T0_E_clISt17integral_constantIbLb1EES1E_IbLb0EEEEDaS1A_S1B_EUlS1A_E_NS1_11comp_targetILNS1_3genE3ELNS1_11target_archE908ELNS1_3gpuE7ELNS1_3repE0EEENS1_30default_config_static_selectorELNS0_4arch9wavefront6targetE0EEEvT1_
                                        ; -- End function
	.set _ZN7rocprim17ROCPRIM_400000_NS6detail17trampoline_kernelINS0_14default_configENS1_25partition_config_selectorILNS1_17partition_subalgoE5ElNS0_10empty_typeEbEEZZNS1_14partition_implILS5_5ELb0ES3_mN6hipcub16HIPCUB_304000_NS21CountingInputIteratorIllEEPS6_NSA_22TransformInputIteratorIbN2at6native12_GLOBAL__N_19NonZeroOpIN3c107complexINSJ_4HalfEEEEEPKSM_lEENS0_5tupleIJPlS6_EEENSR_IJSD_SD_EEES6_PiJS6_EEE10hipError_tPvRmT3_T4_T5_T6_T7_T9_mT8_P12ihipStream_tbDpT10_ENKUlT_T0_E_clISt17integral_constantIbLb1EES1E_IbLb0EEEEDaS1A_S1B_EUlS1A_E_NS1_11comp_targetILNS1_3genE3ELNS1_11target_archE908ELNS1_3gpuE7ELNS1_3repE0EEENS1_30default_config_static_selectorELNS0_4arch9wavefront6targetE0EEEvT1_.num_vgpr, 0
	.set _ZN7rocprim17ROCPRIM_400000_NS6detail17trampoline_kernelINS0_14default_configENS1_25partition_config_selectorILNS1_17partition_subalgoE5ElNS0_10empty_typeEbEEZZNS1_14partition_implILS5_5ELb0ES3_mN6hipcub16HIPCUB_304000_NS21CountingInputIteratorIllEEPS6_NSA_22TransformInputIteratorIbN2at6native12_GLOBAL__N_19NonZeroOpIN3c107complexINSJ_4HalfEEEEEPKSM_lEENS0_5tupleIJPlS6_EEENSR_IJSD_SD_EEES6_PiJS6_EEE10hipError_tPvRmT3_T4_T5_T6_T7_T9_mT8_P12ihipStream_tbDpT10_ENKUlT_T0_E_clISt17integral_constantIbLb1EES1E_IbLb0EEEEDaS1A_S1B_EUlS1A_E_NS1_11comp_targetILNS1_3genE3ELNS1_11target_archE908ELNS1_3gpuE7ELNS1_3repE0EEENS1_30default_config_static_selectorELNS0_4arch9wavefront6targetE0EEEvT1_.num_agpr, 0
	.set _ZN7rocprim17ROCPRIM_400000_NS6detail17trampoline_kernelINS0_14default_configENS1_25partition_config_selectorILNS1_17partition_subalgoE5ElNS0_10empty_typeEbEEZZNS1_14partition_implILS5_5ELb0ES3_mN6hipcub16HIPCUB_304000_NS21CountingInputIteratorIllEEPS6_NSA_22TransformInputIteratorIbN2at6native12_GLOBAL__N_19NonZeroOpIN3c107complexINSJ_4HalfEEEEEPKSM_lEENS0_5tupleIJPlS6_EEENSR_IJSD_SD_EEES6_PiJS6_EEE10hipError_tPvRmT3_T4_T5_T6_T7_T9_mT8_P12ihipStream_tbDpT10_ENKUlT_T0_E_clISt17integral_constantIbLb1EES1E_IbLb0EEEEDaS1A_S1B_EUlS1A_E_NS1_11comp_targetILNS1_3genE3ELNS1_11target_archE908ELNS1_3gpuE7ELNS1_3repE0EEENS1_30default_config_static_selectorELNS0_4arch9wavefront6targetE0EEEvT1_.numbered_sgpr, 0
	.set _ZN7rocprim17ROCPRIM_400000_NS6detail17trampoline_kernelINS0_14default_configENS1_25partition_config_selectorILNS1_17partition_subalgoE5ElNS0_10empty_typeEbEEZZNS1_14partition_implILS5_5ELb0ES3_mN6hipcub16HIPCUB_304000_NS21CountingInputIteratorIllEEPS6_NSA_22TransformInputIteratorIbN2at6native12_GLOBAL__N_19NonZeroOpIN3c107complexINSJ_4HalfEEEEEPKSM_lEENS0_5tupleIJPlS6_EEENSR_IJSD_SD_EEES6_PiJS6_EEE10hipError_tPvRmT3_T4_T5_T6_T7_T9_mT8_P12ihipStream_tbDpT10_ENKUlT_T0_E_clISt17integral_constantIbLb1EES1E_IbLb0EEEEDaS1A_S1B_EUlS1A_E_NS1_11comp_targetILNS1_3genE3ELNS1_11target_archE908ELNS1_3gpuE7ELNS1_3repE0EEENS1_30default_config_static_selectorELNS0_4arch9wavefront6targetE0EEEvT1_.num_named_barrier, 0
	.set _ZN7rocprim17ROCPRIM_400000_NS6detail17trampoline_kernelINS0_14default_configENS1_25partition_config_selectorILNS1_17partition_subalgoE5ElNS0_10empty_typeEbEEZZNS1_14partition_implILS5_5ELb0ES3_mN6hipcub16HIPCUB_304000_NS21CountingInputIteratorIllEEPS6_NSA_22TransformInputIteratorIbN2at6native12_GLOBAL__N_19NonZeroOpIN3c107complexINSJ_4HalfEEEEEPKSM_lEENS0_5tupleIJPlS6_EEENSR_IJSD_SD_EEES6_PiJS6_EEE10hipError_tPvRmT3_T4_T5_T6_T7_T9_mT8_P12ihipStream_tbDpT10_ENKUlT_T0_E_clISt17integral_constantIbLb1EES1E_IbLb0EEEEDaS1A_S1B_EUlS1A_E_NS1_11comp_targetILNS1_3genE3ELNS1_11target_archE908ELNS1_3gpuE7ELNS1_3repE0EEENS1_30default_config_static_selectorELNS0_4arch9wavefront6targetE0EEEvT1_.private_seg_size, 0
	.set _ZN7rocprim17ROCPRIM_400000_NS6detail17trampoline_kernelINS0_14default_configENS1_25partition_config_selectorILNS1_17partition_subalgoE5ElNS0_10empty_typeEbEEZZNS1_14partition_implILS5_5ELb0ES3_mN6hipcub16HIPCUB_304000_NS21CountingInputIteratorIllEEPS6_NSA_22TransformInputIteratorIbN2at6native12_GLOBAL__N_19NonZeroOpIN3c107complexINSJ_4HalfEEEEEPKSM_lEENS0_5tupleIJPlS6_EEENSR_IJSD_SD_EEES6_PiJS6_EEE10hipError_tPvRmT3_T4_T5_T6_T7_T9_mT8_P12ihipStream_tbDpT10_ENKUlT_T0_E_clISt17integral_constantIbLb1EES1E_IbLb0EEEEDaS1A_S1B_EUlS1A_E_NS1_11comp_targetILNS1_3genE3ELNS1_11target_archE908ELNS1_3gpuE7ELNS1_3repE0EEENS1_30default_config_static_selectorELNS0_4arch9wavefront6targetE0EEEvT1_.uses_vcc, 0
	.set _ZN7rocprim17ROCPRIM_400000_NS6detail17trampoline_kernelINS0_14default_configENS1_25partition_config_selectorILNS1_17partition_subalgoE5ElNS0_10empty_typeEbEEZZNS1_14partition_implILS5_5ELb0ES3_mN6hipcub16HIPCUB_304000_NS21CountingInputIteratorIllEEPS6_NSA_22TransformInputIteratorIbN2at6native12_GLOBAL__N_19NonZeroOpIN3c107complexINSJ_4HalfEEEEEPKSM_lEENS0_5tupleIJPlS6_EEENSR_IJSD_SD_EEES6_PiJS6_EEE10hipError_tPvRmT3_T4_T5_T6_T7_T9_mT8_P12ihipStream_tbDpT10_ENKUlT_T0_E_clISt17integral_constantIbLb1EES1E_IbLb0EEEEDaS1A_S1B_EUlS1A_E_NS1_11comp_targetILNS1_3genE3ELNS1_11target_archE908ELNS1_3gpuE7ELNS1_3repE0EEENS1_30default_config_static_selectorELNS0_4arch9wavefront6targetE0EEEvT1_.uses_flat_scratch, 0
	.set _ZN7rocprim17ROCPRIM_400000_NS6detail17trampoline_kernelINS0_14default_configENS1_25partition_config_selectorILNS1_17partition_subalgoE5ElNS0_10empty_typeEbEEZZNS1_14partition_implILS5_5ELb0ES3_mN6hipcub16HIPCUB_304000_NS21CountingInputIteratorIllEEPS6_NSA_22TransformInputIteratorIbN2at6native12_GLOBAL__N_19NonZeroOpIN3c107complexINSJ_4HalfEEEEEPKSM_lEENS0_5tupleIJPlS6_EEENSR_IJSD_SD_EEES6_PiJS6_EEE10hipError_tPvRmT3_T4_T5_T6_T7_T9_mT8_P12ihipStream_tbDpT10_ENKUlT_T0_E_clISt17integral_constantIbLb1EES1E_IbLb0EEEEDaS1A_S1B_EUlS1A_E_NS1_11comp_targetILNS1_3genE3ELNS1_11target_archE908ELNS1_3gpuE7ELNS1_3repE0EEENS1_30default_config_static_selectorELNS0_4arch9wavefront6targetE0EEEvT1_.has_dyn_sized_stack, 0
	.set _ZN7rocprim17ROCPRIM_400000_NS6detail17trampoline_kernelINS0_14default_configENS1_25partition_config_selectorILNS1_17partition_subalgoE5ElNS0_10empty_typeEbEEZZNS1_14partition_implILS5_5ELb0ES3_mN6hipcub16HIPCUB_304000_NS21CountingInputIteratorIllEEPS6_NSA_22TransformInputIteratorIbN2at6native12_GLOBAL__N_19NonZeroOpIN3c107complexINSJ_4HalfEEEEEPKSM_lEENS0_5tupleIJPlS6_EEENSR_IJSD_SD_EEES6_PiJS6_EEE10hipError_tPvRmT3_T4_T5_T6_T7_T9_mT8_P12ihipStream_tbDpT10_ENKUlT_T0_E_clISt17integral_constantIbLb1EES1E_IbLb0EEEEDaS1A_S1B_EUlS1A_E_NS1_11comp_targetILNS1_3genE3ELNS1_11target_archE908ELNS1_3gpuE7ELNS1_3repE0EEENS1_30default_config_static_selectorELNS0_4arch9wavefront6targetE0EEEvT1_.has_recursion, 0
	.set _ZN7rocprim17ROCPRIM_400000_NS6detail17trampoline_kernelINS0_14default_configENS1_25partition_config_selectorILNS1_17partition_subalgoE5ElNS0_10empty_typeEbEEZZNS1_14partition_implILS5_5ELb0ES3_mN6hipcub16HIPCUB_304000_NS21CountingInputIteratorIllEEPS6_NSA_22TransformInputIteratorIbN2at6native12_GLOBAL__N_19NonZeroOpIN3c107complexINSJ_4HalfEEEEEPKSM_lEENS0_5tupleIJPlS6_EEENSR_IJSD_SD_EEES6_PiJS6_EEE10hipError_tPvRmT3_T4_T5_T6_T7_T9_mT8_P12ihipStream_tbDpT10_ENKUlT_T0_E_clISt17integral_constantIbLb1EES1E_IbLb0EEEEDaS1A_S1B_EUlS1A_E_NS1_11comp_targetILNS1_3genE3ELNS1_11target_archE908ELNS1_3gpuE7ELNS1_3repE0EEENS1_30default_config_static_selectorELNS0_4arch9wavefront6targetE0EEEvT1_.has_indirect_call, 0
	.section	.AMDGPU.csdata,"",@progbits
; Kernel info:
; codeLenInByte = 0
; TotalNumSgprs: 0
; NumVgprs: 0
; ScratchSize: 0
; MemoryBound: 0
; FloatMode: 240
; IeeeMode: 1
; LDSByteSize: 0 bytes/workgroup (compile time only)
; SGPRBlocks: 0
; VGPRBlocks: 0
; NumSGPRsForWavesPerEU: 1
; NumVGPRsForWavesPerEU: 1
; Occupancy: 16
; WaveLimiterHint : 0
; COMPUTE_PGM_RSRC2:SCRATCH_EN: 0
; COMPUTE_PGM_RSRC2:USER_SGPR: 2
; COMPUTE_PGM_RSRC2:TRAP_HANDLER: 0
; COMPUTE_PGM_RSRC2:TGID_X_EN: 1
; COMPUTE_PGM_RSRC2:TGID_Y_EN: 0
; COMPUTE_PGM_RSRC2:TGID_Z_EN: 0
; COMPUTE_PGM_RSRC2:TIDIG_COMP_CNT: 0
	.section	.text._ZN7rocprim17ROCPRIM_400000_NS6detail17trampoline_kernelINS0_14default_configENS1_25partition_config_selectorILNS1_17partition_subalgoE5ElNS0_10empty_typeEbEEZZNS1_14partition_implILS5_5ELb0ES3_mN6hipcub16HIPCUB_304000_NS21CountingInputIteratorIllEEPS6_NSA_22TransformInputIteratorIbN2at6native12_GLOBAL__N_19NonZeroOpIN3c107complexINSJ_4HalfEEEEEPKSM_lEENS0_5tupleIJPlS6_EEENSR_IJSD_SD_EEES6_PiJS6_EEE10hipError_tPvRmT3_T4_T5_T6_T7_T9_mT8_P12ihipStream_tbDpT10_ENKUlT_T0_E_clISt17integral_constantIbLb1EES1E_IbLb0EEEEDaS1A_S1B_EUlS1A_E_NS1_11comp_targetILNS1_3genE2ELNS1_11target_archE906ELNS1_3gpuE6ELNS1_3repE0EEENS1_30default_config_static_selectorELNS0_4arch9wavefront6targetE0EEEvT1_,"axG",@progbits,_ZN7rocprim17ROCPRIM_400000_NS6detail17trampoline_kernelINS0_14default_configENS1_25partition_config_selectorILNS1_17partition_subalgoE5ElNS0_10empty_typeEbEEZZNS1_14partition_implILS5_5ELb0ES3_mN6hipcub16HIPCUB_304000_NS21CountingInputIteratorIllEEPS6_NSA_22TransformInputIteratorIbN2at6native12_GLOBAL__N_19NonZeroOpIN3c107complexINSJ_4HalfEEEEEPKSM_lEENS0_5tupleIJPlS6_EEENSR_IJSD_SD_EEES6_PiJS6_EEE10hipError_tPvRmT3_T4_T5_T6_T7_T9_mT8_P12ihipStream_tbDpT10_ENKUlT_T0_E_clISt17integral_constantIbLb1EES1E_IbLb0EEEEDaS1A_S1B_EUlS1A_E_NS1_11comp_targetILNS1_3genE2ELNS1_11target_archE906ELNS1_3gpuE6ELNS1_3repE0EEENS1_30default_config_static_selectorELNS0_4arch9wavefront6targetE0EEEvT1_,comdat
	.globl	_ZN7rocprim17ROCPRIM_400000_NS6detail17trampoline_kernelINS0_14default_configENS1_25partition_config_selectorILNS1_17partition_subalgoE5ElNS0_10empty_typeEbEEZZNS1_14partition_implILS5_5ELb0ES3_mN6hipcub16HIPCUB_304000_NS21CountingInputIteratorIllEEPS6_NSA_22TransformInputIteratorIbN2at6native12_GLOBAL__N_19NonZeroOpIN3c107complexINSJ_4HalfEEEEEPKSM_lEENS0_5tupleIJPlS6_EEENSR_IJSD_SD_EEES6_PiJS6_EEE10hipError_tPvRmT3_T4_T5_T6_T7_T9_mT8_P12ihipStream_tbDpT10_ENKUlT_T0_E_clISt17integral_constantIbLb1EES1E_IbLb0EEEEDaS1A_S1B_EUlS1A_E_NS1_11comp_targetILNS1_3genE2ELNS1_11target_archE906ELNS1_3gpuE6ELNS1_3repE0EEENS1_30default_config_static_selectorELNS0_4arch9wavefront6targetE0EEEvT1_ ; -- Begin function _ZN7rocprim17ROCPRIM_400000_NS6detail17trampoline_kernelINS0_14default_configENS1_25partition_config_selectorILNS1_17partition_subalgoE5ElNS0_10empty_typeEbEEZZNS1_14partition_implILS5_5ELb0ES3_mN6hipcub16HIPCUB_304000_NS21CountingInputIteratorIllEEPS6_NSA_22TransformInputIteratorIbN2at6native12_GLOBAL__N_19NonZeroOpIN3c107complexINSJ_4HalfEEEEEPKSM_lEENS0_5tupleIJPlS6_EEENSR_IJSD_SD_EEES6_PiJS6_EEE10hipError_tPvRmT3_T4_T5_T6_T7_T9_mT8_P12ihipStream_tbDpT10_ENKUlT_T0_E_clISt17integral_constantIbLb1EES1E_IbLb0EEEEDaS1A_S1B_EUlS1A_E_NS1_11comp_targetILNS1_3genE2ELNS1_11target_archE906ELNS1_3gpuE6ELNS1_3repE0EEENS1_30default_config_static_selectorELNS0_4arch9wavefront6targetE0EEEvT1_
	.p2align	8
	.type	_ZN7rocprim17ROCPRIM_400000_NS6detail17trampoline_kernelINS0_14default_configENS1_25partition_config_selectorILNS1_17partition_subalgoE5ElNS0_10empty_typeEbEEZZNS1_14partition_implILS5_5ELb0ES3_mN6hipcub16HIPCUB_304000_NS21CountingInputIteratorIllEEPS6_NSA_22TransformInputIteratorIbN2at6native12_GLOBAL__N_19NonZeroOpIN3c107complexINSJ_4HalfEEEEEPKSM_lEENS0_5tupleIJPlS6_EEENSR_IJSD_SD_EEES6_PiJS6_EEE10hipError_tPvRmT3_T4_T5_T6_T7_T9_mT8_P12ihipStream_tbDpT10_ENKUlT_T0_E_clISt17integral_constantIbLb1EES1E_IbLb0EEEEDaS1A_S1B_EUlS1A_E_NS1_11comp_targetILNS1_3genE2ELNS1_11target_archE906ELNS1_3gpuE6ELNS1_3repE0EEENS1_30default_config_static_selectorELNS0_4arch9wavefront6targetE0EEEvT1_,@function
_ZN7rocprim17ROCPRIM_400000_NS6detail17trampoline_kernelINS0_14default_configENS1_25partition_config_selectorILNS1_17partition_subalgoE5ElNS0_10empty_typeEbEEZZNS1_14partition_implILS5_5ELb0ES3_mN6hipcub16HIPCUB_304000_NS21CountingInputIteratorIllEEPS6_NSA_22TransformInputIteratorIbN2at6native12_GLOBAL__N_19NonZeroOpIN3c107complexINSJ_4HalfEEEEEPKSM_lEENS0_5tupleIJPlS6_EEENSR_IJSD_SD_EEES6_PiJS6_EEE10hipError_tPvRmT3_T4_T5_T6_T7_T9_mT8_P12ihipStream_tbDpT10_ENKUlT_T0_E_clISt17integral_constantIbLb1EES1E_IbLb0EEEEDaS1A_S1B_EUlS1A_E_NS1_11comp_targetILNS1_3genE2ELNS1_11target_archE906ELNS1_3gpuE6ELNS1_3repE0EEENS1_30default_config_static_selectorELNS0_4arch9wavefront6targetE0EEEvT1_: ; @_ZN7rocprim17ROCPRIM_400000_NS6detail17trampoline_kernelINS0_14default_configENS1_25partition_config_selectorILNS1_17partition_subalgoE5ElNS0_10empty_typeEbEEZZNS1_14partition_implILS5_5ELb0ES3_mN6hipcub16HIPCUB_304000_NS21CountingInputIteratorIllEEPS6_NSA_22TransformInputIteratorIbN2at6native12_GLOBAL__N_19NonZeroOpIN3c107complexINSJ_4HalfEEEEEPKSM_lEENS0_5tupleIJPlS6_EEENSR_IJSD_SD_EEES6_PiJS6_EEE10hipError_tPvRmT3_T4_T5_T6_T7_T9_mT8_P12ihipStream_tbDpT10_ENKUlT_T0_E_clISt17integral_constantIbLb1EES1E_IbLb0EEEEDaS1A_S1B_EUlS1A_E_NS1_11comp_targetILNS1_3genE2ELNS1_11target_archE906ELNS1_3gpuE6ELNS1_3repE0EEENS1_30default_config_static_selectorELNS0_4arch9wavefront6targetE0EEEvT1_
; %bb.0:
	.section	.rodata,"a",@progbits
	.p2align	6, 0x0
	.amdhsa_kernel _ZN7rocprim17ROCPRIM_400000_NS6detail17trampoline_kernelINS0_14default_configENS1_25partition_config_selectorILNS1_17partition_subalgoE5ElNS0_10empty_typeEbEEZZNS1_14partition_implILS5_5ELb0ES3_mN6hipcub16HIPCUB_304000_NS21CountingInputIteratorIllEEPS6_NSA_22TransformInputIteratorIbN2at6native12_GLOBAL__N_19NonZeroOpIN3c107complexINSJ_4HalfEEEEEPKSM_lEENS0_5tupleIJPlS6_EEENSR_IJSD_SD_EEES6_PiJS6_EEE10hipError_tPvRmT3_T4_T5_T6_T7_T9_mT8_P12ihipStream_tbDpT10_ENKUlT_T0_E_clISt17integral_constantIbLb1EES1E_IbLb0EEEEDaS1A_S1B_EUlS1A_E_NS1_11comp_targetILNS1_3genE2ELNS1_11target_archE906ELNS1_3gpuE6ELNS1_3repE0EEENS1_30default_config_static_selectorELNS0_4arch9wavefront6targetE0EEEvT1_
		.amdhsa_group_segment_fixed_size 0
		.amdhsa_private_segment_fixed_size 0
		.amdhsa_kernarg_size 120
		.amdhsa_user_sgpr_count 2
		.amdhsa_user_sgpr_dispatch_ptr 0
		.amdhsa_user_sgpr_queue_ptr 0
		.amdhsa_user_sgpr_kernarg_segment_ptr 1
		.amdhsa_user_sgpr_dispatch_id 0
		.amdhsa_user_sgpr_private_segment_size 0
		.amdhsa_wavefront_size32 1
		.amdhsa_uses_dynamic_stack 0
		.amdhsa_enable_private_segment 0
		.amdhsa_system_sgpr_workgroup_id_x 1
		.amdhsa_system_sgpr_workgroup_id_y 0
		.amdhsa_system_sgpr_workgroup_id_z 0
		.amdhsa_system_sgpr_workgroup_info 0
		.amdhsa_system_vgpr_workitem_id 0
		.amdhsa_next_free_vgpr 1
		.amdhsa_next_free_sgpr 1
		.amdhsa_reserve_vcc 0
		.amdhsa_float_round_mode_32 0
		.amdhsa_float_round_mode_16_64 0
		.amdhsa_float_denorm_mode_32 3
		.amdhsa_float_denorm_mode_16_64 3
		.amdhsa_fp16_overflow 0
		.amdhsa_workgroup_processor_mode 1
		.amdhsa_memory_ordered 1
		.amdhsa_forward_progress 1
		.amdhsa_inst_pref_size 0
		.amdhsa_round_robin_scheduling 0
		.amdhsa_exception_fp_ieee_invalid_op 0
		.amdhsa_exception_fp_denorm_src 0
		.amdhsa_exception_fp_ieee_div_zero 0
		.amdhsa_exception_fp_ieee_overflow 0
		.amdhsa_exception_fp_ieee_underflow 0
		.amdhsa_exception_fp_ieee_inexact 0
		.amdhsa_exception_int_div_zero 0
	.end_amdhsa_kernel
	.section	.text._ZN7rocprim17ROCPRIM_400000_NS6detail17trampoline_kernelINS0_14default_configENS1_25partition_config_selectorILNS1_17partition_subalgoE5ElNS0_10empty_typeEbEEZZNS1_14partition_implILS5_5ELb0ES3_mN6hipcub16HIPCUB_304000_NS21CountingInputIteratorIllEEPS6_NSA_22TransformInputIteratorIbN2at6native12_GLOBAL__N_19NonZeroOpIN3c107complexINSJ_4HalfEEEEEPKSM_lEENS0_5tupleIJPlS6_EEENSR_IJSD_SD_EEES6_PiJS6_EEE10hipError_tPvRmT3_T4_T5_T6_T7_T9_mT8_P12ihipStream_tbDpT10_ENKUlT_T0_E_clISt17integral_constantIbLb1EES1E_IbLb0EEEEDaS1A_S1B_EUlS1A_E_NS1_11comp_targetILNS1_3genE2ELNS1_11target_archE906ELNS1_3gpuE6ELNS1_3repE0EEENS1_30default_config_static_selectorELNS0_4arch9wavefront6targetE0EEEvT1_,"axG",@progbits,_ZN7rocprim17ROCPRIM_400000_NS6detail17trampoline_kernelINS0_14default_configENS1_25partition_config_selectorILNS1_17partition_subalgoE5ElNS0_10empty_typeEbEEZZNS1_14partition_implILS5_5ELb0ES3_mN6hipcub16HIPCUB_304000_NS21CountingInputIteratorIllEEPS6_NSA_22TransformInputIteratorIbN2at6native12_GLOBAL__N_19NonZeroOpIN3c107complexINSJ_4HalfEEEEEPKSM_lEENS0_5tupleIJPlS6_EEENSR_IJSD_SD_EEES6_PiJS6_EEE10hipError_tPvRmT3_T4_T5_T6_T7_T9_mT8_P12ihipStream_tbDpT10_ENKUlT_T0_E_clISt17integral_constantIbLb1EES1E_IbLb0EEEEDaS1A_S1B_EUlS1A_E_NS1_11comp_targetILNS1_3genE2ELNS1_11target_archE906ELNS1_3gpuE6ELNS1_3repE0EEENS1_30default_config_static_selectorELNS0_4arch9wavefront6targetE0EEEvT1_,comdat
.Lfunc_end682:
	.size	_ZN7rocprim17ROCPRIM_400000_NS6detail17trampoline_kernelINS0_14default_configENS1_25partition_config_selectorILNS1_17partition_subalgoE5ElNS0_10empty_typeEbEEZZNS1_14partition_implILS5_5ELb0ES3_mN6hipcub16HIPCUB_304000_NS21CountingInputIteratorIllEEPS6_NSA_22TransformInputIteratorIbN2at6native12_GLOBAL__N_19NonZeroOpIN3c107complexINSJ_4HalfEEEEEPKSM_lEENS0_5tupleIJPlS6_EEENSR_IJSD_SD_EEES6_PiJS6_EEE10hipError_tPvRmT3_T4_T5_T6_T7_T9_mT8_P12ihipStream_tbDpT10_ENKUlT_T0_E_clISt17integral_constantIbLb1EES1E_IbLb0EEEEDaS1A_S1B_EUlS1A_E_NS1_11comp_targetILNS1_3genE2ELNS1_11target_archE906ELNS1_3gpuE6ELNS1_3repE0EEENS1_30default_config_static_selectorELNS0_4arch9wavefront6targetE0EEEvT1_, .Lfunc_end682-_ZN7rocprim17ROCPRIM_400000_NS6detail17trampoline_kernelINS0_14default_configENS1_25partition_config_selectorILNS1_17partition_subalgoE5ElNS0_10empty_typeEbEEZZNS1_14partition_implILS5_5ELb0ES3_mN6hipcub16HIPCUB_304000_NS21CountingInputIteratorIllEEPS6_NSA_22TransformInputIteratorIbN2at6native12_GLOBAL__N_19NonZeroOpIN3c107complexINSJ_4HalfEEEEEPKSM_lEENS0_5tupleIJPlS6_EEENSR_IJSD_SD_EEES6_PiJS6_EEE10hipError_tPvRmT3_T4_T5_T6_T7_T9_mT8_P12ihipStream_tbDpT10_ENKUlT_T0_E_clISt17integral_constantIbLb1EES1E_IbLb0EEEEDaS1A_S1B_EUlS1A_E_NS1_11comp_targetILNS1_3genE2ELNS1_11target_archE906ELNS1_3gpuE6ELNS1_3repE0EEENS1_30default_config_static_selectorELNS0_4arch9wavefront6targetE0EEEvT1_
                                        ; -- End function
	.set _ZN7rocprim17ROCPRIM_400000_NS6detail17trampoline_kernelINS0_14default_configENS1_25partition_config_selectorILNS1_17partition_subalgoE5ElNS0_10empty_typeEbEEZZNS1_14partition_implILS5_5ELb0ES3_mN6hipcub16HIPCUB_304000_NS21CountingInputIteratorIllEEPS6_NSA_22TransformInputIteratorIbN2at6native12_GLOBAL__N_19NonZeroOpIN3c107complexINSJ_4HalfEEEEEPKSM_lEENS0_5tupleIJPlS6_EEENSR_IJSD_SD_EEES6_PiJS6_EEE10hipError_tPvRmT3_T4_T5_T6_T7_T9_mT8_P12ihipStream_tbDpT10_ENKUlT_T0_E_clISt17integral_constantIbLb1EES1E_IbLb0EEEEDaS1A_S1B_EUlS1A_E_NS1_11comp_targetILNS1_3genE2ELNS1_11target_archE906ELNS1_3gpuE6ELNS1_3repE0EEENS1_30default_config_static_selectorELNS0_4arch9wavefront6targetE0EEEvT1_.num_vgpr, 0
	.set _ZN7rocprim17ROCPRIM_400000_NS6detail17trampoline_kernelINS0_14default_configENS1_25partition_config_selectorILNS1_17partition_subalgoE5ElNS0_10empty_typeEbEEZZNS1_14partition_implILS5_5ELb0ES3_mN6hipcub16HIPCUB_304000_NS21CountingInputIteratorIllEEPS6_NSA_22TransformInputIteratorIbN2at6native12_GLOBAL__N_19NonZeroOpIN3c107complexINSJ_4HalfEEEEEPKSM_lEENS0_5tupleIJPlS6_EEENSR_IJSD_SD_EEES6_PiJS6_EEE10hipError_tPvRmT3_T4_T5_T6_T7_T9_mT8_P12ihipStream_tbDpT10_ENKUlT_T0_E_clISt17integral_constantIbLb1EES1E_IbLb0EEEEDaS1A_S1B_EUlS1A_E_NS1_11comp_targetILNS1_3genE2ELNS1_11target_archE906ELNS1_3gpuE6ELNS1_3repE0EEENS1_30default_config_static_selectorELNS0_4arch9wavefront6targetE0EEEvT1_.num_agpr, 0
	.set _ZN7rocprim17ROCPRIM_400000_NS6detail17trampoline_kernelINS0_14default_configENS1_25partition_config_selectorILNS1_17partition_subalgoE5ElNS0_10empty_typeEbEEZZNS1_14partition_implILS5_5ELb0ES3_mN6hipcub16HIPCUB_304000_NS21CountingInputIteratorIllEEPS6_NSA_22TransformInputIteratorIbN2at6native12_GLOBAL__N_19NonZeroOpIN3c107complexINSJ_4HalfEEEEEPKSM_lEENS0_5tupleIJPlS6_EEENSR_IJSD_SD_EEES6_PiJS6_EEE10hipError_tPvRmT3_T4_T5_T6_T7_T9_mT8_P12ihipStream_tbDpT10_ENKUlT_T0_E_clISt17integral_constantIbLb1EES1E_IbLb0EEEEDaS1A_S1B_EUlS1A_E_NS1_11comp_targetILNS1_3genE2ELNS1_11target_archE906ELNS1_3gpuE6ELNS1_3repE0EEENS1_30default_config_static_selectorELNS0_4arch9wavefront6targetE0EEEvT1_.numbered_sgpr, 0
	.set _ZN7rocprim17ROCPRIM_400000_NS6detail17trampoline_kernelINS0_14default_configENS1_25partition_config_selectorILNS1_17partition_subalgoE5ElNS0_10empty_typeEbEEZZNS1_14partition_implILS5_5ELb0ES3_mN6hipcub16HIPCUB_304000_NS21CountingInputIteratorIllEEPS6_NSA_22TransformInputIteratorIbN2at6native12_GLOBAL__N_19NonZeroOpIN3c107complexINSJ_4HalfEEEEEPKSM_lEENS0_5tupleIJPlS6_EEENSR_IJSD_SD_EEES6_PiJS6_EEE10hipError_tPvRmT3_T4_T5_T6_T7_T9_mT8_P12ihipStream_tbDpT10_ENKUlT_T0_E_clISt17integral_constantIbLb1EES1E_IbLb0EEEEDaS1A_S1B_EUlS1A_E_NS1_11comp_targetILNS1_3genE2ELNS1_11target_archE906ELNS1_3gpuE6ELNS1_3repE0EEENS1_30default_config_static_selectorELNS0_4arch9wavefront6targetE0EEEvT1_.num_named_barrier, 0
	.set _ZN7rocprim17ROCPRIM_400000_NS6detail17trampoline_kernelINS0_14default_configENS1_25partition_config_selectorILNS1_17partition_subalgoE5ElNS0_10empty_typeEbEEZZNS1_14partition_implILS5_5ELb0ES3_mN6hipcub16HIPCUB_304000_NS21CountingInputIteratorIllEEPS6_NSA_22TransformInputIteratorIbN2at6native12_GLOBAL__N_19NonZeroOpIN3c107complexINSJ_4HalfEEEEEPKSM_lEENS0_5tupleIJPlS6_EEENSR_IJSD_SD_EEES6_PiJS6_EEE10hipError_tPvRmT3_T4_T5_T6_T7_T9_mT8_P12ihipStream_tbDpT10_ENKUlT_T0_E_clISt17integral_constantIbLb1EES1E_IbLb0EEEEDaS1A_S1B_EUlS1A_E_NS1_11comp_targetILNS1_3genE2ELNS1_11target_archE906ELNS1_3gpuE6ELNS1_3repE0EEENS1_30default_config_static_selectorELNS0_4arch9wavefront6targetE0EEEvT1_.private_seg_size, 0
	.set _ZN7rocprim17ROCPRIM_400000_NS6detail17trampoline_kernelINS0_14default_configENS1_25partition_config_selectorILNS1_17partition_subalgoE5ElNS0_10empty_typeEbEEZZNS1_14partition_implILS5_5ELb0ES3_mN6hipcub16HIPCUB_304000_NS21CountingInputIteratorIllEEPS6_NSA_22TransformInputIteratorIbN2at6native12_GLOBAL__N_19NonZeroOpIN3c107complexINSJ_4HalfEEEEEPKSM_lEENS0_5tupleIJPlS6_EEENSR_IJSD_SD_EEES6_PiJS6_EEE10hipError_tPvRmT3_T4_T5_T6_T7_T9_mT8_P12ihipStream_tbDpT10_ENKUlT_T0_E_clISt17integral_constantIbLb1EES1E_IbLb0EEEEDaS1A_S1B_EUlS1A_E_NS1_11comp_targetILNS1_3genE2ELNS1_11target_archE906ELNS1_3gpuE6ELNS1_3repE0EEENS1_30default_config_static_selectorELNS0_4arch9wavefront6targetE0EEEvT1_.uses_vcc, 0
	.set _ZN7rocprim17ROCPRIM_400000_NS6detail17trampoline_kernelINS0_14default_configENS1_25partition_config_selectorILNS1_17partition_subalgoE5ElNS0_10empty_typeEbEEZZNS1_14partition_implILS5_5ELb0ES3_mN6hipcub16HIPCUB_304000_NS21CountingInputIteratorIllEEPS6_NSA_22TransformInputIteratorIbN2at6native12_GLOBAL__N_19NonZeroOpIN3c107complexINSJ_4HalfEEEEEPKSM_lEENS0_5tupleIJPlS6_EEENSR_IJSD_SD_EEES6_PiJS6_EEE10hipError_tPvRmT3_T4_T5_T6_T7_T9_mT8_P12ihipStream_tbDpT10_ENKUlT_T0_E_clISt17integral_constantIbLb1EES1E_IbLb0EEEEDaS1A_S1B_EUlS1A_E_NS1_11comp_targetILNS1_3genE2ELNS1_11target_archE906ELNS1_3gpuE6ELNS1_3repE0EEENS1_30default_config_static_selectorELNS0_4arch9wavefront6targetE0EEEvT1_.uses_flat_scratch, 0
	.set _ZN7rocprim17ROCPRIM_400000_NS6detail17trampoline_kernelINS0_14default_configENS1_25partition_config_selectorILNS1_17partition_subalgoE5ElNS0_10empty_typeEbEEZZNS1_14partition_implILS5_5ELb0ES3_mN6hipcub16HIPCUB_304000_NS21CountingInputIteratorIllEEPS6_NSA_22TransformInputIteratorIbN2at6native12_GLOBAL__N_19NonZeroOpIN3c107complexINSJ_4HalfEEEEEPKSM_lEENS0_5tupleIJPlS6_EEENSR_IJSD_SD_EEES6_PiJS6_EEE10hipError_tPvRmT3_T4_T5_T6_T7_T9_mT8_P12ihipStream_tbDpT10_ENKUlT_T0_E_clISt17integral_constantIbLb1EES1E_IbLb0EEEEDaS1A_S1B_EUlS1A_E_NS1_11comp_targetILNS1_3genE2ELNS1_11target_archE906ELNS1_3gpuE6ELNS1_3repE0EEENS1_30default_config_static_selectorELNS0_4arch9wavefront6targetE0EEEvT1_.has_dyn_sized_stack, 0
	.set _ZN7rocprim17ROCPRIM_400000_NS6detail17trampoline_kernelINS0_14default_configENS1_25partition_config_selectorILNS1_17partition_subalgoE5ElNS0_10empty_typeEbEEZZNS1_14partition_implILS5_5ELb0ES3_mN6hipcub16HIPCUB_304000_NS21CountingInputIteratorIllEEPS6_NSA_22TransformInputIteratorIbN2at6native12_GLOBAL__N_19NonZeroOpIN3c107complexINSJ_4HalfEEEEEPKSM_lEENS0_5tupleIJPlS6_EEENSR_IJSD_SD_EEES6_PiJS6_EEE10hipError_tPvRmT3_T4_T5_T6_T7_T9_mT8_P12ihipStream_tbDpT10_ENKUlT_T0_E_clISt17integral_constantIbLb1EES1E_IbLb0EEEEDaS1A_S1B_EUlS1A_E_NS1_11comp_targetILNS1_3genE2ELNS1_11target_archE906ELNS1_3gpuE6ELNS1_3repE0EEENS1_30default_config_static_selectorELNS0_4arch9wavefront6targetE0EEEvT1_.has_recursion, 0
	.set _ZN7rocprim17ROCPRIM_400000_NS6detail17trampoline_kernelINS0_14default_configENS1_25partition_config_selectorILNS1_17partition_subalgoE5ElNS0_10empty_typeEbEEZZNS1_14partition_implILS5_5ELb0ES3_mN6hipcub16HIPCUB_304000_NS21CountingInputIteratorIllEEPS6_NSA_22TransformInputIteratorIbN2at6native12_GLOBAL__N_19NonZeroOpIN3c107complexINSJ_4HalfEEEEEPKSM_lEENS0_5tupleIJPlS6_EEENSR_IJSD_SD_EEES6_PiJS6_EEE10hipError_tPvRmT3_T4_T5_T6_T7_T9_mT8_P12ihipStream_tbDpT10_ENKUlT_T0_E_clISt17integral_constantIbLb1EES1E_IbLb0EEEEDaS1A_S1B_EUlS1A_E_NS1_11comp_targetILNS1_3genE2ELNS1_11target_archE906ELNS1_3gpuE6ELNS1_3repE0EEENS1_30default_config_static_selectorELNS0_4arch9wavefront6targetE0EEEvT1_.has_indirect_call, 0
	.section	.AMDGPU.csdata,"",@progbits
; Kernel info:
; codeLenInByte = 0
; TotalNumSgprs: 0
; NumVgprs: 0
; ScratchSize: 0
; MemoryBound: 0
; FloatMode: 240
; IeeeMode: 1
; LDSByteSize: 0 bytes/workgroup (compile time only)
; SGPRBlocks: 0
; VGPRBlocks: 0
; NumSGPRsForWavesPerEU: 1
; NumVGPRsForWavesPerEU: 1
; Occupancy: 16
; WaveLimiterHint : 0
; COMPUTE_PGM_RSRC2:SCRATCH_EN: 0
; COMPUTE_PGM_RSRC2:USER_SGPR: 2
; COMPUTE_PGM_RSRC2:TRAP_HANDLER: 0
; COMPUTE_PGM_RSRC2:TGID_X_EN: 1
; COMPUTE_PGM_RSRC2:TGID_Y_EN: 0
; COMPUTE_PGM_RSRC2:TGID_Z_EN: 0
; COMPUTE_PGM_RSRC2:TIDIG_COMP_CNT: 0
	.section	.text._ZN7rocprim17ROCPRIM_400000_NS6detail17trampoline_kernelINS0_14default_configENS1_25partition_config_selectorILNS1_17partition_subalgoE5ElNS0_10empty_typeEbEEZZNS1_14partition_implILS5_5ELb0ES3_mN6hipcub16HIPCUB_304000_NS21CountingInputIteratorIllEEPS6_NSA_22TransformInputIteratorIbN2at6native12_GLOBAL__N_19NonZeroOpIN3c107complexINSJ_4HalfEEEEEPKSM_lEENS0_5tupleIJPlS6_EEENSR_IJSD_SD_EEES6_PiJS6_EEE10hipError_tPvRmT3_T4_T5_T6_T7_T9_mT8_P12ihipStream_tbDpT10_ENKUlT_T0_E_clISt17integral_constantIbLb1EES1E_IbLb0EEEEDaS1A_S1B_EUlS1A_E_NS1_11comp_targetILNS1_3genE10ELNS1_11target_archE1200ELNS1_3gpuE4ELNS1_3repE0EEENS1_30default_config_static_selectorELNS0_4arch9wavefront6targetE0EEEvT1_,"axG",@progbits,_ZN7rocprim17ROCPRIM_400000_NS6detail17trampoline_kernelINS0_14default_configENS1_25partition_config_selectorILNS1_17partition_subalgoE5ElNS0_10empty_typeEbEEZZNS1_14partition_implILS5_5ELb0ES3_mN6hipcub16HIPCUB_304000_NS21CountingInputIteratorIllEEPS6_NSA_22TransformInputIteratorIbN2at6native12_GLOBAL__N_19NonZeroOpIN3c107complexINSJ_4HalfEEEEEPKSM_lEENS0_5tupleIJPlS6_EEENSR_IJSD_SD_EEES6_PiJS6_EEE10hipError_tPvRmT3_T4_T5_T6_T7_T9_mT8_P12ihipStream_tbDpT10_ENKUlT_T0_E_clISt17integral_constantIbLb1EES1E_IbLb0EEEEDaS1A_S1B_EUlS1A_E_NS1_11comp_targetILNS1_3genE10ELNS1_11target_archE1200ELNS1_3gpuE4ELNS1_3repE0EEENS1_30default_config_static_selectorELNS0_4arch9wavefront6targetE0EEEvT1_,comdat
	.globl	_ZN7rocprim17ROCPRIM_400000_NS6detail17trampoline_kernelINS0_14default_configENS1_25partition_config_selectorILNS1_17partition_subalgoE5ElNS0_10empty_typeEbEEZZNS1_14partition_implILS5_5ELb0ES3_mN6hipcub16HIPCUB_304000_NS21CountingInputIteratorIllEEPS6_NSA_22TransformInputIteratorIbN2at6native12_GLOBAL__N_19NonZeroOpIN3c107complexINSJ_4HalfEEEEEPKSM_lEENS0_5tupleIJPlS6_EEENSR_IJSD_SD_EEES6_PiJS6_EEE10hipError_tPvRmT3_T4_T5_T6_T7_T9_mT8_P12ihipStream_tbDpT10_ENKUlT_T0_E_clISt17integral_constantIbLb1EES1E_IbLb0EEEEDaS1A_S1B_EUlS1A_E_NS1_11comp_targetILNS1_3genE10ELNS1_11target_archE1200ELNS1_3gpuE4ELNS1_3repE0EEENS1_30default_config_static_selectorELNS0_4arch9wavefront6targetE0EEEvT1_ ; -- Begin function _ZN7rocprim17ROCPRIM_400000_NS6detail17trampoline_kernelINS0_14default_configENS1_25partition_config_selectorILNS1_17partition_subalgoE5ElNS0_10empty_typeEbEEZZNS1_14partition_implILS5_5ELb0ES3_mN6hipcub16HIPCUB_304000_NS21CountingInputIteratorIllEEPS6_NSA_22TransformInputIteratorIbN2at6native12_GLOBAL__N_19NonZeroOpIN3c107complexINSJ_4HalfEEEEEPKSM_lEENS0_5tupleIJPlS6_EEENSR_IJSD_SD_EEES6_PiJS6_EEE10hipError_tPvRmT3_T4_T5_T6_T7_T9_mT8_P12ihipStream_tbDpT10_ENKUlT_T0_E_clISt17integral_constantIbLb1EES1E_IbLb0EEEEDaS1A_S1B_EUlS1A_E_NS1_11comp_targetILNS1_3genE10ELNS1_11target_archE1200ELNS1_3gpuE4ELNS1_3repE0EEENS1_30default_config_static_selectorELNS0_4arch9wavefront6targetE0EEEvT1_
	.p2align	8
	.type	_ZN7rocprim17ROCPRIM_400000_NS6detail17trampoline_kernelINS0_14default_configENS1_25partition_config_selectorILNS1_17partition_subalgoE5ElNS0_10empty_typeEbEEZZNS1_14partition_implILS5_5ELb0ES3_mN6hipcub16HIPCUB_304000_NS21CountingInputIteratorIllEEPS6_NSA_22TransformInputIteratorIbN2at6native12_GLOBAL__N_19NonZeroOpIN3c107complexINSJ_4HalfEEEEEPKSM_lEENS0_5tupleIJPlS6_EEENSR_IJSD_SD_EEES6_PiJS6_EEE10hipError_tPvRmT3_T4_T5_T6_T7_T9_mT8_P12ihipStream_tbDpT10_ENKUlT_T0_E_clISt17integral_constantIbLb1EES1E_IbLb0EEEEDaS1A_S1B_EUlS1A_E_NS1_11comp_targetILNS1_3genE10ELNS1_11target_archE1200ELNS1_3gpuE4ELNS1_3repE0EEENS1_30default_config_static_selectorELNS0_4arch9wavefront6targetE0EEEvT1_,@function
_ZN7rocprim17ROCPRIM_400000_NS6detail17trampoline_kernelINS0_14default_configENS1_25partition_config_selectorILNS1_17partition_subalgoE5ElNS0_10empty_typeEbEEZZNS1_14partition_implILS5_5ELb0ES3_mN6hipcub16HIPCUB_304000_NS21CountingInputIteratorIllEEPS6_NSA_22TransformInputIteratorIbN2at6native12_GLOBAL__N_19NonZeroOpIN3c107complexINSJ_4HalfEEEEEPKSM_lEENS0_5tupleIJPlS6_EEENSR_IJSD_SD_EEES6_PiJS6_EEE10hipError_tPvRmT3_T4_T5_T6_T7_T9_mT8_P12ihipStream_tbDpT10_ENKUlT_T0_E_clISt17integral_constantIbLb1EES1E_IbLb0EEEEDaS1A_S1B_EUlS1A_E_NS1_11comp_targetILNS1_3genE10ELNS1_11target_archE1200ELNS1_3gpuE4ELNS1_3repE0EEENS1_30default_config_static_selectorELNS0_4arch9wavefront6targetE0EEEvT1_: ; @_ZN7rocprim17ROCPRIM_400000_NS6detail17trampoline_kernelINS0_14default_configENS1_25partition_config_selectorILNS1_17partition_subalgoE5ElNS0_10empty_typeEbEEZZNS1_14partition_implILS5_5ELb0ES3_mN6hipcub16HIPCUB_304000_NS21CountingInputIteratorIllEEPS6_NSA_22TransformInputIteratorIbN2at6native12_GLOBAL__N_19NonZeroOpIN3c107complexINSJ_4HalfEEEEEPKSM_lEENS0_5tupleIJPlS6_EEENSR_IJSD_SD_EEES6_PiJS6_EEE10hipError_tPvRmT3_T4_T5_T6_T7_T9_mT8_P12ihipStream_tbDpT10_ENKUlT_T0_E_clISt17integral_constantIbLb1EES1E_IbLb0EEEEDaS1A_S1B_EUlS1A_E_NS1_11comp_targetILNS1_3genE10ELNS1_11target_archE1200ELNS1_3gpuE4ELNS1_3repE0EEENS1_30default_config_static_selectorELNS0_4arch9wavefront6targetE0EEEvT1_
; %bb.0:
	s_endpgm
	.section	.rodata,"a",@progbits
	.p2align	6, 0x0
	.amdhsa_kernel _ZN7rocprim17ROCPRIM_400000_NS6detail17trampoline_kernelINS0_14default_configENS1_25partition_config_selectorILNS1_17partition_subalgoE5ElNS0_10empty_typeEbEEZZNS1_14partition_implILS5_5ELb0ES3_mN6hipcub16HIPCUB_304000_NS21CountingInputIteratorIllEEPS6_NSA_22TransformInputIteratorIbN2at6native12_GLOBAL__N_19NonZeroOpIN3c107complexINSJ_4HalfEEEEEPKSM_lEENS0_5tupleIJPlS6_EEENSR_IJSD_SD_EEES6_PiJS6_EEE10hipError_tPvRmT3_T4_T5_T6_T7_T9_mT8_P12ihipStream_tbDpT10_ENKUlT_T0_E_clISt17integral_constantIbLb1EES1E_IbLb0EEEEDaS1A_S1B_EUlS1A_E_NS1_11comp_targetILNS1_3genE10ELNS1_11target_archE1200ELNS1_3gpuE4ELNS1_3repE0EEENS1_30default_config_static_selectorELNS0_4arch9wavefront6targetE0EEEvT1_
		.amdhsa_group_segment_fixed_size 0
		.amdhsa_private_segment_fixed_size 0
		.amdhsa_kernarg_size 120
		.amdhsa_user_sgpr_count 2
		.amdhsa_user_sgpr_dispatch_ptr 0
		.amdhsa_user_sgpr_queue_ptr 0
		.amdhsa_user_sgpr_kernarg_segment_ptr 1
		.amdhsa_user_sgpr_dispatch_id 0
		.amdhsa_user_sgpr_private_segment_size 0
		.amdhsa_wavefront_size32 1
		.amdhsa_uses_dynamic_stack 0
		.amdhsa_enable_private_segment 0
		.amdhsa_system_sgpr_workgroup_id_x 1
		.amdhsa_system_sgpr_workgroup_id_y 0
		.amdhsa_system_sgpr_workgroup_id_z 0
		.amdhsa_system_sgpr_workgroup_info 0
		.amdhsa_system_vgpr_workitem_id 0
		.amdhsa_next_free_vgpr 1
		.amdhsa_next_free_sgpr 1
		.amdhsa_reserve_vcc 0
		.amdhsa_float_round_mode_32 0
		.amdhsa_float_round_mode_16_64 0
		.amdhsa_float_denorm_mode_32 3
		.amdhsa_float_denorm_mode_16_64 3
		.amdhsa_fp16_overflow 0
		.amdhsa_workgroup_processor_mode 1
		.amdhsa_memory_ordered 1
		.amdhsa_forward_progress 1
		.amdhsa_inst_pref_size 1
		.amdhsa_round_robin_scheduling 0
		.amdhsa_exception_fp_ieee_invalid_op 0
		.amdhsa_exception_fp_denorm_src 0
		.amdhsa_exception_fp_ieee_div_zero 0
		.amdhsa_exception_fp_ieee_overflow 0
		.amdhsa_exception_fp_ieee_underflow 0
		.amdhsa_exception_fp_ieee_inexact 0
		.amdhsa_exception_int_div_zero 0
	.end_amdhsa_kernel
	.section	.text._ZN7rocprim17ROCPRIM_400000_NS6detail17trampoline_kernelINS0_14default_configENS1_25partition_config_selectorILNS1_17partition_subalgoE5ElNS0_10empty_typeEbEEZZNS1_14partition_implILS5_5ELb0ES3_mN6hipcub16HIPCUB_304000_NS21CountingInputIteratorIllEEPS6_NSA_22TransformInputIteratorIbN2at6native12_GLOBAL__N_19NonZeroOpIN3c107complexINSJ_4HalfEEEEEPKSM_lEENS0_5tupleIJPlS6_EEENSR_IJSD_SD_EEES6_PiJS6_EEE10hipError_tPvRmT3_T4_T5_T6_T7_T9_mT8_P12ihipStream_tbDpT10_ENKUlT_T0_E_clISt17integral_constantIbLb1EES1E_IbLb0EEEEDaS1A_S1B_EUlS1A_E_NS1_11comp_targetILNS1_3genE10ELNS1_11target_archE1200ELNS1_3gpuE4ELNS1_3repE0EEENS1_30default_config_static_selectorELNS0_4arch9wavefront6targetE0EEEvT1_,"axG",@progbits,_ZN7rocprim17ROCPRIM_400000_NS6detail17trampoline_kernelINS0_14default_configENS1_25partition_config_selectorILNS1_17partition_subalgoE5ElNS0_10empty_typeEbEEZZNS1_14partition_implILS5_5ELb0ES3_mN6hipcub16HIPCUB_304000_NS21CountingInputIteratorIllEEPS6_NSA_22TransformInputIteratorIbN2at6native12_GLOBAL__N_19NonZeroOpIN3c107complexINSJ_4HalfEEEEEPKSM_lEENS0_5tupleIJPlS6_EEENSR_IJSD_SD_EEES6_PiJS6_EEE10hipError_tPvRmT3_T4_T5_T6_T7_T9_mT8_P12ihipStream_tbDpT10_ENKUlT_T0_E_clISt17integral_constantIbLb1EES1E_IbLb0EEEEDaS1A_S1B_EUlS1A_E_NS1_11comp_targetILNS1_3genE10ELNS1_11target_archE1200ELNS1_3gpuE4ELNS1_3repE0EEENS1_30default_config_static_selectorELNS0_4arch9wavefront6targetE0EEEvT1_,comdat
.Lfunc_end683:
	.size	_ZN7rocprim17ROCPRIM_400000_NS6detail17trampoline_kernelINS0_14default_configENS1_25partition_config_selectorILNS1_17partition_subalgoE5ElNS0_10empty_typeEbEEZZNS1_14partition_implILS5_5ELb0ES3_mN6hipcub16HIPCUB_304000_NS21CountingInputIteratorIllEEPS6_NSA_22TransformInputIteratorIbN2at6native12_GLOBAL__N_19NonZeroOpIN3c107complexINSJ_4HalfEEEEEPKSM_lEENS0_5tupleIJPlS6_EEENSR_IJSD_SD_EEES6_PiJS6_EEE10hipError_tPvRmT3_T4_T5_T6_T7_T9_mT8_P12ihipStream_tbDpT10_ENKUlT_T0_E_clISt17integral_constantIbLb1EES1E_IbLb0EEEEDaS1A_S1B_EUlS1A_E_NS1_11comp_targetILNS1_3genE10ELNS1_11target_archE1200ELNS1_3gpuE4ELNS1_3repE0EEENS1_30default_config_static_selectorELNS0_4arch9wavefront6targetE0EEEvT1_, .Lfunc_end683-_ZN7rocprim17ROCPRIM_400000_NS6detail17trampoline_kernelINS0_14default_configENS1_25partition_config_selectorILNS1_17partition_subalgoE5ElNS0_10empty_typeEbEEZZNS1_14partition_implILS5_5ELb0ES3_mN6hipcub16HIPCUB_304000_NS21CountingInputIteratorIllEEPS6_NSA_22TransformInputIteratorIbN2at6native12_GLOBAL__N_19NonZeroOpIN3c107complexINSJ_4HalfEEEEEPKSM_lEENS0_5tupleIJPlS6_EEENSR_IJSD_SD_EEES6_PiJS6_EEE10hipError_tPvRmT3_T4_T5_T6_T7_T9_mT8_P12ihipStream_tbDpT10_ENKUlT_T0_E_clISt17integral_constantIbLb1EES1E_IbLb0EEEEDaS1A_S1B_EUlS1A_E_NS1_11comp_targetILNS1_3genE10ELNS1_11target_archE1200ELNS1_3gpuE4ELNS1_3repE0EEENS1_30default_config_static_selectorELNS0_4arch9wavefront6targetE0EEEvT1_
                                        ; -- End function
	.set _ZN7rocprim17ROCPRIM_400000_NS6detail17trampoline_kernelINS0_14default_configENS1_25partition_config_selectorILNS1_17partition_subalgoE5ElNS0_10empty_typeEbEEZZNS1_14partition_implILS5_5ELb0ES3_mN6hipcub16HIPCUB_304000_NS21CountingInputIteratorIllEEPS6_NSA_22TransformInputIteratorIbN2at6native12_GLOBAL__N_19NonZeroOpIN3c107complexINSJ_4HalfEEEEEPKSM_lEENS0_5tupleIJPlS6_EEENSR_IJSD_SD_EEES6_PiJS6_EEE10hipError_tPvRmT3_T4_T5_T6_T7_T9_mT8_P12ihipStream_tbDpT10_ENKUlT_T0_E_clISt17integral_constantIbLb1EES1E_IbLb0EEEEDaS1A_S1B_EUlS1A_E_NS1_11comp_targetILNS1_3genE10ELNS1_11target_archE1200ELNS1_3gpuE4ELNS1_3repE0EEENS1_30default_config_static_selectorELNS0_4arch9wavefront6targetE0EEEvT1_.num_vgpr, 0
	.set _ZN7rocprim17ROCPRIM_400000_NS6detail17trampoline_kernelINS0_14default_configENS1_25partition_config_selectorILNS1_17partition_subalgoE5ElNS0_10empty_typeEbEEZZNS1_14partition_implILS5_5ELb0ES3_mN6hipcub16HIPCUB_304000_NS21CountingInputIteratorIllEEPS6_NSA_22TransformInputIteratorIbN2at6native12_GLOBAL__N_19NonZeroOpIN3c107complexINSJ_4HalfEEEEEPKSM_lEENS0_5tupleIJPlS6_EEENSR_IJSD_SD_EEES6_PiJS6_EEE10hipError_tPvRmT3_T4_T5_T6_T7_T9_mT8_P12ihipStream_tbDpT10_ENKUlT_T0_E_clISt17integral_constantIbLb1EES1E_IbLb0EEEEDaS1A_S1B_EUlS1A_E_NS1_11comp_targetILNS1_3genE10ELNS1_11target_archE1200ELNS1_3gpuE4ELNS1_3repE0EEENS1_30default_config_static_selectorELNS0_4arch9wavefront6targetE0EEEvT1_.num_agpr, 0
	.set _ZN7rocprim17ROCPRIM_400000_NS6detail17trampoline_kernelINS0_14default_configENS1_25partition_config_selectorILNS1_17partition_subalgoE5ElNS0_10empty_typeEbEEZZNS1_14partition_implILS5_5ELb0ES3_mN6hipcub16HIPCUB_304000_NS21CountingInputIteratorIllEEPS6_NSA_22TransformInputIteratorIbN2at6native12_GLOBAL__N_19NonZeroOpIN3c107complexINSJ_4HalfEEEEEPKSM_lEENS0_5tupleIJPlS6_EEENSR_IJSD_SD_EEES6_PiJS6_EEE10hipError_tPvRmT3_T4_T5_T6_T7_T9_mT8_P12ihipStream_tbDpT10_ENKUlT_T0_E_clISt17integral_constantIbLb1EES1E_IbLb0EEEEDaS1A_S1B_EUlS1A_E_NS1_11comp_targetILNS1_3genE10ELNS1_11target_archE1200ELNS1_3gpuE4ELNS1_3repE0EEENS1_30default_config_static_selectorELNS0_4arch9wavefront6targetE0EEEvT1_.numbered_sgpr, 0
	.set _ZN7rocprim17ROCPRIM_400000_NS6detail17trampoline_kernelINS0_14default_configENS1_25partition_config_selectorILNS1_17partition_subalgoE5ElNS0_10empty_typeEbEEZZNS1_14partition_implILS5_5ELb0ES3_mN6hipcub16HIPCUB_304000_NS21CountingInputIteratorIllEEPS6_NSA_22TransformInputIteratorIbN2at6native12_GLOBAL__N_19NonZeroOpIN3c107complexINSJ_4HalfEEEEEPKSM_lEENS0_5tupleIJPlS6_EEENSR_IJSD_SD_EEES6_PiJS6_EEE10hipError_tPvRmT3_T4_T5_T6_T7_T9_mT8_P12ihipStream_tbDpT10_ENKUlT_T0_E_clISt17integral_constantIbLb1EES1E_IbLb0EEEEDaS1A_S1B_EUlS1A_E_NS1_11comp_targetILNS1_3genE10ELNS1_11target_archE1200ELNS1_3gpuE4ELNS1_3repE0EEENS1_30default_config_static_selectorELNS0_4arch9wavefront6targetE0EEEvT1_.num_named_barrier, 0
	.set _ZN7rocprim17ROCPRIM_400000_NS6detail17trampoline_kernelINS0_14default_configENS1_25partition_config_selectorILNS1_17partition_subalgoE5ElNS0_10empty_typeEbEEZZNS1_14partition_implILS5_5ELb0ES3_mN6hipcub16HIPCUB_304000_NS21CountingInputIteratorIllEEPS6_NSA_22TransformInputIteratorIbN2at6native12_GLOBAL__N_19NonZeroOpIN3c107complexINSJ_4HalfEEEEEPKSM_lEENS0_5tupleIJPlS6_EEENSR_IJSD_SD_EEES6_PiJS6_EEE10hipError_tPvRmT3_T4_T5_T6_T7_T9_mT8_P12ihipStream_tbDpT10_ENKUlT_T0_E_clISt17integral_constantIbLb1EES1E_IbLb0EEEEDaS1A_S1B_EUlS1A_E_NS1_11comp_targetILNS1_3genE10ELNS1_11target_archE1200ELNS1_3gpuE4ELNS1_3repE0EEENS1_30default_config_static_selectorELNS0_4arch9wavefront6targetE0EEEvT1_.private_seg_size, 0
	.set _ZN7rocprim17ROCPRIM_400000_NS6detail17trampoline_kernelINS0_14default_configENS1_25partition_config_selectorILNS1_17partition_subalgoE5ElNS0_10empty_typeEbEEZZNS1_14partition_implILS5_5ELb0ES3_mN6hipcub16HIPCUB_304000_NS21CountingInputIteratorIllEEPS6_NSA_22TransformInputIteratorIbN2at6native12_GLOBAL__N_19NonZeroOpIN3c107complexINSJ_4HalfEEEEEPKSM_lEENS0_5tupleIJPlS6_EEENSR_IJSD_SD_EEES6_PiJS6_EEE10hipError_tPvRmT3_T4_T5_T6_T7_T9_mT8_P12ihipStream_tbDpT10_ENKUlT_T0_E_clISt17integral_constantIbLb1EES1E_IbLb0EEEEDaS1A_S1B_EUlS1A_E_NS1_11comp_targetILNS1_3genE10ELNS1_11target_archE1200ELNS1_3gpuE4ELNS1_3repE0EEENS1_30default_config_static_selectorELNS0_4arch9wavefront6targetE0EEEvT1_.uses_vcc, 0
	.set _ZN7rocprim17ROCPRIM_400000_NS6detail17trampoline_kernelINS0_14default_configENS1_25partition_config_selectorILNS1_17partition_subalgoE5ElNS0_10empty_typeEbEEZZNS1_14partition_implILS5_5ELb0ES3_mN6hipcub16HIPCUB_304000_NS21CountingInputIteratorIllEEPS6_NSA_22TransformInputIteratorIbN2at6native12_GLOBAL__N_19NonZeroOpIN3c107complexINSJ_4HalfEEEEEPKSM_lEENS0_5tupleIJPlS6_EEENSR_IJSD_SD_EEES6_PiJS6_EEE10hipError_tPvRmT3_T4_T5_T6_T7_T9_mT8_P12ihipStream_tbDpT10_ENKUlT_T0_E_clISt17integral_constantIbLb1EES1E_IbLb0EEEEDaS1A_S1B_EUlS1A_E_NS1_11comp_targetILNS1_3genE10ELNS1_11target_archE1200ELNS1_3gpuE4ELNS1_3repE0EEENS1_30default_config_static_selectorELNS0_4arch9wavefront6targetE0EEEvT1_.uses_flat_scratch, 0
	.set _ZN7rocprim17ROCPRIM_400000_NS6detail17trampoline_kernelINS0_14default_configENS1_25partition_config_selectorILNS1_17partition_subalgoE5ElNS0_10empty_typeEbEEZZNS1_14partition_implILS5_5ELb0ES3_mN6hipcub16HIPCUB_304000_NS21CountingInputIteratorIllEEPS6_NSA_22TransformInputIteratorIbN2at6native12_GLOBAL__N_19NonZeroOpIN3c107complexINSJ_4HalfEEEEEPKSM_lEENS0_5tupleIJPlS6_EEENSR_IJSD_SD_EEES6_PiJS6_EEE10hipError_tPvRmT3_T4_T5_T6_T7_T9_mT8_P12ihipStream_tbDpT10_ENKUlT_T0_E_clISt17integral_constantIbLb1EES1E_IbLb0EEEEDaS1A_S1B_EUlS1A_E_NS1_11comp_targetILNS1_3genE10ELNS1_11target_archE1200ELNS1_3gpuE4ELNS1_3repE0EEENS1_30default_config_static_selectorELNS0_4arch9wavefront6targetE0EEEvT1_.has_dyn_sized_stack, 0
	.set _ZN7rocprim17ROCPRIM_400000_NS6detail17trampoline_kernelINS0_14default_configENS1_25partition_config_selectorILNS1_17partition_subalgoE5ElNS0_10empty_typeEbEEZZNS1_14partition_implILS5_5ELb0ES3_mN6hipcub16HIPCUB_304000_NS21CountingInputIteratorIllEEPS6_NSA_22TransformInputIteratorIbN2at6native12_GLOBAL__N_19NonZeroOpIN3c107complexINSJ_4HalfEEEEEPKSM_lEENS0_5tupleIJPlS6_EEENSR_IJSD_SD_EEES6_PiJS6_EEE10hipError_tPvRmT3_T4_T5_T6_T7_T9_mT8_P12ihipStream_tbDpT10_ENKUlT_T0_E_clISt17integral_constantIbLb1EES1E_IbLb0EEEEDaS1A_S1B_EUlS1A_E_NS1_11comp_targetILNS1_3genE10ELNS1_11target_archE1200ELNS1_3gpuE4ELNS1_3repE0EEENS1_30default_config_static_selectorELNS0_4arch9wavefront6targetE0EEEvT1_.has_recursion, 0
	.set _ZN7rocprim17ROCPRIM_400000_NS6detail17trampoline_kernelINS0_14default_configENS1_25partition_config_selectorILNS1_17partition_subalgoE5ElNS0_10empty_typeEbEEZZNS1_14partition_implILS5_5ELb0ES3_mN6hipcub16HIPCUB_304000_NS21CountingInputIteratorIllEEPS6_NSA_22TransformInputIteratorIbN2at6native12_GLOBAL__N_19NonZeroOpIN3c107complexINSJ_4HalfEEEEEPKSM_lEENS0_5tupleIJPlS6_EEENSR_IJSD_SD_EEES6_PiJS6_EEE10hipError_tPvRmT3_T4_T5_T6_T7_T9_mT8_P12ihipStream_tbDpT10_ENKUlT_T0_E_clISt17integral_constantIbLb1EES1E_IbLb0EEEEDaS1A_S1B_EUlS1A_E_NS1_11comp_targetILNS1_3genE10ELNS1_11target_archE1200ELNS1_3gpuE4ELNS1_3repE0EEENS1_30default_config_static_selectorELNS0_4arch9wavefront6targetE0EEEvT1_.has_indirect_call, 0
	.section	.AMDGPU.csdata,"",@progbits
; Kernel info:
; codeLenInByte = 4
; TotalNumSgprs: 0
; NumVgprs: 0
; ScratchSize: 0
; MemoryBound: 0
; FloatMode: 240
; IeeeMode: 1
; LDSByteSize: 0 bytes/workgroup (compile time only)
; SGPRBlocks: 0
; VGPRBlocks: 0
; NumSGPRsForWavesPerEU: 1
; NumVGPRsForWavesPerEU: 1
; Occupancy: 16
; WaveLimiterHint : 0
; COMPUTE_PGM_RSRC2:SCRATCH_EN: 0
; COMPUTE_PGM_RSRC2:USER_SGPR: 2
; COMPUTE_PGM_RSRC2:TRAP_HANDLER: 0
; COMPUTE_PGM_RSRC2:TGID_X_EN: 1
; COMPUTE_PGM_RSRC2:TGID_Y_EN: 0
; COMPUTE_PGM_RSRC2:TGID_Z_EN: 0
; COMPUTE_PGM_RSRC2:TIDIG_COMP_CNT: 0
	.section	.text._ZN7rocprim17ROCPRIM_400000_NS6detail17trampoline_kernelINS0_14default_configENS1_25partition_config_selectorILNS1_17partition_subalgoE5ElNS0_10empty_typeEbEEZZNS1_14partition_implILS5_5ELb0ES3_mN6hipcub16HIPCUB_304000_NS21CountingInputIteratorIllEEPS6_NSA_22TransformInputIteratorIbN2at6native12_GLOBAL__N_19NonZeroOpIN3c107complexINSJ_4HalfEEEEEPKSM_lEENS0_5tupleIJPlS6_EEENSR_IJSD_SD_EEES6_PiJS6_EEE10hipError_tPvRmT3_T4_T5_T6_T7_T9_mT8_P12ihipStream_tbDpT10_ENKUlT_T0_E_clISt17integral_constantIbLb1EES1E_IbLb0EEEEDaS1A_S1B_EUlS1A_E_NS1_11comp_targetILNS1_3genE9ELNS1_11target_archE1100ELNS1_3gpuE3ELNS1_3repE0EEENS1_30default_config_static_selectorELNS0_4arch9wavefront6targetE0EEEvT1_,"axG",@progbits,_ZN7rocprim17ROCPRIM_400000_NS6detail17trampoline_kernelINS0_14default_configENS1_25partition_config_selectorILNS1_17partition_subalgoE5ElNS0_10empty_typeEbEEZZNS1_14partition_implILS5_5ELb0ES3_mN6hipcub16HIPCUB_304000_NS21CountingInputIteratorIllEEPS6_NSA_22TransformInputIteratorIbN2at6native12_GLOBAL__N_19NonZeroOpIN3c107complexINSJ_4HalfEEEEEPKSM_lEENS0_5tupleIJPlS6_EEENSR_IJSD_SD_EEES6_PiJS6_EEE10hipError_tPvRmT3_T4_T5_T6_T7_T9_mT8_P12ihipStream_tbDpT10_ENKUlT_T0_E_clISt17integral_constantIbLb1EES1E_IbLb0EEEEDaS1A_S1B_EUlS1A_E_NS1_11comp_targetILNS1_3genE9ELNS1_11target_archE1100ELNS1_3gpuE3ELNS1_3repE0EEENS1_30default_config_static_selectorELNS0_4arch9wavefront6targetE0EEEvT1_,comdat
	.globl	_ZN7rocprim17ROCPRIM_400000_NS6detail17trampoline_kernelINS0_14default_configENS1_25partition_config_selectorILNS1_17partition_subalgoE5ElNS0_10empty_typeEbEEZZNS1_14partition_implILS5_5ELb0ES3_mN6hipcub16HIPCUB_304000_NS21CountingInputIteratorIllEEPS6_NSA_22TransformInputIteratorIbN2at6native12_GLOBAL__N_19NonZeroOpIN3c107complexINSJ_4HalfEEEEEPKSM_lEENS0_5tupleIJPlS6_EEENSR_IJSD_SD_EEES6_PiJS6_EEE10hipError_tPvRmT3_T4_T5_T6_T7_T9_mT8_P12ihipStream_tbDpT10_ENKUlT_T0_E_clISt17integral_constantIbLb1EES1E_IbLb0EEEEDaS1A_S1B_EUlS1A_E_NS1_11comp_targetILNS1_3genE9ELNS1_11target_archE1100ELNS1_3gpuE3ELNS1_3repE0EEENS1_30default_config_static_selectorELNS0_4arch9wavefront6targetE0EEEvT1_ ; -- Begin function _ZN7rocprim17ROCPRIM_400000_NS6detail17trampoline_kernelINS0_14default_configENS1_25partition_config_selectorILNS1_17partition_subalgoE5ElNS0_10empty_typeEbEEZZNS1_14partition_implILS5_5ELb0ES3_mN6hipcub16HIPCUB_304000_NS21CountingInputIteratorIllEEPS6_NSA_22TransformInputIteratorIbN2at6native12_GLOBAL__N_19NonZeroOpIN3c107complexINSJ_4HalfEEEEEPKSM_lEENS0_5tupleIJPlS6_EEENSR_IJSD_SD_EEES6_PiJS6_EEE10hipError_tPvRmT3_T4_T5_T6_T7_T9_mT8_P12ihipStream_tbDpT10_ENKUlT_T0_E_clISt17integral_constantIbLb1EES1E_IbLb0EEEEDaS1A_S1B_EUlS1A_E_NS1_11comp_targetILNS1_3genE9ELNS1_11target_archE1100ELNS1_3gpuE3ELNS1_3repE0EEENS1_30default_config_static_selectorELNS0_4arch9wavefront6targetE0EEEvT1_
	.p2align	8
	.type	_ZN7rocprim17ROCPRIM_400000_NS6detail17trampoline_kernelINS0_14default_configENS1_25partition_config_selectorILNS1_17partition_subalgoE5ElNS0_10empty_typeEbEEZZNS1_14partition_implILS5_5ELb0ES3_mN6hipcub16HIPCUB_304000_NS21CountingInputIteratorIllEEPS6_NSA_22TransformInputIteratorIbN2at6native12_GLOBAL__N_19NonZeroOpIN3c107complexINSJ_4HalfEEEEEPKSM_lEENS0_5tupleIJPlS6_EEENSR_IJSD_SD_EEES6_PiJS6_EEE10hipError_tPvRmT3_T4_T5_T6_T7_T9_mT8_P12ihipStream_tbDpT10_ENKUlT_T0_E_clISt17integral_constantIbLb1EES1E_IbLb0EEEEDaS1A_S1B_EUlS1A_E_NS1_11comp_targetILNS1_3genE9ELNS1_11target_archE1100ELNS1_3gpuE3ELNS1_3repE0EEENS1_30default_config_static_selectorELNS0_4arch9wavefront6targetE0EEEvT1_,@function
_ZN7rocprim17ROCPRIM_400000_NS6detail17trampoline_kernelINS0_14default_configENS1_25partition_config_selectorILNS1_17partition_subalgoE5ElNS0_10empty_typeEbEEZZNS1_14partition_implILS5_5ELb0ES3_mN6hipcub16HIPCUB_304000_NS21CountingInputIteratorIllEEPS6_NSA_22TransformInputIteratorIbN2at6native12_GLOBAL__N_19NonZeroOpIN3c107complexINSJ_4HalfEEEEEPKSM_lEENS0_5tupleIJPlS6_EEENSR_IJSD_SD_EEES6_PiJS6_EEE10hipError_tPvRmT3_T4_T5_T6_T7_T9_mT8_P12ihipStream_tbDpT10_ENKUlT_T0_E_clISt17integral_constantIbLb1EES1E_IbLb0EEEEDaS1A_S1B_EUlS1A_E_NS1_11comp_targetILNS1_3genE9ELNS1_11target_archE1100ELNS1_3gpuE3ELNS1_3repE0EEENS1_30default_config_static_selectorELNS0_4arch9wavefront6targetE0EEEvT1_: ; @_ZN7rocprim17ROCPRIM_400000_NS6detail17trampoline_kernelINS0_14default_configENS1_25partition_config_selectorILNS1_17partition_subalgoE5ElNS0_10empty_typeEbEEZZNS1_14partition_implILS5_5ELb0ES3_mN6hipcub16HIPCUB_304000_NS21CountingInputIteratorIllEEPS6_NSA_22TransformInputIteratorIbN2at6native12_GLOBAL__N_19NonZeroOpIN3c107complexINSJ_4HalfEEEEEPKSM_lEENS0_5tupleIJPlS6_EEENSR_IJSD_SD_EEES6_PiJS6_EEE10hipError_tPvRmT3_T4_T5_T6_T7_T9_mT8_P12ihipStream_tbDpT10_ENKUlT_T0_E_clISt17integral_constantIbLb1EES1E_IbLb0EEEEDaS1A_S1B_EUlS1A_E_NS1_11comp_targetILNS1_3genE9ELNS1_11target_archE1100ELNS1_3gpuE3ELNS1_3repE0EEENS1_30default_config_static_selectorELNS0_4arch9wavefront6targetE0EEEvT1_
; %bb.0:
	.section	.rodata,"a",@progbits
	.p2align	6, 0x0
	.amdhsa_kernel _ZN7rocprim17ROCPRIM_400000_NS6detail17trampoline_kernelINS0_14default_configENS1_25partition_config_selectorILNS1_17partition_subalgoE5ElNS0_10empty_typeEbEEZZNS1_14partition_implILS5_5ELb0ES3_mN6hipcub16HIPCUB_304000_NS21CountingInputIteratorIllEEPS6_NSA_22TransformInputIteratorIbN2at6native12_GLOBAL__N_19NonZeroOpIN3c107complexINSJ_4HalfEEEEEPKSM_lEENS0_5tupleIJPlS6_EEENSR_IJSD_SD_EEES6_PiJS6_EEE10hipError_tPvRmT3_T4_T5_T6_T7_T9_mT8_P12ihipStream_tbDpT10_ENKUlT_T0_E_clISt17integral_constantIbLb1EES1E_IbLb0EEEEDaS1A_S1B_EUlS1A_E_NS1_11comp_targetILNS1_3genE9ELNS1_11target_archE1100ELNS1_3gpuE3ELNS1_3repE0EEENS1_30default_config_static_selectorELNS0_4arch9wavefront6targetE0EEEvT1_
		.amdhsa_group_segment_fixed_size 0
		.amdhsa_private_segment_fixed_size 0
		.amdhsa_kernarg_size 120
		.amdhsa_user_sgpr_count 2
		.amdhsa_user_sgpr_dispatch_ptr 0
		.amdhsa_user_sgpr_queue_ptr 0
		.amdhsa_user_sgpr_kernarg_segment_ptr 1
		.amdhsa_user_sgpr_dispatch_id 0
		.amdhsa_user_sgpr_private_segment_size 0
		.amdhsa_wavefront_size32 1
		.amdhsa_uses_dynamic_stack 0
		.amdhsa_enable_private_segment 0
		.amdhsa_system_sgpr_workgroup_id_x 1
		.amdhsa_system_sgpr_workgroup_id_y 0
		.amdhsa_system_sgpr_workgroup_id_z 0
		.amdhsa_system_sgpr_workgroup_info 0
		.amdhsa_system_vgpr_workitem_id 0
		.amdhsa_next_free_vgpr 1
		.amdhsa_next_free_sgpr 1
		.amdhsa_reserve_vcc 0
		.amdhsa_float_round_mode_32 0
		.amdhsa_float_round_mode_16_64 0
		.amdhsa_float_denorm_mode_32 3
		.amdhsa_float_denorm_mode_16_64 3
		.amdhsa_fp16_overflow 0
		.amdhsa_workgroup_processor_mode 1
		.amdhsa_memory_ordered 1
		.amdhsa_forward_progress 1
		.amdhsa_inst_pref_size 0
		.amdhsa_round_robin_scheduling 0
		.amdhsa_exception_fp_ieee_invalid_op 0
		.amdhsa_exception_fp_denorm_src 0
		.amdhsa_exception_fp_ieee_div_zero 0
		.amdhsa_exception_fp_ieee_overflow 0
		.amdhsa_exception_fp_ieee_underflow 0
		.amdhsa_exception_fp_ieee_inexact 0
		.amdhsa_exception_int_div_zero 0
	.end_amdhsa_kernel
	.section	.text._ZN7rocprim17ROCPRIM_400000_NS6detail17trampoline_kernelINS0_14default_configENS1_25partition_config_selectorILNS1_17partition_subalgoE5ElNS0_10empty_typeEbEEZZNS1_14partition_implILS5_5ELb0ES3_mN6hipcub16HIPCUB_304000_NS21CountingInputIteratorIllEEPS6_NSA_22TransformInputIteratorIbN2at6native12_GLOBAL__N_19NonZeroOpIN3c107complexINSJ_4HalfEEEEEPKSM_lEENS0_5tupleIJPlS6_EEENSR_IJSD_SD_EEES6_PiJS6_EEE10hipError_tPvRmT3_T4_T5_T6_T7_T9_mT8_P12ihipStream_tbDpT10_ENKUlT_T0_E_clISt17integral_constantIbLb1EES1E_IbLb0EEEEDaS1A_S1B_EUlS1A_E_NS1_11comp_targetILNS1_3genE9ELNS1_11target_archE1100ELNS1_3gpuE3ELNS1_3repE0EEENS1_30default_config_static_selectorELNS0_4arch9wavefront6targetE0EEEvT1_,"axG",@progbits,_ZN7rocprim17ROCPRIM_400000_NS6detail17trampoline_kernelINS0_14default_configENS1_25partition_config_selectorILNS1_17partition_subalgoE5ElNS0_10empty_typeEbEEZZNS1_14partition_implILS5_5ELb0ES3_mN6hipcub16HIPCUB_304000_NS21CountingInputIteratorIllEEPS6_NSA_22TransformInputIteratorIbN2at6native12_GLOBAL__N_19NonZeroOpIN3c107complexINSJ_4HalfEEEEEPKSM_lEENS0_5tupleIJPlS6_EEENSR_IJSD_SD_EEES6_PiJS6_EEE10hipError_tPvRmT3_T4_T5_T6_T7_T9_mT8_P12ihipStream_tbDpT10_ENKUlT_T0_E_clISt17integral_constantIbLb1EES1E_IbLb0EEEEDaS1A_S1B_EUlS1A_E_NS1_11comp_targetILNS1_3genE9ELNS1_11target_archE1100ELNS1_3gpuE3ELNS1_3repE0EEENS1_30default_config_static_selectorELNS0_4arch9wavefront6targetE0EEEvT1_,comdat
.Lfunc_end684:
	.size	_ZN7rocprim17ROCPRIM_400000_NS6detail17trampoline_kernelINS0_14default_configENS1_25partition_config_selectorILNS1_17partition_subalgoE5ElNS0_10empty_typeEbEEZZNS1_14partition_implILS5_5ELb0ES3_mN6hipcub16HIPCUB_304000_NS21CountingInputIteratorIllEEPS6_NSA_22TransformInputIteratorIbN2at6native12_GLOBAL__N_19NonZeroOpIN3c107complexINSJ_4HalfEEEEEPKSM_lEENS0_5tupleIJPlS6_EEENSR_IJSD_SD_EEES6_PiJS6_EEE10hipError_tPvRmT3_T4_T5_T6_T7_T9_mT8_P12ihipStream_tbDpT10_ENKUlT_T0_E_clISt17integral_constantIbLb1EES1E_IbLb0EEEEDaS1A_S1B_EUlS1A_E_NS1_11comp_targetILNS1_3genE9ELNS1_11target_archE1100ELNS1_3gpuE3ELNS1_3repE0EEENS1_30default_config_static_selectorELNS0_4arch9wavefront6targetE0EEEvT1_, .Lfunc_end684-_ZN7rocprim17ROCPRIM_400000_NS6detail17trampoline_kernelINS0_14default_configENS1_25partition_config_selectorILNS1_17partition_subalgoE5ElNS0_10empty_typeEbEEZZNS1_14partition_implILS5_5ELb0ES3_mN6hipcub16HIPCUB_304000_NS21CountingInputIteratorIllEEPS6_NSA_22TransformInputIteratorIbN2at6native12_GLOBAL__N_19NonZeroOpIN3c107complexINSJ_4HalfEEEEEPKSM_lEENS0_5tupleIJPlS6_EEENSR_IJSD_SD_EEES6_PiJS6_EEE10hipError_tPvRmT3_T4_T5_T6_T7_T9_mT8_P12ihipStream_tbDpT10_ENKUlT_T0_E_clISt17integral_constantIbLb1EES1E_IbLb0EEEEDaS1A_S1B_EUlS1A_E_NS1_11comp_targetILNS1_3genE9ELNS1_11target_archE1100ELNS1_3gpuE3ELNS1_3repE0EEENS1_30default_config_static_selectorELNS0_4arch9wavefront6targetE0EEEvT1_
                                        ; -- End function
	.set _ZN7rocprim17ROCPRIM_400000_NS6detail17trampoline_kernelINS0_14default_configENS1_25partition_config_selectorILNS1_17partition_subalgoE5ElNS0_10empty_typeEbEEZZNS1_14partition_implILS5_5ELb0ES3_mN6hipcub16HIPCUB_304000_NS21CountingInputIteratorIllEEPS6_NSA_22TransformInputIteratorIbN2at6native12_GLOBAL__N_19NonZeroOpIN3c107complexINSJ_4HalfEEEEEPKSM_lEENS0_5tupleIJPlS6_EEENSR_IJSD_SD_EEES6_PiJS6_EEE10hipError_tPvRmT3_T4_T5_T6_T7_T9_mT8_P12ihipStream_tbDpT10_ENKUlT_T0_E_clISt17integral_constantIbLb1EES1E_IbLb0EEEEDaS1A_S1B_EUlS1A_E_NS1_11comp_targetILNS1_3genE9ELNS1_11target_archE1100ELNS1_3gpuE3ELNS1_3repE0EEENS1_30default_config_static_selectorELNS0_4arch9wavefront6targetE0EEEvT1_.num_vgpr, 0
	.set _ZN7rocprim17ROCPRIM_400000_NS6detail17trampoline_kernelINS0_14default_configENS1_25partition_config_selectorILNS1_17partition_subalgoE5ElNS0_10empty_typeEbEEZZNS1_14partition_implILS5_5ELb0ES3_mN6hipcub16HIPCUB_304000_NS21CountingInputIteratorIllEEPS6_NSA_22TransformInputIteratorIbN2at6native12_GLOBAL__N_19NonZeroOpIN3c107complexINSJ_4HalfEEEEEPKSM_lEENS0_5tupleIJPlS6_EEENSR_IJSD_SD_EEES6_PiJS6_EEE10hipError_tPvRmT3_T4_T5_T6_T7_T9_mT8_P12ihipStream_tbDpT10_ENKUlT_T0_E_clISt17integral_constantIbLb1EES1E_IbLb0EEEEDaS1A_S1B_EUlS1A_E_NS1_11comp_targetILNS1_3genE9ELNS1_11target_archE1100ELNS1_3gpuE3ELNS1_3repE0EEENS1_30default_config_static_selectorELNS0_4arch9wavefront6targetE0EEEvT1_.num_agpr, 0
	.set _ZN7rocprim17ROCPRIM_400000_NS6detail17trampoline_kernelINS0_14default_configENS1_25partition_config_selectorILNS1_17partition_subalgoE5ElNS0_10empty_typeEbEEZZNS1_14partition_implILS5_5ELb0ES3_mN6hipcub16HIPCUB_304000_NS21CountingInputIteratorIllEEPS6_NSA_22TransformInputIteratorIbN2at6native12_GLOBAL__N_19NonZeroOpIN3c107complexINSJ_4HalfEEEEEPKSM_lEENS0_5tupleIJPlS6_EEENSR_IJSD_SD_EEES6_PiJS6_EEE10hipError_tPvRmT3_T4_T5_T6_T7_T9_mT8_P12ihipStream_tbDpT10_ENKUlT_T0_E_clISt17integral_constantIbLb1EES1E_IbLb0EEEEDaS1A_S1B_EUlS1A_E_NS1_11comp_targetILNS1_3genE9ELNS1_11target_archE1100ELNS1_3gpuE3ELNS1_3repE0EEENS1_30default_config_static_selectorELNS0_4arch9wavefront6targetE0EEEvT1_.numbered_sgpr, 0
	.set _ZN7rocprim17ROCPRIM_400000_NS6detail17trampoline_kernelINS0_14default_configENS1_25partition_config_selectorILNS1_17partition_subalgoE5ElNS0_10empty_typeEbEEZZNS1_14partition_implILS5_5ELb0ES3_mN6hipcub16HIPCUB_304000_NS21CountingInputIteratorIllEEPS6_NSA_22TransformInputIteratorIbN2at6native12_GLOBAL__N_19NonZeroOpIN3c107complexINSJ_4HalfEEEEEPKSM_lEENS0_5tupleIJPlS6_EEENSR_IJSD_SD_EEES6_PiJS6_EEE10hipError_tPvRmT3_T4_T5_T6_T7_T9_mT8_P12ihipStream_tbDpT10_ENKUlT_T0_E_clISt17integral_constantIbLb1EES1E_IbLb0EEEEDaS1A_S1B_EUlS1A_E_NS1_11comp_targetILNS1_3genE9ELNS1_11target_archE1100ELNS1_3gpuE3ELNS1_3repE0EEENS1_30default_config_static_selectorELNS0_4arch9wavefront6targetE0EEEvT1_.num_named_barrier, 0
	.set _ZN7rocprim17ROCPRIM_400000_NS6detail17trampoline_kernelINS0_14default_configENS1_25partition_config_selectorILNS1_17partition_subalgoE5ElNS0_10empty_typeEbEEZZNS1_14partition_implILS5_5ELb0ES3_mN6hipcub16HIPCUB_304000_NS21CountingInputIteratorIllEEPS6_NSA_22TransformInputIteratorIbN2at6native12_GLOBAL__N_19NonZeroOpIN3c107complexINSJ_4HalfEEEEEPKSM_lEENS0_5tupleIJPlS6_EEENSR_IJSD_SD_EEES6_PiJS6_EEE10hipError_tPvRmT3_T4_T5_T6_T7_T9_mT8_P12ihipStream_tbDpT10_ENKUlT_T0_E_clISt17integral_constantIbLb1EES1E_IbLb0EEEEDaS1A_S1B_EUlS1A_E_NS1_11comp_targetILNS1_3genE9ELNS1_11target_archE1100ELNS1_3gpuE3ELNS1_3repE0EEENS1_30default_config_static_selectorELNS0_4arch9wavefront6targetE0EEEvT1_.private_seg_size, 0
	.set _ZN7rocprim17ROCPRIM_400000_NS6detail17trampoline_kernelINS0_14default_configENS1_25partition_config_selectorILNS1_17partition_subalgoE5ElNS0_10empty_typeEbEEZZNS1_14partition_implILS5_5ELb0ES3_mN6hipcub16HIPCUB_304000_NS21CountingInputIteratorIllEEPS6_NSA_22TransformInputIteratorIbN2at6native12_GLOBAL__N_19NonZeroOpIN3c107complexINSJ_4HalfEEEEEPKSM_lEENS0_5tupleIJPlS6_EEENSR_IJSD_SD_EEES6_PiJS6_EEE10hipError_tPvRmT3_T4_T5_T6_T7_T9_mT8_P12ihipStream_tbDpT10_ENKUlT_T0_E_clISt17integral_constantIbLb1EES1E_IbLb0EEEEDaS1A_S1B_EUlS1A_E_NS1_11comp_targetILNS1_3genE9ELNS1_11target_archE1100ELNS1_3gpuE3ELNS1_3repE0EEENS1_30default_config_static_selectorELNS0_4arch9wavefront6targetE0EEEvT1_.uses_vcc, 0
	.set _ZN7rocprim17ROCPRIM_400000_NS6detail17trampoline_kernelINS0_14default_configENS1_25partition_config_selectorILNS1_17partition_subalgoE5ElNS0_10empty_typeEbEEZZNS1_14partition_implILS5_5ELb0ES3_mN6hipcub16HIPCUB_304000_NS21CountingInputIteratorIllEEPS6_NSA_22TransformInputIteratorIbN2at6native12_GLOBAL__N_19NonZeroOpIN3c107complexINSJ_4HalfEEEEEPKSM_lEENS0_5tupleIJPlS6_EEENSR_IJSD_SD_EEES6_PiJS6_EEE10hipError_tPvRmT3_T4_T5_T6_T7_T9_mT8_P12ihipStream_tbDpT10_ENKUlT_T0_E_clISt17integral_constantIbLb1EES1E_IbLb0EEEEDaS1A_S1B_EUlS1A_E_NS1_11comp_targetILNS1_3genE9ELNS1_11target_archE1100ELNS1_3gpuE3ELNS1_3repE0EEENS1_30default_config_static_selectorELNS0_4arch9wavefront6targetE0EEEvT1_.uses_flat_scratch, 0
	.set _ZN7rocprim17ROCPRIM_400000_NS6detail17trampoline_kernelINS0_14default_configENS1_25partition_config_selectorILNS1_17partition_subalgoE5ElNS0_10empty_typeEbEEZZNS1_14partition_implILS5_5ELb0ES3_mN6hipcub16HIPCUB_304000_NS21CountingInputIteratorIllEEPS6_NSA_22TransformInputIteratorIbN2at6native12_GLOBAL__N_19NonZeroOpIN3c107complexINSJ_4HalfEEEEEPKSM_lEENS0_5tupleIJPlS6_EEENSR_IJSD_SD_EEES6_PiJS6_EEE10hipError_tPvRmT3_T4_T5_T6_T7_T9_mT8_P12ihipStream_tbDpT10_ENKUlT_T0_E_clISt17integral_constantIbLb1EES1E_IbLb0EEEEDaS1A_S1B_EUlS1A_E_NS1_11comp_targetILNS1_3genE9ELNS1_11target_archE1100ELNS1_3gpuE3ELNS1_3repE0EEENS1_30default_config_static_selectorELNS0_4arch9wavefront6targetE0EEEvT1_.has_dyn_sized_stack, 0
	.set _ZN7rocprim17ROCPRIM_400000_NS6detail17trampoline_kernelINS0_14default_configENS1_25partition_config_selectorILNS1_17partition_subalgoE5ElNS0_10empty_typeEbEEZZNS1_14partition_implILS5_5ELb0ES3_mN6hipcub16HIPCUB_304000_NS21CountingInputIteratorIllEEPS6_NSA_22TransformInputIteratorIbN2at6native12_GLOBAL__N_19NonZeroOpIN3c107complexINSJ_4HalfEEEEEPKSM_lEENS0_5tupleIJPlS6_EEENSR_IJSD_SD_EEES6_PiJS6_EEE10hipError_tPvRmT3_T4_T5_T6_T7_T9_mT8_P12ihipStream_tbDpT10_ENKUlT_T0_E_clISt17integral_constantIbLb1EES1E_IbLb0EEEEDaS1A_S1B_EUlS1A_E_NS1_11comp_targetILNS1_3genE9ELNS1_11target_archE1100ELNS1_3gpuE3ELNS1_3repE0EEENS1_30default_config_static_selectorELNS0_4arch9wavefront6targetE0EEEvT1_.has_recursion, 0
	.set _ZN7rocprim17ROCPRIM_400000_NS6detail17trampoline_kernelINS0_14default_configENS1_25partition_config_selectorILNS1_17partition_subalgoE5ElNS0_10empty_typeEbEEZZNS1_14partition_implILS5_5ELb0ES3_mN6hipcub16HIPCUB_304000_NS21CountingInputIteratorIllEEPS6_NSA_22TransformInputIteratorIbN2at6native12_GLOBAL__N_19NonZeroOpIN3c107complexINSJ_4HalfEEEEEPKSM_lEENS0_5tupleIJPlS6_EEENSR_IJSD_SD_EEES6_PiJS6_EEE10hipError_tPvRmT3_T4_T5_T6_T7_T9_mT8_P12ihipStream_tbDpT10_ENKUlT_T0_E_clISt17integral_constantIbLb1EES1E_IbLb0EEEEDaS1A_S1B_EUlS1A_E_NS1_11comp_targetILNS1_3genE9ELNS1_11target_archE1100ELNS1_3gpuE3ELNS1_3repE0EEENS1_30default_config_static_selectorELNS0_4arch9wavefront6targetE0EEEvT1_.has_indirect_call, 0
	.section	.AMDGPU.csdata,"",@progbits
; Kernel info:
; codeLenInByte = 0
; TotalNumSgprs: 0
; NumVgprs: 0
; ScratchSize: 0
; MemoryBound: 0
; FloatMode: 240
; IeeeMode: 1
; LDSByteSize: 0 bytes/workgroup (compile time only)
; SGPRBlocks: 0
; VGPRBlocks: 0
; NumSGPRsForWavesPerEU: 1
; NumVGPRsForWavesPerEU: 1
; Occupancy: 16
; WaveLimiterHint : 0
; COMPUTE_PGM_RSRC2:SCRATCH_EN: 0
; COMPUTE_PGM_RSRC2:USER_SGPR: 2
; COMPUTE_PGM_RSRC2:TRAP_HANDLER: 0
; COMPUTE_PGM_RSRC2:TGID_X_EN: 1
; COMPUTE_PGM_RSRC2:TGID_Y_EN: 0
; COMPUTE_PGM_RSRC2:TGID_Z_EN: 0
; COMPUTE_PGM_RSRC2:TIDIG_COMP_CNT: 0
	.section	.text._ZN7rocprim17ROCPRIM_400000_NS6detail17trampoline_kernelINS0_14default_configENS1_25partition_config_selectorILNS1_17partition_subalgoE5ElNS0_10empty_typeEbEEZZNS1_14partition_implILS5_5ELb0ES3_mN6hipcub16HIPCUB_304000_NS21CountingInputIteratorIllEEPS6_NSA_22TransformInputIteratorIbN2at6native12_GLOBAL__N_19NonZeroOpIN3c107complexINSJ_4HalfEEEEEPKSM_lEENS0_5tupleIJPlS6_EEENSR_IJSD_SD_EEES6_PiJS6_EEE10hipError_tPvRmT3_T4_T5_T6_T7_T9_mT8_P12ihipStream_tbDpT10_ENKUlT_T0_E_clISt17integral_constantIbLb1EES1E_IbLb0EEEEDaS1A_S1B_EUlS1A_E_NS1_11comp_targetILNS1_3genE8ELNS1_11target_archE1030ELNS1_3gpuE2ELNS1_3repE0EEENS1_30default_config_static_selectorELNS0_4arch9wavefront6targetE0EEEvT1_,"axG",@progbits,_ZN7rocprim17ROCPRIM_400000_NS6detail17trampoline_kernelINS0_14default_configENS1_25partition_config_selectorILNS1_17partition_subalgoE5ElNS0_10empty_typeEbEEZZNS1_14partition_implILS5_5ELb0ES3_mN6hipcub16HIPCUB_304000_NS21CountingInputIteratorIllEEPS6_NSA_22TransformInputIteratorIbN2at6native12_GLOBAL__N_19NonZeroOpIN3c107complexINSJ_4HalfEEEEEPKSM_lEENS0_5tupleIJPlS6_EEENSR_IJSD_SD_EEES6_PiJS6_EEE10hipError_tPvRmT3_T4_T5_T6_T7_T9_mT8_P12ihipStream_tbDpT10_ENKUlT_T0_E_clISt17integral_constantIbLb1EES1E_IbLb0EEEEDaS1A_S1B_EUlS1A_E_NS1_11comp_targetILNS1_3genE8ELNS1_11target_archE1030ELNS1_3gpuE2ELNS1_3repE0EEENS1_30default_config_static_selectorELNS0_4arch9wavefront6targetE0EEEvT1_,comdat
	.globl	_ZN7rocprim17ROCPRIM_400000_NS6detail17trampoline_kernelINS0_14default_configENS1_25partition_config_selectorILNS1_17partition_subalgoE5ElNS0_10empty_typeEbEEZZNS1_14partition_implILS5_5ELb0ES3_mN6hipcub16HIPCUB_304000_NS21CountingInputIteratorIllEEPS6_NSA_22TransformInputIteratorIbN2at6native12_GLOBAL__N_19NonZeroOpIN3c107complexINSJ_4HalfEEEEEPKSM_lEENS0_5tupleIJPlS6_EEENSR_IJSD_SD_EEES6_PiJS6_EEE10hipError_tPvRmT3_T4_T5_T6_T7_T9_mT8_P12ihipStream_tbDpT10_ENKUlT_T0_E_clISt17integral_constantIbLb1EES1E_IbLb0EEEEDaS1A_S1B_EUlS1A_E_NS1_11comp_targetILNS1_3genE8ELNS1_11target_archE1030ELNS1_3gpuE2ELNS1_3repE0EEENS1_30default_config_static_selectorELNS0_4arch9wavefront6targetE0EEEvT1_ ; -- Begin function _ZN7rocprim17ROCPRIM_400000_NS6detail17trampoline_kernelINS0_14default_configENS1_25partition_config_selectorILNS1_17partition_subalgoE5ElNS0_10empty_typeEbEEZZNS1_14partition_implILS5_5ELb0ES3_mN6hipcub16HIPCUB_304000_NS21CountingInputIteratorIllEEPS6_NSA_22TransformInputIteratorIbN2at6native12_GLOBAL__N_19NonZeroOpIN3c107complexINSJ_4HalfEEEEEPKSM_lEENS0_5tupleIJPlS6_EEENSR_IJSD_SD_EEES6_PiJS6_EEE10hipError_tPvRmT3_T4_T5_T6_T7_T9_mT8_P12ihipStream_tbDpT10_ENKUlT_T0_E_clISt17integral_constantIbLb1EES1E_IbLb0EEEEDaS1A_S1B_EUlS1A_E_NS1_11comp_targetILNS1_3genE8ELNS1_11target_archE1030ELNS1_3gpuE2ELNS1_3repE0EEENS1_30default_config_static_selectorELNS0_4arch9wavefront6targetE0EEEvT1_
	.p2align	8
	.type	_ZN7rocprim17ROCPRIM_400000_NS6detail17trampoline_kernelINS0_14default_configENS1_25partition_config_selectorILNS1_17partition_subalgoE5ElNS0_10empty_typeEbEEZZNS1_14partition_implILS5_5ELb0ES3_mN6hipcub16HIPCUB_304000_NS21CountingInputIteratorIllEEPS6_NSA_22TransformInputIteratorIbN2at6native12_GLOBAL__N_19NonZeroOpIN3c107complexINSJ_4HalfEEEEEPKSM_lEENS0_5tupleIJPlS6_EEENSR_IJSD_SD_EEES6_PiJS6_EEE10hipError_tPvRmT3_T4_T5_T6_T7_T9_mT8_P12ihipStream_tbDpT10_ENKUlT_T0_E_clISt17integral_constantIbLb1EES1E_IbLb0EEEEDaS1A_S1B_EUlS1A_E_NS1_11comp_targetILNS1_3genE8ELNS1_11target_archE1030ELNS1_3gpuE2ELNS1_3repE0EEENS1_30default_config_static_selectorELNS0_4arch9wavefront6targetE0EEEvT1_,@function
_ZN7rocprim17ROCPRIM_400000_NS6detail17trampoline_kernelINS0_14default_configENS1_25partition_config_selectorILNS1_17partition_subalgoE5ElNS0_10empty_typeEbEEZZNS1_14partition_implILS5_5ELb0ES3_mN6hipcub16HIPCUB_304000_NS21CountingInputIteratorIllEEPS6_NSA_22TransformInputIteratorIbN2at6native12_GLOBAL__N_19NonZeroOpIN3c107complexINSJ_4HalfEEEEEPKSM_lEENS0_5tupleIJPlS6_EEENSR_IJSD_SD_EEES6_PiJS6_EEE10hipError_tPvRmT3_T4_T5_T6_T7_T9_mT8_P12ihipStream_tbDpT10_ENKUlT_T0_E_clISt17integral_constantIbLb1EES1E_IbLb0EEEEDaS1A_S1B_EUlS1A_E_NS1_11comp_targetILNS1_3genE8ELNS1_11target_archE1030ELNS1_3gpuE2ELNS1_3repE0EEENS1_30default_config_static_selectorELNS0_4arch9wavefront6targetE0EEEvT1_: ; @_ZN7rocprim17ROCPRIM_400000_NS6detail17trampoline_kernelINS0_14default_configENS1_25partition_config_selectorILNS1_17partition_subalgoE5ElNS0_10empty_typeEbEEZZNS1_14partition_implILS5_5ELb0ES3_mN6hipcub16HIPCUB_304000_NS21CountingInputIteratorIllEEPS6_NSA_22TransformInputIteratorIbN2at6native12_GLOBAL__N_19NonZeroOpIN3c107complexINSJ_4HalfEEEEEPKSM_lEENS0_5tupleIJPlS6_EEENSR_IJSD_SD_EEES6_PiJS6_EEE10hipError_tPvRmT3_T4_T5_T6_T7_T9_mT8_P12ihipStream_tbDpT10_ENKUlT_T0_E_clISt17integral_constantIbLb1EES1E_IbLb0EEEEDaS1A_S1B_EUlS1A_E_NS1_11comp_targetILNS1_3genE8ELNS1_11target_archE1030ELNS1_3gpuE2ELNS1_3repE0EEENS1_30default_config_static_selectorELNS0_4arch9wavefront6targetE0EEEvT1_
; %bb.0:
	.section	.rodata,"a",@progbits
	.p2align	6, 0x0
	.amdhsa_kernel _ZN7rocprim17ROCPRIM_400000_NS6detail17trampoline_kernelINS0_14default_configENS1_25partition_config_selectorILNS1_17partition_subalgoE5ElNS0_10empty_typeEbEEZZNS1_14partition_implILS5_5ELb0ES3_mN6hipcub16HIPCUB_304000_NS21CountingInputIteratorIllEEPS6_NSA_22TransformInputIteratorIbN2at6native12_GLOBAL__N_19NonZeroOpIN3c107complexINSJ_4HalfEEEEEPKSM_lEENS0_5tupleIJPlS6_EEENSR_IJSD_SD_EEES6_PiJS6_EEE10hipError_tPvRmT3_T4_T5_T6_T7_T9_mT8_P12ihipStream_tbDpT10_ENKUlT_T0_E_clISt17integral_constantIbLb1EES1E_IbLb0EEEEDaS1A_S1B_EUlS1A_E_NS1_11comp_targetILNS1_3genE8ELNS1_11target_archE1030ELNS1_3gpuE2ELNS1_3repE0EEENS1_30default_config_static_selectorELNS0_4arch9wavefront6targetE0EEEvT1_
		.amdhsa_group_segment_fixed_size 0
		.amdhsa_private_segment_fixed_size 0
		.amdhsa_kernarg_size 120
		.amdhsa_user_sgpr_count 2
		.amdhsa_user_sgpr_dispatch_ptr 0
		.amdhsa_user_sgpr_queue_ptr 0
		.amdhsa_user_sgpr_kernarg_segment_ptr 1
		.amdhsa_user_sgpr_dispatch_id 0
		.amdhsa_user_sgpr_private_segment_size 0
		.amdhsa_wavefront_size32 1
		.amdhsa_uses_dynamic_stack 0
		.amdhsa_enable_private_segment 0
		.amdhsa_system_sgpr_workgroup_id_x 1
		.amdhsa_system_sgpr_workgroup_id_y 0
		.amdhsa_system_sgpr_workgroup_id_z 0
		.amdhsa_system_sgpr_workgroup_info 0
		.amdhsa_system_vgpr_workitem_id 0
		.amdhsa_next_free_vgpr 1
		.amdhsa_next_free_sgpr 1
		.amdhsa_reserve_vcc 0
		.amdhsa_float_round_mode_32 0
		.amdhsa_float_round_mode_16_64 0
		.amdhsa_float_denorm_mode_32 3
		.amdhsa_float_denorm_mode_16_64 3
		.amdhsa_fp16_overflow 0
		.amdhsa_workgroup_processor_mode 1
		.amdhsa_memory_ordered 1
		.amdhsa_forward_progress 1
		.amdhsa_inst_pref_size 0
		.amdhsa_round_robin_scheduling 0
		.amdhsa_exception_fp_ieee_invalid_op 0
		.amdhsa_exception_fp_denorm_src 0
		.amdhsa_exception_fp_ieee_div_zero 0
		.amdhsa_exception_fp_ieee_overflow 0
		.amdhsa_exception_fp_ieee_underflow 0
		.amdhsa_exception_fp_ieee_inexact 0
		.amdhsa_exception_int_div_zero 0
	.end_amdhsa_kernel
	.section	.text._ZN7rocprim17ROCPRIM_400000_NS6detail17trampoline_kernelINS0_14default_configENS1_25partition_config_selectorILNS1_17partition_subalgoE5ElNS0_10empty_typeEbEEZZNS1_14partition_implILS5_5ELb0ES3_mN6hipcub16HIPCUB_304000_NS21CountingInputIteratorIllEEPS6_NSA_22TransformInputIteratorIbN2at6native12_GLOBAL__N_19NonZeroOpIN3c107complexINSJ_4HalfEEEEEPKSM_lEENS0_5tupleIJPlS6_EEENSR_IJSD_SD_EEES6_PiJS6_EEE10hipError_tPvRmT3_T4_T5_T6_T7_T9_mT8_P12ihipStream_tbDpT10_ENKUlT_T0_E_clISt17integral_constantIbLb1EES1E_IbLb0EEEEDaS1A_S1B_EUlS1A_E_NS1_11comp_targetILNS1_3genE8ELNS1_11target_archE1030ELNS1_3gpuE2ELNS1_3repE0EEENS1_30default_config_static_selectorELNS0_4arch9wavefront6targetE0EEEvT1_,"axG",@progbits,_ZN7rocprim17ROCPRIM_400000_NS6detail17trampoline_kernelINS0_14default_configENS1_25partition_config_selectorILNS1_17partition_subalgoE5ElNS0_10empty_typeEbEEZZNS1_14partition_implILS5_5ELb0ES3_mN6hipcub16HIPCUB_304000_NS21CountingInputIteratorIllEEPS6_NSA_22TransformInputIteratorIbN2at6native12_GLOBAL__N_19NonZeroOpIN3c107complexINSJ_4HalfEEEEEPKSM_lEENS0_5tupleIJPlS6_EEENSR_IJSD_SD_EEES6_PiJS6_EEE10hipError_tPvRmT3_T4_T5_T6_T7_T9_mT8_P12ihipStream_tbDpT10_ENKUlT_T0_E_clISt17integral_constantIbLb1EES1E_IbLb0EEEEDaS1A_S1B_EUlS1A_E_NS1_11comp_targetILNS1_3genE8ELNS1_11target_archE1030ELNS1_3gpuE2ELNS1_3repE0EEENS1_30default_config_static_selectorELNS0_4arch9wavefront6targetE0EEEvT1_,comdat
.Lfunc_end685:
	.size	_ZN7rocprim17ROCPRIM_400000_NS6detail17trampoline_kernelINS0_14default_configENS1_25partition_config_selectorILNS1_17partition_subalgoE5ElNS0_10empty_typeEbEEZZNS1_14partition_implILS5_5ELb0ES3_mN6hipcub16HIPCUB_304000_NS21CountingInputIteratorIllEEPS6_NSA_22TransformInputIteratorIbN2at6native12_GLOBAL__N_19NonZeroOpIN3c107complexINSJ_4HalfEEEEEPKSM_lEENS0_5tupleIJPlS6_EEENSR_IJSD_SD_EEES6_PiJS6_EEE10hipError_tPvRmT3_T4_T5_T6_T7_T9_mT8_P12ihipStream_tbDpT10_ENKUlT_T0_E_clISt17integral_constantIbLb1EES1E_IbLb0EEEEDaS1A_S1B_EUlS1A_E_NS1_11comp_targetILNS1_3genE8ELNS1_11target_archE1030ELNS1_3gpuE2ELNS1_3repE0EEENS1_30default_config_static_selectorELNS0_4arch9wavefront6targetE0EEEvT1_, .Lfunc_end685-_ZN7rocprim17ROCPRIM_400000_NS6detail17trampoline_kernelINS0_14default_configENS1_25partition_config_selectorILNS1_17partition_subalgoE5ElNS0_10empty_typeEbEEZZNS1_14partition_implILS5_5ELb0ES3_mN6hipcub16HIPCUB_304000_NS21CountingInputIteratorIllEEPS6_NSA_22TransformInputIteratorIbN2at6native12_GLOBAL__N_19NonZeroOpIN3c107complexINSJ_4HalfEEEEEPKSM_lEENS0_5tupleIJPlS6_EEENSR_IJSD_SD_EEES6_PiJS6_EEE10hipError_tPvRmT3_T4_T5_T6_T7_T9_mT8_P12ihipStream_tbDpT10_ENKUlT_T0_E_clISt17integral_constantIbLb1EES1E_IbLb0EEEEDaS1A_S1B_EUlS1A_E_NS1_11comp_targetILNS1_3genE8ELNS1_11target_archE1030ELNS1_3gpuE2ELNS1_3repE0EEENS1_30default_config_static_selectorELNS0_4arch9wavefront6targetE0EEEvT1_
                                        ; -- End function
	.set _ZN7rocprim17ROCPRIM_400000_NS6detail17trampoline_kernelINS0_14default_configENS1_25partition_config_selectorILNS1_17partition_subalgoE5ElNS0_10empty_typeEbEEZZNS1_14partition_implILS5_5ELb0ES3_mN6hipcub16HIPCUB_304000_NS21CountingInputIteratorIllEEPS6_NSA_22TransformInputIteratorIbN2at6native12_GLOBAL__N_19NonZeroOpIN3c107complexINSJ_4HalfEEEEEPKSM_lEENS0_5tupleIJPlS6_EEENSR_IJSD_SD_EEES6_PiJS6_EEE10hipError_tPvRmT3_T4_T5_T6_T7_T9_mT8_P12ihipStream_tbDpT10_ENKUlT_T0_E_clISt17integral_constantIbLb1EES1E_IbLb0EEEEDaS1A_S1B_EUlS1A_E_NS1_11comp_targetILNS1_3genE8ELNS1_11target_archE1030ELNS1_3gpuE2ELNS1_3repE0EEENS1_30default_config_static_selectorELNS0_4arch9wavefront6targetE0EEEvT1_.num_vgpr, 0
	.set _ZN7rocprim17ROCPRIM_400000_NS6detail17trampoline_kernelINS0_14default_configENS1_25partition_config_selectorILNS1_17partition_subalgoE5ElNS0_10empty_typeEbEEZZNS1_14partition_implILS5_5ELb0ES3_mN6hipcub16HIPCUB_304000_NS21CountingInputIteratorIllEEPS6_NSA_22TransformInputIteratorIbN2at6native12_GLOBAL__N_19NonZeroOpIN3c107complexINSJ_4HalfEEEEEPKSM_lEENS0_5tupleIJPlS6_EEENSR_IJSD_SD_EEES6_PiJS6_EEE10hipError_tPvRmT3_T4_T5_T6_T7_T9_mT8_P12ihipStream_tbDpT10_ENKUlT_T0_E_clISt17integral_constantIbLb1EES1E_IbLb0EEEEDaS1A_S1B_EUlS1A_E_NS1_11comp_targetILNS1_3genE8ELNS1_11target_archE1030ELNS1_3gpuE2ELNS1_3repE0EEENS1_30default_config_static_selectorELNS0_4arch9wavefront6targetE0EEEvT1_.num_agpr, 0
	.set _ZN7rocprim17ROCPRIM_400000_NS6detail17trampoline_kernelINS0_14default_configENS1_25partition_config_selectorILNS1_17partition_subalgoE5ElNS0_10empty_typeEbEEZZNS1_14partition_implILS5_5ELb0ES3_mN6hipcub16HIPCUB_304000_NS21CountingInputIteratorIllEEPS6_NSA_22TransformInputIteratorIbN2at6native12_GLOBAL__N_19NonZeroOpIN3c107complexINSJ_4HalfEEEEEPKSM_lEENS0_5tupleIJPlS6_EEENSR_IJSD_SD_EEES6_PiJS6_EEE10hipError_tPvRmT3_T4_T5_T6_T7_T9_mT8_P12ihipStream_tbDpT10_ENKUlT_T0_E_clISt17integral_constantIbLb1EES1E_IbLb0EEEEDaS1A_S1B_EUlS1A_E_NS1_11comp_targetILNS1_3genE8ELNS1_11target_archE1030ELNS1_3gpuE2ELNS1_3repE0EEENS1_30default_config_static_selectorELNS0_4arch9wavefront6targetE0EEEvT1_.numbered_sgpr, 0
	.set _ZN7rocprim17ROCPRIM_400000_NS6detail17trampoline_kernelINS0_14default_configENS1_25partition_config_selectorILNS1_17partition_subalgoE5ElNS0_10empty_typeEbEEZZNS1_14partition_implILS5_5ELb0ES3_mN6hipcub16HIPCUB_304000_NS21CountingInputIteratorIllEEPS6_NSA_22TransformInputIteratorIbN2at6native12_GLOBAL__N_19NonZeroOpIN3c107complexINSJ_4HalfEEEEEPKSM_lEENS0_5tupleIJPlS6_EEENSR_IJSD_SD_EEES6_PiJS6_EEE10hipError_tPvRmT3_T4_T5_T6_T7_T9_mT8_P12ihipStream_tbDpT10_ENKUlT_T0_E_clISt17integral_constantIbLb1EES1E_IbLb0EEEEDaS1A_S1B_EUlS1A_E_NS1_11comp_targetILNS1_3genE8ELNS1_11target_archE1030ELNS1_3gpuE2ELNS1_3repE0EEENS1_30default_config_static_selectorELNS0_4arch9wavefront6targetE0EEEvT1_.num_named_barrier, 0
	.set _ZN7rocprim17ROCPRIM_400000_NS6detail17trampoline_kernelINS0_14default_configENS1_25partition_config_selectorILNS1_17partition_subalgoE5ElNS0_10empty_typeEbEEZZNS1_14partition_implILS5_5ELb0ES3_mN6hipcub16HIPCUB_304000_NS21CountingInputIteratorIllEEPS6_NSA_22TransformInputIteratorIbN2at6native12_GLOBAL__N_19NonZeroOpIN3c107complexINSJ_4HalfEEEEEPKSM_lEENS0_5tupleIJPlS6_EEENSR_IJSD_SD_EEES6_PiJS6_EEE10hipError_tPvRmT3_T4_T5_T6_T7_T9_mT8_P12ihipStream_tbDpT10_ENKUlT_T0_E_clISt17integral_constantIbLb1EES1E_IbLb0EEEEDaS1A_S1B_EUlS1A_E_NS1_11comp_targetILNS1_3genE8ELNS1_11target_archE1030ELNS1_3gpuE2ELNS1_3repE0EEENS1_30default_config_static_selectorELNS0_4arch9wavefront6targetE0EEEvT1_.private_seg_size, 0
	.set _ZN7rocprim17ROCPRIM_400000_NS6detail17trampoline_kernelINS0_14default_configENS1_25partition_config_selectorILNS1_17partition_subalgoE5ElNS0_10empty_typeEbEEZZNS1_14partition_implILS5_5ELb0ES3_mN6hipcub16HIPCUB_304000_NS21CountingInputIteratorIllEEPS6_NSA_22TransformInputIteratorIbN2at6native12_GLOBAL__N_19NonZeroOpIN3c107complexINSJ_4HalfEEEEEPKSM_lEENS0_5tupleIJPlS6_EEENSR_IJSD_SD_EEES6_PiJS6_EEE10hipError_tPvRmT3_T4_T5_T6_T7_T9_mT8_P12ihipStream_tbDpT10_ENKUlT_T0_E_clISt17integral_constantIbLb1EES1E_IbLb0EEEEDaS1A_S1B_EUlS1A_E_NS1_11comp_targetILNS1_3genE8ELNS1_11target_archE1030ELNS1_3gpuE2ELNS1_3repE0EEENS1_30default_config_static_selectorELNS0_4arch9wavefront6targetE0EEEvT1_.uses_vcc, 0
	.set _ZN7rocprim17ROCPRIM_400000_NS6detail17trampoline_kernelINS0_14default_configENS1_25partition_config_selectorILNS1_17partition_subalgoE5ElNS0_10empty_typeEbEEZZNS1_14partition_implILS5_5ELb0ES3_mN6hipcub16HIPCUB_304000_NS21CountingInputIteratorIllEEPS6_NSA_22TransformInputIteratorIbN2at6native12_GLOBAL__N_19NonZeroOpIN3c107complexINSJ_4HalfEEEEEPKSM_lEENS0_5tupleIJPlS6_EEENSR_IJSD_SD_EEES6_PiJS6_EEE10hipError_tPvRmT3_T4_T5_T6_T7_T9_mT8_P12ihipStream_tbDpT10_ENKUlT_T0_E_clISt17integral_constantIbLb1EES1E_IbLb0EEEEDaS1A_S1B_EUlS1A_E_NS1_11comp_targetILNS1_3genE8ELNS1_11target_archE1030ELNS1_3gpuE2ELNS1_3repE0EEENS1_30default_config_static_selectorELNS0_4arch9wavefront6targetE0EEEvT1_.uses_flat_scratch, 0
	.set _ZN7rocprim17ROCPRIM_400000_NS6detail17trampoline_kernelINS0_14default_configENS1_25partition_config_selectorILNS1_17partition_subalgoE5ElNS0_10empty_typeEbEEZZNS1_14partition_implILS5_5ELb0ES3_mN6hipcub16HIPCUB_304000_NS21CountingInputIteratorIllEEPS6_NSA_22TransformInputIteratorIbN2at6native12_GLOBAL__N_19NonZeroOpIN3c107complexINSJ_4HalfEEEEEPKSM_lEENS0_5tupleIJPlS6_EEENSR_IJSD_SD_EEES6_PiJS6_EEE10hipError_tPvRmT3_T4_T5_T6_T7_T9_mT8_P12ihipStream_tbDpT10_ENKUlT_T0_E_clISt17integral_constantIbLb1EES1E_IbLb0EEEEDaS1A_S1B_EUlS1A_E_NS1_11comp_targetILNS1_3genE8ELNS1_11target_archE1030ELNS1_3gpuE2ELNS1_3repE0EEENS1_30default_config_static_selectorELNS0_4arch9wavefront6targetE0EEEvT1_.has_dyn_sized_stack, 0
	.set _ZN7rocprim17ROCPRIM_400000_NS6detail17trampoline_kernelINS0_14default_configENS1_25partition_config_selectorILNS1_17partition_subalgoE5ElNS0_10empty_typeEbEEZZNS1_14partition_implILS5_5ELb0ES3_mN6hipcub16HIPCUB_304000_NS21CountingInputIteratorIllEEPS6_NSA_22TransformInputIteratorIbN2at6native12_GLOBAL__N_19NonZeroOpIN3c107complexINSJ_4HalfEEEEEPKSM_lEENS0_5tupleIJPlS6_EEENSR_IJSD_SD_EEES6_PiJS6_EEE10hipError_tPvRmT3_T4_T5_T6_T7_T9_mT8_P12ihipStream_tbDpT10_ENKUlT_T0_E_clISt17integral_constantIbLb1EES1E_IbLb0EEEEDaS1A_S1B_EUlS1A_E_NS1_11comp_targetILNS1_3genE8ELNS1_11target_archE1030ELNS1_3gpuE2ELNS1_3repE0EEENS1_30default_config_static_selectorELNS0_4arch9wavefront6targetE0EEEvT1_.has_recursion, 0
	.set _ZN7rocprim17ROCPRIM_400000_NS6detail17trampoline_kernelINS0_14default_configENS1_25partition_config_selectorILNS1_17partition_subalgoE5ElNS0_10empty_typeEbEEZZNS1_14partition_implILS5_5ELb0ES3_mN6hipcub16HIPCUB_304000_NS21CountingInputIteratorIllEEPS6_NSA_22TransformInputIteratorIbN2at6native12_GLOBAL__N_19NonZeroOpIN3c107complexINSJ_4HalfEEEEEPKSM_lEENS0_5tupleIJPlS6_EEENSR_IJSD_SD_EEES6_PiJS6_EEE10hipError_tPvRmT3_T4_T5_T6_T7_T9_mT8_P12ihipStream_tbDpT10_ENKUlT_T0_E_clISt17integral_constantIbLb1EES1E_IbLb0EEEEDaS1A_S1B_EUlS1A_E_NS1_11comp_targetILNS1_3genE8ELNS1_11target_archE1030ELNS1_3gpuE2ELNS1_3repE0EEENS1_30default_config_static_selectorELNS0_4arch9wavefront6targetE0EEEvT1_.has_indirect_call, 0
	.section	.AMDGPU.csdata,"",@progbits
; Kernel info:
; codeLenInByte = 0
; TotalNumSgprs: 0
; NumVgprs: 0
; ScratchSize: 0
; MemoryBound: 0
; FloatMode: 240
; IeeeMode: 1
; LDSByteSize: 0 bytes/workgroup (compile time only)
; SGPRBlocks: 0
; VGPRBlocks: 0
; NumSGPRsForWavesPerEU: 1
; NumVGPRsForWavesPerEU: 1
; Occupancy: 16
; WaveLimiterHint : 0
; COMPUTE_PGM_RSRC2:SCRATCH_EN: 0
; COMPUTE_PGM_RSRC2:USER_SGPR: 2
; COMPUTE_PGM_RSRC2:TRAP_HANDLER: 0
; COMPUTE_PGM_RSRC2:TGID_X_EN: 1
; COMPUTE_PGM_RSRC2:TGID_Y_EN: 0
; COMPUTE_PGM_RSRC2:TGID_Z_EN: 0
; COMPUTE_PGM_RSRC2:TIDIG_COMP_CNT: 0
	.section	.text._ZN7rocprim17ROCPRIM_400000_NS6detail17trampoline_kernelINS0_14default_configENS1_25partition_config_selectorILNS1_17partition_subalgoE5ElNS0_10empty_typeEbEEZZNS1_14partition_implILS5_5ELb0ES3_mN6hipcub16HIPCUB_304000_NS21CountingInputIteratorIllEEPS6_NSA_22TransformInputIteratorIbN2at6native12_GLOBAL__N_19NonZeroOpIN3c107complexINSJ_4HalfEEEEEPKSM_lEENS0_5tupleIJPlS6_EEENSR_IJSD_SD_EEES6_PiJS6_EEE10hipError_tPvRmT3_T4_T5_T6_T7_T9_mT8_P12ihipStream_tbDpT10_ENKUlT_T0_E_clISt17integral_constantIbLb0EES1E_IbLb1EEEEDaS1A_S1B_EUlS1A_E_NS1_11comp_targetILNS1_3genE0ELNS1_11target_archE4294967295ELNS1_3gpuE0ELNS1_3repE0EEENS1_30default_config_static_selectorELNS0_4arch9wavefront6targetE0EEEvT1_,"axG",@progbits,_ZN7rocprim17ROCPRIM_400000_NS6detail17trampoline_kernelINS0_14default_configENS1_25partition_config_selectorILNS1_17partition_subalgoE5ElNS0_10empty_typeEbEEZZNS1_14partition_implILS5_5ELb0ES3_mN6hipcub16HIPCUB_304000_NS21CountingInputIteratorIllEEPS6_NSA_22TransformInputIteratorIbN2at6native12_GLOBAL__N_19NonZeroOpIN3c107complexINSJ_4HalfEEEEEPKSM_lEENS0_5tupleIJPlS6_EEENSR_IJSD_SD_EEES6_PiJS6_EEE10hipError_tPvRmT3_T4_T5_T6_T7_T9_mT8_P12ihipStream_tbDpT10_ENKUlT_T0_E_clISt17integral_constantIbLb0EES1E_IbLb1EEEEDaS1A_S1B_EUlS1A_E_NS1_11comp_targetILNS1_3genE0ELNS1_11target_archE4294967295ELNS1_3gpuE0ELNS1_3repE0EEENS1_30default_config_static_selectorELNS0_4arch9wavefront6targetE0EEEvT1_,comdat
	.globl	_ZN7rocprim17ROCPRIM_400000_NS6detail17trampoline_kernelINS0_14default_configENS1_25partition_config_selectorILNS1_17partition_subalgoE5ElNS0_10empty_typeEbEEZZNS1_14partition_implILS5_5ELb0ES3_mN6hipcub16HIPCUB_304000_NS21CountingInputIteratorIllEEPS6_NSA_22TransformInputIteratorIbN2at6native12_GLOBAL__N_19NonZeroOpIN3c107complexINSJ_4HalfEEEEEPKSM_lEENS0_5tupleIJPlS6_EEENSR_IJSD_SD_EEES6_PiJS6_EEE10hipError_tPvRmT3_T4_T5_T6_T7_T9_mT8_P12ihipStream_tbDpT10_ENKUlT_T0_E_clISt17integral_constantIbLb0EES1E_IbLb1EEEEDaS1A_S1B_EUlS1A_E_NS1_11comp_targetILNS1_3genE0ELNS1_11target_archE4294967295ELNS1_3gpuE0ELNS1_3repE0EEENS1_30default_config_static_selectorELNS0_4arch9wavefront6targetE0EEEvT1_ ; -- Begin function _ZN7rocprim17ROCPRIM_400000_NS6detail17trampoline_kernelINS0_14default_configENS1_25partition_config_selectorILNS1_17partition_subalgoE5ElNS0_10empty_typeEbEEZZNS1_14partition_implILS5_5ELb0ES3_mN6hipcub16HIPCUB_304000_NS21CountingInputIteratorIllEEPS6_NSA_22TransformInputIteratorIbN2at6native12_GLOBAL__N_19NonZeroOpIN3c107complexINSJ_4HalfEEEEEPKSM_lEENS0_5tupleIJPlS6_EEENSR_IJSD_SD_EEES6_PiJS6_EEE10hipError_tPvRmT3_T4_T5_T6_T7_T9_mT8_P12ihipStream_tbDpT10_ENKUlT_T0_E_clISt17integral_constantIbLb0EES1E_IbLb1EEEEDaS1A_S1B_EUlS1A_E_NS1_11comp_targetILNS1_3genE0ELNS1_11target_archE4294967295ELNS1_3gpuE0ELNS1_3repE0EEENS1_30default_config_static_selectorELNS0_4arch9wavefront6targetE0EEEvT1_
	.p2align	8
	.type	_ZN7rocprim17ROCPRIM_400000_NS6detail17trampoline_kernelINS0_14default_configENS1_25partition_config_selectorILNS1_17partition_subalgoE5ElNS0_10empty_typeEbEEZZNS1_14partition_implILS5_5ELb0ES3_mN6hipcub16HIPCUB_304000_NS21CountingInputIteratorIllEEPS6_NSA_22TransformInputIteratorIbN2at6native12_GLOBAL__N_19NonZeroOpIN3c107complexINSJ_4HalfEEEEEPKSM_lEENS0_5tupleIJPlS6_EEENSR_IJSD_SD_EEES6_PiJS6_EEE10hipError_tPvRmT3_T4_T5_T6_T7_T9_mT8_P12ihipStream_tbDpT10_ENKUlT_T0_E_clISt17integral_constantIbLb0EES1E_IbLb1EEEEDaS1A_S1B_EUlS1A_E_NS1_11comp_targetILNS1_3genE0ELNS1_11target_archE4294967295ELNS1_3gpuE0ELNS1_3repE0EEENS1_30default_config_static_selectorELNS0_4arch9wavefront6targetE0EEEvT1_,@function
_ZN7rocprim17ROCPRIM_400000_NS6detail17trampoline_kernelINS0_14default_configENS1_25partition_config_selectorILNS1_17partition_subalgoE5ElNS0_10empty_typeEbEEZZNS1_14partition_implILS5_5ELb0ES3_mN6hipcub16HIPCUB_304000_NS21CountingInputIteratorIllEEPS6_NSA_22TransformInputIteratorIbN2at6native12_GLOBAL__N_19NonZeroOpIN3c107complexINSJ_4HalfEEEEEPKSM_lEENS0_5tupleIJPlS6_EEENSR_IJSD_SD_EEES6_PiJS6_EEE10hipError_tPvRmT3_T4_T5_T6_T7_T9_mT8_P12ihipStream_tbDpT10_ENKUlT_T0_E_clISt17integral_constantIbLb0EES1E_IbLb1EEEEDaS1A_S1B_EUlS1A_E_NS1_11comp_targetILNS1_3genE0ELNS1_11target_archE4294967295ELNS1_3gpuE0ELNS1_3repE0EEENS1_30default_config_static_selectorELNS0_4arch9wavefront6targetE0EEEvT1_: ; @_ZN7rocprim17ROCPRIM_400000_NS6detail17trampoline_kernelINS0_14default_configENS1_25partition_config_selectorILNS1_17partition_subalgoE5ElNS0_10empty_typeEbEEZZNS1_14partition_implILS5_5ELb0ES3_mN6hipcub16HIPCUB_304000_NS21CountingInputIteratorIllEEPS6_NSA_22TransformInputIteratorIbN2at6native12_GLOBAL__N_19NonZeroOpIN3c107complexINSJ_4HalfEEEEEPKSM_lEENS0_5tupleIJPlS6_EEENSR_IJSD_SD_EEES6_PiJS6_EEE10hipError_tPvRmT3_T4_T5_T6_T7_T9_mT8_P12ihipStream_tbDpT10_ENKUlT_T0_E_clISt17integral_constantIbLb0EES1E_IbLb1EEEEDaS1A_S1B_EUlS1A_E_NS1_11comp_targetILNS1_3genE0ELNS1_11target_archE4294967295ELNS1_3gpuE0ELNS1_3repE0EEENS1_30default_config_static_selectorELNS0_4arch9wavefront6targetE0EEEvT1_
; %bb.0:
	.section	.rodata,"a",@progbits
	.p2align	6, 0x0
	.amdhsa_kernel _ZN7rocprim17ROCPRIM_400000_NS6detail17trampoline_kernelINS0_14default_configENS1_25partition_config_selectorILNS1_17partition_subalgoE5ElNS0_10empty_typeEbEEZZNS1_14partition_implILS5_5ELb0ES3_mN6hipcub16HIPCUB_304000_NS21CountingInputIteratorIllEEPS6_NSA_22TransformInputIteratorIbN2at6native12_GLOBAL__N_19NonZeroOpIN3c107complexINSJ_4HalfEEEEEPKSM_lEENS0_5tupleIJPlS6_EEENSR_IJSD_SD_EEES6_PiJS6_EEE10hipError_tPvRmT3_T4_T5_T6_T7_T9_mT8_P12ihipStream_tbDpT10_ENKUlT_T0_E_clISt17integral_constantIbLb0EES1E_IbLb1EEEEDaS1A_S1B_EUlS1A_E_NS1_11comp_targetILNS1_3genE0ELNS1_11target_archE4294967295ELNS1_3gpuE0ELNS1_3repE0EEENS1_30default_config_static_selectorELNS0_4arch9wavefront6targetE0EEEvT1_
		.amdhsa_group_segment_fixed_size 0
		.amdhsa_private_segment_fixed_size 0
		.amdhsa_kernarg_size 136
		.amdhsa_user_sgpr_count 2
		.amdhsa_user_sgpr_dispatch_ptr 0
		.amdhsa_user_sgpr_queue_ptr 0
		.amdhsa_user_sgpr_kernarg_segment_ptr 1
		.amdhsa_user_sgpr_dispatch_id 0
		.amdhsa_user_sgpr_private_segment_size 0
		.amdhsa_wavefront_size32 1
		.amdhsa_uses_dynamic_stack 0
		.amdhsa_enable_private_segment 0
		.amdhsa_system_sgpr_workgroup_id_x 1
		.amdhsa_system_sgpr_workgroup_id_y 0
		.amdhsa_system_sgpr_workgroup_id_z 0
		.amdhsa_system_sgpr_workgroup_info 0
		.amdhsa_system_vgpr_workitem_id 0
		.amdhsa_next_free_vgpr 1
		.amdhsa_next_free_sgpr 1
		.amdhsa_reserve_vcc 0
		.amdhsa_float_round_mode_32 0
		.amdhsa_float_round_mode_16_64 0
		.amdhsa_float_denorm_mode_32 3
		.amdhsa_float_denorm_mode_16_64 3
		.amdhsa_fp16_overflow 0
		.amdhsa_workgroup_processor_mode 1
		.amdhsa_memory_ordered 1
		.amdhsa_forward_progress 1
		.amdhsa_inst_pref_size 0
		.amdhsa_round_robin_scheduling 0
		.amdhsa_exception_fp_ieee_invalid_op 0
		.amdhsa_exception_fp_denorm_src 0
		.amdhsa_exception_fp_ieee_div_zero 0
		.amdhsa_exception_fp_ieee_overflow 0
		.amdhsa_exception_fp_ieee_underflow 0
		.amdhsa_exception_fp_ieee_inexact 0
		.amdhsa_exception_int_div_zero 0
	.end_amdhsa_kernel
	.section	.text._ZN7rocprim17ROCPRIM_400000_NS6detail17trampoline_kernelINS0_14default_configENS1_25partition_config_selectorILNS1_17partition_subalgoE5ElNS0_10empty_typeEbEEZZNS1_14partition_implILS5_5ELb0ES3_mN6hipcub16HIPCUB_304000_NS21CountingInputIteratorIllEEPS6_NSA_22TransformInputIteratorIbN2at6native12_GLOBAL__N_19NonZeroOpIN3c107complexINSJ_4HalfEEEEEPKSM_lEENS0_5tupleIJPlS6_EEENSR_IJSD_SD_EEES6_PiJS6_EEE10hipError_tPvRmT3_T4_T5_T6_T7_T9_mT8_P12ihipStream_tbDpT10_ENKUlT_T0_E_clISt17integral_constantIbLb0EES1E_IbLb1EEEEDaS1A_S1B_EUlS1A_E_NS1_11comp_targetILNS1_3genE0ELNS1_11target_archE4294967295ELNS1_3gpuE0ELNS1_3repE0EEENS1_30default_config_static_selectorELNS0_4arch9wavefront6targetE0EEEvT1_,"axG",@progbits,_ZN7rocprim17ROCPRIM_400000_NS6detail17trampoline_kernelINS0_14default_configENS1_25partition_config_selectorILNS1_17partition_subalgoE5ElNS0_10empty_typeEbEEZZNS1_14partition_implILS5_5ELb0ES3_mN6hipcub16HIPCUB_304000_NS21CountingInputIteratorIllEEPS6_NSA_22TransformInputIteratorIbN2at6native12_GLOBAL__N_19NonZeroOpIN3c107complexINSJ_4HalfEEEEEPKSM_lEENS0_5tupleIJPlS6_EEENSR_IJSD_SD_EEES6_PiJS6_EEE10hipError_tPvRmT3_T4_T5_T6_T7_T9_mT8_P12ihipStream_tbDpT10_ENKUlT_T0_E_clISt17integral_constantIbLb0EES1E_IbLb1EEEEDaS1A_S1B_EUlS1A_E_NS1_11comp_targetILNS1_3genE0ELNS1_11target_archE4294967295ELNS1_3gpuE0ELNS1_3repE0EEENS1_30default_config_static_selectorELNS0_4arch9wavefront6targetE0EEEvT1_,comdat
.Lfunc_end686:
	.size	_ZN7rocprim17ROCPRIM_400000_NS6detail17trampoline_kernelINS0_14default_configENS1_25partition_config_selectorILNS1_17partition_subalgoE5ElNS0_10empty_typeEbEEZZNS1_14partition_implILS5_5ELb0ES3_mN6hipcub16HIPCUB_304000_NS21CountingInputIteratorIllEEPS6_NSA_22TransformInputIteratorIbN2at6native12_GLOBAL__N_19NonZeroOpIN3c107complexINSJ_4HalfEEEEEPKSM_lEENS0_5tupleIJPlS6_EEENSR_IJSD_SD_EEES6_PiJS6_EEE10hipError_tPvRmT3_T4_T5_T6_T7_T9_mT8_P12ihipStream_tbDpT10_ENKUlT_T0_E_clISt17integral_constantIbLb0EES1E_IbLb1EEEEDaS1A_S1B_EUlS1A_E_NS1_11comp_targetILNS1_3genE0ELNS1_11target_archE4294967295ELNS1_3gpuE0ELNS1_3repE0EEENS1_30default_config_static_selectorELNS0_4arch9wavefront6targetE0EEEvT1_, .Lfunc_end686-_ZN7rocprim17ROCPRIM_400000_NS6detail17trampoline_kernelINS0_14default_configENS1_25partition_config_selectorILNS1_17partition_subalgoE5ElNS0_10empty_typeEbEEZZNS1_14partition_implILS5_5ELb0ES3_mN6hipcub16HIPCUB_304000_NS21CountingInputIteratorIllEEPS6_NSA_22TransformInputIteratorIbN2at6native12_GLOBAL__N_19NonZeroOpIN3c107complexINSJ_4HalfEEEEEPKSM_lEENS0_5tupleIJPlS6_EEENSR_IJSD_SD_EEES6_PiJS6_EEE10hipError_tPvRmT3_T4_T5_T6_T7_T9_mT8_P12ihipStream_tbDpT10_ENKUlT_T0_E_clISt17integral_constantIbLb0EES1E_IbLb1EEEEDaS1A_S1B_EUlS1A_E_NS1_11comp_targetILNS1_3genE0ELNS1_11target_archE4294967295ELNS1_3gpuE0ELNS1_3repE0EEENS1_30default_config_static_selectorELNS0_4arch9wavefront6targetE0EEEvT1_
                                        ; -- End function
	.set _ZN7rocprim17ROCPRIM_400000_NS6detail17trampoline_kernelINS0_14default_configENS1_25partition_config_selectorILNS1_17partition_subalgoE5ElNS0_10empty_typeEbEEZZNS1_14partition_implILS5_5ELb0ES3_mN6hipcub16HIPCUB_304000_NS21CountingInputIteratorIllEEPS6_NSA_22TransformInputIteratorIbN2at6native12_GLOBAL__N_19NonZeroOpIN3c107complexINSJ_4HalfEEEEEPKSM_lEENS0_5tupleIJPlS6_EEENSR_IJSD_SD_EEES6_PiJS6_EEE10hipError_tPvRmT3_T4_T5_T6_T7_T9_mT8_P12ihipStream_tbDpT10_ENKUlT_T0_E_clISt17integral_constantIbLb0EES1E_IbLb1EEEEDaS1A_S1B_EUlS1A_E_NS1_11comp_targetILNS1_3genE0ELNS1_11target_archE4294967295ELNS1_3gpuE0ELNS1_3repE0EEENS1_30default_config_static_selectorELNS0_4arch9wavefront6targetE0EEEvT1_.num_vgpr, 0
	.set _ZN7rocprim17ROCPRIM_400000_NS6detail17trampoline_kernelINS0_14default_configENS1_25partition_config_selectorILNS1_17partition_subalgoE5ElNS0_10empty_typeEbEEZZNS1_14partition_implILS5_5ELb0ES3_mN6hipcub16HIPCUB_304000_NS21CountingInputIteratorIllEEPS6_NSA_22TransformInputIteratorIbN2at6native12_GLOBAL__N_19NonZeroOpIN3c107complexINSJ_4HalfEEEEEPKSM_lEENS0_5tupleIJPlS6_EEENSR_IJSD_SD_EEES6_PiJS6_EEE10hipError_tPvRmT3_T4_T5_T6_T7_T9_mT8_P12ihipStream_tbDpT10_ENKUlT_T0_E_clISt17integral_constantIbLb0EES1E_IbLb1EEEEDaS1A_S1B_EUlS1A_E_NS1_11comp_targetILNS1_3genE0ELNS1_11target_archE4294967295ELNS1_3gpuE0ELNS1_3repE0EEENS1_30default_config_static_selectorELNS0_4arch9wavefront6targetE0EEEvT1_.num_agpr, 0
	.set _ZN7rocprim17ROCPRIM_400000_NS6detail17trampoline_kernelINS0_14default_configENS1_25partition_config_selectorILNS1_17partition_subalgoE5ElNS0_10empty_typeEbEEZZNS1_14partition_implILS5_5ELb0ES3_mN6hipcub16HIPCUB_304000_NS21CountingInputIteratorIllEEPS6_NSA_22TransformInputIteratorIbN2at6native12_GLOBAL__N_19NonZeroOpIN3c107complexINSJ_4HalfEEEEEPKSM_lEENS0_5tupleIJPlS6_EEENSR_IJSD_SD_EEES6_PiJS6_EEE10hipError_tPvRmT3_T4_T5_T6_T7_T9_mT8_P12ihipStream_tbDpT10_ENKUlT_T0_E_clISt17integral_constantIbLb0EES1E_IbLb1EEEEDaS1A_S1B_EUlS1A_E_NS1_11comp_targetILNS1_3genE0ELNS1_11target_archE4294967295ELNS1_3gpuE0ELNS1_3repE0EEENS1_30default_config_static_selectorELNS0_4arch9wavefront6targetE0EEEvT1_.numbered_sgpr, 0
	.set _ZN7rocprim17ROCPRIM_400000_NS6detail17trampoline_kernelINS0_14default_configENS1_25partition_config_selectorILNS1_17partition_subalgoE5ElNS0_10empty_typeEbEEZZNS1_14partition_implILS5_5ELb0ES3_mN6hipcub16HIPCUB_304000_NS21CountingInputIteratorIllEEPS6_NSA_22TransformInputIteratorIbN2at6native12_GLOBAL__N_19NonZeroOpIN3c107complexINSJ_4HalfEEEEEPKSM_lEENS0_5tupleIJPlS6_EEENSR_IJSD_SD_EEES6_PiJS6_EEE10hipError_tPvRmT3_T4_T5_T6_T7_T9_mT8_P12ihipStream_tbDpT10_ENKUlT_T0_E_clISt17integral_constantIbLb0EES1E_IbLb1EEEEDaS1A_S1B_EUlS1A_E_NS1_11comp_targetILNS1_3genE0ELNS1_11target_archE4294967295ELNS1_3gpuE0ELNS1_3repE0EEENS1_30default_config_static_selectorELNS0_4arch9wavefront6targetE0EEEvT1_.num_named_barrier, 0
	.set _ZN7rocprim17ROCPRIM_400000_NS6detail17trampoline_kernelINS0_14default_configENS1_25partition_config_selectorILNS1_17partition_subalgoE5ElNS0_10empty_typeEbEEZZNS1_14partition_implILS5_5ELb0ES3_mN6hipcub16HIPCUB_304000_NS21CountingInputIteratorIllEEPS6_NSA_22TransformInputIteratorIbN2at6native12_GLOBAL__N_19NonZeroOpIN3c107complexINSJ_4HalfEEEEEPKSM_lEENS0_5tupleIJPlS6_EEENSR_IJSD_SD_EEES6_PiJS6_EEE10hipError_tPvRmT3_T4_T5_T6_T7_T9_mT8_P12ihipStream_tbDpT10_ENKUlT_T0_E_clISt17integral_constantIbLb0EES1E_IbLb1EEEEDaS1A_S1B_EUlS1A_E_NS1_11comp_targetILNS1_3genE0ELNS1_11target_archE4294967295ELNS1_3gpuE0ELNS1_3repE0EEENS1_30default_config_static_selectorELNS0_4arch9wavefront6targetE0EEEvT1_.private_seg_size, 0
	.set _ZN7rocprim17ROCPRIM_400000_NS6detail17trampoline_kernelINS0_14default_configENS1_25partition_config_selectorILNS1_17partition_subalgoE5ElNS0_10empty_typeEbEEZZNS1_14partition_implILS5_5ELb0ES3_mN6hipcub16HIPCUB_304000_NS21CountingInputIteratorIllEEPS6_NSA_22TransformInputIteratorIbN2at6native12_GLOBAL__N_19NonZeroOpIN3c107complexINSJ_4HalfEEEEEPKSM_lEENS0_5tupleIJPlS6_EEENSR_IJSD_SD_EEES6_PiJS6_EEE10hipError_tPvRmT3_T4_T5_T6_T7_T9_mT8_P12ihipStream_tbDpT10_ENKUlT_T0_E_clISt17integral_constantIbLb0EES1E_IbLb1EEEEDaS1A_S1B_EUlS1A_E_NS1_11comp_targetILNS1_3genE0ELNS1_11target_archE4294967295ELNS1_3gpuE0ELNS1_3repE0EEENS1_30default_config_static_selectorELNS0_4arch9wavefront6targetE0EEEvT1_.uses_vcc, 0
	.set _ZN7rocprim17ROCPRIM_400000_NS6detail17trampoline_kernelINS0_14default_configENS1_25partition_config_selectorILNS1_17partition_subalgoE5ElNS0_10empty_typeEbEEZZNS1_14partition_implILS5_5ELb0ES3_mN6hipcub16HIPCUB_304000_NS21CountingInputIteratorIllEEPS6_NSA_22TransformInputIteratorIbN2at6native12_GLOBAL__N_19NonZeroOpIN3c107complexINSJ_4HalfEEEEEPKSM_lEENS0_5tupleIJPlS6_EEENSR_IJSD_SD_EEES6_PiJS6_EEE10hipError_tPvRmT3_T4_T5_T6_T7_T9_mT8_P12ihipStream_tbDpT10_ENKUlT_T0_E_clISt17integral_constantIbLb0EES1E_IbLb1EEEEDaS1A_S1B_EUlS1A_E_NS1_11comp_targetILNS1_3genE0ELNS1_11target_archE4294967295ELNS1_3gpuE0ELNS1_3repE0EEENS1_30default_config_static_selectorELNS0_4arch9wavefront6targetE0EEEvT1_.uses_flat_scratch, 0
	.set _ZN7rocprim17ROCPRIM_400000_NS6detail17trampoline_kernelINS0_14default_configENS1_25partition_config_selectorILNS1_17partition_subalgoE5ElNS0_10empty_typeEbEEZZNS1_14partition_implILS5_5ELb0ES3_mN6hipcub16HIPCUB_304000_NS21CountingInputIteratorIllEEPS6_NSA_22TransformInputIteratorIbN2at6native12_GLOBAL__N_19NonZeroOpIN3c107complexINSJ_4HalfEEEEEPKSM_lEENS0_5tupleIJPlS6_EEENSR_IJSD_SD_EEES6_PiJS6_EEE10hipError_tPvRmT3_T4_T5_T6_T7_T9_mT8_P12ihipStream_tbDpT10_ENKUlT_T0_E_clISt17integral_constantIbLb0EES1E_IbLb1EEEEDaS1A_S1B_EUlS1A_E_NS1_11comp_targetILNS1_3genE0ELNS1_11target_archE4294967295ELNS1_3gpuE0ELNS1_3repE0EEENS1_30default_config_static_selectorELNS0_4arch9wavefront6targetE0EEEvT1_.has_dyn_sized_stack, 0
	.set _ZN7rocprim17ROCPRIM_400000_NS6detail17trampoline_kernelINS0_14default_configENS1_25partition_config_selectorILNS1_17partition_subalgoE5ElNS0_10empty_typeEbEEZZNS1_14partition_implILS5_5ELb0ES3_mN6hipcub16HIPCUB_304000_NS21CountingInputIteratorIllEEPS6_NSA_22TransformInputIteratorIbN2at6native12_GLOBAL__N_19NonZeroOpIN3c107complexINSJ_4HalfEEEEEPKSM_lEENS0_5tupleIJPlS6_EEENSR_IJSD_SD_EEES6_PiJS6_EEE10hipError_tPvRmT3_T4_T5_T6_T7_T9_mT8_P12ihipStream_tbDpT10_ENKUlT_T0_E_clISt17integral_constantIbLb0EES1E_IbLb1EEEEDaS1A_S1B_EUlS1A_E_NS1_11comp_targetILNS1_3genE0ELNS1_11target_archE4294967295ELNS1_3gpuE0ELNS1_3repE0EEENS1_30default_config_static_selectorELNS0_4arch9wavefront6targetE0EEEvT1_.has_recursion, 0
	.set _ZN7rocprim17ROCPRIM_400000_NS6detail17trampoline_kernelINS0_14default_configENS1_25partition_config_selectorILNS1_17partition_subalgoE5ElNS0_10empty_typeEbEEZZNS1_14partition_implILS5_5ELb0ES3_mN6hipcub16HIPCUB_304000_NS21CountingInputIteratorIllEEPS6_NSA_22TransformInputIteratorIbN2at6native12_GLOBAL__N_19NonZeroOpIN3c107complexINSJ_4HalfEEEEEPKSM_lEENS0_5tupleIJPlS6_EEENSR_IJSD_SD_EEES6_PiJS6_EEE10hipError_tPvRmT3_T4_T5_T6_T7_T9_mT8_P12ihipStream_tbDpT10_ENKUlT_T0_E_clISt17integral_constantIbLb0EES1E_IbLb1EEEEDaS1A_S1B_EUlS1A_E_NS1_11comp_targetILNS1_3genE0ELNS1_11target_archE4294967295ELNS1_3gpuE0ELNS1_3repE0EEENS1_30default_config_static_selectorELNS0_4arch9wavefront6targetE0EEEvT1_.has_indirect_call, 0
	.section	.AMDGPU.csdata,"",@progbits
; Kernel info:
; codeLenInByte = 0
; TotalNumSgprs: 0
; NumVgprs: 0
; ScratchSize: 0
; MemoryBound: 0
; FloatMode: 240
; IeeeMode: 1
; LDSByteSize: 0 bytes/workgroup (compile time only)
; SGPRBlocks: 0
; VGPRBlocks: 0
; NumSGPRsForWavesPerEU: 1
; NumVGPRsForWavesPerEU: 1
; Occupancy: 16
; WaveLimiterHint : 0
; COMPUTE_PGM_RSRC2:SCRATCH_EN: 0
; COMPUTE_PGM_RSRC2:USER_SGPR: 2
; COMPUTE_PGM_RSRC2:TRAP_HANDLER: 0
; COMPUTE_PGM_RSRC2:TGID_X_EN: 1
; COMPUTE_PGM_RSRC2:TGID_Y_EN: 0
; COMPUTE_PGM_RSRC2:TGID_Z_EN: 0
; COMPUTE_PGM_RSRC2:TIDIG_COMP_CNT: 0
	.section	.text._ZN7rocprim17ROCPRIM_400000_NS6detail17trampoline_kernelINS0_14default_configENS1_25partition_config_selectorILNS1_17partition_subalgoE5ElNS0_10empty_typeEbEEZZNS1_14partition_implILS5_5ELb0ES3_mN6hipcub16HIPCUB_304000_NS21CountingInputIteratorIllEEPS6_NSA_22TransformInputIteratorIbN2at6native12_GLOBAL__N_19NonZeroOpIN3c107complexINSJ_4HalfEEEEEPKSM_lEENS0_5tupleIJPlS6_EEENSR_IJSD_SD_EEES6_PiJS6_EEE10hipError_tPvRmT3_T4_T5_T6_T7_T9_mT8_P12ihipStream_tbDpT10_ENKUlT_T0_E_clISt17integral_constantIbLb0EES1E_IbLb1EEEEDaS1A_S1B_EUlS1A_E_NS1_11comp_targetILNS1_3genE5ELNS1_11target_archE942ELNS1_3gpuE9ELNS1_3repE0EEENS1_30default_config_static_selectorELNS0_4arch9wavefront6targetE0EEEvT1_,"axG",@progbits,_ZN7rocprim17ROCPRIM_400000_NS6detail17trampoline_kernelINS0_14default_configENS1_25partition_config_selectorILNS1_17partition_subalgoE5ElNS0_10empty_typeEbEEZZNS1_14partition_implILS5_5ELb0ES3_mN6hipcub16HIPCUB_304000_NS21CountingInputIteratorIllEEPS6_NSA_22TransformInputIteratorIbN2at6native12_GLOBAL__N_19NonZeroOpIN3c107complexINSJ_4HalfEEEEEPKSM_lEENS0_5tupleIJPlS6_EEENSR_IJSD_SD_EEES6_PiJS6_EEE10hipError_tPvRmT3_T4_T5_T6_T7_T9_mT8_P12ihipStream_tbDpT10_ENKUlT_T0_E_clISt17integral_constantIbLb0EES1E_IbLb1EEEEDaS1A_S1B_EUlS1A_E_NS1_11comp_targetILNS1_3genE5ELNS1_11target_archE942ELNS1_3gpuE9ELNS1_3repE0EEENS1_30default_config_static_selectorELNS0_4arch9wavefront6targetE0EEEvT1_,comdat
	.globl	_ZN7rocprim17ROCPRIM_400000_NS6detail17trampoline_kernelINS0_14default_configENS1_25partition_config_selectorILNS1_17partition_subalgoE5ElNS0_10empty_typeEbEEZZNS1_14partition_implILS5_5ELb0ES3_mN6hipcub16HIPCUB_304000_NS21CountingInputIteratorIllEEPS6_NSA_22TransformInputIteratorIbN2at6native12_GLOBAL__N_19NonZeroOpIN3c107complexINSJ_4HalfEEEEEPKSM_lEENS0_5tupleIJPlS6_EEENSR_IJSD_SD_EEES6_PiJS6_EEE10hipError_tPvRmT3_T4_T5_T6_T7_T9_mT8_P12ihipStream_tbDpT10_ENKUlT_T0_E_clISt17integral_constantIbLb0EES1E_IbLb1EEEEDaS1A_S1B_EUlS1A_E_NS1_11comp_targetILNS1_3genE5ELNS1_11target_archE942ELNS1_3gpuE9ELNS1_3repE0EEENS1_30default_config_static_selectorELNS0_4arch9wavefront6targetE0EEEvT1_ ; -- Begin function _ZN7rocprim17ROCPRIM_400000_NS6detail17trampoline_kernelINS0_14default_configENS1_25partition_config_selectorILNS1_17partition_subalgoE5ElNS0_10empty_typeEbEEZZNS1_14partition_implILS5_5ELb0ES3_mN6hipcub16HIPCUB_304000_NS21CountingInputIteratorIllEEPS6_NSA_22TransformInputIteratorIbN2at6native12_GLOBAL__N_19NonZeroOpIN3c107complexINSJ_4HalfEEEEEPKSM_lEENS0_5tupleIJPlS6_EEENSR_IJSD_SD_EEES6_PiJS6_EEE10hipError_tPvRmT3_T4_T5_T6_T7_T9_mT8_P12ihipStream_tbDpT10_ENKUlT_T0_E_clISt17integral_constantIbLb0EES1E_IbLb1EEEEDaS1A_S1B_EUlS1A_E_NS1_11comp_targetILNS1_3genE5ELNS1_11target_archE942ELNS1_3gpuE9ELNS1_3repE0EEENS1_30default_config_static_selectorELNS0_4arch9wavefront6targetE0EEEvT1_
	.p2align	8
	.type	_ZN7rocprim17ROCPRIM_400000_NS6detail17trampoline_kernelINS0_14default_configENS1_25partition_config_selectorILNS1_17partition_subalgoE5ElNS0_10empty_typeEbEEZZNS1_14partition_implILS5_5ELb0ES3_mN6hipcub16HIPCUB_304000_NS21CountingInputIteratorIllEEPS6_NSA_22TransformInputIteratorIbN2at6native12_GLOBAL__N_19NonZeroOpIN3c107complexINSJ_4HalfEEEEEPKSM_lEENS0_5tupleIJPlS6_EEENSR_IJSD_SD_EEES6_PiJS6_EEE10hipError_tPvRmT3_T4_T5_T6_T7_T9_mT8_P12ihipStream_tbDpT10_ENKUlT_T0_E_clISt17integral_constantIbLb0EES1E_IbLb1EEEEDaS1A_S1B_EUlS1A_E_NS1_11comp_targetILNS1_3genE5ELNS1_11target_archE942ELNS1_3gpuE9ELNS1_3repE0EEENS1_30default_config_static_selectorELNS0_4arch9wavefront6targetE0EEEvT1_,@function
_ZN7rocprim17ROCPRIM_400000_NS6detail17trampoline_kernelINS0_14default_configENS1_25partition_config_selectorILNS1_17partition_subalgoE5ElNS0_10empty_typeEbEEZZNS1_14partition_implILS5_5ELb0ES3_mN6hipcub16HIPCUB_304000_NS21CountingInputIteratorIllEEPS6_NSA_22TransformInputIteratorIbN2at6native12_GLOBAL__N_19NonZeroOpIN3c107complexINSJ_4HalfEEEEEPKSM_lEENS0_5tupleIJPlS6_EEENSR_IJSD_SD_EEES6_PiJS6_EEE10hipError_tPvRmT3_T4_T5_T6_T7_T9_mT8_P12ihipStream_tbDpT10_ENKUlT_T0_E_clISt17integral_constantIbLb0EES1E_IbLb1EEEEDaS1A_S1B_EUlS1A_E_NS1_11comp_targetILNS1_3genE5ELNS1_11target_archE942ELNS1_3gpuE9ELNS1_3repE0EEENS1_30default_config_static_selectorELNS0_4arch9wavefront6targetE0EEEvT1_: ; @_ZN7rocprim17ROCPRIM_400000_NS6detail17trampoline_kernelINS0_14default_configENS1_25partition_config_selectorILNS1_17partition_subalgoE5ElNS0_10empty_typeEbEEZZNS1_14partition_implILS5_5ELb0ES3_mN6hipcub16HIPCUB_304000_NS21CountingInputIteratorIllEEPS6_NSA_22TransformInputIteratorIbN2at6native12_GLOBAL__N_19NonZeroOpIN3c107complexINSJ_4HalfEEEEEPKSM_lEENS0_5tupleIJPlS6_EEENSR_IJSD_SD_EEES6_PiJS6_EEE10hipError_tPvRmT3_T4_T5_T6_T7_T9_mT8_P12ihipStream_tbDpT10_ENKUlT_T0_E_clISt17integral_constantIbLb0EES1E_IbLb1EEEEDaS1A_S1B_EUlS1A_E_NS1_11comp_targetILNS1_3genE5ELNS1_11target_archE942ELNS1_3gpuE9ELNS1_3repE0EEENS1_30default_config_static_selectorELNS0_4arch9wavefront6targetE0EEEvT1_
; %bb.0:
	.section	.rodata,"a",@progbits
	.p2align	6, 0x0
	.amdhsa_kernel _ZN7rocprim17ROCPRIM_400000_NS6detail17trampoline_kernelINS0_14default_configENS1_25partition_config_selectorILNS1_17partition_subalgoE5ElNS0_10empty_typeEbEEZZNS1_14partition_implILS5_5ELb0ES3_mN6hipcub16HIPCUB_304000_NS21CountingInputIteratorIllEEPS6_NSA_22TransformInputIteratorIbN2at6native12_GLOBAL__N_19NonZeroOpIN3c107complexINSJ_4HalfEEEEEPKSM_lEENS0_5tupleIJPlS6_EEENSR_IJSD_SD_EEES6_PiJS6_EEE10hipError_tPvRmT3_T4_T5_T6_T7_T9_mT8_P12ihipStream_tbDpT10_ENKUlT_T0_E_clISt17integral_constantIbLb0EES1E_IbLb1EEEEDaS1A_S1B_EUlS1A_E_NS1_11comp_targetILNS1_3genE5ELNS1_11target_archE942ELNS1_3gpuE9ELNS1_3repE0EEENS1_30default_config_static_selectorELNS0_4arch9wavefront6targetE0EEEvT1_
		.amdhsa_group_segment_fixed_size 0
		.amdhsa_private_segment_fixed_size 0
		.amdhsa_kernarg_size 136
		.amdhsa_user_sgpr_count 2
		.amdhsa_user_sgpr_dispatch_ptr 0
		.amdhsa_user_sgpr_queue_ptr 0
		.amdhsa_user_sgpr_kernarg_segment_ptr 1
		.amdhsa_user_sgpr_dispatch_id 0
		.amdhsa_user_sgpr_private_segment_size 0
		.amdhsa_wavefront_size32 1
		.amdhsa_uses_dynamic_stack 0
		.amdhsa_enable_private_segment 0
		.amdhsa_system_sgpr_workgroup_id_x 1
		.amdhsa_system_sgpr_workgroup_id_y 0
		.amdhsa_system_sgpr_workgroup_id_z 0
		.amdhsa_system_sgpr_workgroup_info 0
		.amdhsa_system_vgpr_workitem_id 0
		.amdhsa_next_free_vgpr 1
		.amdhsa_next_free_sgpr 1
		.amdhsa_reserve_vcc 0
		.amdhsa_float_round_mode_32 0
		.amdhsa_float_round_mode_16_64 0
		.amdhsa_float_denorm_mode_32 3
		.amdhsa_float_denorm_mode_16_64 3
		.amdhsa_fp16_overflow 0
		.amdhsa_workgroup_processor_mode 1
		.amdhsa_memory_ordered 1
		.amdhsa_forward_progress 1
		.amdhsa_inst_pref_size 0
		.amdhsa_round_robin_scheduling 0
		.amdhsa_exception_fp_ieee_invalid_op 0
		.amdhsa_exception_fp_denorm_src 0
		.amdhsa_exception_fp_ieee_div_zero 0
		.amdhsa_exception_fp_ieee_overflow 0
		.amdhsa_exception_fp_ieee_underflow 0
		.amdhsa_exception_fp_ieee_inexact 0
		.amdhsa_exception_int_div_zero 0
	.end_amdhsa_kernel
	.section	.text._ZN7rocprim17ROCPRIM_400000_NS6detail17trampoline_kernelINS0_14default_configENS1_25partition_config_selectorILNS1_17partition_subalgoE5ElNS0_10empty_typeEbEEZZNS1_14partition_implILS5_5ELb0ES3_mN6hipcub16HIPCUB_304000_NS21CountingInputIteratorIllEEPS6_NSA_22TransformInputIteratorIbN2at6native12_GLOBAL__N_19NonZeroOpIN3c107complexINSJ_4HalfEEEEEPKSM_lEENS0_5tupleIJPlS6_EEENSR_IJSD_SD_EEES6_PiJS6_EEE10hipError_tPvRmT3_T4_T5_T6_T7_T9_mT8_P12ihipStream_tbDpT10_ENKUlT_T0_E_clISt17integral_constantIbLb0EES1E_IbLb1EEEEDaS1A_S1B_EUlS1A_E_NS1_11comp_targetILNS1_3genE5ELNS1_11target_archE942ELNS1_3gpuE9ELNS1_3repE0EEENS1_30default_config_static_selectorELNS0_4arch9wavefront6targetE0EEEvT1_,"axG",@progbits,_ZN7rocprim17ROCPRIM_400000_NS6detail17trampoline_kernelINS0_14default_configENS1_25partition_config_selectorILNS1_17partition_subalgoE5ElNS0_10empty_typeEbEEZZNS1_14partition_implILS5_5ELb0ES3_mN6hipcub16HIPCUB_304000_NS21CountingInputIteratorIllEEPS6_NSA_22TransformInputIteratorIbN2at6native12_GLOBAL__N_19NonZeroOpIN3c107complexINSJ_4HalfEEEEEPKSM_lEENS0_5tupleIJPlS6_EEENSR_IJSD_SD_EEES6_PiJS6_EEE10hipError_tPvRmT3_T4_T5_T6_T7_T9_mT8_P12ihipStream_tbDpT10_ENKUlT_T0_E_clISt17integral_constantIbLb0EES1E_IbLb1EEEEDaS1A_S1B_EUlS1A_E_NS1_11comp_targetILNS1_3genE5ELNS1_11target_archE942ELNS1_3gpuE9ELNS1_3repE0EEENS1_30default_config_static_selectorELNS0_4arch9wavefront6targetE0EEEvT1_,comdat
.Lfunc_end687:
	.size	_ZN7rocprim17ROCPRIM_400000_NS6detail17trampoline_kernelINS0_14default_configENS1_25partition_config_selectorILNS1_17partition_subalgoE5ElNS0_10empty_typeEbEEZZNS1_14partition_implILS5_5ELb0ES3_mN6hipcub16HIPCUB_304000_NS21CountingInputIteratorIllEEPS6_NSA_22TransformInputIteratorIbN2at6native12_GLOBAL__N_19NonZeroOpIN3c107complexINSJ_4HalfEEEEEPKSM_lEENS0_5tupleIJPlS6_EEENSR_IJSD_SD_EEES6_PiJS6_EEE10hipError_tPvRmT3_T4_T5_T6_T7_T9_mT8_P12ihipStream_tbDpT10_ENKUlT_T0_E_clISt17integral_constantIbLb0EES1E_IbLb1EEEEDaS1A_S1B_EUlS1A_E_NS1_11comp_targetILNS1_3genE5ELNS1_11target_archE942ELNS1_3gpuE9ELNS1_3repE0EEENS1_30default_config_static_selectorELNS0_4arch9wavefront6targetE0EEEvT1_, .Lfunc_end687-_ZN7rocprim17ROCPRIM_400000_NS6detail17trampoline_kernelINS0_14default_configENS1_25partition_config_selectorILNS1_17partition_subalgoE5ElNS0_10empty_typeEbEEZZNS1_14partition_implILS5_5ELb0ES3_mN6hipcub16HIPCUB_304000_NS21CountingInputIteratorIllEEPS6_NSA_22TransformInputIteratorIbN2at6native12_GLOBAL__N_19NonZeroOpIN3c107complexINSJ_4HalfEEEEEPKSM_lEENS0_5tupleIJPlS6_EEENSR_IJSD_SD_EEES6_PiJS6_EEE10hipError_tPvRmT3_T4_T5_T6_T7_T9_mT8_P12ihipStream_tbDpT10_ENKUlT_T0_E_clISt17integral_constantIbLb0EES1E_IbLb1EEEEDaS1A_S1B_EUlS1A_E_NS1_11comp_targetILNS1_3genE5ELNS1_11target_archE942ELNS1_3gpuE9ELNS1_3repE0EEENS1_30default_config_static_selectorELNS0_4arch9wavefront6targetE0EEEvT1_
                                        ; -- End function
	.set _ZN7rocprim17ROCPRIM_400000_NS6detail17trampoline_kernelINS0_14default_configENS1_25partition_config_selectorILNS1_17partition_subalgoE5ElNS0_10empty_typeEbEEZZNS1_14partition_implILS5_5ELb0ES3_mN6hipcub16HIPCUB_304000_NS21CountingInputIteratorIllEEPS6_NSA_22TransformInputIteratorIbN2at6native12_GLOBAL__N_19NonZeroOpIN3c107complexINSJ_4HalfEEEEEPKSM_lEENS0_5tupleIJPlS6_EEENSR_IJSD_SD_EEES6_PiJS6_EEE10hipError_tPvRmT3_T4_T5_T6_T7_T9_mT8_P12ihipStream_tbDpT10_ENKUlT_T0_E_clISt17integral_constantIbLb0EES1E_IbLb1EEEEDaS1A_S1B_EUlS1A_E_NS1_11comp_targetILNS1_3genE5ELNS1_11target_archE942ELNS1_3gpuE9ELNS1_3repE0EEENS1_30default_config_static_selectorELNS0_4arch9wavefront6targetE0EEEvT1_.num_vgpr, 0
	.set _ZN7rocprim17ROCPRIM_400000_NS6detail17trampoline_kernelINS0_14default_configENS1_25partition_config_selectorILNS1_17partition_subalgoE5ElNS0_10empty_typeEbEEZZNS1_14partition_implILS5_5ELb0ES3_mN6hipcub16HIPCUB_304000_NS21CountingInputIteratorIllEEPS6_NSA_22TransformInputIteratorIbN2at6native12_GLOBAL__N_19NonZeroOpIN3c107complexINSJ_4HalfEEEEEPKSM_lEENS0_5tupleIJPlS6_EEENSR_IJSD_SD_EEES6_PiJS6_EEE10hipError_tPvRmT3_T4_T5_T6_T7_T9_mT8_P12ihipStream_tbDpT10_ENKUlT_T0_E_clISt17integral_constantIbLb0EES1E_IbLb1EEEEDaS1A_S1B_EUlS1A_E_NS1_11comp_targetILNS1_3genE5ELNS1_11target_archE942ELNS1_3gpuE9ELNS1_3repE0EEENS1_30default_config_static_selectorELNS0_4arch9wavefront6targetE0EEEvT1_.num_agpr, 0
	.set _ZN7rocprim17ROCPRIM_400000_NS6detail17trampoline_kernelINS0_14default_configENS1_25partition_config_selectorILNS1_17partition_subalgoE5ElNS0_10empty_typeEbEEZZNS1_14partition_implILS5_5ELb0ES3_mN6hipcub16HIPCUB_304000_NS21CountingInputIteratorIllEEPS6_NSA_22TransformInputIteratorIbN2at6native12_GLOBAL__N_19NonZeroOpIN3c107complexINSJ_4HalfEEEEEPKSM_lEENS0_5tupleIJPlS6_EEENSR_IJSD_SD_EEES6_PiJS6_EEE10hipError_tPvRmT3_T4_T5_T6_T7_T9_mT8_P12ihipStream_tbDpT10_ENKUlT_T0_E_clISt17integral_constantIbLb0EES1E_IbLb1EEEEDaS1A_S1B_EUlS1A_E_NS1_11comp_targetILNS1_3genE5ELNS1_11target_archE942ELNS1_3gpuE9ELNS1_3repE0EEENS1_30default_config_static_selectorELNS0_4arch9wavefront6targetE0EEEvT1_.numbered_sgpr, 0
	.set _ZN7rocprim17ROCPRIM_400000_NS6detail17trampoline_kernelINS0_14default_configENS1_25partition_config_selectorILNS1_17partition_subalgoE5ElNS0_10empty_typeEbEEZZNS1_14partition_implILS5_5ELb0ES3_mN6hipcub16HIPCUB_304000_NS21CountingInputIteratorIllEEPS6_NSA_22TransformInputIteratorIbN2at6native12_GLOBAL__N_19NonZeroOpIN3c107complexINSJ_4HalfEEEEEPKSM_lEENS0_5tupleIJPlS6_EEENSR_IJSD_SD_EEES6_PiJS6_EEE10hipError_tPvRmT3_T4_T5_T6_T7_T9_mT8_P12ihipStream_tbDpT10_ENKUlT_T0_E_clISt17integral_constantIbLb0EES1E_IbLb1EEEEDaS1A_S1B_EUlS1A_E_NS1_11comp_targetILNS1_3genE5ELNS1_11target_archE942ELNS1_3gpuE9ELNS1_3repE0EEENS1_30default_config_static_selectorELNS0_4arch9wavefront6targetE0EEEvT1_.num_named_barrier, 0
	.set _ZN7rocprim17ROCPRIM_400000_NS6detail17trampoline_kernelINS0_14default_configENS1_25partition_config_selectorILNS1_17partition_subalgoE5ElNS0_10empty_typeEbEEZZNS1_14partition_implILS5_5ELb0ES3_mN6hipcub16HIPCUB_304000_NS21CountingInputIteratorIllEEPS6_NSA_22TransformInputIteratorIbN2at6native12_GLOBAL__N_19NonZeroOpIN3c107complexINSJ_4HalfEEEEEPKSM_lEENS0_5tupleIJPlS6_EEENSR_IJSD_SD_EEES6_PiJS6_EEE10hipError_tPvRmT3_T4_T5_T6_T7_T9_mT8_P12ihipStream_tbDpT10_ENKUlT_T0_E_clISt17integral_constantIbLb0EES1E_IbLb1EEEEDaS1A_S1B_EUlS1A_E_NS1_11comp_targetILNS1_3genE5ELNS1_11target_archE942ELNS1_3gpuE9ELNS1_3repE0EEENS1_30default_config_static_selectorELNS0_4arch9wavefront6targetE0EEEvT1_.private_seg_size, 0
	.set _ZN7rocprim17ROCPRIM_400000_NS6detail17trampoline_kernelINS0_14default_configENS1_25partition_config_selectorILNS1_17partition_subalgoE5ElNS0_10empty_typeEbEEZZNS1_14partition_implILS5_5ELb0ES3_mN6hipcub16HIPCUB_304000_NS21CountingInputIteratorIllEEPS6_NSA_22TransformInputIteratorIbN2at6native12_GLOBAL__N_19NonZeroOpIN3c107complexINSJ_4HalfEEEEEPKSM_lEENS0_5tupleIJPlS6_EEENSR_IJSD_SD_EEES6_PiJS6_EEE10hipError_tPvRmT3_T4_T5_T6_T7_T9_mT8_P12ihipStream_tbDpT10_ENKUlT_T0_E_clISt17integral_constantIbLb0EES1E_IbLb1EEEEDaS1A_S1B_EUlS1A_E_NS1_11comp_targetILNS1_3genE5ELNS1_11target_archE942ELNS1_3gpuE9ELNS1_3repE0EEENS1_30default_config_static_selectorELNS0_4arch9wavefront6targetE0EEEvT1_.uses_vcc, 0
	.set _ZN7rocprim17ROCPRIM_400000_NS6detail17trampoline_kernelINS0_14default_configENS1_25partition_config_selectorILNS1_17partition_subalgoE5ElNS0_10empty_typeEbEEZZNS1_14partition_implILS5_5ELb0ES3_mN6hipcub16HIPCUB_304000_NS21CountingInputIteratorIllEEPS6_NSA_22TransformInputIteratorIbN2at6native12_GLOBAL__N_19NonZeroOpIN3c107complexINSJ_4HalfEEEEEPKSM_lEENS0_5tupleIJPlS6_EEENSR_IJSD_SD_EEES6_PiJS6_EEE10hipError_tPvRmT3_T4_T5_T6_T7_T9_mT8_P12ihipStream_tbDpT10_ENKUlT_T0_E_clISt17integral_constantIbLb0EES1E_IbLb1EEEEDaS1A_S1B_EUlS1A_E_NS1_11comp_targetILNS1_3genE5ELNS1_11target_archE942ELNS1_3gpuE9ELNS1_3repE0EEENS1_30default_config_static_selectorELNS0_4arch9wavefront6targetE0EEEvT1_.uses_flat_scratch, 0
	.set _ZN7rocprim17ROCPRIM_400000_NS6detail17trampoline_kernelINS0_14default_configENS1_25partition_config_selectorILNS1_17partition_subalgoE5ElNS0_10empty_typeEbEEZZNS1_14partition_implILS5_5ELb0ES3_mN6hipcub16HIPCUB_304000_NS21CountingInputIteratorIllEEPS6_NSA_22TransformInputIteratorIbN2at6native12_GLOBAL__N_19NonZeroOpIN3c107complexINSJ_4HalfEEEEEPKSM_lEENS0_5tupleIJPlS6_EEENSR_IJSD_SD_EEES6_PiJS6_EEE10hipError_tPvRmT3_T4_T5_T6_T7_T9_mT8_P12ihipStream_tbDpT10_ENKUlT_T0_E_clISt17integral_constantIbLb0EES1E_IbLb1EEEEDaS1A_S1B_EUlS1A_E_NS1_11comp_targetILNS1_3genE5ELNS1_11target_archE942ELNS1_3gpuE9ELNS1_3repE0EEENS1_30default_config_static_selectorELNS0_4arch9wavefront6targetE0EEEvT1_.has_dyn_sized_stack, 0
	.set _ZN7rocprim17ROCPRIM_400000_NS6detail17trampoline_kernelINS0_14default_configENS1_25partition_config_selectorILNS1_17partition_subalgoE5ElNS0_10empty_typeEbEEZZNS1_14partition_implILS5_5ELb0ES3_mN6hipcub16HIPCUB_304000_NS21CountingInputIteratorIllEEPS6_NSA_22TransformInputIteratorIbN2at6native12_GLOBAL__N_19NonZeroOpIN3c107complexINSJ_4HalfEEEEEPKSM_lEENS0_5tupleIJPlS6_EEENSR_IJSD_SD_EEES6_PiJS6_EEE10hipError_tPvRmT3_T4_T5_T6_T7_T9_mT8_P12ihipStream_tbDpT10_ENKUlT_T0_E_clISt17integral_constantIbLb0EES1E_IbLb1EEEEDaS1A_S1B_EUlS1A_E_NS1_11comp_targetILNS1_3genE5ELNS1_11target_archE942ELNS1_3gpuE9ELNS1_3repE0EEENS1_30default_config_static_selectorELNS0_4arch9wavefront6targetE0EEEvT1_.has_recursion, 0
	.set _ZN7rocprim17ROCPRIM_400000_NS6detail17trampoline_kernelINS0_14default_configENS1_25partition_config_selectorILNS1_17partition_subalgoE5ElNS0_10empty_typeEbEEZZNS1_14partition_implILS5_5ELb0ES3_mN6hipcub16HIPCUB_304000_NS21CountingInputIteratorIllEEPS6_NSA_22TransformInputIteratorIbN2at6native12_GLOBAL__N_19NonZeroOpIN3c107complexINSJ_4HalfEEEEEPKSM_lEENS0_5tupleIJPlS6_EEENSR_IJSD_SD_EEES6_PiJS6_EEE10hipError_tPvRmT3_T4_T5_T6_T7_T9_mT8_P12ihipStream_tbDpT10_ENKUlT_T0_E_clISt17integral_constantIbLb0EES1E_IbLb1EEEEDaS1A_S1B_EUlS1A_E_NS1_11comp_targetILNS1_3genE5ELNS1_11target_archE942ELNS1_3gpuE9ELNS1_3repE0EEENS1_30default_config_static_selectorELNS0_4arch9wavefront6targetE0EEEvT1_.has_indirect_call, 0
	.section	.AMDGPU.csdata,"",@progbits
; Kernel info:
; codeLenInByte = 0
; TotalNumSgprs: 0
; NumVgprs: 0
; ScratchSize: 0
; MemoryBound: 0
; FloatMode: 240
; IeeeMode: 1
; LDSByteSize: 0 bytes/workgroup (compile time only)
; SGPRBlocks: 0
; VGPRBlocks: 0
; NumSGPRsForWavesPerEU: 1
; NumVGPRsForWavesPerEU: 1
; Occupancy: 16
; WaveLimiterHint : 0
; COMPUTE_PGM_RSRC2:SCRATCH_EN: 0
; COMPUTE_PGM_RSRC2:USER_SGPR: 2
; COMPUTE_PGM_RSRC2:TRAP_HANDLER: 0
; COMPUTE_PGM_RSRC2:TGID_X_EN: 1
; COMPUTE_PGM_RSRC2:TGID_Y_EN: 0
; COMPUTE_PGM_RSRC2:TGID_Z_EN: 0
; COMPUTE_PGM_RSRC2:TIDIG_COMP_CNT: 0
	.section	.text._ZN7rocprim17ROCPRIM_400000_NS6detail17trampoline_kernelINS0_14default_configENS1_25partition_config_selectorILNS1_17partition_subalgoE5ElNS0_10empty_typeEbEEZZNS1_14partition_implILS5_5ELb0ES3_mN6hipcub16HIPCUB_304000_NS21CountingInputIteratorIllEEPS6_NSA_22TransformInputIteratorIbN2at6native12_GLOBAL__N_19NonZeroOpIN3c107complexINSJ_4HalfEEEEEPKSM_lEENS0_5tupleIJPlS6_EEENSR_IJSD_SD_EEES6_PiJS6_EEE10hipError_tPvRmT3_T4_T5_T6_T7_T9_mT8_P12ihipStream_tbDpT10_ENKUlT_T0_E_clISt17integral_constantIbLb0EES1E_IbLb1EEEEDaS1A_S1B_EUlS1A_E_NS1_11comp_targetILNS1_3genE4ELNS1_11target_archE910ELNS1_3gpuE8ELNS1_3repE0EEENS1_30default_config_static_selectorELNS0_4arch9wavefront6targetE0EEEvT1_,"axG",@progbits,_ZN7rocprim17ROCPRIM_400000_NS6detail17trampoline_kernelINS0_14default_configENS1_25partition_config_selectorILNS1_17partition_subalgoE5ElNS0_10empty_typeEbEEZZNS1_14partition_implILS5_5ELb0ES3_mN6hipcub16HIPCUB_304000_NS21CountingInputIteratorIllEEPS6_NSA_22TransformInputIteratorIbN2at6native12_GLOBAL__N_19NonZeroOpIN3c107complexINSJ_4HalfEEEEEPKSM_lEENS0_5tupleIJPlS6_EEENSR_IJSD_SD_EEES6_PiJS6_EEE10hipError_tPvRmT3_T4_T5_T6_T7_T9_mT8_P12ihipStream_tbDpT10_ENKUlT_T0_E_clISt17integral_constantIbLb0EES1E_IbLb1EEEEDaS1A_S1B_EUlS1A_E_NS1_11comp_targetILNS1_3genE4ELNS1_11target_archE910ELNS1_3gpuE8ELNS1_3repE0EEENS1_30default_config_static_selectorELNS0_4arch9wavefront6targetE0EEEvT1_,comdat
	.globl	_ZN7rocprim17ROCPRIM_400000_NS6detail17trampoline_kernelINS0_14default_configENS1_25partition_config_selectorILNS1_17partition_subalgoE5ElNS0_10empty_typeEbEEZZNS1_14partition_implILS5_5ELb0ES3_mN6hipcub16HIPCUB_304000_NS21CountingInputIteratorIllEEPS6_NSA_22TransformInputIteratorIbN2at6native12_GLOBAL__N_19NonZeroOpIN3c107complexINSJ_4HalfEEEEEPKSM_lEENS0_5tupleIJPlS6_EEENSR_IJSD_SD_EEES6_PiJS6_EEE10hipError_tPvRmT3_T4_T5_T6_T7_T9_mT8_P12ihipStream_tbDpT10_ENKUlT_T0_E_clISt17integral_constantIbLb0EES1E_IbLb1EEEEDaS1A_S1B_EUlS1A_E_NS1_11comp_targetILNS1_3genE4ELNS1_11target_archE910ELNS1_3gpuE8ELNS1_3repE0EEENS1_30default_config_static_selectorELNS0_4arch9wavefront6targetE0EEEvT1_ ; -- Begin function _ZN7rocprim17ROCPRIM_400000_NS6detail17trampoline_kernelINS0_14default_configENS1_25partition_config_selectorILNS1_17partition_subalgoE5ElNS0_10empty_typeEbEEZZNS1_14partition_implILS5_5ELb0ES3_mN6hipcub16HIPCUB_304000_NS21CountingInputIteratorIllEEPS6_NSA_22TransformInputIteratorIbN2at6native12_GLOBAL__N_19NonZeroOpIN3c107complexINSJ_4HalfEEEEEPKSM_lEENS0_5tupleIJPlS6_EEENSR_IJSD_SD_EEES6_PiJS6_EEE10hipError_tPvRmT3_T4_T5_T6_T7_T9_mT8_P12ihipStream_tbDpT10_ENKUlT_T0_E_clISt17integral_constantIbLb0EES1E_IbLb1EEEEDaS1A_S1B_EUlS1A_E_NS1_11comp_targetILNS1_3genE4ELNS1_11target_archE910ELNS1_3gpuE8ELNS1_3repE0EEENS1_30default_config_static_selectorELNS0_4arch9wavefront6targetE0EEEvT1_
	.p2align	8
	.type	_ZN7rocprim17ROCPRIM_400000_NS6detail17trampoline_kernelINS0_14default_configENS1_25partition_config_selectorILNS1_17partition_subalgoE5ElNS0_10empty_typeEbEEZZNS1_14partition_implILS5_5ELb0ES3_mN6hipcub16HIPCUB_304000_NS21CountingInputIteratorIllEEPS6_NSA_22TransformInputIteratorIbN2at6native12_GLOBAL__N_19NonZeroOpIN3c107complexINSJ_4HalfEEEEEPKSM_lEENS0_5tupleIJPlS6_EEENSR_IJSD_SD_EEES6_PiJS6_EEE10hipError_tPvRmT3_T4_T5_T6_T7_T9_mT8_P12ihipStream_tbDpT10_ENKUlT_T0_E_clISt17integral_constantIbLb0EES1E_IbLb1EEEEDaS1A_S1B_EUlS1A_E_NS1_11comp_targetILNS1_3genE4ELNS1_11target_archE910ELNS1_3gpuE8ELNS1_3repE0EEENS1_30default_config_static_selectorELNS0_4arch9wavefront6targetE0EEEvT1_,@function
_ZN7rocprim17ROCPRIM_400000_NS6detail17trampoline_kernelINS0_14default_configENS1_25partition_config_selectorILNS1_17partition_subalgoE5ElNS0_10empty_typeEbEEZZNS1_14partition_implILS5_5ELb0ES3_mN6hipcub16HIPCUB_304000_NS21CountingInputIteratorIllEEPS6_NSA_22TransformInputIteratorIbN2at6native12_GLOBAL__N_19NonZeroOpIN3c107complexINSJ_4HalfEEEEEPKSM_lEENS0_5tupleIJPlS6_EEENSR_IJSD_SD_EEES6_PiJS6_EEE10hipError_tPvRmT3_T4_T5_T6_T7_T9_mT8_P12ihipStream_tbDpT10_ENKUlT_T0_E_clISt17integral_constantIbLb0EES1E_IbLb1EEEEDaS1A_S1B_EUlS1A_E_NS1_11comp_targetILNS1_3genE4ELNS1_11target_archE910ELNS1_3gpuE8ELNS1_3repE0EEENS1_30default_config_static_selectorELNS0_4arch9wavefront6targetE0EEEvT1_: ; @_ZN7rocprim17ROCPRIM_400000_NS6detail17trampoline_kernelINS0_14default_configENS1_25partition_config_selectorILNS1_17partition_subalgoE5ElNS0_10empty_typeEbEEZZNS1_14partition_implILS5_5ELb0ES3_mN6hipcub16HIPCUB_304000_NS21CountingInputIteratorIllEEPS6_NSA_22TransformInputIteratorIbN2at6native12_GLOBAL__N_19NonZeroOpIN3c107complexINSJ_4HalfEEEEEPKSM_lEENS0_5tupleIJPlS6_EEENSR_IJSD_SD_EEES6_PiJS6_EEE10hipError_tPvRmT3_T4_T5_T6_T7_T9_mT8_P12ihipStream_tbDpT10_ENKUlT_T0_E_clISt17integral_constantIbLb0EES1E_IbLb1EEEEDaS1A_S1B_EUlS1A_E_NS1_11comp_targetILNS1_3genE4ELNS1_11target_archE910ELNS1_3gpuE8ELNS1_3repE0EEENS1_30default_config_static_selectorELNS0_4arch9wavefront6targetE0EEEvT1_
; %bb.0:
	.section	.rodata,"a",@progbits
	.p2align	6, 0x0
	.amdhsa_kernel _ZN7rocprim17ROCPRIM_400000_NS6detail17trampoline_kernelINS0_14default_configENS1_25partition_config_selectorILNS1_17partition_subalgoE5ElNS0_10empty_typeEbEEZZNS1_14partition_implILS5_5ELb0ES3_mN6hipcub16HIPCUB_304000_NS21CountingInputIteratorIllEEPS6_NSA_22TransformInputIteratorIbN2at6native12_GLOBAL__N_19NonZeroOpIN3c107complexINSJ_4HalfEEEEEPKSM_lEENS0_5tupleIJPlS6_EEENSR_IJSD_SD_EEES6_PiJS6_EEE10hipError_tPvRmT3_T4_T5_T6_T7_T9_mT8_P12ihipStream_tbDpT10_ENKUlT_T0_E_clISt17integral_constantIbLb0EES1E_IbLb1EEEEDaS1A_S1B_EUlS1A_E_NS1_11comp_targetILNS1_3genE4ELNS1_11target_archE910ELNS1_3gpuE8ELNS1_3repE0EEENS1_30default_config_static_selectorELNS0_4arch9wavefront6targetE0EEEvT1_
		.amdhsa_group_segment_fixed_size 0
		.amdhsa_private_segment_fixed_size 0
		.amdhsa_kernarg_size 136
		.amdhsa_user_sgpr_count 2
		.amdhsa_user_sgpr_dispatch_ptr 0
		.amdhsa_user_sgpr_queue_ptr 0
		.amdhsa_user_sgpr_kernarg_segment_ptr 1
		.amdhsa_user_sgpr_dispatch_id 0
		.amdhsa_user_sgpr_private_segment_size 0
		.amdhsa_wavefront_size32 1
		.amdhsa_uses_dynamic_stack 0
		.amdhsa_enable_private_segment 0
		.amdhsa_system_sgpr_workgroup_id_x 1
		.amdhsa_system_sgpr_workgroup_id_y 0
		.amdhsa_system_sgpr_workgroup_id_z 0
		.amdhsa_system_sgpr_workgroup_info 0
		.amdhsa_system_vgpr_workitem_id 0
		.amdhsa_next_free_vgpr 1
		.amdhsa_next_free_sgpr 1
		.amdhsa_reserve_vcc 0
		.amdhsa_float_round_mode_32 0
		.amdhsa_float_round_mode_16_64 0
		.amdhsa_float_denorm_mode_32 3
		.amdhsa_float_denorm_mode_16_64 3
		.amdhsa_fp16_overflow 0
		.amdhsa_workgroup_processor_mode 1
		.amdhsa_memory_ordered 1
		.amdhsa_forward_progress 1
		.amdhsa_inst_pref_size 0
		.amdhsa_round_robin_scheduling 0
		.amdhsa_exception_fp_ieee_invalid_op 0
		.amdhsa_exception_fp_denorm_src 0
		.amdhsa_exception_fp_ieee_div_zero 0
		.amdhsa_exception_fp_ieee_overflow 0
		.amdhsa_exception_fp_ieee_underflow 0
		.amdhsa_exception_fp_ieee_inexact 0
		.amdhsa_exception_int_div_zero 0
	.end_amdhsa_kernel
	.section	.text._ZN7rocprim17ROCPRIM_400000_NS6detail17trampoline_kernelINS0_14default_configENS1_25partition_config_selectorILNS1_17partition_subalgoE5ElNS0_10empty_typeEbEEZZNS1_14partition_implILS5_5ELb0ES3_mN6hipcub16HIPCUB_304000_NS21CountingInputIteratorIllEEPS6_NSA_22TransformInputIteratorIbN2at6native12_GLOBAL__N_19NonZeroOpIN3c107complexINSJ_4HalfEEEEEPKSM_lEENS0_5tupleIJPlS6_EEENSR_IJSD_SD_EEES6_PiJS6_EEE10hipError_tPvRmT3_T4_T5_T6_T7_T9_mT8_P12ihipStream_tbDpT10_ENKUlT_T0_E_clISt17integral_constantIbLb0EES1E_IbLb1EEEEDaS1A_S1B_EUlS1A_E_NS1_11comp_targetILNS1_3genE4ELNS1_11target_archE910ELNS1_3gpuE8ELNS1_3repE0EEENS1_30default_config_static_selectorELNS0_4arch9wavefront6targetE0EEEvT1_,"axG",@progbits,_ZN7rocprim17ROCPRIM_400000_NS6detail17trampoline_kernelINS0_14default_configENS1_25partition_config_selectorILNS1_17partition_subalgoE5ElNS0_10empty_typeEbEEZZNS1_14partition_implILS5_5ELb0ES3_mN6hipcub16HIPCUB_304000_NS21CountingInputIteratorIllEEPS6_NSA_22TransformInputIteratorIbN2at6native12_GLOBAL__N_19NonZeroOpIN3c107complexINSJ_4HalfEEEEEPKSM_lEENS0_5tupleIJPlS6_EEENSR_IJSD_SD_EEES6_PiJS6_EEE10hipError_tPvRmT3_T4_T5_T6_T7_T9_mT8_P12ihipStream_tbDpT10_ENKUlT_T0_E_clISt17integral_constantIbLb0EES1E_IbLb1EEEEDaS1A_S1B_EUlS1A_E_NS1_11comp_targetILNS1_3genE4ELNS1_11target_archE910ELNS1_3gpuE8ELNS1_3repE0EEENS1_30default_config_static_selectorELNS0_4arch9wavefront6targetE0EEEvT1_,comdat
.Lfunc_end688:
	.size	_ZN7rocprim17ROCPRIM_400000_NS6detail17trampoline_kernelINS0_14default_configENS1_25partition_config_selectorILNS1_17partition_subalgoE5ElNS0_10empty_typeEbEEZZNS1_14partition_implILS5_5ELb0ES3_mN6hipcub16HIPCUB_304000_NS21CountingInputIteratorIllEEPS6_NSA_22TransformInputIteratorIbN2at6native12_GLOBAL__N_19NonZeroOpIN3c107complexINSJ_4HalfEEEEEPKSM_lEENS0_5tupleIJPlS6_EEENSR_IJSD_SD_EEES6_PiJS6_EEE10hipError_tPvRmT3_T4_T5_T6_T7_T9_mT8_P12ihipStream_tbDpT10_ENKUlT_T0_E_clISt17integral_constantIbLb0EES1E_IbLb1EEEEDaS1A_S1B_EUlS1A_E_NS1_11comp_targetILNS1_3genE4ELNS1_11target_archE910ELNS1_3gpuE8ELNS1_3repE0EEENS1_30default_config_static_selectorELNS0_4arch9wavefront6targetE0EEEvT1_, .Lfunc_end688-_ZN7rocprim17ROCPRIM_400000_NS6detail17trampoline_kernelINS0_14default_configENS1_25partition_config_selectorILNS1_17partition_subalgoE5ElNS0_10empty_typeEbEEZZNS1_14partition_implILS5_5ELb0ES3_mN6hipcub16HIPCUB_304000_NS21CountingInputIteratorIllEEPS6_NSA_22TransformInputIteratorIbN2at6native12_GLOBAL__N_19NonZeroOpIN3c107complexINSJ_4HalfEEEEEPKSM_lEENS0_5tupleIJPlS6_EEENSR_IJSD_SD_EEES6_PiJS6_EEE10hipError_tPvRmT3_T4_T5_T6_T7_T9_mT8_P12ihipStream_tbDpT10_ENKUlT_T0_E_clISt17integral_constantIbLb0EES1E_IbLb1EEEEDaS1A_S1B_EUlS1A_E_NS1_11comp_targetILNS1_3genE4ELNS1_11target_archE910ELNS1_3gpuE8ELNS1_3repE0EEENS1_30default_config_static_selectorELNS0_4arch9wavefront6targetE0EEEvT1_
                                        ; -- End function
	.set _ZN7rocprim17ROCPRIM_400000_NS6detail17trampoline_kernelINS0_14default_configENS1_25partition_config_selectorILNS1_17partition_subalgoE5ElNS0_10empty_typeEbEEZZNS1_14partition_implILS5_5ELb0ES3_mN6hipcub16HIPCUB_304000_NS21CountingInputIteratorIllEEPS6_NSA_22TransformInputIteratorIbN2at6native12_GLOBAL__N_19NonZeroOpIN3c107complexINSJ_4HalfEEEEEPKSM_lEENS0_5tupleIJPlS6_EEENSR_IJSD_SD_EEES6_PiJS6_EEE10hipError_tPvRmT3_T4_T5_T6_T7_T9_mT8_P12ihipStream_tbDpT10_ENKUlT_T0_E_clISt17integral_constantIbLb0EES1E_IbLb1EEEEDaS1A_S1B_EUlS1A_E_NS1_11comp_targetILNS1_3genE4ELNS1_11target_archE910ELNS1_3gpuE8ELNS1_3repE0EEENS1_30default_config_static_selectorELNS0_4arch9wavefront6targetE0EEEvT1_.num_vgpr, 0
	.set _ZN7rocprim17ROCPRIM_400000_NS6detail17trampoline_kernelINS0_14default_configENS1_25partition_config_selectorILNS1_17partition_subalgoE5ElNS0_10empty_typeEbEEZZNS1_14partition_implILS5_5ELb0ES3_mN6hipcub16HIPCUB_304000_NS21CountingInputIteratorIllEEPS6_NSA_22TransformInputIteratorIbN2at6native12_GLOBAL__N_19NonZeroOpIN3c107complexINSJ_4HalfEEEEEPKSM_lEENS0_5tupleIJPlS6_EEENSR_IJSD_SD_EEES6_PiJS6_EEE10hipError_tPvRmT3_T4_T5_T6_T7_T9_mT8_P12ihipStream_tbDpT10_ENKUlT_T0_E_clISt17integral_constantIbLb0EES1E_IbLb1EEEEDaS1A_S1B_EUlS1A_E_NS1_11comp_targetILNS1_3genE4ELNS1_11target_archE910ELNS1_3gpuE8ELNS1_3repE0EEENS1_30default_config_static_selectorELNS0_4arch9wavefront6targetE0EEEvT1_.num_agpr, 0
	.set _ZN7rocprim17ROCPRIM_400000_NS6detail17trampoline_kernelINS0_14default_configENS1_25partition_config_selectorILNS1_17partition_subalgoE5ElNS0_10empty_typeEbEEZZNS1_14partition_implILS5_5ELb0ES3_mN6hipcub16HIPCUB_304000_NS21CountingInputIteratorIllEEPS6_NSA_22TransformInputIteratorIbN2at6native12_GLOBAL__N_19NonZeroOpIN3c107complexINSJ_4HalfEEEEEPKSM_lEENS0_5tupleIJPlS6_EEENSR_IJSD_SD_EEES6_PiJS6_EEE10hipError_tPvRmT3_T4_T5_T6_T7_T9_mT8_P12ihipStream_tbDpT10_ENKUlT_T0_E_clISt17integral_constantIbLb0EES1E_IbLb1EEEEDaS1A_S1B_EUlS1A_E_NS1_11comp_targetILNS1_3genE4ELNS1_11target_archE910ELNS1_3gpuE8ELNS1_3repE0EEENS1_30default_config_static_selectorELNS0_4arch9wavefront6targetE0EEEvT1_.numbered_sgpr, 0
	.set _ZN7rocprim17ROCPRIM_400000_NS6detail17trampoline_kernelINS0_14default_configENS1_25partition_config_selectorILNS1_17partition_subalgoE5ElNS0_10empty_typeEbEEZZNS1_14partition_implILS5_5ELb0ES3_mN6hipcub16HIPCUB_304000_NS21CountingInputIteratorIllEEPS6_NSA_22TransformInputIteratorIbN2at6native12_GLOBAL__N_19NonZeroOpIN3c107complexINSJ_4HalfEEEEEPKSM_lEENS0_5tupleIJPlS6_EEENSR_IJSD_SD_EEES6_PiJS6_EEE10hipError_tPvRmT3_T4_T5_T6_T7_T9_mT8_P12ihipStream_tbDpT10_ENKUlT_T0_E_clISt17integral_constantIbLb0EES1E_IbLb1EEEEDaS1A_S1B_EUlS1A_E_NS1_11comp_targetILNS1_3genE4ELNS1_11target_archE910ELNS1_3gpuE8ELNS1_3repE0EEENS1_30default_config_static_selectorELNS0_4arch9wavefront6targetE0EEEvT1_.num_named_barrier, 0
	.set _ZN7rocprim17ROCPRIM_400000_NS6detail17trampoline_kernelINS0_14default_configENS1_25partition_config_selectorILNS1_17partition_subalgoE5ElNS0_10empty_typeEbEEZZNS1_14partition_implILS5_5ELb0ES3_mN6hipcub16HIPCUB_304000_NS21CountingInputIteratorIllEEPS6_NSA_22TransformInputIteratorIbN2at6native12_GLOBAL__N_19NonZeroOpIN3c107complexINSJ_4HalfEEEEEPKSM_lEENS0_5tupleIJPlS6_EEENSR_IJSD_SD_EEES6_PiJS6_EEE10hipError_tPvRmT3_T4_T5_T6_T7_T9_mT8_P12ihipStream_tbDpT10_ENKUlT_T0_E_clISt17integral_constantIbLb0EES1E_IbLb1EEEEDaS1A_S1B_EUlS1A_E_NS1_11comp_targetILNS1_3genE4ELNS1_11target_archE910ELNS1_3gpuE8ELNS1_3repE0EEENS1_30default_config_static_selectorELNS0_4arch9wavefront6targetE0EEEvT1_.private_seg_size, 0
	.set _ZN7rocprim17ROCPRIM_400000_NS6detail17trampoline_kernelINS0_14default_configENS1_25partition_config_selectorILNS1_17partition_subalgoE5ElNS0_10empty_typeEbEEZZNS1_14partition_implILS5_5ELb0ES3_mN6hipcub16HIPCUB_304000_NS21CountingInputIteratorIllEEPS6_NSA_22TransformInputIteratorIbN2at6native12_GLOBAL__N_19NonZeroOpIN3c107complexINSJ_4HalfEEEEEPKSM_lEENS0_5tupleIJPlS6_EEENSR_IJSD_SD_EEES6_PiJS6_EEE10hipError_tPvRmT3_T4_T5_T6_T7_T9_mT8_P12ihipStream_tbDpT10_ENKUlT_T0_E_clISt17integral_constantIbLb0EES1E_IbLb1EEEEDaS1A_S1B_EUlS1A_E_NS1_11comp_targetILNS1_3genE4ELNS1_11target_archE910ELNS1_3gpuE8ELNS1_3repE0EEENS1_30default_config_static_selectorELNS0_4arch9wavefront6targetE0EEEvT1_.uses_vcc, 0
	.set _ZN7rocprim17ROCPRIM_400000_NS6detail17trampoline_kernelINS0_14default_configENS1_25partition_config_selectorILNS1_17partition_subalgoE5ElNS0_10empty_typeEbEEZZNS1_14partition_implILS5_5ELb0ES3_mN6hipcub16HIPCUB_304000_NS21CountingInputIteratorIllEEPS6_NSA_22TransformInputIteratorIbN2at6native12_GLOBAL__N_19NonZeroOpIN3c107complexINSJ_4HalfEEEEEPKSM_lEENS0_5tupleIJPlS6_EEENSR_IJSD_SD_EEES6_PiJS6_EEE10hipError_tPvRmT3_T4_T5_T6_T7_T9_mT8_P12ihipStream_tbDpT10_ENKUlT_T0_E_clISt17integral_constantIbLb0EES1E_IbLb1EEEEDaS1A_S1B_EUlS1A_E_NS1_11comp_targetILNS1_3genE4ELNS1_11target_archE910ELNS1_3gpuE8ELNS1_3repE0EEENS1_30default_config_static_selectorELNS0_4arch9wavefront6targetE0EEEvT1_.uses_flat_scratch, 0
	.set _ZN7rocprim17ROCPRIM_400000_NS6detail17trampoline_kernelINS0_14default_configENS1_25partition_config_selectorILNS1_17partition_subalgoE5ElNS0_10empty_typeEbEEZZNS1_14partition_implILS5_5ELb0ES3_mN6hipcub16HIPCUB_304000_NS21CountingInputIteratorIllEEPS6_NSA_22TransformInputIteratorIbN2at6native12_GLOBAL__N_19NonZeroOpIN3c107complexINSJ_4HalfEEEEEPKSM_lEENS0_5tupleIJPlS6_EEENSR_IJSD_SD_EEES6_PiJS6_EEE10hipError_tPvRmT3_T4_T5_T6_T7_T9_mT8_P12ihipStream_tbDpT10_ENKUlT_T0_E_clISt17integral_constantIbLb0EES1E_IbLb1EEEEDaS1A_S1B_EUlS1A_E_NS1_11comp_targetILNS1_3genE4ELNS1_11target_archE910ELNS1_3gpuE8ELNS1_3repE0EEENS1_30default_config_static_selectorELNS0_4arch9wavefront6targetE0EEEvT1_.has_dyn_sized_stack, 0
	.set _ZN7rocprim17ROCPRIM_400000_NS6detail17trampoline_kernelINS0_14default_configENS1_25partition_config_selectorILNS1_17partition_subalgoE5ElNS0_10empty_typeEbEEZZNS1_14partition_implILS5_5ELb0ES3_mN6hipcub16HIPCUB_304000_NS21CountingInputIteratorIllEEPS6_NSA_22TransformInputIteratorIbN2at6native12_GLOBAL__N_19NonZeroOpIN3c107complexINSJ_4HalfEEEEEPKSM_lEENS0_5tupleIJPlS6_EEENSR_IJSD_SD_EEES6_PiJS6_EEE10hipError_tPvRmT3_T4_T5_T6_T7_T9_mT8_P12ihipStream_tbDpT10_ENKUlT_T0_E_clISt17integral_constantIbLb0EES1E_IbLb1EEEEDaS1A_S1B_EUlS1A_E_NS1_11comp_targetILNS1_3genE4ELNS1_11target_archE910ELNS1_3gpuE8ELNS1_3repE0EEENS1_30default_config_static_selectorELNS0_4arch9wavefront6targetE0EEEvT1_.has_recursion, 0
	.set _ZN7rocprim17ROCPRIM_400000_NS6detail17trampoline_kernelINS0_14default_configENS1_25partition_config_selectorILNS1_17partition_subalgoE5ElNS0_10empty_typeEbEEZZNS1_14partition_implILS5_5ELb0ES3_mN6hipcub16HIPCUB_304000_NS21CountingInputIteratorIllEEPS6_NSA_22TransformInputIteratorIbN2at6native12_GLOBAL__N_19NonZeroOpIN3c107complexINSJ_4HalfEEEEEPKSM_lEENS0_5tupleIJPlS6_EEENSR_IJSD_SD_EEES6_PiJS6_EEE10hipError_tPvRmT3_T4_T5_T6_T7_T9_mT8_P12ihipStream_tbDpT10_ENKUlT_T0_E_clISt17integral_constantIbLb0EES1E_IbLb1EEEEDaS1A_S1B_EUlS1A_E_NS1_11comp_targetILNS1_3genE4ELNS1_11target_archE910ELNS1_3gpuE8ELNS1_3repE0EEENS1_30default_config_static_selectorELNS0_4arch9wavefront6targetE0EEEvT1_.has_indirect_call, 0
	.section	.AMDGPU.csdata,"",@progbits
; Kernel info:
; codeLenInByte = 0
; TotalNumSgprs: 0
; NumVgprs: 0
; ScratchSize: 0
; MemoryBound: 0
; FloatMode: 240
; IeeeMode: 1
; LDSByteSize: 0 bytes/workgroup (compile time only)
; SGPRBlocks: 0
; VGPRBlocks: 0
; NumSGPRsForWavesPerEU: 1
; NumVGPRsForWavesPerEU: 1
; Occupancy: 16
; WaveLimiterHint : 0
; COMPUTE_PGM_RSRC2:SCRATCH_EN: 0
; COMPUTE_PGM_RSRC2:USER_SGPR: 2
; COMPUTE_PGM_RSRC2:TRAP_HANDLER: 0
; COMPUTE_PGM_RSRC2:TGID_X_EN: 1
; COMPUTE_PGM_RSRC2:TGID_Y_EN: 0
; COMPUTE_PGM_RSRC2:TGID_Z_EN: 0
; COMPUTE_PGM_RSRC2:TIDIG_COMP_CNT: 0
	.section	.text._ZN7rocprim17ROCPRIM_400000_NS6detail17trampoline_kernelINS0_14default_configENS1_25partition_config_selectorILNS1_17partition_subalgoE5ElNS0_10empty_typeEbEEZZNS1_14partition_implILS5_5ELb0ES3_mN6hipcub16HIPCUB_304000_NS21CountingInputIteratorIllEEPS6_NSA_22TransformInputIteratorIbN2at6native12_GLOBAL__N_19NonZeroOpIN3c107complexINSJ_4HalfEEEEEPKSM_lEENS0_5tupleIJPlS6_EEENSR_IJSD_SD_EEES6_PiJS6_EEE10hipError_tPvRmT3_T4_T5_T6_T7_T9_mT8_P12ihipStream_tbDpT10_ENKUlT_T0_E_clISt17integral_constantIbLb0EES1E_IbLb1EEEEDaS1A_S1B_EUlS1A_E_NS1_11comp_targetILNS1_3genE3ELNS1_11target_archE908ELNS1_3gpuE7ELNS1_3repE0EEENS1_30default_config_static_selectorELNS0_4arch9wavefront6targetE0EEEvT1_,"axG",@progbits,_ZN7rocprim17ROCPRIM_400000_NS6detail17trampoline_kernelINS0_14default_configENS1_25partition_config_selectorILNS1_17partition_subalgoE5ElNS0_10empty_typeEbEEZZNS1_14partition_implILS5_5ELb0ES3_mN6hipcub16HIPCUB_304000_NS21CountingInputIteratorIllEEPS6_NSA_22TransformInputIteratorIbN2at6native12_GLOBAL__N_19NonZeroOpIN3c107complexINSJ_4HalfEEEEEPKSM_lEENS0_5tupleIJPlS6_EEENSR_IJSD_SD_EEES6_PiJS6_EEE10hipError_tPvRmT3_T4_T5_T6_T7_T9_mT8_P12ihipStream_tbDpT10_ENKUlT_T0_E_clISt17integral_constantIbLb0EES1E_IbLb1EEEEDaS1A_S1B_EUlS1A_E_NS1_11comp_targetILNS1_3genE3ELNS1_11target_archE908ELNS1_3gpuE7ELNS1_3repE0EEENS1_30default_config_static_selectorELNS0_4arch9wavefront6targetE0EEEvT1_,comdat
	.globl	_ZN7rocprim17ROCPRIM_400000_NS6detail17trampoline_kernelINS0_14default_configENS1_25partition_config_selectorILNS1_17partition_subalgoE5ElNS0_10empty_typeEbEEZZNS1_14partition_implILS5_5ELb0ES3_mN6hipcub16HIPCUB_304000_NS21CountingInputIteratorIllEEPS6_NSA_22TransformInputIteratorIbN2at6native12_GLOBAL__N_19NonZeroOpIN3c107complexINSJ_4HalfEEEEEPKSM_lEENS0_5tupleIJPlS6_EEENSR_IJSD_SD_EEES6_PiJS6_EEE10hipError_tPvRmT3_T4_T5_T6_T7_T9_mT8_P12ihipStream_tbDpT10_ENKUlT_T0_E_clISt17integral_constantIbLb0EES1E_IbLb1EEEEDaS1A_S1B_EUlS1A_E_NS1_11comp_targetILNS1_3genE3ELNS1_11target_archE908ELNS1_3gpuE7ELNS1_3repE0EEENS1_30default_config_static_selectorELNS0_4arch9wavefront6targetE0EEEvT1_ ; -- Begin function _ZN7rocprim17ROCPRIM_400000_NS6detail17trampoline_kernelINS0_14default_configENS1_25partition_config_selectorILNS1_17partition_subalgoE5ElNS0_10empty_typeEbEEZZNS1_14partition_implILS5_5ELb0ES3_mN6hipcub16HIPCUB_304000_NS21CountingInputIteratorIllEEPS6_NSA_22TransformInputIteratorIbN2at6native12_GLOBAL__N_19NonZeroOpIN3c107complexINSJ_4HalfEEEEEPKSM_lEENS0_5tupleIJPlS6_EEENSR_IJSD_SD_EEES6_PiJS6_EEE10hipError_tPvRmT3_T4_T5_T6_T7_T9_mT8_P12ihipStream_tbDpT10_ENKUlT_T0_E_clISt17integral_constantIbLb0EES1E_IbLb1EEEEDaS1A_S1B_EUlS1A_E_NS1_11comp_targetILNS1_3genE3ELNS1_11target_archE908ELNS1_3gpuE7ELNS1_3repE0EEENS1_30default_config_static_selectorELNS0_4arch9wavefront6targetE0EEEvT1_
	.p2align	8
	.type	_ZN7rocprim17ROCPRIM_400000_NS6detail17trampoline_kernelINS0_14default_configENS1_25partition_config_selectorILNS1_17partition_subalgoE5ElNS0_10empty_typeEbEEZZNS1_14partition_implILS5_5ELb0ES3_mN6hipcub16HIPCUB_304000_NS21CountingInputIteratorIllEEPS6_NSA_22TransformInputIteratorIbN2at6native12_GLOBAL__N_19NonZeroOpIN3c107complexINSJ_4HalfEEEEEPKSM_lEENS0_5tupleIJPlS6_EEENSR_IJSD_SD_EEES6_PiJS6_EEE10hipError_tPvRmT3_T4_T5_T6_T7_T9_mT8_P12ihipStream_tbDpT10_ENKUlT_T0_E_clISt17integral_constantIbLb0EES1E_IbLb1EEEEDaS1A_S1B_EUlS1A_E_NS1_11comp_targetILNS1_3genE3ELNS1_11target_archE908ELNS1_3gpuE7ELNS1_3repE0EEENS1_30default_config_static_selectorELNS0_4arch9wavefront6targetE0EEEvT1_,@function
_ZN7rocprim17ROCPRIM_400000_NS6detail17trampoline_kernelINS0_14default_configENS1_25partition_config_selectorILNS1_17partition_subalgoE5ElNS0_10empty_typeEbEEZZNS1_14partition_implILS5_5ELb0ES3_mN6hipcub16HIPCUB_304000_NS21CountingInputIteratorIllEEPS6_NSA_22TransformInputIteratorIbN2at6native12_GLOBAL__N_19NonZeroOpIN3c107complexINSJ_4HalfEEEEEPKSM_lEENS0_5tupleIJPlS6_EEENSR_IJSD_SD_EEES6_PiJS6_EEE10hipError_tPvRmT3_T4_T5_T6_T7_T9_mT8_P12ihipStream_tbDpT10_ENKUlT_T0_E_clISt17integral_constantIbLb0EES1E_IbLb1EEEEDaS1A_S1B_EUlS1A_E_NS1_11comp_targetILNS1_3genE3ELNS1_11target_archE908ELNS1_3gpuE7ELNS1_3repE0EEENS1_30default_config_static_selectorELNS0_4arch9wavefront6targetE0EEEvT1_: ; @_ZN7rocprim17ROCPRIM_400000_NS6detail17trampoline_kernelINS0_14default_configENS1_25partition_config_selectorILNS1_17partition_subalgoE5ElNS0_10empty_typeEbEEZZNS1_14partition_implILS5_5ELb0ES3_mN6hipcub16HIPCUB_304000_NS21CountingInputIteratorIllEEPS6_NSA_22TransformInputIteratorIbN2at6native12_GLOBAL__N_19NonZeroOpIN3c107complexINSJ_4HalfEEEEEPKSM_lEENS0_5tupleIJPlS6_EEENSR_IJSD_SD_EEES6_PiJS6_EEE10hipError_tPvRmT3_T4_T5_T6_T7_T9_mT8_P12ihipStream_tbDpT10_ENKUlT_T0_E_clISt17integral_constantIbLb0EES1E_IbLb1EEEEDaS1A_S1B_EUlS1A_E_NS1_11comp_targetILNS1_3genE3ELNS1_11target_archE908ELNS1_3gpuE7ELNS1_3repE0EEENS1_30default_config_static_selectorELNS0_4arch9wavefront6targetE0EEEvT1_
; %bb.0:
	.section	.rodata,"a",@progbits
	.p2align	6, 0x0
	.amdhsa_kernel _ZN7rocprim17ROCPRIM_400000_NS6detail17trampoline_kernelINS0_14default_configENS1_25partition_config_selectorILNS1_17partition_subalgoE5ElNS0_10empty_typeEbEEZZNS1_14partition_implILS5_5ELb0ES3_mN6hipcub16HIPCUB_304000_NS21CountingInputIteratorIllEEPS6_NSA_22TransformInputIteratorIbN2at6native12_GLOBAL__N_19NonZeroOpIN3c107complexINSJ_4HalfEEEEEPKSM_lEENS0_5tupleIJPlS6_EEENSR_IJSD_SD_EEES6_PiJS6_EEE10hipError_tPvRmT3_T4_T5_T6_T7_T9_mT8_P12ihipStream_tbDpT10_ENKUlT_T0_E_clISt17integral_constantIbLb0EES1E_IbLb1EEEEDaS1A_S1B_EUlS1A_E_NS1_11comp_targetILNS1_3genE3ELNS1_11target_archE908ELNS1_3gpuE7ELNS1_3repE0EEENS1_30default_config_static_selectorELNS0_4arch9wavefront6targetE0EEEvT1_
		.amdhsa_group_segment_fixed_size 0
		.amdhsa_private_segment_fixed_size 0
		.amdhsa_kernarg_size 136
		.amdhsa_user_sgpr_count 2
		.amdhsa_user_sgpr_dispatch_ptr 0
		.amdhsa_user_sgpr_queue_ptr 0
		.amdhsa_user_sgpr_kernarg_segment_ptr 1
		.amdhsa_user_sgpr_dispatch_id 0
		.amdhsa_user_sgpr_private_segment_size 0
		.amdhsa_wavefront_size32 1
		.amdhsa_uses_dynamic_stack 0
		.amdhsa_enable_private_segment 0
		.amdhsa_system_sgpr_workgroup_id_x 1
		.amdhsa_system_sgpr_workgroup_id_y 0
		.amdhsa_system_sgpr_workgroup_id_z 0
		.amdhsa_system_sgpr_workgroup_info 0
		.amdhsa_system_vgpr_workitem_id 0
		.amdhsa_next_free_vgpr 1
		.amdhsa_next_free_sgpr 1
		.amdhsa_reserve_vcc 0
		.amdhsa_float_round_mode_32 0
		.amdhsa_float_round_mode_16_64 0
		.amdhsa_float_denorm_mode_32 3
		.amdhsa_float_denorm_mode_16_64 3
		.amdhsa_fp16_overflow 0
		.amdhsa_workgroup_processor_mode 1
		.amdhsa_memory_ordered 1
		.amdhsa_forward_progress 1
		.amdhsa_inst_pref_size 0
		.amdhsa_round_robin_scheduling 0
		.amdhsa_exception_fp_ieee_invalid_op 0
		.amdhsa_exception_fp_denorm_src 0
		.amdhsa_exception_fp_ieee_div_zero 0
		.amdhsa_exception_fp_ieee_overflow 0
		.amdhsa_exception_fp_ieee_underflow 0
		.amdhsa_exception_fp_ieee_inexact 0
		.amdhsa_exception_int_div_zero 0
	.end_amdhsa_kernel
	.section	.text._ZN7rocprim17ROCPRIM_400000_NS6detail17trampoline_kernelINS0_14default_configENS1_25partition_config_selectorILNS1_17partition_subalgoE5ElNS0_10empty_typeEbEEZZNS1_14partition_implILS5_5ELb0ES3_mN6hipcub16HIPCUB_304000_NS21CountingInputIteratorIllEEPS6_NSA_22TransformInputIteratorIbN2at6native12_GLOBAL__N_19NonZeroOpIN3c107complexINSJ_4HalfEEEEEPKSM_lEENS0_5tupleIJPlS6_EEENSR_IJSD_SD_EEES6_PiJS6_EEE10hipError_tPvRmT3_T4_T5_T6_T7_T9_mT8_P12ihipStream_tbDpT10_ENKUlT_T0_E_clISt17integral_constantIbLb0EES1E_IbLb1EEEEDaS1A_S1B_EUlS1A_E_NS1_11comp_targetILNS1_3genE3ELNS1_11target_archE908ELNS1_3gpuE7ELNS1_3repE0EEENS1_30default_config_static_selectorELNS0_4arch9wavefront6targetE0EEEvT1_,"axG",@progbits,_ZN7rocprim17ROCPRIM_400000_NS6detail17trampoline_kernelINS0_14default_configENS1_25partition_config_selectorILNS1_17partition_subalgoE5ElNS0_10empty_typeEbEEZZNS1_14partition_implILS5_5ELb0ES3_mN6hipcub16HIPCUB_304000_NS21CountingInputIteratorIllEEPS6_NSA_22TransformInputIteratorIbN2at6native12_GLOBAL__N_19NonZeroOpIN3c107complexINSJ_4HalfEEEEEPKSM_lEENS0_5tupleIJPlS6_EEENSR_IJSD_SD_EEES6_PiJS6_EEE10hipError_tPvRmT3_T4_T5_T6_T7_T9_mT8_P12ihipStream_tbDpT10_ENKUlT_T0_E_clISt17integral_constantIbLb0EES1E_IbLb1EEEEDaS1A_S1B_EUlS1A_E_NS1_11comp_targetILNS1_3genE3ELNS1_11target_archE908ELNS1_3gpuE7ELNS1_3repE0EEENS1_30default_config_static_selectorELNS0_4arch9wavefront6targetE0EEEvT1_,comdat
.Lfunc_end689:
	.size	_ZN7rocprim17ROCPRIM_400000_NS6detail17trampoline_kernelINS0_14default_configENS1_25partition_config_selectorILNS1_17partition_subalgoE5ElNS0_10empty_typeEbEEZZNS1_14partition_implILS5_5ELb0ES3_mN6hipcub16HIPCUB_304000_NS21CountingInputIteratorIllEEPS6_NSA_22TransformInputIteratorIbN2at6native12_GLOBAL__N_19NonZeroOpIN3c107complexINSJ_4HalfEEEEEPKSM_lEENS0_5tupleIJPlS6_EEENSR_IJSD_SD_EEES6_PiJS6_EEE10hipError_tPvRmT3_T4_T5_T6_T7_T9_mT8_P12ihipStream_tbDpT10_ENKUlT_T0_E_clISt17integral_constantIbLb0EES1E_IbLb1EEEEDaS1A_S1B_EUlS1A_E_NS1_11comp_targetILNS1_3genE3ELNS1_11target_archE908ELNS1_3gpuE7ELNS1_3repE0EEENS1_30default_config_static_selectorELNS0_4arch9wavefront6targetE0EEEvT1_, .Lfunc_end689-_ZN7rocprim17ROCPRIM_400000_NS6detail17trampoline_kernelINS0_14default_configENS1_25partition_config_selectorILNS1_17partition_subalgoE5ElNS0_10empty_typeEbEEZZNS1_14partition_implILS5_5ELb0ES3_mN6hipcub16HIPCUB_304000_NS21CountingInputIteratorIllEEPS6_NSA_22TransformInputIteratorIbN2at6native12_GLOBAL__N_19NonZeroOpIN3c107complexINSJ_4HalfEEEEEPKSM_lEENS0_5tupleIJPlS6_EEENSR_IJSD_SD_EEES6_PiJS6_EEE10hipError_tPvRmT3_T4_T5_T6_T7_T9_mT8_P12ihipStream_tbDpT10_ENKUlT_T0_E_clISt17integral_constantIbLb0EES1E_IbLb1EEEEDaS1A_S1B_EUlS1A_E_NS1_11comp_targetILNS1_3genE3ELNS1_11target_archE908ELNS1_3gpuE7ELNS1_3repE0EEENS1_30default_config_static_selectorELNS0_4arch9wavefront6targetE0EEEvT1_
                                        ; -- End function
	.set _ZN7rocprim17ROCPRIM_400000_NS6detail17trampoline_kernelINS0_14default_configENS1_25partition_config_selectorILNS1_17partition_subalgoE5ElNS0_10empty_typeEbEEZZNS1_14partition_implILS5_5ELb0ES3_mN6hipcub16HIPCUB_304000_NS21CountingInputIteratorIllEEPS6_NSA_22TransformInputIteratorIbN2at6native12_GLOBAL__N_19NonZeroOpIN3c107complexINSJ_4HalfEEEEEPKSM_lEENS0_5tupleIJPlS6_EEENSR_IJSD_SD_EEES6_PiJS6_EEE10hipError_tPvRmT3_T4_T5_T6_T7_T9_mT8_P12ihipStream_tbDpT10_ENKUlT_T0_E_clISt17integral_constantIbLb0EES1E_IbLb1EEEEDaS1A_S1B_EUlS1A_E_NS1_11comp_targetILNS1_3genE3ELNS1_11target_archE908ELNS1_3gpuE7ELNS1_3repE0EEENS1_30default_config_static_selectorELNS0_4arch9wavefront6targetE0EEEvT1_.num_vgpr, 0
	.set _ZN7rocprim17ROCPRIM_400000_NS6detail17trampoline_kernelINS0_14default_configENS1_25partition_config_selectorILNS1_17partition_subalgoE5ElNS0_10empty_typeEbEEZZNS1_14partition_implILS5_5ELb0ES3_mN6hipcub16HIPCUB_304000_NS21CountingInputIteratorIllEEPS6_NSA_22TransformInputIteratorIbN2at6native12_GLOBAL__N_19NonZeroOpIN3c107complexINSJ_4HalfEEEEEPKSM_lEENS0_5tupleIJPlS6_EEENSR_IJSD_SD_EEES6_PiJS6_EEE10hipError_tPvRmT3_T4_T5_T6_T7_T9_mT8_P12ihipStream_tbDpT10_ENKUlT_T0_E_clISt17integral_constantIbLb0EES1E_IbLb1EEEEDaS1A_S1B_EUlS1A_E_NS1_11comp_targetILNS1_3genE3ELNS1_11target_archE908ELNS1_3gpuE7ELNS1_3repE0EEENS1_30default_config_static_selectorELNS0_4arch9wavefront6targetE0EEEvT1_.num_agpr, 0
	.set _ZN7rocprim17ROCPRIM_400000_NS6detail17trampoline_kernelINS0_14default_configENS1_25partition_config_selectorILNS1_17partition_subalgoE5ElNS0_10empty_typeEbEEZZNS1_14partition_implILS5_5ELb0ES3_mN6hipcub16HIPCUB_304000_NS21CountingInputIteratorIllEEPS6_NSA_22TransformInputIteratorIbN2at6native12_GLOBAL__N_19NonZeroOpIN3c107complexINSJ_4HalfEEEEEPKSM_lEENS0_5tupleIJPlS6_EEENSR_IJSD_SD_EEES6_PiJS6_EEE10hipError_tPvRmT3_T4_T5_T6_T7_T9_mT8_P12ihipStream_tbDpT10_ENKUlT_T0_E_clISt17integral_constantIbLb0EES1E_IbLb1EEEEDaS1A_S1B_EUlS1A_E_NS1_11comp_targetILNS1_3genE3ELNS1_11target_archE908ELNS1_3gpuE7ELNS1_3repE0EEENS1_30default_config_static_selectorELNS0_4arch9wavefront6targetE0EEEvT1_.numbered_sgpr, 0
	.set _ZN7rocprim17ROCPRIM_400000_NS6detail17trampoline_kernelINS0_14default_configENS1_25partition_config_selectorILNS1_17partition_subalgoE5ElNS0_10empty_typeEbEEZZNS1_14partition_implILS5_5ELb0ES3_mN6hipcub16HIPCUB_304000_NS21CountingInputIteratorIllEEPS6_NSA_22TransformInputIteratorIbN2at6native12_GLOBAL__N_19NonZeroOpIN3c107complexINSJ_4HalfEEEEEPKSM_lEENS0_5tupleIJPlS6_EEENSR_IJSD_SD_EEES6_PiJS6_EEE10hipError_tPvRmT3_T4_T5_T6_T7_T9_mT8_P12ihipStream_tbDpT10_ENKUlT_T0_E_clISt17integral_constantIbLb0EES1E_IbLb1EEEEDaS1A_S1B_EUlS1A_E_NS1_11comp_targetILNS1_3genE3ELNS1_11target_archE908ELNS1_3gpuE7ELNS1_3repE0EEENS1_30default_config_static_selectorELNS0_4arch9wavefront6targetE0EEEvT1_.num_named_barrier, 0
	.set _ZN7rocprim17ROCPRIM_400000_NS6detail17trampoline_kernelINS0_14default_configENS1_25partition_config_selectorILNS1_17partition_subalgoE5ElNS0_10empty_typeEbEEZZNS1_14partition_implILS5_5ELb0ES3_mN6hipcub16HIPCUB_304000_NS21CountingInputIteratorIllEEPS6_NSA_22TransformInputIteratorIbN2at6native12_GLOBAL__N_19NonZeroOpIN3c107complexINSJ_4HalfEEEEEPKSM_lEENS0_5tupleIJPlS6_EEENSR_IJSD_SD_EEES6_PiJS6_EEE10hipError_tPvRmT3_T4_T5_T6_T7_T9_mT8_P12ihipStream_tbDpT10_ENKUlT_T0_E_clISt17integral_constantIbLb0EES1E_IbLb1EEEEDaS1A_S1B_EUlS1A_E_NS1_11comp_targetILNS1_3genE3ELNS1_11target_archE908ELNS1_3gpuE7ELNS1_3repE0EEENS1_30default_config_static_selectorELNS0_4arch9wavefront6targetE0EEEvT1_.private_seg_size, 0
	.set _ZN7rocprim17ROCPRIM_400000_NS6detail17trampoline_kernelINS0_14default_configENS1_25partition_config_selectorILNS1_17partition_subalgoE5ElNS0_10empty_typeEbEEZZNS1_14partition_implILS5_5ELb0ES3_mN6hipcub16HIPCUB_304000_NS21CountingInputIteratorIllEEPS6_NSA_22TransformInputIteratorIbN2at6native12_GLOBAL__N_19NonZeroOpIN3c107complexINSJ_4HalfEEEEEPKSM_lEENS0_5tupleIJPlS6_EEENSR_IJSD_SD_EEES6_PiJS6_EEE10hipError_tPvRmT3_T4_T5_T6_T7_T9_mT8_P12ihipStream_tbDpT10_ENKUlT_T0_E_clISt17integral_constantIbLb0EES1E_IbLb1EEEEDaS1A_S1B_EUlS1A_E_NS1_11comp_targetILNS1_3genE3ELNS1_11target_archE908ELNS1_3gpuE7ELNS1_3repE0EEENS1_30default_config_static_selectorELNS0_4arch9wavefront6targetE0EEEvT1_.uses_vcc, 0
	.set _ZN7rocprim17ROCPRIM_400000_NS6detail17trampoline_kernelINS0_14default_configENS1_25partition_config_selectorILNS1_17partition_subalgoE5ElNS0_10empty_typeEbEEZZNS1_14partition_implILS5_5ELb0ES3_mN6hipcub16HIPCUB_304000_NS21CountingInputIteratorIllEEPS6_NSA_22TransformInputIteratorIbN2at6native12_GLOBAL__N_19NonZeroOpIN3c107complexINSJ_4HalfEEEEEPKSM_lEENS0_5tupleIJPlS6_EEENSR_IJSD_SD_EEES6_PiJS6_EEE10hipError_tPvRmT3_T4_T5_T6_T7_T9_mT8_P12ihipStream_tbDpT10_ENKUlT_T0_E_clISt17integral_constantIbLb0EES1E_IbLb1EEEEDaS1A_S1B_EUlS1A_E_NS1_11comp_targetILNS1_3genE3ELNS1_11target_archE908ELNS1_3gpuE7ELNS1_3repE0EEENS1_30default_config_static_selectorELNS0_4arch9wavefront6targetE0EEEvT1_.uses_flat_scratch, 0
	.set _ZN7rocprim17ROCPRIM_400000_NS6detail17trampoline_kernelINS0_14default_configENS1_25partition_config_selectorILNS1_17partition_subalgoE5ElNS0_10empty_typeEbEEZZNS1_14partition_implILS5_5ELb0ES3_mN6hipcub16HIPCUB_304000_NS21CountingInputIteratorIllEEPS6_NSA_22TransformInputIteratorIbN2at6native12_GLOBAL__N_19NonZeroOpIN3c107complexINSJ_4HalfEEEEEPKSM_lEENS0_5tupleIJPlS6_EEENSR_IJSD_SD_EEES6_PiJS6_EEE10hipError_tPvRmT3_T4_T5_T6_T7_T9_mT8_P12ihipStream_tbDpT10_ENKUlT_T0_E_clISt17integral_constantIbLb0EES1E_IbLb1EEEEDaS1A_S1B_EUlS1A_E_NS1_11comp_targetILNS1_3genE3ELNS1_11target_archE908ELNS1_3gpuE7ELNS1_3repE0EEENS1_30default_config_static_selectorELNS0_4arch9wavefront6targetE0EEEvT1_.has_dyn_sized_stack, 0
	.set _ZN7rocprim17ROCPRIM_400000_NS6detail17trampoline_kernelINS0_14default_configENS1_25partition_config_selectorILNS1_17partition_subalgoE5ElNS0_10empty_typeEbEEZZNS1_14partition_implILS5_5ELb0ES3_mN6hipcub16HIPCUB_304000_NS21CountingInputIteratorIllEEPS6_NSA_22TransformInputIteratorIbN2at6native12_GLOBAL__N_19NonZeroOpIN3c107complexINSJ_4HalfEEEEEPKSM_lEENS0_5tupleIJPlS6_EEENSR_IJSD_SD_EEES6_PiJS6_EEE10hipError_tPvRmT3_T4_T5_T6_T7_T9_mT8_P12ihipStream_tbDpT10_ENKUlT_T0_E_clISt17integral_constantIbLb0EES1E_IbLb1EEEEDaS1A_S1B_EUlS1A_E_NS1_11comp_targetILNS1_3genE3ELNS1_11target_archE908ELNS1_3gpuE7ELNS1_3repE0EEENS1_30default_config_static_selectorELNS0_4arch9wavefront6targetE0EEEvT1_.has_recursion, 0
	.set _ZN7rocprim17ROCPRIM_400000_NS6detail17trampoline_kernelINS0_14default_configENS1_25partition_config_selectorILNS1_17partition_subalgoE5ElNS0_10empty_typeEbEEZZNS1_14partition_implILS5_5ELb0ES3_mN6hipcub16HIPCUB_304000_NS21CountingInputIteratorIllEEPS6_NSA_22TransformInputIteratorIbN2at6native12_GLOBAL__N_19NonZeroOpIN3c107complexINSJ_4HalfEEEEEPKSM_lEENS0_5tupleIJPlS6_EEENSR_IJSD_SD_EEES6_PiJS6_EEE10hipError_tPvRmT3_T4_T5_T6_T7_T9_mT8_P12ihipStream_tbDpT10_ENKUlT_T0_E_clISt17integral_constantIbLb0EES1E_IbLb1EEEEDaS1A_S1B_EUlS1A_E_NS1_11comp_targetILNS1_3genE3ELNS1_11target_archE908ELNS1_3gpuE7ELNS1_3repE0EEENS1_30default_config_static_selectorELNS0_4arch9wavefront6targetE0EEEvT1_.has_indirect_call, 0
	.section	.AMDGPU.csdata,"",@progbits
; Kernel info:
; codeLenInByte = 0
; TotalNumSgprs: 0
; NumVgprs: 0
; ScratchSize: 0
; MemoryBound: 0
; FloatMode: 240
; IeeeMode: 1
; LDSByteSize: 0 bytes/workgroup (compile time only)
; SGPRBlocks: 0
; VGPRBlocks: 0
; NumSGPRsForWavesPerEU: 1
; NumVGPRsForWavesPerEU: 1
; Occupancy: 16
; WaveLimiterHint : 0
; COMPUTE_PGM_RSRC2:SCRATCH_EN: 0
; COMPUTE_PGM_RSRC2:USER_SGPR: 2
; COMPUTE_PGM_RSRC2:TRAP_HANDLER: 0
; COMPUTE_PGM_RSRC2:TGID_X_EN: 1
; COMPUTE_PGM_RSRC2:TGID_Y_EN: 0
; COMPUTE_PGM_RSRC2:TGID_Z_EN: 0
; COMPUTE_PGM_RSRC2:TIDIG_COMP_CNT: 0
	.section	.text._ZN7rocprim17ROCPRIM_400000_NS6detail17trampoline_kernelINS0_14default_configENS1_25partition_config_selectorILNS1_17partition_subalgoE5ElNS0_10empty_typeEbEEZZNS1_14partition_implILS5_5ELb0ES3_mN6hipcub16HIPCUB_304000_NS21CountingInputIteratorIllEEPS6_NSA_22TransformInputIteratorIbN2at6native12_GLOBAL__N_19NonZeroOpIN3c107complexINSJ_4HalfEEEEEPKSM_lEENS0_5tupleIJPlS6_EEENSR_IJSD_SD_EEES6_PiJS6_EEE10hipError_tPvRmT3_T4_T5_T6_T7_T9_mT8_P12ihipStream_tbDpT10_ENKUlT_T0_E_clISt17integral_constantIbLb0EES1E_IbLb1EEEEDaS1A_S1B_EUlS1A_E_NS1_11comp_targetILNS1_3genE2ELNS1_11target_archE906ELNS1_3gpuE6ELNS1_3repE0EEENS1_30default_config_static_selectorELNS0_4arch9wavefront6targetE0EEEvT1_,"axG",@progbits,_ZN7rocprim17ROCPRIM_400000_NS6detail17trampoline_kernelINS0_14default_configENS1_25partition_config_selectorILNS1_17partition_subalgoE5ElNS0_10empty_typeEbEEZZNS1_14partition_implILS5_5ELb0ES3_mN6hipcub16HIPCUB_304000_NS21CountingInputIteratorIllEEPS6_NSA_22TransformInputIteratorIbN2at6native12_GLOBAL__N_19NonZeroOpIN3c107complexINSJ_4HalfEEEEEPKSM_lEENS0_5tupleIJPlS6_EEENSR_IJSD_SD_EEES6_PiJS6_EEE10hipError_tPvRmT3_T4_T5_T6_T7_T9_mT8_P12ihipStream_tbDpT10_ENKUlT_T0_E_clISt17integral_constantIbLb0EES1E_IbLb1EEEEDaS1A_S1B_EUlS1A_E_NS1_11comp_targetILNS1_3genE2ELNS1_11target_archE906ELNS1_3gpuE6ELNS1_3repE0EEENS1_30default_config_static_selectorELNS0_4arch9wavefront6targetE0EEEvT1_,comdat
	.globl	_ZN7rocprim17ROCPRIM_400000_NS6detail17trampoline_kernelINS0_14default_configENS1_25partition_config_selectorILNS1_17partition_subalgoE5ElNS0_10empty_typeEbEEZZNS1_14partition_implILS5_5ELb0ES3_mN6hipcub16HIPCUB_304000_NS21CountingInputIteratorIllEEPS6_NSA_22TransformInputIteratorIbN2at6native12_GLOBAL__N_19NonZeroOpIN3c107complexINSJ_4HalfEEEEEPKSM_lEENS0_5tupleIJPlS6_EEENSR_IJSD_SD_EEES6_PiJS6_EEE10hipError_tPvRmT3_T4_T5_T6_T7_T9_mT8_P12ihipStream_tbDpT10_ENKUlT_T0_E_clISt17integral_constantIbLb0EES1E_IbLb1EEEEDaS1A_S1B_EUlS1A_E_NS1_11comp_targetILNS1_3genE2ELNS1_11target_archE906ELNS1_3gpuE6ELNS1_3repE0EEENS1_30default_config_static_selectorELNS0_4arch9wavefront6targetE0EEEvT1_ ; -- Begin function _ZN7rocprim17ROCPRIM_400000_NS6detail17trampoline_kernelINS0_14default_configENS1_25partition_config_selectorILNS1_17partition_subalgoE5ElNS0_10empty_typeEbEEZZNS1_14partition_implILS5_5ELb0ES3_mN6hipcub16HIPCUB_304000_NS21CountingInputIteratorIllEEPS6_NSA_22TransformInputIteratorIbN2at6native12_GLOBAL__N_19NonZeroOpIN3c107complexINSJ_4HalfEEEEEPKSM_lEENS0_5tupleIJPlS6_EEENSR_IJSD_SD_EEES6_PiJS6_EEE10hipError_tPvRmT3_T4_T5_T6_T7_T9_mT8_P12ihipStream_tbDpT10_ENKUlT_T0_E_clISt17integral_constantIbLb0EES1E_IbLb1EEEEDaS1A_S1B_EUlS1A_E_NS1_11comp_targetILNS1_3genE2ELNS1_11target_archE906ELNS1_3gpuE6ELNS1_3repE0EEENS1_30default_config_static_selectorELNS0_4arch9wavefront6targetE0EEEvT1_
	.p2align	8
	.type	_ZN7rocprim17ROCPRIM_400000_NS6detail17trampoline_kernelINS0_14default_configENS1_25partition_config_selectorILNS1_17partition_subalgoE5ElNS0_10empty_typeEbEEZZNS1_14partition_implILS5_5ELb0ES3_mN6hipcub16HIPCUB_304000_NS21CountingInputIteratorIllEEPS6_NSA_22TransformInputIteratorIbN2at6native12_GLOBAL__N_19NonZeroOpIN3c107complexINSJ_4HalfEEEEEPKSM_lEENS0_5tupleIJPlS6_EEENSR_IJSD_SD_EEES6_PiJS6_EEE10hipError_tPvRmT3_T4_T5_T6_T7_T9_mT8_P12ihipStream_tbDpT10_ENKUlT_T0_E_clISt17integral_constantIbLb0EES1E_IbLb1EEEEDaS1A_S1B_EUlS1A_E_NS1_11comp_targetILNS1_3genE2ELNS1_11target_archE906ELNS1_3gpuE6ELNS1_3repE0EEENS1_30default_config_static_selectorELNS0_4arch9wavefront6targetE0EEEvT1_,@function
_ZN7rocprim17ROCPRIM_400000_NS6detail17trampoline_kernelINS0_14default_configENS1_25partition_config_selectorILNS1_17partition_subalgoE5ElNS0_10empty_typeEbEEZZNS1_14partition_implILS5_5ELb0ES3_mN6hipcub16HIPCUB_304000_NS21CountingInputIteratorIllEEPS6_NSA_22TransformInputIteratorIbN2at6native12_GLOBAL__N_19NonZeroOpIN3c107complexINSJ_4HalfEEEEEPKSM_lEENS0_5tupleIJPlS6_EEENSR_IJSD_SD_EEES6_PiJS6_EEE10hipError_tPvRmT3_T4_T5_T6_T7_T9_mT8_P12ihipStream_tbDpT10_ENKUlT_T0_E_clISt17integral_constantIbLb0EES1E_IbLb1EEEEDaS1A_S1B_EUlS1A_E_NS1_11comp_targetILNS1_3genE2ELNS1_11target_archE906ELNS1_3gpuE6ELNS1_3repE0EEENS1_30default_config_static_selectorELNS0_4arch9wavefront6targetE0EEEvT1_: ; @_ZN7rocprim17ROCPRIM_400000_NS6detail17trampoline_kernelINS0_14default_configENS1_25partition_config_selectorILNS1_17partition_subalgoE5ElNS0_10empty_typeEbEEZZNS1_14partition_implILS5_5ELb0ES3_mN6hipcub16HIPCUB_304000_NS21CountingInputIteratorIllEEPS6_NSA_22TransformInputIteratorIbN2at6native12_GLOBAL__N_19NonZeroOpIN3c107complexINSJ_4HalfEEEEEPKSM_lEENS0_5tupleIJPlS6_EEENSR_IJSD_SD_EEES6_PiJS6_EEE10hipError_tPvRmT3_T4_T5_T6_T7_T9_mT8_P12ihipStream_tbDpT10_ENKUlT_T0_E_clISt17integral_constantIbLb0EES1E_IbLb1EEEEDaS1A_S1B_EUlS1A_E_NS1_11comp_targetILNS1_3genE2ELNS1_11target_archE906ELNS1_3gpuE6ELNS1_3repE0EEENS1_30default_config_static_selectorELNS0_4arch9wavefront6targetE0EEEvT1_
; %bb.0:
	.section	.rodata,"a",@progbits
	.p2align	6, 0x0
	.amdhsa_kernel _ZN7rocprim17ROCPRIM_400000_NS6detail17trampoline_kernelINS0_14default_configENS1_25partition_config_selectorILNS1_17partition_subalgoE5ElNS0_10empty_typeEbEEZZNS1_14partition_implILS5_5ELb0ES3_mN6hipcub16HIPCUB_304000_NS21CountingInputIteratorIllEEPS6_NSA_22TransformInputIteratorIbN2at6native12_GLOBAL__N_19NonZeroOpIN3c107complexINSJ_4HalfEEEEEPKSM_lEENS0_5tupleIJPlS6_EEENSR_IJSD_SD_EEES6_PiJS6_EEE10hipError_tPvRmT3_T4_T5_T6_T7_T9_mT8_P12ihipStream_tbDpT10_ENKUlT_T0_E_clISt17integral_constantIbLb0EES1E_IbLb1EEEEDaS1A_S1B_EUlS1A_E_NS1_11comp_targetILNS1_3genE2ELNS1_11target_archE906ELNS1_3gpuE6ELNS1_3repE0EEENS1_30default_config_static_selectorELNS0_4arch9wavefront6targetE0EEEvT1_
		.amdhsa_group_segment_fixed_size 0
		.amdhsa_private_segment_fixed_size 0
		.amdhsa_kernarg_size 136
		.amdhsa_user_sgpr_count 2
		.amdhsa_user_sgpr_dispatch_ptr 0
		.amdhsa_user_sgpr_queue_ptr 0
		.amdhsa_user_sgpr_kernarg_segment_ptr 1
		.amdhsa_user_sgpr_dispatch_id 0
		.amdhsa_user_sgpr_private_segment_size 0
		.amdhsa_wavefront_size32 1
		.amdhsa_uses_dynamic_stack 0
		.amdhsa_enable_private_segment 0
		.amdhsa_system_sgpr_workgroup_id_x 1
		.amdhsa_system_sgpr_workgroup_id_y 0
		.amdhsa_system_sgpr_workgroup_id_z 0
		.amdhsa_system_sgpr_workgroup_info 0
		.amdhsa_system_vgpr_workitem_id 0
		.amdhsa_next_free_vgpr 1
		.amdhsa_next_free_sgpr 1
		.amdhsa_reserve_vcc 0
		.amdhsa_float_round_mode_32 0
		.amdhsa_float_round_mode_16_64 0
		.amdhsa_float_denorm_mode_32 3
		.amdhsa_float_denorm_mode_16_64 3
		.amdhsa_fp16_overflow 0
		.amdhsa_workgroup_processor_mode 1
		.amdhsa_memory_ordered 1
		.amdhsa_forward_progress 1
		.amdhsa_inst_pref_size 0
		.amdhsa_round_robin_scheduling 0
		.amdhsa_exception_fp_ieee_invalid_op 0
		.amdhsa_exception_fp_denorm_src 0
		.amdhsa_exception_fp_ieee_div_zero 0
		.amdhsa_exception_fp_ieee_overflow 0
		.amdhsa_exception_fp_ieee_underflow 0
		.amdhsa_exception_fp_ieee_inexact 0
		.amdhsa_exception_int_div_zero 0
	.end_amdhsa_kernel
	.section	.text._ZN7rocprim17ROCPRIM_400000_NS6detail17trampoline_kernelINS0_14default_configENS1_25partition_config_selectorILNS1_17partition_subalgoE5ElNS0_10empty_typeEbEEZZNS1_14partition_implILS5_5ELb0ES3_mN6hipcub16HIPCUB_304000_NS21CountingInputIteratorIllEEPS6_NSA_22TransformInputIteratorIbN2at6native12_GLOBAL__N_19NonZeroOpIN3c107complexINSJ_4HalfEEEEEPKSM_lEENS0_5tupleIJPlS6_EEENSR_IJSD_SD_EEES6_PiJS6_EEE10hipError_tPvRmT3_T4_T5_T6_T7_T9_mT8_P12ihipStream_tbDpT10_ENKUlT_T0_E_clISt17integral_constantIbLb0EES1E_IbLb1EEEEDaS1A_S1B_EUlS1A_E_NS1_11comp_targetILNS1_3genE2ELNS1_11target_archE906ELNS1_3gpuE6ELNS1_3repE0EEENS1_30default_config_static_selectorELNS0_4arch9wavefront6targetE0EEEvT1_,"axG",@progbits,_ZN7rocprim17ROCPRIM_400000_NS6detail17trampoline_kernelINS0_14default_configENS1_25partition_config_selectorILNS1_17partition_subalgoE5ElNS0_10empty_typeEbEEZZNS1_14partition_implILS5_5ELb0ES3_mN6hipcub16HIPCUB_304000_NS21CountingInputIteratorIllEEPS6_NSA_22TransformInputIteratorIbN2at6native12_GLOBAL__N_19NonZeroOpIN3c107complexINSJ_4HalfEEEEEPKSM_lEENS0_5tupleIJPlS6_EEENSR_IJSD_SD_EEES6_PiJS6_EEE10hipError_tPvRmT3_T4_T5_T6_T7_T9_mT8_P12ihipStream_tbDpT10_ENKUlT_T0_E_clISt17integral_constantIbLb0EES1E_IbLb1EEEEDaS1A_S1B_EUlS1A_E_NS1_11comp_targetILNS1_3genE2ELNS1_11target_archE906ELNS1_3gpuE6ELNS1_3repE0EEENS1_30default_config_static_selectorELNS0_4arch9wavefront6targetE0EEEvT1_,comdat
.Lfunc_end690:
	.size	_ZN7rocprim17ROCPRIM_400000_NS6detail17trampoline_kernelINS0_14default_configENS1_25partition_config_selectorILNS1_17partition_subalgoE5ElNS0_10empty_typeEbEEZZNS1_14partition_implILS5_5ELb0ES3_mN6hipcub16HIPCUB_304000_NS21CountingInputIteratorIllEEPS6_NSA_22TransformInputIteratorIbN2at6native12_GLOBAL__N_19NonZeroOpIN3c107complexINSJ_4HalfEEEEEPKSM_lEENS0_5tupleIJPlS6_EEENSR_IJSD_SD_EEES6_PiJS6_EEE10hipError_tPvRmT3_T4_T5_T6_T7_T9_mT8_P12ihipStream_tbDpT10_ENKUlT_T0_E_clISt17integral_constantIbLb0EES1E_IbLb1EEEEDaS1A_S1B_EUlS1A_E_NS1_11comp_targetILNS1_3genE2ELNS1_11target_archE906ELNS1_3gpuE6ELNS1_3repE0EEENS1_30default_config_static_selectorELNS0_4arch9wavefront6targetE0EEEvT1_, .Lfunc_end690-_ZN7rocprim17ROCPRIM_400000_NS6detail17trampoline_kernelINS0_14default_configENS1_25partition_config_selectorILNS1_17partition_subalgoE5ElNS0_10empty_typeEbEEZZNS1_14partition_implILS5_5ELb0ES3_mN6hipcub16HIPCUB_304000_NS21CountingInputIteratorIllEEPS6_NSA_22TransformInputIteratorIbN2at6native12_GLOBAL__N_19NonZeroOpIN3c107complexINSJ_4HalfEEEEEPKSM_lEENS0_5tupleIJPlS6_EEENSR_IJSD_SD_EEES6_PiJS6_EEE10hipError_tPvRmT3_T4_T5_T6_T7_T9_mT8_P12ihipStream_tbDpT10_ENKUlT_T0_E_clISt17integral_constantIbLb0EES1E_IbLb1EEEEDaS1A_S1B_EUlS1A_E_NS1_11comp_targetILNS1_3genE2ELNS1_11target_archE906ELNS1_3gpuE6ELNS1_3repE0EEENS1_30default_config_static_selectorELNS0_4arch9wavefront6targetE0EEEvT1_
                                        ; -- End function
	.set _ZN7rocprim17ROCPRIM_400000_NS6detail17trampoline_kernelINS0_14default_configENS1_25partition_config_selectorILNS1_17partition_subalgoE5ElNS0_10empty_typeEbEEZZNS1_14partition_implILS5_5ELb0ES3_mN6hipcub16HIPCUB_304000_NS21CountingInputIteratorIllEEPS6_NSA_22TransformInputIteratorIbN2at6native12_GLOBAL__N_19NonZeroOpIN3c107complexINSJ_4HalfEEEEEPKSM_lEENS0_5tupleIJPlS6_EEENSR_IJSD_SD_EEES6_PiJS6_EEE10hipError_tPvRmT3_T4_T5_T6_T7_T9_mT8_P12ihipStream_tbDpT10_ENKUlT_T0_E_clISt17integral_constantIbLb0EES1E_IbLb1EEEEDaS1A_S1B_EUlS1A_E_NS1_11comp_targetILNS1_3genE2ELNS1_11target_archE906ELNS1_3gpuE6ELNS1_3repE0EEENS1_30default_config_static_selectorELNS0_4arch9wavefront6targetE0EEEvT1_.num_vgpr, 0
	.set _ZN7rocprim17ROCPRIM_400000_NS6detail17trampoline_kernelINS0_14default_configENS1_25partition_config_selectorILNS1_17partition_subalgoE5ElNS0_10empty_typeEbEEZZNS1_14partition_implILS5_5ELb0ES3_mN6hipcub16HIPCUB_304000_NS21CountingInputIteratorIllEEPS6_NSA_22TransformInputIteratorIbN2at6native12_GLOBAL__N_19NonZeroOpIN3c107complexINSJ_4HalfEEEEEPKSM_lEENS0_5tupleIJPlS6_EEENSR_IJSD_SD_EEES6_PiJS6_EEE10hipError_tPvRmT3_T4_T5_T6_T7_T9_mT8_P12ihipStream_tbDpT10_ENKUlT_T0_E_clISt17integral_constantIbLb0EES1E_IbLb1EEEEDaS1A_S1B_EUlS1A_E_NS1_11comp_targetILNS1_3genE2ELNS1_11target_archE906ELNS1_3gpuE6ELNS1_3repE0EEENS1_30default_config_static_selectorELNS0_4arch9wavefront6targetE0EEEvT1_.num_agpr, 0
	.set _ZN7rocprim17ROCPRIM_400000_NS6detail17trampoline_kernelINS0_14default_configENS1_25partition_config_selectorILNS1_17partition_subalgoE5ElNS0_10empty_typeEbEEZZNS1_14partition_implILS5_5ELb0ES3_mN6hipcub16HIPCUB_304000_NS21CountingInputIteratorIllEEPS6_NSA_22TransformInputIteratorIbN2at6native12_GLOBAL__N_19NonZeroOpIN3c107complexINSJ_4HalfEEEEEPKSM_lEENS0_5tupleIJPlS6_EEENSR_IJSD_SD_EEES6_PiJS6_EEE10hipError_tPvRmT3_T4_T5_T6_T7_T9_mT8_P12ihipStream_tbDpT10_ENKUlT_T0_E_clISt17integral_constantIbLb0EES1E_IbLb1EEEEDaS1A_S1B_EUlS1A_E_NS1_11comp_targetILNS1_3genE2ELNS1_11target_archE906ELNS1_3gpuE6ELNS1_3repE0EEENS1_30default_config_static_selectorELNS0_4arch9wavefront6targetE0EEEvT1_.numbered_sgpr, 0
	.set _ZN7rocprim17ROCPRIM_400000_NS6detail17trampoline_kernelINS0_14default_configENS1_25partition_config_selectorILNS1_17partition_subalgoE5ElNS0_10empty_typeEbEEZZNS1_14partition_implILS5_5ELb0ES3_mN6hipcub16HIPCUB_304000_NS21CountingInputIteratorIllEEPS6_NSA_22TransformInputIteratorIbN2at6native12_GLOBAL__N_19NonZeroOpIN3c107complexINSJ_4HalfEEEEEPKSM_lEENS0_5tupleIJPlS6_EEENSR_IJSD_SD_EEES6_PiJS6_EEE10hipError_tPvRmT3_T4_T5_T6_T7_T9_mT8_P12ihipStream_tbDpT10_ENKUlT_T0_E_clISt17integral_constantIbLb0EES1E_IbLb1EEEEDaS1A_S1B_EUlS1A_E_NS1_11comp_targetILNS1_3genE2ELNS1_11target_archE906ELNS1_3gpuE6ELNS1_3repE0EEENS1_30default_config_static_selectorELNS0_4arch9wavefront6targetE0EEEvT1_.num_named_barrier, 0
	.set _ZN7rocprim17ROCPRIM_400000_NS6detail17trampoline_kernelINS0_14default_configENS1_25partition_config_selectorILNS1_17partition_subalgoE5ElNS0_10empty_typeEbEEZZNS1_14partition_implILS5_5ELb0ES3_mN6hipcub16HIPCUB_304000_NS21CountingInputIteratorIllEEPS6_NSA_22TransformInputIteratorIbN2at6native12_GLOBAL__N_19NonZeroOpIN3c107complexINSJ_4HalfEEEEEPKSM_lEENS0_5tupleIJPlS6_EEENSR_IJSD_SD_EEES6_PiJS6_EEE10hipError_tPvRmT3_T4_T5_T6_T7_T9_mT8_P12ihipStream_tbDpT10_ENKUlT_T0_E_clISt17integral_constantIbLb0EES1E_IbLb1EEEEDaS1A_S1B_EUlS1A_E_NS1_11comp_targetILNS1_3genE2ELNS1_11target_archE906ELNS1_3gpuE6ELNS1_3repE0EEENS1_30default_config_static_selectorELNS0_4arch9wavefront6targetE0EEEvT1_.private_seg_size, 0
	.set _ZN7rocprim17ROCPRIM_400000_NS6detail17trampoline_kernelINS0_14default_configENS1_25partition_config_selectorILNS1_17partition_subalgoE5ElNS0_10empty_typeEbEEZZNS1_14partition_implILS5_5ELb0ES3_mN6hipcub16HIPCUB_304000_NS21CountingInputIteratorIllEEPS6_NSA_22TransformInputIteratorIbN2at6native12_GLOBAL__N_19NonZeroOpIN3c107complexINSJ_4HalfEEEEEPKSM_lEENS0_5tupleIJPlS6_EEENSR_IJSD_SD_EEES6_PiJS6_EEE10hipError_tPvRmT3_T4_T5_T6_T7_T9_mT8_P12ihipStream_tbDpT10_ENKUlT_T0_E_clISt17integral_constantIbLb0EES1E_IbLb1EEEEDaS1A_S1B_EUlS1A_E_NS1_11comp_targetILNS1_3genE2ELNS1_11target_archE906ELNS1_3gpuE6ELNS1_3repE0EEENS1_30default_config_static_selectorELNS0_4arch9wavefront6targetE0EEEvT1_.uses_vcc, 0
	.set _ZN7rocprim17ROCPRIM_400000_NS6detail17trampoline_kernelINS0_14default_configENS1_25partition_config_selectorILNS1_17partition_subalgoE5ElNS0_10empty_typeEbEEZZNS1_14partition_implILS5_5ELb0ES3_mN6hipcub16HIPCUB_304000_NS21CountingInputIteratorIllEEPS6_NSA_22TransformInputIteratorIbN2at6native12_GLOBAL__N_19NonZeroOpIN3c107complexINSJ_4HalfEEEEEPKSM_lEENS0_5tupleIJPlS6_EEENSR_IJSD_SD_EEES6_PiJS6_EEE10hipError_tPvRmT3_T4_T5_T6_T7_T9_mT8_P12ihipStream_tbDpT10_ENKUlT_T0_E_clISt17integral_constantIbLb0EES1E_IbLb1EEEEDaS1A_S1B_EUlS1A_E_NS1_11comp_targetILNS1_3genE2ELNS1_11target_archE906ELNS1_3gpuE6ELNS1_3repE0EEENS1_30default_config_static_selectorELNS0_4arch9wavefront6targetE0EEEvT1_.uses_flat_scratch, 0
	.set _ZN7rocprim17ROCPRIM_400000_NS6detail17trampoline_kernelINS0_14default_configENS1_25partition_config_selectorILNS1_17partition_subalgoE5ElNS0_10empty_typeEbEEZZNS1_14partition_implILS5_5ELb0ES3_mN6hipcub16HIPCUB_304000_NS21CountingInputIteratorIllEEPS6_NSA_22TransformInputIteratorIbN2at6native12_GLOBAL__N_19NonZeroOpIN3c107complexINSJ_4HalfEEEEEPKSM_lEENS0_5tupleIJPlS6_EEENSR_IJSD_SD_EEES6_PiJS6_EEE10hipError_tPvRmT3_T4_T5_T6_T7_T9_mT8_P12ihipStream_tbDpT10_ENKUlT_T0_E_clISt17integral_constantIbLb0EES1E_IbLb1EEEEDaS1A_S1B_EUlS1A_E_NS1_11comp_targetILNS1_3genE2ELNS1_11target_archE906ELNS1_3gpuE6ELNS1_3repE0EEENS1_30default_config_static_selectorELNS0_4arch9wavefront6targetE0EEEvT1_.has_dyn_sized_stack, 0
	.set _ZN7rocprim17ROCPRIM_400000_NS6detail17trampoline_kernelINS0_14default_configENS1_25partition_config_selectorILNS1_17partition_subalgoE5ElNS0_10empty_typeEbEEZZNS1_14partition_implILS5_5ELb0ES3_mN6hipcub16HIPCUB_304000_NS21CountingInputIteratorIllEEPS6_NSA_22TransformInputIteratorIbN2at6native12_GLOBAL__N_19NonZeroOpIN3c107complexINSJ_4HalfEEEEEPKSM_lEENS0_5tupleIJPlS6_EEENSR_IJSD_SD_EEES6_PiJS6_EEE10hipError_tPvRmT3_T4_T5_T6_T7_T9_mT8_P12ihipStream_tbDpT10_ENKUlT_T0_E_clISt17integral_constantIbLb0EES1E_IbLb1EEEEDaS1A_S1B_EUlS1A_E_NS1_11comp_targetILNS1_3genE2ELNS1_11target_archE906ELNS1_3gpuE6ELNS1_3repE0EEENS1_30default_config_static_selectorELNS0_4arch9wavefront6targetE0EEEvT1_.has_recursion, 0
	.set _ZN7rocprim17ROCPRIM_400000_NS6detail17trampoline_kernelINS0_14default_configENS1_25partition_config_selectorILNS1_17partition_subalgoE5ElNS0_10empty_typeEbEEZZNS1_14partition_implILS5_5ELb0ES3_mN6hipcub16HIPCUB_304000_NS21CountingInputIteratorIllEEPS6_NSA_22TransformInputIteratorIbN2at6native12_GLOBAL__N_19NonZeroOpIN3c107complexINSJ_4HalfEEEEEPKSM_lEENS0_5tupleIJPlS6_EEENSR_IJSD_SD_EEES6_PiJS6_EEE10hipError_tPvRmT3_T4_T5_T6_T7_T9_mT8_P12ihipStream_tbDpT10_ENKUlT_T0_E_clISt17integral_constantIbLb0EES1E_IbLb1EEEEDaS1A_S1B_EUlS1A_E_NS1_11comp_targetILNS1_3genE2ELNS1_11target_archE906ELNS1_3gpuE6ELNS1_3repE0EEENS1_30default_config_static_selectorELNS0_4arch9wavefront6targetE0EEEvT1_.has_indirect_call, 0
	.section	.AMDGPU.csdata,"",@progbits
; Kernel info:
; codeLenInByte = 0
; TotalNumSgprs: 0
; NumVgprs: 0
; ScratchSize: 0
; MemoryBound: 0
; FloatMode: 240
; IeeeMode: 1
; LDSByteSize: 0 bytes/workgroup (compile time only)
; SGPRBlocks: 0
; VGPRBlocks: 0
; NumSGPRsForWavesPerEU: 1
; NumVGPRsForWavesPerEU: 1
; Occupancy: 16
; WaveLimiterHint : 0
; COMPUTE_PGM_RSRC2:SCRATCH_EN: 0
; COMPUTE_PGM_RSRC2:USER_SGPR: 2
; COMPUTE_PGM_RSRC2:TRAP_HANDLER: 0
; COMPUTE_PGM_RSRC2:TGID_X_EN: 1
; COMPUTE_PGM_RSRC2:TGID_Y_EN: 0
; COMPUTE_PGM_RSRC2:TGID_Z_EN: 0
; COMPUTE_PGM_RSRC2:TIDIG_COMP_CNT: 0
	.section	.text._ZN7rocprim17ROCPRIM_400000_NS6detail17trampoline_kernelINS0_14default_configENS1_25partition_config_selectorILNS1_17partition_subalgoE5ElNS0_10empty_typeEbEEZZNS1_14partition_implILS5_5ELb0ES3_mN6hipcub16HIPCUB_304000_NS21CountingInputIteratorIllEEPS6_NSA_22TransformInputIteratorIbN2at6native12_GLOBAL__N_19NonZeroOpIN3c107complexINSJ_4HalfEEEEEPKSM_lEENS0_5tupleIJPlS6_EEENSR_IJSD_SD_EEES6_PiJS6_EEE10hipError_tPvRmT3_T4_T5_T6_T7_T9_mT8_P12ihipStream_tbDpT10_ENKUlT_T0_E_clISt17integral_constantIbLb0EES1E_IbLb1EEEEDaS1A_S1B_EUlS1A_E_NS1_11comp_targetILNS1_3genE10ELNS1_11target_archE1200ELNS1_3gpuE4ELNS1_3repE0EEENS1_30default_config_static_selectorELNS0_4arch9wavefront6targetE0EEEvT1_,"axG",@progbits,_ZN7rocprim17ROCPRIM_400000_NS6detail17trampoline_kernelINS0_14default_configENS1_25partition_config_selectorILNS1_17partition_subalgoE5ElNS0_10empty_typeEbEEZZNS1_14partition_implILS5_5ELb0ES3_mN6hipcub16HIPCUB_304000_NS21CountingInputIteratorIllEEPS6_NSA_22TransformInputIteratorIbN2at6native12_GLOBAL__N_19NonZeroOpIN3c107complexINSJ_4HalfEEEEEPKSM_lEENS0_5tupleIJPlS6_EEENSR_IJSD_SD_EEES6_PiJS6_EEE10hipError_tPvRmT3_T4_T5_T6_T7_T9_mT8_P12ihipStream_tbDpT10_ENKUlT_T0_E_clISt17integral_constantIbLb0EES1E_IbLb1EEEEDaS1A_S1B_EUlS1A_E_NS1_11comp_targetILNS1_3genE10ELNS1_11target_archE1200ELNS1_3gpuE4ELNS1_3repE0EEENS1_30default_config_static_selectorELNS0_4arch9wavefront6targetE0EEEvT1_,comdat
	.globl	_ZN7rocprim17ROCPRIM_400000_NS6detail17trampoline_kernelINS0_14default_configENS1_25partition_config_selectorILNS1_17partition_subalgoE5ElNS0_10empty_typeEbEEZZNS1_14partition_implILS5_5ELb0ES3_mN6hipcub16HIPCUB_304000_NS21CountingInputIteratorIllEEPS6_NSA_22TransformInputIteratorIbN2at6native12_GLOBAL__N_19NonZeroOpIN3c107complexINSJ_4HalfEEEEEPKSM_lEENS0_5tupleIJPlS6_EEENSR_IJSD_SD_EEES6_PiJS6_EEE10hipError_tPvRmT3_T4_T5_T6_T7_T9_mT8_P12ihipStream_tbDpT10_ENKUlT_T0_E_clISt17integral_constantIbLb0EES1E_IbLb1EEEEDaS1A_S1B_EUlS1A_E_NS1_11comp_targetILNS1_3genE10ELNS1_11target_archE1200ELNS1_3gpuE4ELNS1_3repE0EEENS1_30default_config_static_selectorELNS0_4arch9wavefront6targetE0EEEvT1_ ; -- Begin function _ZN7rocprim17ROCPRIM_400000_NS6detail17trampoline_kernelINS0_14default_configENS1_25partition_config_selectorILNS1_17partition_subalgoE5ElNS0_10empty_typeEbEEZZNS1_14partition_implILS5_5ELb0ES3_mN6hipcub16HIPCUB_304000_NS21CountingInputIteratorIllEEPS6_NSA_22TransformInputIteratorIbN2at6native12_GLOBAL__N_19NonZeroOpIN3c107complexINSJ_4HalfEEEEEPKSM_lEENS0_5tupleIJPlS6_EEENSR_IJSD_SD_EEES6_PiJS6_EEE10hipError_tPvRmT3_T4_T5_T6_T7_T9_mT8_P12ihipStream_tbDpT10_ENKUlT_T0_E_clISt17integral_constantIbLb0EES1E_IbLb1EEEEDaS1A_S1B_EUlS1A_E_NS1_11comp_targetILNS1_3genE10ELNS1_11target_archE1200ELNS1_3gpuE4ELNS1_3repE0EEENS1_30default_config_static_selectorELNS0_4arch9wavefront6targetE0EEEvT1_
	.p2align	8
	.type	_ZN7rocprim17ROCPRIM_400000_NS6detail17trampoline_kernelINS0_14default_configENS1_25partition_config_selectorILNS1_17partition_subalgoE5ElNS0_10empty_typeEbEEZZNS1_14partition_implILS5_5ELb0ES3_mN6hipcub16HIPCUB_304000_NS21CountingInputIteratorIllEEPS6_NSA_22TransformInputIteratorIbN2at6native12_GLOBAL__N_19NonZeroOpIN3c107complexINSJ_4HalfEEEEEPKSM_lEENS0_5tupleIJPlS6_EEENSR_IJSD_SD_EEES6_PiJS6_EEE10hipError_tPvRmT3_T4_T5_T6_T7_T9_mT8_P12ihipStream_tbDpT10_ENKUlT_T0_E_clISt17integral_constantIbLb0EES1E_IbLb1EEEEDaS1A_S1B_EUlS1A_E_NS1_11comp_targetILNS1_3genE10ELNS1_11target_archE1200ELNS1_3gpuE4ELNS1_3repE0EEENS1_30default_config_static_selectorELNS0_4arch9wavefront6targetE0EEEvT1_,@function
_ZN7rocprim17ROCPRIM_400000_NS6detail17trampoline_kernelINS0_14default_configENS1_25partition_config_selectorILNS1_17partition_subalgoE5ElNS0_10empty_typeEbEEZZNS1_14partition_implILS5_5ELb0ES3_mN6hipcub16HIPCUB_304000_NS21CountingInputIteratorIllEEPS6_NSA_22TransformInputIteratorIbN2at6native12_GLOBAL__N_19NonZeroOpIN3c107complexINSJ_4HalfEEEEEPKSM_lEENS0_5tupleIJPlS6_EEENSR_IJSD_SD_EEES6_PiJS6_EEE10hipError_tPvRmT3_T4_T5_T6_T7_T9_mT8_P12ihipStream_tbDpT10_ENKUlT_T0_E_clISt17integral_constantIbLb0EES1E_IbLb1EEEEDaS1A_S1B_EUlS1A_E_NS1_11comp_targetILNS1_3genE10ELNS1_11target_archE1200ELNS1_3gpuE4ELNS1_3repE0EEENS1_30default_config_static_selectorELNS0_4arch9wavefront6targetE0EEEvT1_: ; @_ZN7rocprim17ROCPRIM_400000_NS6detail17trampoline_kernelINS0_14default_configENS1_25partition_config_selectorILNS1_17partition_subalgoE5ElNS0_10empty_typeEbEEZZNS1_14partition_implILS5_5ELb0ES3_mN6hipcub16HIPCUB_304000_NS21CountingInputIteratorIllEEPS6_NSA_22TransformInputIteratorIbN2at6native12_GLOBAL__N_19NonZeroOpIN3c107complexINSJ_4HalfEEEEEPKSM_lEENS0_5tupleIJPlS6_EEENSR_IJSD_SD_EEES6_PiJS6_EEE10hipError_tPvRmT3_T4_T5_T6_T7_T9_mT8_P12ihipStream_tbDpT10_ENKUlT_T0_E_clISt17integral_constantIbLb0EES1E_IbLb1EEEEDaS1A_S1B_EUlS1A_E_NS1_11comp_targetILNS1_3genE10ELNS1_11target_archE1200ELNS1_3gpuE4ELNS1_3repE0EEENS1_30default_config_static_selectorELNS0_4arch9wavefront6targetE0EEEvT1_
; %bb.0:
	s_clause 0x3
	s_load_b64 s[12:13], s[0:1], 0x30
	s_load_b128 s[4:7], s[0:1], 0x48
	s_load_b64 s[18:19], s[0:1], 0x58
	s_load_b64 s[14:15], s[0:1], 0x68
	v_cmp_eq_u32_e64 s2, 0, v0
	s_and_saveexec_b32 s3, s2
	s_cbranch_execz .LBB691_4
; %bb.1:
	s_mov_b32 s9, exec_lo
	s_mov_b32 s8, exec_lo
	v_mbcnt_lo_u32_b32 v1, s9, 0
                                        ; implicit-def: $vgpr2
	s_delay_alu instid0(VALU_DEP_1)
	v_cmpx_eq_u32_e32 0, v1
	s_cbranch_execz .LBB691_3
; %bb.2:
	s_load_b64 s[10:11], s[0:1], 0x78
	s_bcnt1_i32_b32 s9, s9
	s_wait_alu 0xfffe
	v_dual_mov_b32 v2, 0 :: v_dual_mov_b32 v3, s9
	s_wait_kmcnt 0x0
	global_atomic_add_u32 v2, v2, v3, s[10:11] th:TH_ATOMIC_RETURN scope:SCOPE_DEV
.LBB691_3:
	s_or_b32 exec_lo, exec_lo, s8
	s_wait_loadcnt 0x0
	v_readfirstlane_b32 s8, v2
	s_wait_alu 0xf1ff
	s_delay_alu instid0(VALU_DEP_1)
	v_dual_mov_b32 v2, 0 :: v_dual_add_nc_u32 v1, s8, v1
	ds_store_b32 v2, v1
.LBB691_4:
	s_or_b32 exec_lo, exec_lo, s3
	v_mov_b32_e32 v1, 0
	s_clause 0x2
	s_load_b128 s[8:11], s[0:1], 0x8
	s_load_b64 s[16:17], s[0:1], 0x20
	s_load_b32 s0, s[0:1], 0x70
	s_wait_dscnt 0x0
	s_barrier_signal -1
	s_barrier_wait -1
	global_inv scope:SCOPE_SE
	ds_load_b32 v2, v1
	s_wait_loadcnt_dscnt 0x0
	s_barrier_signal -1
	s_barrier_wait -1
	global_inv scope:SCOPE_SE
	s_wait_kmcnt 0x0
	global_load_b64 v[17:18], v1, s[6:7]
	s_mov_b32 s7, 0
	v_lshrrev_b32_e32 v1, 2, v0
	v_or_b32_e32 v10, 0x200, v0
	v_or_b32_e32 v9, 0x300, v0
	s_add_nc_u64 s[8:9], s[10:11], s[8:9]
	s_lshl_b32 s6, s0, 10
	s_add_co_i32 s20, s0, -1
	s_add_nc_u64 s[0:1], s[10:11], s[6:7]
	s_lshl_b32 s6, s20, 10
	v_cmp_le_u64_e64 s1, s[18:19], s[0:1]
	v_readfirstlane_b32 s21, v2
	s_add_co_i32 s0, s10, s6
	s_lshl_b32 s3, s21, 10
	s_cmp_eq_u32 s21, s20
	s_mov_b32 s6, s3
	s_cselect_b32 s19, -1, 0
	s_wait_alu 0xfffe
	s_and_b32 s1, s1, s19
	s_wait_alu 0xfffe
	s_xor_b32 s20, s1, -1
	s_mov_b32 s1, -1
	s_and_b32 vcc_lo, exec_lo, s20
	s_cbranch_vccz .LBB691_6
; %bb.5:
	v_or_b32_e32 v8, 0x100, v0
	s_add_nc_u64 s[22:23], s[6:7], s[8:9]
	v_lshrrev_b32_e32 v11, 2, v10
	v_add_co_u32 v2, s1, s22, v0
	s_delay_alu instid0(VALU_DEP_3)
	v_lshrrev_b32_e32 v8, 2, v8
	v_lshrrev_b32_e32 v12, 2, v9
	s_wait_alu 0xf1fe
	v_add_co_ci_u32_e64 v3, null, s23, 0, s1
	v_and_b32_e32 v13, 56, v1
	v_lshlrev_b32_e32 v14, 3, v0
	v_and_b32_e32 v8, 0x78, v8
	v_add_co_u32 v4, vcc_lo, 0x100, v2
	v_and_b32_e32 v15, 0xb8, v11
	v_and_b32_e32 v16, 0xf8, v12
	v_add_co_ci_u32_e64 v5, null, 0, v3, vcc_lo
	v_add_co_u32 v6, vcc_lo, 0x200, v2
	v_add_nc_u32_e32 v13, v13, v14
	s_wait_alu 0xfffd
	v_add_co_ci_u32_e64 v7, null, 0, v3, vcc_lo
	v_add_co_u32 v11, vcc_lo, 0x300, v2
	v_add_nc_u32_e32 v8, v8, v14
	v_add_nc_u32_e32 v15, v15, v14
	s_wait_alu 0xfffd
	v_add_co_ci_u32_e64 v12, null, 0, v3, vcc_lo
	v_add_nc_u32_e32 v14, v16, v14
	ds_store_b64 v13, v[2:3]
	ds_store_b64 v8, v[4:5] offset:2048
	ds_store_b64 v15, v[6:7] offset:4096
	;; [unrolled: 1-line block ×3, first 2 shown]
	s_wait_loadcnt_dscnt 0x0
	s_barrier_signal -1
	s_mov_b32 s1, s7
	s_barrier_wait -1
.LBB691_6:
	s_sub_co_i32 s3, s18, s0
	s_wait_alu 0xfffe
	s_and_not1_b32 vcc_lo, exec_lo, s1
	v_cmp_gt_u32_e64 s0, s3, v0
	s_wait_alu 0xfffe
	s_cbranch_vccnz .LBB691_8
; %bb.7:
	v_or_b32_e32 v8, 0x100, v0
	s_add_nc_u64 s[8:9], s[8:9], s[6:7]
	v_lshrrev_b32_e32 v13, 2, v10
	s_wait_alu 0xfffe
	v_add_co_u32 v2, s1, s8, v0
	s_wait_alu 0xf1ff
	v_add_co_ci_u32_e64 v3, null, s9, 0, s1
	v_add_co_u32 v4, s1, s8, v8
	s_wait_alu 0xf1ff
	v_add_co_ci_u32_e64 v5, null, s9, 0, s1
	v_cmp_gt_u32_e32 vcc_lo, s3, v8
	v_add_co_u32 v11, s1, s8, v9
	s_wait_alu 0xf1ff
	v_add_co_ci_u32_e64 v12, null, s9, 0, s1
	s_wait_alu 0xfffd
	v_dual_cndmask_b32 v5, 0, v5 :: v_dual_cndmask_b32 v4, 0, v4
	v_cmp_gt_u32_e32 vcc_lo, s3, v9
	v_lshrrev_b32_e32 v8, 2, v8
	v_lshrrev_b32_e32 v14, 2, v9
	v_cndmask_b32_e64 v3, 0, v3, s0
	v_cndmask_b32_e64 v2, 0, v2, s0
	v_add_co_u32 v6, s0, s8, v10
	s_wait_alu 0xfffd
	v_dual_cndmask_b32 v12, 0, v12 :: v_dual_and_b32 v1, 56, v1
	v_lshlrev_b32_e32 v15, 3, v0
	v_dual_cndmask_b32 v11, 0, v11 :: v_dual_and_b32 v8, 0x78, v8
	s_wait_alu 0xf1ff
	v_add_co_ci_u32_e64 v7, null, s9, 0, s0
	v_cmp_gt_u32_e64 s0, s3, v10
	v_and_b32_e32 v13, 0xb8, v13
	v_and_b32_e32 v14, 0xf8, v14
	v_add_nc_u32_e32 v1, v1, v15
	v_add_nc_u32_e32 v8, v8, v15
	s_wait_alu 0xf1ff
	v_cndmask_b32_e64 v7, 0, v7, s0
	v_cndmask_b32_e64 v6, 0, v6, s0
	v_add_nc_u32_e32 v13, v13, v15
	v_add_nc_u32_e32 v14, v14, v15
	ds_store_b64 v1, v[2:3]
	ds_store_b64 v8, v[4:5] offset:2048
	ds_store_b64 v13, v[6:7] offset:4096
	;; [unrolled: 1-line block ×3, first 2 shown]
	s_wait_loadcnt_dscnt 0x0
	s_barrier_signal -1
	s_barrier_wait -1
.LBB691_8:
	v_and_b32_e32 v1, 0xf8, v0
	s_wait_loadcnt 0x0
	global_inv scope:SCOPE_SE
	s_lshl_b64 s[0:1], s[10:11], 2
	v_lshlrev_b32_e32 v11, 2, v0
	v_lshrrev_b32_e32 v28, 5, v0
	v_lshl_add_u32 v1, v0, 5, v1
	s_wait_alu 0xfffe
	s_add_nc_u64 s[0:1], s[16:17], s[0:1]
	s_lshl_b64 s[6:7], s[6:7], 2
	s_and_b32 vcc_lo, exec_lo, s20
	s_wait_alu 0xfffe
	s_add_nc_u64 s[0:1], s[0:1], s[6:7]
	ds_load_2addr_b64 v[5:8], v1 offset1:1
	ds_load_2addr_b64 v[1:4], v1 offset0:2 offset1:3
	s_mov_b32 s6, -1
	s_wait_loadcnt_dscnt 0x0
	s_barrier_signal -1
	s_barrier_wait -1
	global_inv scope:SCOPE_SE
	s_cbranch_vccz .LBB691_10
; %bb.9:
	s_clause 0x3
	global_load_b32 v12, v11, s[0:1]
	global_load_b32 v13, v11, s[0:1] offset:1024
	global_load_b32 v14, v11, s[0:1] offset:2048
	;; [unrolled: 1-line block ×3, first 2 shown]
	v_or_b32_e32 v16, 0x100, v0
	v_lshrrev_b32_e32 v19, 5, v10
	v_lshrrev_b32_e32 v21, 5, v9
	v_and_b32_e32 v20, 4, v28
	s_mov_b32 s6, 0
	v_lshrrev_b32_e32 v16, 5, v16
	v_and_b32_e32 v19, 20, v19
	v_and_b32_e32 v21, 28, v21
	v_add_nc_u32_e32 v20, v20, v0
	s_delay_alu instid0(VALU_DEP_4) | instskip(NEXT) | instid1(VALU_DEP_4)
	v_and_b32_e32 v16, 12, v16
	v_add_nc_u32_e32 v19, v19, v0
	s_delay_alu instid0(VALU_DEP_4) | instskip(NEXT) | instid1(VALU_DEP_3)
	v_add_nc_u32_e32 v21, v21, v0
	v_add_nc_u32_e32 v16, v16, v0
	s_wait_loadcnt 0x3
	v_lshrrev_b32_e32 v22, 16, v12
	s_wait_loadcnt 0x2
	v_lshrrev_b32_e32 v23, 16, v13
	;; [unrolled: 2-line block ×4, first 2 shown]
	v_or_b32_e32 v12, v12, v22
	v_or_b32_e32 v13, v13, v23
	;; [unrolled: 1-line block ×3, first 2 shown]
	s_delay_alu instid0(VALU_DEP_4) | instskip(NEXT) | instid1(VALU_DEP_4)
	v_or_b32_e32 v15, v15, v25
	v_and_b32_e32 v12, 0x7fff, v12
	s_delay_alu instid0(VALU_DEP_4) | instskip(NEXT) | instid1(VALU_DEP_4)
	v_and_b32_e32 v13, 0x7fff, v13
	v_and_b32_e32 v14, 0x7fff, v14
	s_delay_alu instid0(VALU_DEP_4) | instskip(NEXT) | instid1(VALU_DEP_4)
	v_and_b32_e32 v15, 0x7fff, v15
	v_cmp_ne_u16_e32 vcc_lo, 0, v12
	s_wait_alu 0xfffd
	v_cndmask_b32_e64 v12, 0, 1, vcc_lo
	v_cmp_ne_u16_e32 vcc_lo, 0, v13
	s_wait_alu 0xfffd
	v_cndmask_b32_e64 v13, 0, 1, vcc_lo
	;; [unrolled: 3-line block ×4, first 2 shown]
	ds_store_b8 v20, v12
	ds_store_b8 v16, v13 offset:256
	ds_store_b8 v19, v14 offset:512
	;; [unrolled: 1-line block ×3, first 2 shown]
	s_wait_dscnt 0x0
	s_barrier_signal -1
	s_barrier_wait -1
.LBB691_10:
	v_lshrrev_b32_e32 v12, 3, v0
	s_and_not1_b32 vcc_lo, exec_lo, s6
	s_wait_alu 0xfffe
	s_cbranch_vccnz .LBB691_18
; %bb.11:
	v_dual_mov_b32 v13, 0 :: v_dual_mov_b32 v14, 0
	s_mov_b32 s6, exec_lo
	v_cmpx_gt_u32_e64 s3, v0
	s_cbranch_execz .LBB691_13
; %bb.12:
	global_load_b32 v13, v11, s[0:1]
	s_wait_loadcnt 0x0
	v_lshrrev_b32_e32 v14, 16, v13
	s_delay_alu instid0(VALU_DEP_1) | instskip(NEXT) | instid1(VALU_DEP_1)
	v_or_b32_e32 v13, v13, v14
	v_and_b32_e32 v13, 0x7fff, v13
	s_delay_alu instid0(VALU_DEP_1)
	v_cmp_ne_u16_e32 vcc_lo, 0, v13
	s_wait_alu 0xfffd
	v_cndmask_b32_e64 v13, 0, 1, vcc_lo
	v_cndmask_b32_e64 v14, 0, 1, vcc_lo
.LBB691_13:
	s_or_b32 exec_lo, exec_lo, s6
	v_or_b32_e32 v15, 0x100, v0
	s_mov_b32 s6, exec_lo
	s_delay_alu instid0(VALU_DEP_1)
	v_cmpx_gt_u32_e64 s3, v15
	s_cbranch_execnz .LBB691_132
; %bb.14:
	s_or_b32 exec_lo, exec_lo, s6
	s_delay_alu instid0(SALU_CYCLE_1)
	s_mov_b32 s6, exec_lo
	v_cmpx_gt_u32_e64 s3, v10
	s_cbranch_execnz .LBB691_133
.LBB691_15:
	s_or_b32 exec_lo, exec_lo, s6
	v_cmp_gt_u32_e32 vcc_lo, s3, v9
	s_and_saveexec_b32 s3, vcc_lo
	s_cbranch_execz .LBB691_17
.LBB691_16:
	global_load_b32 v16, v11, s[0:1] offset:3072
	s_wait_loadcnt 0x0
	v_lshrrev_b32_e32 v19, 16, v16
	s_delay_alu instid0(VALU_DEP_1) | instskip(SKIP_1) | instid1(VALU_DEP_2)
	v_or_b32_e32 v16, v16, v19
	v_lshrrev_b32_e32 v19, 16, v14
	v_and_b32_e32 v16, 0x7fff, v16
	s_delay_alu instid0(VALU_DEP_1) | instskip(SKIP_2) | instid1(VALU_DEP_1)
	v_cmp_ne_u16_e32 vcc_lo, 0, v16
	s_wait_alu 0xfffd
	v_cndmask_b32_e64 v16, 0, 1, vcc_lo
	v_lshlrev_b16 v16, 8, v16
	s_delay_alu instid0(VALU_DEP_1) | instskip(NEXT) | instid1(VALU_DEP_1)
	v_or_b32_e32 v16, v19, v16
	v_lshlrev_b32_e32 v16, 16, v16
	s_delay_alu instid0(VALU_DEP_1)
	v_and_or_b32 v14, 0xffff, v14, v16
.LBB691_17:
	s_wait_alu 0xfffe
	s_or_b32 exec_lo, exec_lo, s3
	v_lshrrev_b32_e32 v15, 5, v15
	v_lshrrev_b32_e32 v10, 5, v10
	;; [unrolled: 1-line block ×3, first 2 shown]
	v_and_b32_e32 v16, 4, v28
	v_lshrrev_b32_e32 v19, 8, v14
	v_and_b32_e32 v15, 12, v15
	v_and_b32_e32 v10, 28, v10
	;; [unrolled: 1-line block ×3, first 2 shown]
	v_add_nc_u32_e32 v16, v16, v0
	v_lshrrev_b32_e32 v20, 24, v14
	v_add_nc_u32_e32 v15, v15, v0
	v_add_nc_u32_e32 v10, v10, v0
	;; [unrolled: 1-line block ×3, first 2 shown]
	ds_store_b8 v16, v13
	ds_store_b8 v15, v19 offset:256
	ds_store_b8_d16_hi v10, v14 offset:512
	ds_store_b8 v9, v20 offset:768
	s_wait_loadcnt_dscnt 0x0
	s_barrier_signal -1
	s_barrier_wait -1
.LBB691_18:
	s_delay_alu instid0(VALU_DEP_1)
	v_dual_mov_b32 v10, 0 :: v_dual_and_b32 v9, 28, v12
	s_wait_loadcnt 0x0
	global_inv scope:SCOPE_SE
	v_mbcnt_lo_u32_b32 v33, -1, 0
	s_cmp_lg_u32 s21, 0
	v_add_nc_u32_e32 v9, v9, v11
	s_mov_b32 s1, -1
	s_delay_alu instid0(VALU_DEP_2)
	v_and_b32_e32 v34, 15, v33
	ds_load_b32 v29, v9
	s_wait_loadcnt_dscnt 0x0
	s_barrier_signal -1
	s_barrier_wait -1
	global_inv scope:SCOPE_SE
	v_and_b32_e32 v32, 0xff, v29
	v_bfe_u32 v31, v29, 8, 8
	v_bfe_u32 v30, v29, 16, 8
	v_lshrrev_b32_e32 v27, 24, v29
	s_delay_alu instid0(VALU_DEP_2) | instskip(NEXT) | instid1(VALU_DEP_1)
	v_add3_u32 v9, v31, v32, v30
	v_add_co_u32 v19, s0, v9, v27
	s_wait_alu 0xf1ff
	v_add_co_ci_u32_e64 v20, null, 0, 0, s0
	v_cmp_ne_u32_e64 s0, 0, v34
	s_cbranch_scc0 .LBB691_75
; %bb.19:
	v_mov_b32_e32 v11, v19
	v_mov_b32_dpp v9, v19 row_shr:1 row_mask:0xf bank_mask:0xf
	v_mov_b32_dpp v14, v10 row_shr:1 row_mask:0xf bank_mask:0xf
	v_dual_mov_b32 v13, v19 :: v_dual_mov_b32 v12, v20
	s_and_saveexec_b32 s1, s0
; %bb.20:
	s_delay_alu instid0(VALU_DEP_3) | instskip(SKIP_2) | instid1(VALU_DEP_2)
	v_add_co_u32 v13, vcc_lo, v19, v9
	s_wait_alu 0xfffd
	v_add_co_ci_u32_e64 v10, null, 0, v20, vcc_lo
	v_add_co_u32 v9, vcc_lo, 0, v13
	s_wait_alu 0xfffd
	s_delay_alu instid0(VALU_DEP_2) | instskip(NEXT) | instid1(VALU_DEP_1)
	v_add_co_ci_u32_e64 v10, null, v14, v10, vcc_lo
	v_dual_mov_b32 v12, v10 :: v_dual_mov_b32 v11, v9
; %bb.21:
	s_wait_alu 0xfffe
	s_or_b32 exec_lo, exec_lo, s1
	v_mov_b32_dpp v9, v13 row_shr:2 row_mask:0xf bank_mask:0xf
	v_mov_b32_dpp v14, v10 row_shr:2 row_mask:0xf bank_mask:0xf
	s_mov_b32 s1, exec_lo
	v_cmpx_lt_u32_e32 1, v34
; %bb.22:
	s_delay_alu instid0(VALU_DEP_3) | instskip(SKIP_2) | instid1(VALU_DEP_2)
	v_add_co_u32 v13, vcc_lo, v11, v9
	s_wait_alu 0xfffd
	v_add_co_ci_u32_e64 v10, null, 0, v12, vcc_lo
	v_add_co_u32 v9, vcc_lo, 0, v13
	s_wait_alu 0xfffd
	s_delay_alu instid0(VALU_DEP_2) | instskip(NEXT) | instid1(VALU_DEP_1)
	v_add_co_ci_u32_e64 v10, null, v14, v10, vcc_lo
	v_dual_mov_b32 v12, v10 :: v_dual_mov_b32 v11, v9
; %bb.23:
	s_wait_alu 0xfffe
	s_or_b32 exec_lo, exec_lo, s1
	v_mov_b32_dpp v9, v13 row_shr:4 row_mask:0xf bank_mask:0xf
	v_mov_b32_dpp v14, v10 row_shr:4 row_mask:0xf bank_mask:0xf
	s_mov_b32 s1, exec_lo
	v_cmpx_lt_u32_e32 3, v34
	;; [unrolled: 17-line block ×3, first 2 shown]
; %bb.26:
	s_delay_alu instid0(VALU_DEP_3) | instskip(SKIP_2) | instid1(VALU_DEP_2)
	v_add_co_u32 v13, vcc_lo, v11, v14
	s_wait_alu 0xfffd
	v_add_co_ci_u32_e64 v10, null, 0, v12, vcc_lo
	v_add_co_u32 v11, vcc_lo, 0, v13
	s_wait_alu 0xfffd
	s_delay_alu instid0(VALU_DEP_2) | instskip(NEXT) | instid1(VALU_DEP_1)
	v_add_co_ci_u32_e64 v12, null, v9, v10, vcc_lo
	v_mov_b32_e32 v10, v12
; %bb.27:
	s_wait_alu 0xfffe
	s_or_b32 exec_lo, exec_lo, s1
	ds_swizzle_b32 v9, v13 offset:swizzle(BROADCAST,32,15)
	ds_swizzle_b32 v14, v10 offset:swizzle(BROADCAST,32,15)
	v_and_b32_e32 v15, 16, v33
	s_mov_b32 s1, exec_lo
	s_delay_alu instid0(VALU_DEP_1)
	v_cmpx_ne_u32_e32 0, v15
	s_cbranch_execz .LBB691_29
; %bb.28:
	s_wait_dscnt 0x1
	v_add_co_u32 v13, vcc_lo, v11, v9
	s_wait_alu 0xfffd
	v_add_co_ci_u32_e64 v10, null, 0, v12, vcc_lo
	s_delay_alu instid0(VALU_DEP_2) | instskip(SKIP_2) | instid1(VALU_DEP_2)
	v_add_co_u32 v9, vcc_lo, 0, v13
	s_wait_dscnt 0x0
	s_wait_alu 0xfffd
	v_add_co_ci_u32_e64 v10, null, v14, v10, vcc_lo
	s_delay_alu instid0(VALU_DEP_1)
	v_dual_mov_b32 v12, v10 :: v_dual_mov_b32 v11, v9
.LBB691_29:
	s_wait_alu 0xfffe
	s_or_b32 exec_lo, exec_lo, s1
	s_wait_dscnt 0x1
	v_or_b32_e32 v9, 31, v0
	s_mov_b32 s1, exec_lo
	s_delay_alu instid0(VALU_DEP_1)
	v_cmpx_eq_u32_e64 v0, v9
; %bb.30:
	v_lshlrev_b32_e32 v9, 3, v28
	ds_store_b64 v9, v[11:12]
; %bb.31:
	s_wait_alu 0xfffe
	s_or_b32 exec_lo, exec_lo, s1
	s_delay_alu instid0(SALU_CYCLE_1)
	s_mov_b32 s1, exec_lo
	s_wait_loadcnt_dscnt 0x0
	s_barrier_signal -1
	s_barrier_wait -1
	global_inv scope:SCOPE_SE
	v_cmpx_gt_u32_e32 8, v0
	s_cbranch_execz .LBB691_39
; %bb.32:
	v_lshlrev_b32_e32 v9, 3, v0
	s_mov_b32 s3, exec_lo
	ds_load_b64 v[11:12], v9
	s_wait_dscnt 0x0
	v_dual_mov_b32 v15, v11 :: v_dual_and_b32 v14, 7, v33
	v_mov_b32_dpp v21, v11 row_shr:1 row_mask:0xf bank_mask:0xf
	v_mov_b32_dpp v16, v12 row_shr:1 row_mask:0xf bank_mask:0xf
	s_delay_alu instid0(VALU_DEP_3)
	v_cmpx_ne_u32_e32 0, v14
; %bb.33:
	s_delay_alu instid0(VALU_DEP_3) | instskip(SKIP_2) | instid1(VALU_DEP_2)
	v_add_co_u32 v15, vcc_lo, v11, v21
	s_wait_alu 0xfffd
	v_add_co_ci_u32_e64 v12, null, 0, v12, vcc_lo
	v_add_co_u32 v11, vcc_lo, 0, v15
	s_wait_alu 0xfffd
	s_delay_alu instid0(VALU_DEP_2)
	v_add_co_ci_u32_e64 v12, null, v16, v12, vcc_lo
; %bb.34:
	s_wait_alu 0xfffe
	s_or_b32 exec_lo, exec_lo, s3
	v_mov_b32_dpp v21, v15 row_shr:2 row_mask:0xf bank_mask:0xf
	s_delay_alu instid0(VALU_DEP_2)
	v_mov_b32_dpp v16, v12 row_shr:2 row_mask:0xf bank_mask:0xf
	s_mov_b32 s3, exec_lo
	v_cmpx_lt_u32_e32 1, v14
; %bb.35:
	s_delay_alu instid0(VALU_DEP_3) | instskip(SKIP_2) | instid1(VALU_DEP_2)
	v_add_co_u32 v15, vcc_lo, v11, v21
	s_wait_alu 0xfffd
	v_add_co_ci_u32_e64 v12, null, 0, v12, vcc_lo
	v_add_co_u32 v11, vcc_lo, 0, v15
	s_wait_alu 0xfffd
	s_delay_alu instid0(VALU_DEP_2)
	v_add_co_ci_u32_e64 v12, null, v16, v12, vcc_lo
; %bb.36:
	s_wait_alu 0xfffe
	s_or_b32 exec_lo, exec_lo, s3
	v_mov_b32_dpp v16, v15 row_shr:4 row_mask:0xf bank_mask:0xf
	s_delay_alu instid0(VALU_DEP_2)
	v_mov_b32_dpp v15, v12 row_shr:4 row_mask:0xf bank_mask:0xf
	s_mov_b32 s3, exec_lo
	v_cmpx_lt_u32_e32 3, v14
; %bb.37:
	s_delay_alu instid0(VALU_DEP_3) | instskip(SKIP_2) | instid1(VALU_DEP_2)
	v_add_co_u32 v11, vcc_lo, v11, v16
	s_wait_alu 0xfffd
	v_add_co_ci_u32_e64 v12, null, 0, v12, vcc_lo
	v_add_co_u32 v11, vcc_lo, v11, 0
	s_wait_alu 0xfffd
	s_delay_alu instid0(VALU_DEP_2)
	v_add_co_ci_u32_e64 v12, null, v12, v15, vcc_lo
; %bb.38:
	s_wait_alu 0xfffe
	s_or_b32 exec_lo, exec_lo, s3
	ds_store_b64 v9, v[11:12]
.LBB691_39:
	s_wait_alu 0xfffe
	s_or_b32 exec_lo, exec_lo, s1
	s_delay_alu instid0(SALU_CYCLE_1)
	s_mov_b32 s3, exec_lo
	v_cmp_gt_u32_e32 vcc_lo, 32, v0
	s_wait_loadcnt_dscnt 0x0
	s_barrier_signal -1
	s_barrier_wait -1
	global_inv scope:SCOPE_SE
                                        ; implicit-def: $vgpr21_vgpr22
	v_cmpx_lt_u32_e32 31, v0
	s_cbranch_execz .LBB691_41
; %bb.40:
	v_lshl_add_u32 v9, v28, 3, -8
	ds_load_b64 v[21:22], v9
	s_wait_dscnt 0x0
	v_add_co_u32 v13, s1, v13, v21
	s_wait_alu 0xf1ff
	v_add_co_ci_u32_e64 v10, null, v10, v22, s1
.LBB691_41:
	s_wait_alu 0xfffe
	s_or_b32 exec_lo, exec_lo, s3
	v_sub_co_u32 v9, s1, v33, 1
	s_delay_alu instid0(VALU_DEP_1) | instskip(SKIP_1) | instid1(VALU_DEP_1)
	v_cmp_gt_i32_e64 s3, 0, v9
	s_wait_alu 0xf1ff
	v_cndmask_b32_e64 v9, v9, v33, s3
	s_delay_alu instid0(VALU_DEP_1)
	v_lshlrev_b32_e32 v9, 2, v9
	ds_bpermute_b32 v35, v9, v13
	ds_bpermute_b32 v36, v9, v10
	s_and_saveexec_b32 s3, vcc_lo
	s_cbranch_execz .LBB691_80
; %bb.42:
	v_mov_b32_e32 v12, 0
	ds_load_b64 v[9:10], v12 offset:56
	s_and_saveexec_b32 s6, s1
	s_cbranch_execz .LBB691_44
; %bb.43:
	s_add_co_i32 s8, s21, 32
	s_mov_b32 s9, 0
	s_wait_alu 0xfffe
	s_lshl_b64 s[8:9], s[8:9], 4
	s_wait_alu 0xfffe
	s_add_nc_u64 s[8:9], s[14:15], s[8:9]
	s_wait_alu 0xfffe
	v_dual_mov_b32 v11, 1 :: v_dual_mov_b32 v14, s9
	v_mov_b32_e32 v13, s8
	s_wait_dscnt 0x0
	;;#ASMSTART
	global_store_b128 v[13:14], v[9:12] off scope:SCOPE_DEV	
s_wait_storecnt 0x0
	;;#ASMEND
.LBB691_44:
	s_or_b32 exec_lo, exec_lo, s6
	v_xad_u32 v23, v33, -1, s21
	s_mov_b32 s7, 0
	s_mov_b32 s6, exec_lo
	s_delay_alu instid0(VALU_DEP_1) | instskip(NEXT) | instid1(VALU_DEP_1)
	v_add_nc_u32_e32 v11, 32, v23
	v_lshlrev_b64_e32 v[11:12], 4, v[11:12]
	s_delay_alu instid0(VALU_DEP_1) | instskip(SKIP_1) | instid1(VALU_DEP_2)
	v_add_co_u32 v11, vcc_lo, s14, v11
	s_wait_alu 0xfffd
	v_add_co_ci_u32_e64 v12, null, s15, v12, vcc_lo
	;;#ASMSTART
	global_load_b128 v[13:16], v[11:12] off scope:SCOPE_DEV	
s_wait_loadcnt 0x0
	;;#ASMEND
	v_and_b32_e32 v16, 0xff, v15
	s_delay_alu instid0(VALU_DEP_1)
	v_cmpx_eq_u16_e32 0, v16
	s_cbranch_execz .LBB691_47
.LBB691_45:                             ; =>This Inner Loop Header: Depth=1
	;;#ASMSTART
	global_load_b128 v[13:16], v[11:12] off scope:SCOPE_DEV	
s_wait_loadcnt 0x0
	;;#ASMEND
	v_and_b32_e32 v16, 0xff, v15
	s_delay_alu instid0(VALU_DEP_1) | instskip(SKIP_1) | instid1(SALU_CYCLE_1)
	v_cmp_ne_u16_e32 vcc_lo, 0, v16
	s_or_b32 s7, vcc_lo, s7
	s_and_not1_b32 exec_lo, exec_lo, s7
	s_cbranch_execnz .LBB691_45
; %bb.46:
	s_or_b32 exec_lo, exec_lo, s7
.LBB691_47:
	s_delay_alu instid0(SALU_CYCLE_1)
	s_or_b32 exec_lo, exec_lo, s6
	v_cmp_ne_u32_e32 vcc_lo, 31, v33
	v_and_b32_e32 v12, 0xff, v15
	v_lshlrev_b32_e64 v38, v33, -1
	s_mov_b32 s6, exec_lo
	s_wait_alu 0xfffd
	v_add_co_ci_u32_e64 v11, null, 0, v33, vcc_lo
	v_cmp_eq_u16_e32 vcc_lo, 2, v12
	s_delay_alu instid0(VALU_DEP_2)
	v_dual_mov_b32 v12, v13 :: v_dual_lshlrev_b32 v37, 2, v11
	s_wait_alu 0xfffd
	v_and_or_b32 v11, vcc_lo, v38, 0x80000000
	ds_bpermute_b32 v24, v37, v13
	ds_bpermute_b32 v16, v37, v14
	v_ctz_i32_b32_e32 v11, v11
	s_delay_alu instid0(VALU_DEP_1)
	v_cmpx_lt_u32_e64 v33, v11
	s_cbranch_execz .LBB691_49
; %bb.48:
	s_wait_dscnt 0x1
	v_add_co_u32 v12, vcc_lo, v13, v24
	s_wait_alu 0xfffd
	v_add_co_ci_u32_e64 v14, null, 0, v14, vcc_lo
	s_delay_alu instid0(VALU_DEP_2) | instskip(SKIP_2) | instid1(VALU_DEP_2)
	v_add_co_u32 v13, vcc_lo, 0, v12
	s_wait_dscnt 0x0
	s_wait_alu 0xfffd
	v_add_co_ci_u32_e64 v14, null, v16, v14, vcc_lo
.LBB691_49:
	s_or_b32 exec_lo, exec_lo, s6
	v_cmp_gt_u32_e32 vcc_lo, 30, v33
	v_add_nc_u32_e32 v40, 2, v33
	s_mov_b32 s6, exec_lo
	s_wait_dscnt 0x0
	s_wait_alu 0xfffd
	v_cndmask_b32_e64 v16, 0, 2, vcc_lo
	s_delay_alu instid0(VALU_DEP_1)
	v_add_lshl_u32 v39, v16, v33, 2
	ds_bpermute_b32 v24, v39, v12
	ds_bpermute_b32 v16, v39, v14
	v_cmpx_le_u32_e64 v40, v11
	s_cbranch_execz .LBB691_51
; %bb.50:
	s_wait_dscnt 0x1
	v_add_co_u32 v12, vcc_lo, v13, v24
	s_wait_alu 0xfffd
	v_add_co_ci_u32_e64 v14, null, 0, v14, vcc_lo
	s_delay_alu instid0(VALU_DEP_2) | instskip(SKIP_2) | instid1(VALU_DEP_2)
	v_add_co_u32 v13, vcc_lo, 0, v12
	s_wait_dscnt 0x0
	s_wait_alu 0xfffd
	v_add_co_ci_u32_e64 v14, null, v16, v14, vcc_lo
.LBB691_51:
	s_or_b32 exec_lo, exec_lo, s6
	v_cmp_gt_u32_e32 vcc_lo, 28, v33
	v_add_nc_u32_e32 v42, 4, v33
	s_mov_b32 s6, exec_lo
	s_wait_dscnt 0x0
	s_wait_alu 0xfffd
	v_cndmask_b32_e64 v16, 0, 4, vcc_lo
	s_delay_alu instid0(VALU_DEP_1)
	v_add_lshl_u32 v41, v16, v33, 2
	ds_bpermute_b32 v24, v41, v12
	ds_bpermute_b32 v16, v41, v14
	v_cmpx_le_u32_e64 v42, v11
	;; [unrolled: 24-line block ×3, first 2 shown]
	s_cbranch_execz .LBB691_55
; %bb.54:
	s_wait_dscnt 0x1
	v_add_co_u32 v12, vcc_lo, v13, v24
	s_wait_alu 0xfffd
	v_add_co_ci_u32_e64 v14, null, 0, v14, vcc_lo
	s_delay_alu instid0(VALU_DEP_2) | instskip(SKIP_2) | instid1(VALU_DEP_2)
	v_add_co_u32 v13, vcc_lo, 0, v12
	s_wait_dscnt 0x0
	s_wait_alu 0xfffd
	v_add_co_ci_u32_e64 v14, null, v16, v14, vcc_lo
.LBB691_55:
	s_or_b32 exec_lo, exec_lo, s6
	v_lshl_or_b32 v45, v33, 2, 64
	v_add_nc_u32_e32 v46, 16, v33
	s_mov_b32 s6, exec_lo
	s_wait_dscnt 0x0
	ds_bpermute_b32 v16, v45, v12
	ds_bpermute_b32 v12, v45, v14
	v_cmpx_le_u32_e64 v46, v11
	s_cbranch_execz .LBB691_57
; %bb.56:
	s_wait_dscnt 0x1
	v_add_co_u32 v11, vcc_lo, v13, v16
	s_wait_alu 0xfffd
	v_add_co_ci_u32_e64 v14, null, 0, v14, vcc_lo
	s_delay_alu instid0(VALU_DEP_2) | instskip(SKIP_2) | instid1(VALU_DEP_2)
	v_add_co_u32 v13, vcc_lo, v11, 0
	s_wait_dscnt 0x0
	s_wait_alu 0xfffd
	v_add_co_ci_u32_e64 v14, null, v14, v12, vcc_lo
.LBB691_57:
	s_or_b32 exec_lo, exec_lo, s6
	v_mov_b32_e32 v24, 0
	s_branch .LBB691_60
.LBB691_58:                             ;   in Loop: Header=BB691_60 Depth=1
	s_or_b32 exec_lo, exec_lo, s6
	v_add_co_u32 v13, vcc_lo, v13, v11
	v_subrev_nc_u32_e32 v23, 32, v23
	s_wait_alu 0xfffd
	v_add_co_ci_u32_e64 v14, null, v14, v12, vcc_lo
	s_mov_b32 s6, 0
.LBB691_59:                             ;   in Loop: Header=BB691_60 Depth=1
	s_delay_alu instid0(SALU_CYCLE_1)
	s_and_b32 vcc_lo, exec_lo, s6
	s_wait_alu 0xfffe
	s_cbranch_vccnz .LBB691_76
.LBB691_60:                             ; =>This Loop Header: Depth=1
                                        ;     Child Loop BB691_63 Depth 2
	v_and_b32_e32 v11, 0xff, v15
	s_mov_b32 s6, -1
	s_delay_alu instid0(VALU_DEP_1)
	v_cmp_ne_u16_e32 vcc_lo, 2, v11
	s_wait_dscnt 0x0
	v_dual_mov_b32 v11, v13 :: v_dual_mov_b32 v12, v14
                                        ; implicit-def: $vgpr13_vgpr14
	s_cmp_lg_u32 vcc_lo, exec_lo
	s_cbranch_scc1 .LBB691_59
; %bb.61:                               ;   in Loop: Header=BB691_60 Depth=1
	v_lshlrev_b64_e32 v[13:14], 4, v[23:24]
	s_mov_b32 s6, exec_lo
	s_delay_alu instid0(VALU_DEP_1) | instskip(SKIP_1) | instid1(VALU_DEP_2)
	v_add_co_u32 v25, vcc_lo, s14, v13
	s_wait_alu 0xfffd
	v_add_co_ci_u32_e64 v26, null, s15, v14, vcc_lo
	;;#ASMSTART
	global_load_b128 v[13:16], v[25:26] off scope:SCOPE_DEV	
s_wait_loadcnt 0x0
	;;#ASMEND
	v_and_b32_e32 v16, 0xff, v15
	s_delay_alu instid0(VALU_DEP_1)
	v_cmpx_eq_u16_e32 0, v16
	s_cbranch_execz .LBB691_65
; %bb.62:                               ;   in Loop: Header=BB691_60 Depth=1
	s_mov_b32 s7, 0
.LBB691_63:                             ;   Parent Loop BB691_60 Depth=1
                                        ; =>  This Inner Loop Header: Depth=2
	;;#ASMSTART
	global_load_b128 v[13:16], v[25:26] off scope:SCOPE_DEV	
s_wait_loadcnt 0x0
	;;#ASMEND
	v_and_b32_e32 v16, 0xff, v15
	s_delay_alu instid0(VALU_DEP_1) | instskip(SKIP_1) | instid1(SALU_CYCLE_1)
	v_cmp_ne_u16_e32 vcc_lo, 0, v16
	s_or_b32 s7, vcc_lo, s7
	s_and_not1_b32 exec_lo, exec_lo, s7
	s_cbranch_execnz .LBB691_63
; %bb.64:                               ;   in Loop: Header=BB691_60 Depth=1
	s_or_b32 exec_lo, exec_lo, s7
.LBB691_65:                             ;   in Loop: Header=BB691_60 Depth=1
	s_delay_alu instid0(SALU_CYCLE_1)
	s_or_b32 exec_lo, exec_lo, s6
	v_dual_mov_b32 v25, v13 :: v_dual_and_b32 v16, 0xff, v15
	ds_bpermute_b32 v47, v37, v13
	ds_bpermute_b32 v26, v37, v14
	s_mov_b32 s6, exec_lo
	v_cmp_eq_u16_e32 vcc_lo, 2, v16
	s_wait_alu 0xfffd
	v_and_or_b32 v16, vcc_lo, v38, 0x80000000
	s_delay_alu instid0(VALU_DEP_1) | instskip(NEXT) | instid1(VALU_DEP_1)
	v_ctz_i32_b32_e32 v16, v16
	v_cmpx_lt_u32_e64 v33, v16
	s_cbranch_execz .LBB691_67
; %bb.66:                               ;   in Loop: Header=BB691_60 Depth=1
	s_wait_dscnt 0x1
	v_add_co_u32 v25, vcc_lo, v13, v47
	s_wait_alu 0xfffd
	v_add_co_ci_u32_e64 v14, null, 0, v14, vcc_lo
	s_delay_alu instid0(VALU_DEP_2) | instskip(SKIP_2) | instid1(VALU_DEP_2)
	v_add_co_u32 v13, vcc_lo, 0, v25
	s_wait_dscnt 0x0
	s_wait_alu 0xfffd
	v_add_co_ci_u32_e64 v14, null, v26, v14, vcc_lo
.LBB691_67:                             ;   in Loop: Header=BB691_60 Depth=1
	s_or_b32 exec_lo, exec_lo, s6
	s_wait_dscnt 0x1
	ds_bpermute_b32 v47, v39, v25
	s_wait_dscnt 0x1
	ds_bpermute_b32 v26, v39, v14
	s_mov_b32 s6, exec_lo
	v_cmpx_le_u32_e64 v40, v16
	s_cbranch_execz .LBB691_69
; %bb.68:                               ;   in Loop: Header=BB691_60 Depth=1
	s_wait_dscnt 0x1
	v_add_co_u32 v25, vcc_lo, v13, v47
	s_wait_alu 0xfffd
	v_add_co_ci_u32_e64 v14, null, 0, v14, vcc_lo
	s_delay_alu instid0(VALU_DEP_2) | instskip(SKIP_2) | instid1(VALU_DEP_2)
	v_add_co_u32 v13, vcc_lo, 0, v25
	s_wait_dscnt 0x0
	s_wait_alu 0xfffd
	v_add_co_ci_u32_e64 v14, null, v26, v14, vcc_lo
.LBB691_69:                             ;   in Loop: Header=BB691_60 Depth=1
	s_or_b32 exec_lo, exec_lo, s6
	s_wait_dscnt 0x1
	ds_bpermute_b32 v47, v41, v25
	s_wait_dscnt 0x1
	ds_bpermute_b32 v26, v41, v14
	s_mov_b32 s6, exec_lo
	v_cmpx_le_u32_e64 v42, v16
	;; [unrolled: 19-line block ×3, first 2 shown]
	s_cbranch_execz .LBB691_73
; %bb.72:                               ;   in Loop: Header=BB691_60 Depth=1
	s_wait_dscnt 0x1
	v_add_co_u32 v25, vcc_lo, v13, v47
	s_wait_alu 0xfffd
	v_add_co_ci_u32_e64 v14, null, 0, v14, vcc_lo
	s_delay_alu instid0(VALU_DEP_2) | instskip(SKIP_2) | instid1(VALU_DEP_2)
	v_add_co_u32 v13, vcc_lo, 0, v25
	s_wait_dscnt 0x0
	s_wait_alu 0xfffd
	v_add_co_ci_u32_e64 v14, null, v26, v14, vcc_lo
.LBB691_73:                             ;   in Loop: Header=BB691_60 Depth=1
	s_or_b32 exec_lo, exec_lo, s6
	s_wait_dscnt 0x0
	ds_bpermute_b32 v26, v45, v25
	ds_bpermute_b32 v25, v45, v14
	s_mov_b32 s6, exec_lo
	v_cmpx_le_u32_e64 v46, v16
	s_cbranch_execz .LBB691_58
; %bb.74:                               ;   in Loop: Header=BB691_60 Depth=1
	s_wait_dscnt 0x1
	v_add_co_u32 v13, vcc_lo, v13, v26
	s_wait_alu 0xfffd
	v_add_co_ci_u32_e64 v14, null, 0, v14, vcc_lo
	s_delay_alu instid0(VALU_DEP_2) | instskip(SKIP_2) | instid1(VALU_DEP_2)
	v_add_co_u32 v13, vcc_lo, v13, 0
	s_wait_dscnt 0x0
	s_wait_alu 0xfffd
	v_add_co_ci_u32_e64 v14, null, v14, v25, vcc_lo
	s_branch .LBB691_58
.LBB691_75:
                                        ; implicit-def: $vgpr15_vgpr16
                                        ; implicit-def: $vgpr13_vgpr14
                                        ; implicit-def: $vgpr21_vgpr22
                                        ; implicit-def: $vgpr23_vgpr24
                                        ; implicit-def: $vgpr11_vgpr12
	s_wait_alu 0xfffe
	s_and_b32 vcc_lo, exec_lo, s1
	s_wait_alu 0xfffe
	s_cbranch_vccnz .LBB691_81
	s_branch .LBB691_106
.LBB691_76:
	s_and_saveexec_b32 s6, s1
	s_cbranch_execz .LBB691_78
; %bb.77:
	s_add_co_i32 s8, s21, 32
	s_mov_b32 s9, 0
	v_add_co_u32 v13, vcc_lo, v11, v9
	s_wait_alu 0xfffe
	s_lshl_b64 s[8:9], s[8:9], 4
	v_dual_mov_b32 v15, 2 :: v_dual_mov_b32 v16, 0
	s_wait_alu 0xfffe
	s_add_nc_u64 s[8:9], s[14:15], s[8:9]
	s_wait_alu 0xfffd
	v_add_co_ci_u32_e64 v14, null, v12, v10, vcc_lo
	s_wait_alu 0xfffe
	v_dual_mov_b32 v24, s9 :: v_dual_mov_b32 v23, s8
	;;#ASMSTART
	global_store_b128 v[23:24], v[13:16] off scope:SCOPE_DEV	
s_wait_storecnt 0x0
	;;#ASMEND
	ds_store_b128 v16, v[9:12] offset:8448
.LBB691_78:
	s_or_b32 exec_lo, exec_lo, s6
	s_delay_alu instid0(SALU_CYCLE_1)
	s_and_b32 exec_lo, exec_lo, s2
; %bb.79:
	v_mov_b32_e32 v9, 0
	ds_store_b64 v9, v[11:12] offset:56
.LBB691_80:
	s_wait_alu 0xfffe
	s_or_b32 exec_lo, exec_lo, s3
	v_mov_b32_e32 v9, 0
	s_wait_loadcnt_dscnt 0x0
	s_barrier_signal -1
	s_barrier_wait -1
	global_inv scope:SCOPE_SE
	ds_load_b64 v[13:14], v9 offset:56
	v_cndmask_b32_e64 v11, v35, v21, s1
	v_cndmask_b32_e64 v10, v36, v22, s1
	s_wait_loadcnt_dscnt 0x0
	s_barrier_signal -1
	s_barrier_wait -1
	v_cndmask_b32_e64 v16, v11, 0, s2
	v_cndmask_b32_e64 v15, v10, 0, s2
	global_inv scope:SCOPE_SE
	ds_load_b128 v[9:12], v9 offset:8448
	v_add_co_u32 v23, vcc_lo, v13, v16
	s_wait_alu 0xfffd
	v_add_co_ci_u32_e64 v24, null, v14, v15, vcc_lo
	s_delay_alu instid0(VALU_DEP_2) | instskip(SKIP_1) | instid1(VALU_DEP_2)
	v_add_co_u32 v21, vcc_lo, v23, v32
	s_wait_alu 0xfffd
	v_add_co_ci_u32_e64 v22, null, 0, v24, vcc_lo
	s_delay_alu instid0(VALU_DEP_2) | instskip(SKIP_1) | instid1(VALU_DEP_2)
	;; [unrolled: 4-line block ×3, first 2 shown]
	v_add_co_u32 v15, vcc_lo, v13, v30
	s_wait_alu 0xfffd
	v_add_co_ci_u32_e64 v16, null, 0, v14, vcc_lo
	s_branch .LBB691_106
.LBB691_81:
	s_wait_dscnt 0x0
	v_dual_mov_b32 v10, 0 :: v_dual_mov_b32 v11, v19
	v_mov_b32_dpp v12, v19 row_shr:1 row_mask:0xf bank_mask:0xf
	s_delay_alu instid0(VALU_DEP_2)
	v_mov_b32_dpp v9, v10 row_shr:1 row_mask:0xf bank_mask:0xf
	s_and_saveexec_b32 s1, s0
; %bb.82:
	s_delay_alu instid0(VALU_DEP_2) | instskip(SKIP_2) | instid1(VALU_DEP_2)
	v_add_co_u32 v11, vcc_lo, v19, v12
	s_wait_alu 0xfffd
	v_add_co_ci_u32_e64 v10, null, 0, v20, vcc_lo
	v_add_co_u32 v19, vcc_lo, 0, v11
	s_wait_alu 0xfffd
	s_delay_alu instid0(VALU_DEP_2) | instskip(NEXT) | instid1(VALU_DEP_1)
	v_add_co_ci_u32_e64 v20, null, v9, v10, vcc_lo
	v_mov_b32_e32 v10, v20
; %bb.83:
	s_wait_alu 0xfffe
	s_or_b32 exec_lo, exec_lo, s1
	v_mov_b32_dpp v9, v11 row_shr:2 row_mask:0xf bank_mask:0xf
	s_delay_alu instid0(VALU_DEP_2)
	v_mov_b32_dpp v12, v10 row_shr:2 row_mask:0xf bank_mask:0xf
	s_mov_b32 s0, exec_lo
	v_cmpx_lt_u32_e32 1, v34
; %bb.84:
	s_delay_alu instid0(VALU_DEP_3) | instskip(SKIP_2) | instid1(VALU_DEP_2)
	v_add_co_u32 v11, vcc_lo, v19, v9
	s_wait_alu 0xfffd
	v_add_co_ci_u32_e64 v10, null, 0, v20, vcc_lo
	v_add_co_u32 v9, vcc_lo, 0, v11
	s_wait_alu 0xfffd
	s_delay_alu instid0(VALU_DEP_2) | instskip(NEXT) | instid1(VALU_DEP_1)
	v_add_co_ci_u32_e64 v10, null, v12, v10, vcc_lo
	v_dual_mov_b32 v20, v10 :: v_dual_mov_b32 v19, v9
; %bb.85:
	s_wait_alu 0xfffe
	s_or_b32 exec_lo, exec_lo, s0
	v_mov_b32_dpp v9, v11 row_shr:4 row_mask:0xf bank_mask:0xf
	v_mov_b32_dpp v12, v10 row_shr:4 row_mask:0xf bank_mask:0xf
	s_mov_b32 s0, exec_lo
	v_cmpx_lt_u32_e32 3, v34
; %bb.86:
	s_delay_alu instid0(VALU_DEP_3) | instskip(SKIP_2) | instid1(VALU_DEP_2)
	v_add_co_u32 v11, vcc_lo, v19, v9
	s_wait_alu 0xfffd
	v_add_co_ci_u32_e64 v10, null, 0, v20, vcc_lo
	v_add_co_u32 v9, vcc_lo, 0, v11
	s_wait_alu 0xfffd
	s_delay_alu instid0(VALU_DEP_2) | instskip(NEXT) | instid1(VALU_DEP_1)
	v_add_co_ci_u32_e64 v10, null, v12, v10, vcc_lo
	v_dual_mov_b32 v20, v10 :: v_dual_mov_b32 v19, v9
; %bb.87:
	s_wait_alu 0xfffe
	s_or_b32 exec_lo, exec_lo, s0
	v_mov_b32_dpp v12, v11 row_shr:8 row_mask:0xf bank_mask:0xf
	v_mov_b32_dpp v9, v10 row_shr:8 row_mask:0xf bank_mask:0xf
	s_mov_b32 s0, exec_lo
	v_cmpx_lt_u32_e32 7, v34
; %bb.88:
	s_delay_alu instid0(VALU_DEP_3) | instskip(SKIP_2) | instid1(VALU_DEP_2)
	v_add_co_u32 v11, vcc_lo, v19, v12
	s_wait_alu 0xfffd
	v_add_co_ci_u32_e64 v10, null, 0, v20, vcc_lo
	v_add_co_u32 v19, vcc_lo, 0, v11
	s_wait_alu 0xfffd
	s_delay_alu instid0(VALU_DEP_2) | instskip(NEXT) | instid1(VALU_DEP_1)
	v_add_co_ci_u32_e64 v20, null, v9, v10, vcc_lo
	v_mov_b32_e32 v10, v20
; %bb.89:
	s_wait_alu 0xfffe
	s_or_b32 exec_lo, exec_lo, s0
	ds_swizzle_b32 v11, v11 offset:swizzle(BROADCAST,32,15)
	ds_swizzle_b32 v9, v10 offset:swizzle(BROADCAST,32,15)
	v_and_b32_e32 v10, 16, v33
	s_mov_b32 s0, exec_lo
	s_delay_alu instid0(VALU_DEP_1)
	v_cmpx_ne_u32_e32 0, v10
	s_cbranch_execz .LBB691_91
; %bb.90:
	s_wait_dscnt 0x1
	v_add_co_u32 v10, vcc_lo, v19, v11
	s_wait_alu 0xfffd
	v_add_co_ci_u32_e64 v11, null, 0, v20, vcc_lo
	s_delay_alu instid0(VALU_DEP_2) | instskip(SKIP_2) | instid1(VALU_DEP_2)
	v_add_co_u32 v19, vcc_lo, v10, 0
	s_wait_dscnt 0x0
	s_wait_alu 0xfffd
	v_add_co_ci_u32_e64 v20, null, v11, v9, vcc_lo
.LBB691_91:
	s_wait_alu 0xfffe
	s_or_b32 exec_lo, exec_lo, s0
	s_wait_dscnt 0x0
	v_or_b32_e32 v9, 31, v0
	s_mov_b32 s0, exec_lo
	s_delay_alu instid0(VALU_DEP_1)
	v_cmpx_eq_u32_e64 v0, v9
; %bb.92:
	v_lshlrev_b32_e32 v9, 3, v28
	ds_store_b64 v9, v[19:20]
; %bb.93:
	s_wait_alu 0xfffe
	s_or_b32 exec_lo, exec_lo, s0
	s_delay_alu instid0(SALU_CYCLE_1)
	s_mov_b32 s0, exec_lo
	s_wait_loadcnt_dscnt 0x0
	s_barrier_signal -1
	s_barrier_wait -1
	global_inv scope:SCOPE_SE
	v_cmpx_gt_u32_e32 8, v0
	s_cbranch_execz .LBB691_101
; %bb.94:
	v_lshlrev_b32_e32 v11, 3, v0
	s_mov_b32 s1, exec_lo
	ds_load_b64 v[9:10], v11
	s_wait_dscnt 0x0
	v_dual_mov_b32 v13, v9 :: v_dual_and_b32 v12, 7, v33
	v_mov_b32_dpp v15, v9 row_shr:1 row_mask:0xf bank_mask:0xf
	v_mov_b32_dpp v14, v10 row_shr:1 row_mask:0xf bank_mask:0xf
	s_delay_alu instid0(VALU_DEP_3)
	v_cmpx_ne_u32_e32 0, v12
; %bb.95:
	s_delay_alu instid0(VALU_DEP_3) | instskip(SKIP_2) | instid1(VALU_DEP_2)
	v_add_co_u32 v13, vcc_lo, v9, v15
	s_wait_alu 0xfffd
	v_add_co_ci_u32_e64 v10, null, 0, v10, vcc_lo
	v_add_co_u32 v9, vcc_lo, 0, v13
	s_wait_alu 0xfffd
	s_delay_alu instid0(VALU_DEP_2)
	v_add_co_ci_u32_e64 v10, null, v14, v10, vcc_lo
; %bb.96:
	s_wait_alu 0xfffe
	s_or_b32 exec_lo, exec_lo, s1
	v_mov_b32_dpp v15, v13 row_shr:2 row_mask:0xf bank_mask:0xf
	s_delay_alu instid0(VALU_DEP_2)
	v_mov_b32_dpp v14, v10 row_shr:2 row_mask:0xf bank_mask:0xf
	s_mov_b32 s1, exec_lo
	v_cmpx_lt_u32_e32 1, v12
; %bb.97:
	s_delay_alu instid0(VALU_DEP_3) | instskip(SKIP_2) | instid1(VALU_DEP_2)
	v_add_co_u32 v13, vcc_lo, v9, v15
	s_wait_alu 0xfffd
	v_add_co_ci_u32_e64 v10, null, 0, v10, vcc_lo
	v_add_co_u32 v9, vcc_lo, 0, v13
	s_wait_alu 0xfffd
	s_delay_alu instid0(VALU_DEP_2)
	v_add_co_ci_u32_e64 v10, null, v14, v10, vcc_lo
; %bb.98:
	s_wait_alu 0xfffe
	s_or_b32 exec_lo, exec_lo, s1
	v_mov_b32_dpp v14, v13 row_shr:4 row_mask:0xf bank_mask:0xf
	s_delay_alu instid0(VALU_DEP_2)
	v_mov_b32_dpp v13, v10 row_shr:4 row_mask:0xf bank_mask:0xf
	s_mov_b32 s1, exec_lo
	v_cmpx_lt_u32_e32 3, v12
; %bb.99:
	s_delay_alu instid0(VALU_DEP_3) | instskip(SKIP_2) | instid1(VALU_DEP_2)
	v_add_co_u32 v9, vcc_lo, v9, v14
	s_wait_alu 0xfffd
	v_add_co_ci_u32_e64 v10, null, 0, v10, vcc_lo
	v_add_co_u32 v9, vcc_lo, v9, 0
	s_wait_alu 0xfffd
	s_delay_alu instid0(VALU_DEP_2)
	v_add_co_ci_u32_e64 v10, null, v10, v13, vcc_lo
; %bb.100:
	s_wait_alu 0xfffe
	s_or_b32 exec_lo, exec_lo, s1
	ds_store_b64 v11, v[9:10]
.LBB691_101:
	s_wait_alu 0xfffe
	s_or_b32 exec_lo, exec_lo, s0
	v_mov_b32_e32 v13, 0
	v_mov_b32_e32 v14, 0
	s_mov_b32 s0, exec_lo
	s_wait_loadcnt_dscnt 0x0
	s_barrier_signal -1
	s_barrier_wait -1
	global_inv scope:SCOPE_SE
	v_cmpx_lt_u32_e32 31, v0
; %bb.102:
	v_lshl_add_u32 v9, v28, 3, -8
	ds_load_b64 v[13:14], v9
; %bb.103:
	s_wait_alu 0xfffe
	s_or_b32 exec_lo, exec_lo, s0
	v_sub_co_u32 v9, vcc_lo, v33, 1
	v_mov_b32_e32 v12, 0
	s_delay_alu instid0(VALU_DEP_2) | instskip(SKIP_1) | instid1(VALU_DEP_1)
	v_cmp_gt_i32_e64 s0, 0, v9
	s_wait_alu 0xf1ff
	v_cndmask_b32_e64 v9, v9, v33, s0
	s_wait_dscnt 0x0
	v_add_co_u32 v10, s0, v13, v19
	s_wait_alu 0xf1ff
	v_add_co_ci_u32_e64 v11, null, v14, v20, s0
	v_lshlrev_b32_e32 v9, 2, v9
	ds_bpermute_b32 v15, v9, v10
	ds_bpermute_b32 v16, v9, v11
	ds_load_b64 v[9:10], v12 offset:56
	s_and_saveexec_b32 s0, s2
	s_cbranch_execz .LBB691_105
; %bb.104:
	s_add_nc_u64 s[6:7], s[14:15], 0x200
	s_delay_alu instid0(SALU_CYCLE_1)
	v_dual_mov_b32 v11, 2 :: v_dual_mov_b32 v20, s7
	v_mov_b32_e32 v19, s6
	s_wait_dscnt 0x0
	;;#ASMSTART
	global_store_b128 v[19:20], v[9:12] off scope:SCOPE_DEV	
s_wait_storecnt 0x0
	;;#ASMEND
.LBB691_105:
	s_wait_alu 0xfffe
	s_or_b32 exec_lo, exec_lo, s0
	s_wait_dscnt 0x1
	s_wait_alu 0xfffd
	v_dual_cndmask_b32 v11, v15, v13 :: v_dual_cndmask_b32 v12, v16, v14
	s_wait_loadcnt_dscnt 0x0
	s_barrier_signal -1
	s_barrier_wait -1
	s_delay_alu instid0(VALU_DEP_1)
	v_cndmask_b32_e64 v23, v11, 0, s2
	v_cndmask_b32_e64 v24, v12, 0, s2
	v_mov_b32_e32 v11, 0
	v_mov_b32_e32 v12, 0
	global_inv scope:SCOPE_SE
	v_add_co_u32 v21, vcc_lo, v23, v32
	s_wait_alu 0xfffd
	v_add_co_ci_u32_e64 v22, null, 0, v24, vcc_lo
	s_delay_alu instid0(VALU_DEP_2) | instskip(SKIP_1) | instid1(VALU_DEP_2)
	v_add_co_u32 v13, vcc_lo, v21, v31
	s_wait_alu 0xfffd
	v_add_co_ci_u32_e64 v14, null, 0, v22, vcc_lo
	s_delay_alu instid0(VALU_DEP_2) | instskip(SKIP_1) | instid1(VALU_DEP_2)
	v_add_co_u32 v15, vcc_lo, v13, v30
	s_wait_alu 0xfffd
	v_add_co_ci_u32_e64 v16, null, 0, v14, vcc_lo
.LBB691_106:
	v_and_b32_e32 v28, 1, v29
	s_wait_dscnt 0x0
	v_cmp_gt_u64_e32 vcc_lo, 0x101, v[9:10]
	v_lshrrev_b32_e32 v25, 16, v29
	v_lshrrev_b32_e32 v26, 8, v29
	s_mov_b32 s1, -1
	v_cmp_eq_u32_e64 s0, 1, v28
	s_cbranch_vccnz .LBB691_110
; %bb.107:
	s_wait_alu 0xfffe
	s_and_b32 vcc_lo, exec_lo, s1
	s_wait_alu 0xfffe
	s_cbranch_vccnz .LBB691_119
.LBB691_108:
	s_and_b32 s0, s2, s19
	s_wait_alu 0xfffe
	s_and_saveexec_b32 s1, s0
	s_cbranch_execnz .LBB691_131
.LBB691_109:
	s_endpgm
.LBB691_110:
	v_add_co_u32 v19, vcc_lo, v11, v9
	s_wait_alu 0xfffd
	v_add_co_ci_u32_e64 v20, null, v12, v10, vcc_lo
	s_delay_alu instid0(VALU_DEP_1)
	v_cmp_lt_u64_e32 vcc_lo, v[23:24], v[19:20]
	s_or_b32 s1, s20, vcc_lo
	s_wait_alu 0xfffe
	s_and_b32 s1, s1, s0
	s_wait_alu 0xfffe
	s_and_saveexec_b32 s0, s1
	s_cbranch_execz .LBB691_112
; %bb.111:
	v_lshlrev_b64_e32 v[29:30], 3, v[17:18]
	v_lshlrev_b64_e32 v[31:32], 3, v[23:24]
	s_delay_alu instid0(VALU_DEP_2) | instskip(SKIP_1) | instid1(VALU_DEP_3)
	v_add_co_u32 v24, vcc_lo, s12, v29
	s_wait_alu 0xfffd
	v_add_co_ci_u32_e64 v30, null, s13, v30, vcc_lo
	s_delay_alu instid0(VALU_DEP_2) | instskip(SKIP_1) | instid1(VALU_DEP_2)
	v_add_co_u32 v29, vcc_lo, v24, v31
	s_wait_alu 0xfffd
	v_add_co_ci_u32_e64 v30, null, v30, v32, vcc_lo
	global_store_b64 v[29:30], v[5:6], off
.LBB691_112:
	s_wait_alu 0xfffe
	s_or_b32 exec_lo, exec_lo, s0
	v_and_b32_e32 v24, 1, v26
	v_cmp_lt_u64_e32 vcc_lo, v[21:22], v[19:20]
	s_delay_alu instid0(VALU_DEP_2)
	v_cmp_eq_u32_e64 s0, 1, v24
	s_or_b32 s1, s20, vcc_lo
	s_wait_alu 0xfffe
	s_and_b32 s1, s1, s0
	s_wait_alu 0xfffe
	s_and_saveexec_b32 s0, s1
	s_cbranch_execz .LBB691_114
; %bb.113:
	v_lshlrev_b64_e32 v[29:30], 3, v[17:18]
	v_lshlrev_b64_e32 v[31:32], 3, v[21:22]
	s_delay_alu instid0(VALU_DEP_2) | instskip(SKIP_1) | instid1(VALU_DEP_3)
	v_add_co_u32 v22, vcc_lo, s12, v29
	s_wait_alu 0xfffd
	v_add_co_ci_u32_e64 v24, null, s13, v30, vcc_lo
	s_delay_alu instid0(VALU_DEP_2) | instskip(SKIP_1) | instid1(VALU_DEP_2)
	v_add_co_u32 v29, vcc_lo, v22, v31
	s_wait_alu 0xfffd
	v_add_co_ci_u32_e64 v30, null, v24, v32, vcc_lo
	global_store_b64 v[29:30], v[7:8], off
.LBB691_114:
	s_wait_alu 0xfffe
	s_or_b32 exec_lo, exec_lo, s0
	v_and_b32_e32 v22, 1, v25
	v_cmp_lt_u64_e32 vcc_lo, v[13:14], v[19:20]
	s_delay_alu instid0(VALU_DEP_2)
	v_cmp_eq_u32_e64 s0, 1, v22
	;; [unrolled: 25-line block ×3, first 2 shown]
	s_or_b32 s1, s20, vcc_lo
	s_wait_alu 0xfffe
	s_and_b32 s1, s1, s0
	s_wait_alu 0xfffe
	s_and_saveexec_b32 s0, s1
	s_cbranch_execz .LBB691_118
; %bb.117:
	v_lshlrev_b64_e32 v[19:20], 3, v[17:18]
	v_lshlrev_b64_e32 v[29:30], 3, v[15:16]
	s_delay_alu instid0(VALU_DEP_2) | instskip(SKIP_1) | instid1(VALU_DEP_3)
	v_add_co_u32 v14, vcc_lo, s12, v19
	s_wait_alu 0xfffd
	v_add_co_ci_u32_e64 v16, null, s13, v20, vcc_lo
	s_delay_alu instid0(VALU_DEP_2) | instskip(SKIP_1) | instid1(VALU_DEP_2)
	v_add_co_u32 v19, vcc_lo, v14, v29
	s_wait_alu 0xfffd
	v_add_co_ci_u32_e64 v20, null, v16, v30, vcc_lo
	global_store_b64 v[19:20], v[3:4], off
.LBB691_118:
	s_wait_alu 0xfffe
	s_or_b32 exec_lo, exec_lo, s0
	s_branch .LBB691_108
.LBB691_119:
	s_mov_b32 s0, exec_lo
	v_cmpx_eq_u32_e32 1, v28
; %bb.120:
	v_sub_nc_u32_e32 v14, v23, v11
	s_delay_alu instid0(VALU_DEP_1)
	v_lshlrev_b32_e32 v14, 3, v14
	ds_store_b64 v14, v[5:6]
; %bb.121:
	s_wait_alu 0xfffe
	s_or_b32 exec_lo, exec_lo, s0
	v_and_b32_e32 v5, 1, v26
	s_mov_b32 s0, exec_lo
	s_delay_alu instid0(VALU_DEP_1)
	v_cmpx_eq_u32_e32 1, v5
; %bb.122:
	v_sub_nc_u32_e32 v5, v21, v11
	s_delay_alu instid0(VALU_DEP_1)
	v_lshlrev_b32_e32 v5, 3, v5
	ds_store_b64 v5, v[7:8]
; %bb.123:
	s_wait_alu 0xfffe
	s_or_b32 exec_lo, exec_lo, s0
	v_and_b32_e32 v5, 1, v25
	s_mov_b32 s0, exec_lo
	s_delay_alu instid0(VALU_DEP_1)
	;; [unrolled: 12-line block ×3, first 2 shown]
	v_cmpx_eq_u32_e32 1, v1
; %bb.126:
	v_sub_nc_u32_e32 v1, v15, v11
	s_delay_alu instid0(VALU_DEP_1)
	v_lshlrev_b32_e32 v1, 3, v1
	ds_store_b64 v1, v[3:4]
; %bb.127:
	s_wait_alu 0xfffe
	s_or_b32 exec_lo, exec_lo, s0
	v_mov_b32_e32 v1, 0
	s_mov_b32 s1, exec_lo
	s_wait_storecnt 0x0
	s_wait_loadcnt_dscnt 0x0
	s_barrier_signal -1
	s_barrier_wait -1
	global_inv scope:SCOPE_SE
	v_cmpx_gt_u64_e64 v[9:10], v[0:1]
	s_cbranch_execz .LBB691_130
; %bb.128:
	v_lshlrev_b64_e32 v[2:3], 3, v[11:12]
	v_lshlrev_b64_e32 v[4:5], 3, v[17:18]
	s_mov_b32 s3, 0
	s_delay_alu instid0(VALU_DEP_2) | instskip(SKIP_1) | instid1(VALU_DEP_3)
	v_add_co_u32 v6, vcc_lo, s12, v2
	s_wait_alu 0xfffd
	v_add_co_ci_u32_e64 v7, null, s13, v3, vcc_lo
	v_dual_mov_b32 v3, v1 :: v_dual_mov_b32 v2, v0
	s_delay_alu instid0(VALU_DEP_3) | instskip(SKIP_1) | instid1(VALU_DEP_3)
	v_add_co_u32 v4, vcc_lo, v6, v4
	s_wait_alu 0xfffd
	v_add_co_ci_u32_e64 v5, null, v7, v5, vcc_lo
	v_or_b32_e32 v0, 0x100, v0
.LBB691_129:                            ; =>This Inner Loop Header: Depth=1
	v_lshlrev_b32_e32 v6, 3, v2
	v_lshlrev_b64_e32 v[13:14], 3, v[2:3]
	v_mov_b32_e32 v3, v1
	s_delay_alu instid0(VALU_DEP_4)
	v_cmp_le_u64_e32 vcc_lo, v[9:10], v[0:1]
	v_mov_b32_e32 v2, v0
	ds_load_b64 v[6:7], v6
	v_add_nc_u32_e32 v0, 0x100, v0
	v_add_co_u32 v13, s0, v4, v13
	s_wait_alu 0xf1ff
	v_add_co_ci_u32_e64 v14, null, v5, v14, s0
	s_wait_alu 0xfffe
	s_or_b32 s3, vcc_lo, s3
	s_wait_dscnt 0x0
	global_store_b64 v[13:14], v[6:7], off
	s_wait_alu 0xfffe
	s_and_not1_b32 exec_lo, exec_lo, s3
	s_cbranch_execnz .LBB691_129
.LBB691_130:
	s_wait_alu 0xfffe
	s_or_b32 exec_lo, exec_lo, s1
	s_and_b32 s0, s2, s19
	s_wait_alu 0xfffe
	s_and_saveexec_b32 s1, s0
	s_cbranch_execz .LBB691_109
.LBB691_131:
	v_add_co_u32 v0, vcc_lo, v11, v9
	s_wait_alu 0xfffd
	v_add_co_ci_u32_e64 v1, null, v12, v10, vcc_lo
	v_mov_b32_e32 v2, 0
	s_delay_alu instid0(VALU_DEP_3) | instskip(SKIP_1) | instid1(VALU_DEP_3)
	v_add_co_u32 v0, vcc_lo, v0, v17
	s_wait_alu 0xfffd
	v_add_co_ci_u32_e64 v1, null, v1, v18, vcc_lo
	global_store_b64 v2, v[0:1], s[4:5]
	s_endpgm
.LBB691_132:
	global_load_b32 v16, v11, s[0:1] offset:1024
	s_wait_loadcnt 0x0
	v_lshrrev_b32_e32 v19, 16, v16
	s_delay_alu instid0(VALU_DEP_1) | instskip(NEXT) | instid1(VALU_DEP_1)
	v_or_b32_e32 v16, v16, v19
	v_and_b32_e32 v16, 0x7fff, v16
	s_delay_alu instid0(VALU_DEP_1) | instskip(SKIP_2) | instid1(VALU_DEP_1)
	v_cmp_ne_u16_e32 vcc_lo, 0, v16
	s_wait_alu 0xfffd
	v_cndmask_b32_e64 v16, 0, 1, vcc_lo
	v_lshlrev_b16 v16, 8, v16
	s_delay_alu instid0(VALU_DEP_1) | instskip(NEXT) | instid1(VALU_DEP_1)
	v_or_b32_e32 v14, v14, v16
	v_and_b32_e32 v14, 0xffff, v14
	s_or_b32 exec_lo, exec_lo, s6
	s_delay_alu instid0(SALU_CYCLE_1)
	s_mov_b32 s6, exec_lo
	v_cmpx_gt_u32_e64 s3, v10
	s_cbranch_execz .LBB691_15
.LBB691_133:
	global_load_b32 v16, v11, s[0:1] offset:2048
	s_wait_loadcnt 0x0
	v_lshrrev_b32_e32 v19, 16, v16
	s_delay_alu instid0(VALU_DEP_1) | instskip(NEXT) | instid1(VALU_DEP_1)
	v_or_b32_e32 v16, v16, v19
	v_and_b32_e32 v16, 0x7fff, v16
	s_delay_alu instid0(VALU_DEP_1) | instskip(SKIP_2) | instid1(VALU_DEP_1)
	v_cmp_ne_u16_e32 vcc_lo, 0, v16
	s_wait_alu 0xfffd
	v_cndmask_b32_e64 v16, 0, 1, vcc_lo
	v_lshl_or_b32 v14, v16, 16, v14
	s_or_b32 exec_lo, exec_lo, s6
	v_cmp_gt_u32_e32 vcc_lo, s3, v9
	s_and_saveexec_b32 s3, vcc_lo
	s_cbranch_execnz .LBB691_16
	s_branch .LBB691_17
	.section	.rodata,"a",@progbits
	.p2align	6, 0x0
	.amdhsa_kernel _ZN7rocprim17ROCPRIM_400000_NS6detail17trampoline_kernelINS0_14default_configENS1_25partition_config_selectorILNS1_17partition_subalgoE5ElNS0_10empty_typeEbEEZZNS1_14partition_implILS5_5ELb0ES3_mN6hipcub16HIPCUB_304000_NS21CountingInputIteratorIllEEPS6_NSA_22TransformInputIteratorIbN2at6native12_GLOBAL__N_19NonZeroOpIN3c107complexINSJ_4HalfEEEEEPKSM_lEENS0_5tupleIJPlS6_EEENSR_IJSD_SD_EEES6_PiJS6_EEE10hipError_tPvRmT3_T4_T5_T6_T7_T9_mT8_P12ihipStream_tbDpT10_ENKUlT_T0_E_clISt17integral_constantIbLb0EES1E_IbLb1EEEEDaS1A_S1B_EUlS1A_E_NS1_11comp_targetILNS1_3genE10ELNS1_11target_archE1200ELNS1_3gpuE4ELNS1_3repE0EEENS1_30default_config_static_selectorELNS0_4arch9wavefront6targetE0EEEvT1_
		.amdhsa_group_segment_fixed_size 8464
		.amdhsa_private_segment_fixed_size 0
		.amdhsa_kernarg_size 136
		.amdhsa_user_sgpr_count 2
		.amdhsa_user_sgpr_dispatch_ptr 0
		.amdhsa_user_sgpr_queue_ptr 0
		.amdhsa_user_sgpr_kernarg_segment_ptr 1
		.amdhsa_user_sgpr_dispatch_id 0
		.amdhsa_user_sgpr_private_segment_size 0
		.amdhsa_wavefront_size32 1
		.amdhsa_uses_dynamic_stack 0
		.amdhsa_enable_private_segment 0
		.amdhsa_system_sgpr_workgroup_id_x 1
		.amdhsa_system_sgpr_workgroup_id_y 0
		.amdhsa_system_sgpr_workgroup_id_z 0
		.amdhsa_system_sgpr_workgroup_info 0
		.amdhsa_system_vgpr_workitem_id 0
		.amdhsa_next_free_vgpr 48
		.amdhsa_next_free_sgpr 24
		.amdhsa_reserve_vcc 1
		.amdhsa_float_round_mode_32 0
		.amdhsa_float_round_mode_16_64 0
		.amdhsa_float_denorm_mode_32 3
		.amdhsa_float_denorm_mode_16_64 3
		.amdhsa_fp16_overflow 0
		.amdhsa_workgroup_processor_mode 1
		.amdhsa_memory_ordered 1
		.amdhsa_forward_progress 1
		.amdhsa_inst_pref_size 56
		.amdhsa_round_robin_scheduling 0
		.amdhsa_exception_fp_ieee_invalid_op 0
		.amdhsa_exception_fp_denorm_src 0
		.amdhsa_exception_fp_ieee_div_zero 0
		.amdhsa_exception_fp_ieee_overflow 0
		.amdhsa_exception_fp_ieee_underflow 0
		.amdhsa_exception_fp_ieee_inexact 0
		.amdhsa_exception_int_div_zero 0
	.end_amdhsa_kernel
	.section	.text._ZN7rocprim17ROCPRIM_400000_NS6detail17trampoline_kernelINS0_14default_configENS1_25partition_config_selectorILNS1_17partition_subalgoE5ElNS0_10empty_typeEbEEZZNS1_14partition_implILS5_5ELb0ES3_mN6hipcub16HIPCUB_304000_NS21CountingInputIteratorIllEEPS6_NSA_22TransformInputIteratorIbN2at6native12_GLOBAL__N_19NonZeroOpIN3c107complexINSJ_4HalfEEEEEPKSM_lEENS0_5tupleIJPlS6_EEENSR_IJSD_SD_EEES6_PiJS6_EEE10hipError_tPvRmT3_T4_T5_T6_T7_T9_mT8_P12ihipStream_tbDpT10_ENKUlT_T0_E_clISt17integral_constantIbLb0EES1E_IbLb1EEEEDaS1A_S1B_EUlS1A_E_NS1_11comp_targetILNS1_3genE10ELNS1_11target_archE1200ELNS1_3gpuE4ELNS1_3repE0EEENS1_30default_config_static_selectorELNS0_4arch9wavefront6targetE0EEEvT1_,"axG",@progbits,_ZN7rocprim17ROCPRIM_400000_NS6detail17trampoline_kernelINS0_14default_configENS1_25partition_config_selectorILNS1_17partition_subalgoE5ElNS0_10empty_typeEbEEZZNS1_14partition_implILS5_5ELb0ES3_mN6hipcub16HIPCUB_304000_NS21CountingInputIteratorIllEEPS6_NSA_22TransformInputIteratorIbN2at6native12_GLOBAL__N_19NonZeroOpIN3c107complexINSJ_4HalfEEEEEPKSM_lEENS0_5tupleIJPlS6_EEENSR_IJSD_SD_EEES6_PiJS6_EEE10hipError_tPvRmT3_T4_T5_T6_T7_T9_mT8_P12ihipStream_tbDpT10_ENKUlT_T0_E_clISt17integral_constantIbLb0EES1E_IbLb1EEEEDaS1A_S1B_EUlS1A_E_NS1_11comp_targetILNS1_3genE10ELNS1_11target_archE1200ELNS1_3gpuE4ELNS1_3repE0EEENS1_30default_config_static_selectorELNS0_4arch9wavefront6targetE0EEEvT1_,comdat
.Lfunc_end691:
	.size	_ZN7rocprim17ROCPRIM_400000_NS6detail17trampoline_kernelINS0_14default_configENS1_25partition_config_selectorILNS1_17partition_subalgoE5ElNS0_10empty_typeEbEEZZNS1_14partition_implILS5_5ELb0ES3_mN6hipcub16HIPCUB_304000_NS21CountingInputIteratorIllEEPS6_NSA_22TransformInputIteratorIbN2at6native12_GLOBAL__N_19NonZeroOpIN3c107complexINSJ_4HalfEEEEEPKSM_lEENS0_5tupleIJPlS6_EEENSR_IJSD_SD_EEES6_PiJS6_EEE10hipError_tPvRmT3_T4_T5_T6_T7_T9_mT8_P12ihipStream_tbDpT10_ENKUlT_T0_E_clISt17integral_constantIbLb0EES1E_IbLb1EEEEDaS1A_S1B_EUlS1A_E_NS1_11comp_targetILNS1_3genE10ELNS1_11target_archE1200ELNS1_3gpuE4ELNS1_3repE0EEENS1_30default_config_static_selectorELNS0_4arch9wavefront6targetE0EEEvT1_, .Lfunc_end691-_ZN7rocprim17ROCPRIM_400000_NS6detail17trampoline_kernelINS0_14default_configENS1_25partition_config_selectorILNS1_17partition_subalgoE5ElNS0_10empty_typeEbEEZZNS1_14partition_implILS5_5ELb0ES3_mN6hipcub16HIPCUB_304000_NS21CountingInputIteratorIllEEPS6_NSA_22TransformInputIteratorIbN2at6native12_GLOBAL__N_19NonZeroOpIN3c107complexINSJ_4HalfEEEEEPKSM_lEENS0_5tupleIJPlS6_EEENSR_IJSD_SD_EEES6_PiJS6_EEE10hipError_tPvRmT3_T4_T5_T6_T7_T9_mT8_P12ihipStream_tbDpT10_ENKUlT_T0_E_clISt17integral_constantIbLb0EES1E_IbLb1EEEEDaS1A_S1B_EUlS1A_E_NS1_11comp_targetILNS1_3genE10ELNS1_11target_archE1200ELNS1_3gpuE4ELNS1_3repE0EEENS1_30default_config_static_selectorELNS0_4arch9wavefront6targetE0EEEvT1_
                                        ; -- End function
	.set _ZN7rocprim17ROCPRIM_400000_NS6detail17trampoline_kernelINS0_14default_configENS1_25partition_config_selectorILNS1_17partition_subalgoE5ElNS0_10empty_typeEbEEZZNS1_14partition_implILS5_5ELb0ES3_mN6hipcub16HIPCUB_304000_NS21CountingInputIteratorIllEEPS6_NSA_22TransformInputIteratorIbN2at6native12_GLOBAL__N_19NonZeroOpIN3c107complexINSJ_4HalfEEEEEPKSM_lEENS0_5tupleIJPlS6_EEENSR_IJSD_SD_EEES6_PiJS6_EEE10hipError_tPvRmT3_T4_T5_T6_T7_T9_mT8_P12ihipStream_tbDpT10_ENKUlT_T0_E_clISt17integral_constantIbLb0EES1E_IbLb1EEEEDaS1A_S1B_EUlS1A_E_NS1_11comp_targetILNS1_3genE10ELNS1_11target_archE1200ELNS1_3gpuE4ELNS1_3repE0EEENS1_30default_config_static_selectorELNS0_4arch9wavefront6targetE0EEEvT1_.num_vgpr, 48
	.set _ZN7rocprim17ROCPRIM_400000_NS6detail17trampoline_kernelINS0_14default_configENS1_25partition_config_selectorILNS1_17partition_subalgoE5ElNS0_10empty_typeEbEEZZNS1_14partition_implILS5_5ELb0ES3_mN6hipcub16HIPCUB_304000_NS21CountingInputIteratorIllEEPS6_NSA_22TransformInputIteratorIbN2at6native12_GLOBAL__N_19NonZeroOpIN3c107complexINSJ_4HalfEEEEEPKSM_lEENS0_5tupleIJPlS6_EEENSR_IJSD_SD_EEES6_PiJS6_EEE10hipError_tPvRmT3_T4_T5_T6_T7_T9_mT8_P12ihipStream_tbDpT10_ENKUlT_T0_E_clISt17integral_constantIbLb0EES1E_IbLb1EEEEDaS1A_S1B_EUlS1A_E_NS1_11comp_targetILNS1_3genE10ELNS1_11target_archE1200ELNS1_3gpuE4ELNS1_3repE0EEENS1_30default_config_static_selectorELNS0_4arch9wavefront6targetE0EEEvT1_.num_agpr, 0
	.set _ZN7rocprim17ROCPRIM_400000_NS6detail17trampoline_kernelINS0_14default_configENS1_25partition_config_selectorILNS1_17partition_subalgoE5ElNS0_10empty_typeEbEEZZNS1_14partition_implILS5_5ELb0ES3_mN6hipcub16HIPCUB_304000_NS21CountingInputIteratorIllEEPS6_NSA_22TransformInputIteratorIbN2at6native12_GLOBAL__N_19NonZeroOpIN3c107complexINSJ_4HalfEEEEEPKSM_lEENS0_5tupleIJPlS6_EEENSR_IJSD_SD_EEES6_PiJS6_EEE10hipError_tPvRmT3_T4_T5_T6_T7_T9_mT8_P12ihipStream_tbDpT10_ENKUlT_T0_E_clISt17integral_constantIbLb0EES1E_IbLb1EEEEDaS1A_S1B_EUlS1A_E_NS1_11comp_targetILNS1_3genE10ELNS1_11target_archE1200ELNS1_3gpuE4ELNS1_3repE0EEENS1_30default_config_static_selectorELNS0_4arch9wavefront6targetE0EEEvT1_.numbered_sgpr, 24
	.set _ZN7rocprim17ROCPRIM_400000_NS6detail17trampoline_kernelINS0_14default_configENS1_25partition_config_selectorILNS1_17partition_subalgoE5ElNS0_10empty_typeEbEEZZNS1_14partition_implILS5_5ELb0ES3_mN6hipcub16HIPCUB_304000_NS21CountingInputIteratorIllEEPS6_NSA_22TransformInputIteratorIbN2at6native12_GLOBAL__N_19NonZeroOpIN3c107complexINSJ_4HalfEEEEEPKSM_lEENS0_5tupleIJPlS6_EEENSR_IJSD_SD_EEES6_PiJS6_EEE10hipError_tPvRmT3_T4_T5_T6_T7_T9_mT8_P12ihipStream_tbDpT10_ENKUlT_T0_E_clISt17integral_constantIbLb0EES1E_IbLb1EEEEDaS1A_S1B_EUlS1A_E_NS1_11comp_targetILNS1_3genE10ELNS1_11target_archE1200ELNS1_3gpuE4ELNS1_3repE0EEENS1_30default_config_static_selectorELNS0_4arch9wavefront6targetE0EEEvT1_.num_named_barrier, 0
	.set _ZN7rocprim17ROCPRIM_400000_NS6detail17trampoline_kernelINS0_14default_configENS1_25partition_config_selectorILNS1_17partition_subalgoE5ElNS0_10empty_typeEbEEZZNS1_14partition_implILS5_5ELb0ES3_mN6hipcub16HIPCUB_304000_NS21CountingInputIteratorIllEEPS6_NSA_22TransformInputIteratorIbN2at6native12_GLOBAL__N_19NonZeroOpIN3c107complexINSJ_4HalfEEEEEPKSM_lEENS0_5tupleIJPlS6_EEENSR_IJSD_SD_EEES6_PiJS6_EEE10hipError_tPvRmT3_T4_T5_T6_T7_T9_mT8_P12ihipStream_tbDpT10_ENKUlT_T0_E_clISt17integral_constantIbLb0EES1E_IbLb1EEEEDaS1A_S1B_EUlS1A_E_NS1_11comp_targetILNS1_3genE10ELNS1_11target_archE1200ELNS1_3gpuE4ELNS1_3repE0EEENS1_30default_config_static_selectorELNS0_4arch9wavefront6targetE0EEEvT1_.private_seg_size, 0
	.set _ZN7rocprim17ROCPRIM_400000_NS6detail17trampoline_kernelINS0_14default_configENS1_25partition_config_selectorILNS1_17partition_subalgoE5ElNS0_10empty_typeEbEEZZNS1_14partition_implILS5_5ELb0ES3_mN6hipcub16HIPCUB_304000_NS21CountingInputIteratorIllEEPS6_NSA_22TransformInputIteratorIbN2at6native12_GLOBAL__N_19NonZeroOpIN3c107complexINSJ_4HalfEEEEEPKSM_lEENS0_5tupleIJPlS6_EEENSR_IJSD_SD_EEES6_PiJS6_EEE10hipError_tPvRmT3_T4_T5_T6_T7_T9_mT8_P12ihipStream_tbDpT10_ENKUlT_T0_E_clISt17integral_constantIbLb0EES1E_IbLb1EEEEDaS1A_S1B_EUlS1A_E_NS1_11comp_targetILNS1_3genE10ELNS1_11target_archE1200ELNS1_3gpuE4ELNS1_3repE0EEENS1_30default_config_static_selectorELNS0_4arch9wavefront6targetE0EEEvT1_.uses_vcc, 1
	.set _ZN7rocprim17ROCPRIM_400000_NS6detail17trampoline_kernelINS0_14default_configENS1_25partition_config_selectorILNS1_17partition_subalgoE5ElNS0_10empty_typeEbEEZZNS1_14partition_implILS5_5ELb0ES3_mN6hipcub16HIPCUB_304000_NS21CountingInputIteratorIllEEPS6_NSA_22TransformInputIteratorIbN2at6native12_GLOBAL__N_19NonZeroOpIN3c107complexINSJ_4HalfEEEEEPKSM_lEENS0_5tupleIJPlS6_EEENSR_IJSD_SD_EEES6_PiJS6_EEE10hipError_tPvRmT3_T4_T5_T6_T7_T9_mT8_P12ihipStream_tbDpT10_ENKUlT_T0_E_clISt17integral_constantIbLb0EES1E_IbLb1EEEEDaS1A_S1B_EUlS1A_E_NS1_11comp_targetILNS1_3genE10ELNS1_11target_archE1200ELNS1_3gpuE4ELNS1_3repE0EEENS1_30default_config_static_selectorELNS0_4arch9wavefront6targetE0EEEvT1_.uses_flat_scratch, 0
	.set _ZN7rocprim17ROCPRIM_400000_NS6detail17trampoline_kernelINS0_14default_configENS1_25partition_config_selectorILNS1_17partition_subalgoE5ElNS0_10empty_typeEbEEZZNS1_14partition_implILS5_5ELb0ES3_mN6hipcub16HIPCUB_304000_NS21CountingInputIteratorIllEEPS6_NSA_22TransformInputIteratorIbN2at6native12_GLOBAL__N_19NonZeroOpIN3c107complexINSJ_4HalfEEEEEPKSM_lEENS0_5tupleIJPlS6_EEENSR_IJSD_SD_EEES6_PiJS6_EEE10hipError_tPvRmT3_T4_T5_T6_T7_T9_mT8_P12ihipStream_tbDpT10_ENKUlT_T0_E_clISt17integral_constantIbLb0EES1E_IbLb1EEEEDaS1A_S1B_EUlS1A_E_NS1_11comp_targetILNS1_3genE10ELNS1_11target_archE1200ELNS1_3gpuE4ELNS1_3repE0EEENS1_30default_config_static_selectorELNS0_4arch9wavefront6targetE0EEEvT1_.has_dyn_sized_stack, 0
	.set _ZN7rocprim17ROCPRIM_400000_NS6detail17trampoline_kernelINS0_14default_configENS1_25partition_config_selectorILNS1_17partition_subalgoE5ElNS0_10empty_typeEbEEZZNS1_14partition_implILS5_5ELb0ES3_mN6hipcub16HIPCUB_304000_NS21CountingInputIteratorIllEEPS6_NSA_22TransformInputIteratorIbN2at6native12_GLOBAL__N_19NonZeroOpIN3c107complexINSJ_4HalfEEEEEPKSM_lEENS0_5tupleIJPlS6_EEENSR_IJSD_SD_EEES6_PiJS6_EEE10hipError_tPvRmT3_T4_T5_T6_T7_T9_mT8_P12ihipStream_tbDpT10_ENKUlT_T0_E_clISt17integral_constantIbLb0EES1E_IbLb1EEEEDaS1A_S1B_EUlS1A_E_NS1_11comp_targetILNS1_3genE10ELNS1_11target_archE1200ELNS1_3gpuE4ELNS1_3repE0EEENS1_30default_config_static_selectorELNS0_4arch9wavefront6targetE0EEEvT1_.has_recursion, 0
	.set _ZN7rocprim17ROCPRIM_400000_NS6detail17trampoline_kernelINS0_14default_configENS1_25partition_config_selectorILNS1_17partition_subalgoE5ElNS0_10empty_typeEbEEZZNS1_14partition_implILS5_5ELb0ES3_mN6hipcub16HIPCUB_304000_NS21CountingInputIteratorIllEEPS6_NSA_22TransformInputIteratorIbN2at6native12_GLOBAL__N_19NonZeroOpIN3c107complexINSJ_4HalfEEEEEPKSM_lEENS0_5tupleIJPlS6_EEENSR_IJSD_SD_EEES6_PiJS6_EEE10hipError_tPvRmT3_T4_T5_T6_T7_T9_mT8_P12ihipStream_tbDpT10_ENKUlT_T0_E_clISt17integral_constantIbLb0EES1E_IbLb1EEEEDaS1A_S1B_EUlS1A_E_NS1_11comp_targetILNS1_3genE10ELNS1_11target_archE1200ELNS1_3gpuE4ELNS1_3repE0EEENS1_30default_config_static_selectorELNS0_4arch9wavefront6targetE0EEEvT1_.has_indirect_call, 0
	.section	.AMDGPU.csdata,"",@progbits
; Kernel info:
; codeLenInByte = 7088
; TotalNumSgprs: 26
; NumVgprs: 48
; ScratchSize: 0
; MemoryBound: 0
; FloatMode: 240
; IeeeMode: 1
; LDSByteSize: 8464 bytes/workgroup (compile time only)
; SGPRBlocks: 0
; VGPRBlocks: 5
; NumSGPRsForWavesPerEU: 26
; NumVGPRsForWavesPerEU: 48
; Occupancy: 16
; WaveLimiterHint : 1
; COMPUTE_PGM_RSRC2:SCRATCH_EN: 0
; COMPUTE_PGM_RSRC2:USER_SGPR: 2
; COMPUTE_PGM_RSRC2:TRAP_HANDLER: 0
; COMPUTE_PGM_RSRC2:TGID_X_EN: 1
; COMPUTE_PGM_RSRC2:TGID_Y_EN: 0
; COMPUTE_PGM_RSRC2:TGID_Z_EN: 0
; COMPUTE_PGM_RSRC2:TIDIG_COMP_CNT: 0
	.section	.text._ZN7rocprim17ROCPRIM_400000_NS6detail17trampoline_kernelINS0_14default_configENS1_25partition_config_selectorILNS1_17partition_subalgoE5ElNS0_10empty_typeEbEEZZNS1_14partition_implILS5_5ELb0ES3_mN6hipcub16HIPCUB_304000_NS21CountingInputIteratorIllEEPS6_NSA_22TransformInputIteratorIbN2at6native12_GLOBAL__N_19NonZeroOpIN3c107complexINSJ_4HalfEEEEEPKSM_lEENS0_5tupleIJPlS6_EEENSR_IJSD_SD_EEES6_PiJS6_EEE10hipError_tPvRmT3_T4_T5_T6_T7_T9_mT8_P12ihipStream_tbDpT10_ENKUlT_T0_E_clISt17integral_constantIbLb0EES1E_IbLb1EEEEDaS1A_S1B_EUlS1A_E_NS1_11comp_targetILNS1_3genE9ELNS1_11target_archE1100ELNS1_3gpuE3ELNS1_3repE0EEENS1_30default_config_static_selectorELNS0_4arch9wavefront6targetE0EEEvT1_,"axG",@progbits,_ZN7rocprim17ROCPRIM_400000_NS6detail17trampoline_kernelINS0_14default_configENS1_25partition_config_selectorILNS1_17partition_subalgoE5ElNS0_10empty_typeEbEEZZNS1_14partition_implILS5_5ELb0ES3_mN6hipcub16HIPCUB_304000_NS21CountingInputIteratorIllEEPS6_NSA_22TransformInputIteratorIbN2at6native12_GLOBAL__N_19NonZeroOpIN3c107complexINSJ_4HalfEEEEEPKSM_lEENS0_5tupleIJPlS6_EEENSR_IJSD_SD_EEES6_PiJS6_EEE10hipError_tPvRmT3_T4_T5_T6_T7_T9_mT8_P12ihipStream_tbDpT10_ENKUlT_T0_E_clISt17integral_constantIbLb0EES1E_IbLb1EEEEDaS1A_S1B_EUlS1A_E_NS1_11comp_targetILNS1_3genE9ELNS1_11target_archE1100ELNS1_3gpuE3ELNS1_3repE0EEENS1_30default_config_static_selectorELNS0_4arch9wavefront6targetE0EEEvT1_,comdat
	.globl	_ZN7rocprim17ROCPRIM_400000_NS6detail17trampoline_kernelINS0_14default_configENS1_25partition_config_selectorILNS1_17partition_subalgoE5ElNS0_10empty_typeEbEEZZNS1_14partition_implILS5_5ELb0ES3_mN6hipcub16HIPCUB_304000_NS21CountingInputIteratorIllEEPS6_NSA_22TransformInputIteratorIbN2at6native12_GLOBAL__N_19NonZeroOpIN3c107complexINSJ_4HalfEEEEEPKSM_lEENS0_5tupleIJPlS6_EEENSR_IJSD_SD_EEES6_PiJS6_EEE10hipError_tPvRmT3_T4_T5_T6_T7_T9_mT8_P12ihipStream_tbDpT10_ENKUlT_T0_E_clISt17integral_constantIbLb0EES1E_IbLb1EEEEDaS1A_S1B_EUlS1A_E_NS1_11comp_targetILNS1_3genE9ELNS1_11target_archE1100ELNS1_3gpuE3ELNS1_3repE0EEENS1_30default_config_static_selectorELNS0_4arch9wavefront6targetE0EEEvT1_ ; -- Begin function _ZN7rocprim17ROCPRIM_400000_NS6detail17trampoline_kernelINS0_14default_configENS1_25partition_config_selectorILNS1_17partition_subalgoE5ElNS0_10empty_typeEbEEZZNS1_14partition_implILS5_5ELb0ES3_mN6hipcub16HIPCUB_304000_NS21CountingInputIteratorIllEEPS6_NSA_22TransformInputIteratorIbN2at6native12_GLOBAL__N_19NonZeroOpIN3c107complexINSJ_4HalfEEEEEPKSM_lEENS0_5tupleIJPlS6_EEENSR_IJSD_SD_EEES6_PiJS6_EEE10hipError_tPvRmT3_T4_T5_T6_T7_T9_mT8_P12ihipStream_tbDpT10_ENKUlT_T0_E_clISt17integral_constantIbLb0EES1E_IbLb1EEEEDaS1A_S1B_EUlS1A_E_NS1_11comp_targetILNS1_3genE9ELNS1_11target_archE1100ELNS1_3gpuE3ELNS1_3repE0EEENS1_30default_config_static_selectorELNS0_4arch9wavefront6targetE0EEEvT1_
	.p2align	8
	.type	_ZN7rocprim17ROCPRIM_400000_NS6detail17trampoline_kernelINS0_14default_configENS1_25partition_config_selectorILNS1_17partition_subalgoE5ElNS0_10empty_typeEbEEZZNS1_14partition_implILS5_5ELb0ES3_mN6hipcub16HIPCUB_304000_NS21CountingInputIteratorIllEEPS6_NSA_22TransformInputIteratorIbN2at6native12_GLOBAL__N_19NonZeroOpIN3c107complexINSJ_4HalfEEEEEPKSM_lEENS0_5tupleIJPlS6_EEENSR_IJSD_SD_EEES6_PiJS6_EEE10hipError_tPvRmT3_T4_T5_T6_T7_T9_mT8_P12ihipStream_tbDpT10_ENKUlT_T0_E_clISt17integral_constantIbLb0EES1E_IbLb1EEEEDaS1A_S1B_EUlS1A_E_NS1_11comp_targetILNS1_3genE9ELNS1_11target_archE1100ELNS1_3gpuE3ELNS1_3repE0EEENS1_30default_config_static_selectorELNS0_4arch9wavefront6targetE0EEEvT1_,@function
_ZN7rocprim17ROCPRIM_400000_NS6detail17trampoline_kernelINS0_14default_configENS1_25partition_config_selectorILNS1_17partition_subalgoE5ElNS0_10empty_typeEbEEZZNS1_14partition_implILS5_5ELb0ES3_mN6hipcub16HIPCUB_304000_NS21CountingInputIteratorIllEEPS6_NSA_22TransformInputIteratorIbN2at6native12_GLOBAL__N_19NonZeroOpIN3c107complexINSJ_4HalfEEEEEPKSM_lEENS0_5tupleIJPlS6_EEENSR_IJSD_SD_EEES6_PiJS6_EEE10hipError_tPvRmT3_T4_T5_T6_T7_T9_mT8_P12ihipStream_tbDpT10_ENKUlT_T0_E_clISt17integral_constantIbLb0EES1E_IbLb1EEEEDaS1A_S1B_EUlS1A_E_NS1_11comp_targetILNS1_3genE9ELNS1_11target_archE1100ELNS1_3gpuE3ELNS1_3repE0EEENS1_30default_config_static_selectorELNS0_4arch9wavefront6targetE0EEEvT1_: ; @_ZN7rocprim17ROCPRIM_400000_NS6detail17trampoline_kernelINS0_14default_configENS1_25partition_config_selectorILNS1_17partition_subalgoE5ElNS0_10empty_typeEbEEZZNS1_14partition_implILS5_5ELb0ES3_mN6hipcub16HIPCUB_304000_NS21CountingInputIteratorIllEEPS6_NSA_22TransformInputIteratorIbN2at6native12_GLOBAL__N_19NonZeroOpIN3c107complexINSJ_4HalfEEEEEPKSM_lEENS0_5tupleIJPlS6_EEENSR_IJSD_SD_EEES6_PiJS6_EEE10hipError_tPvRmT3_T4_T5_T6_T7_T9_mT8_P12ihipStream_tbDpT10_ENKUlT_T0_E_clISt17integral_constantIbLb0EES1E_IbLb1EEEEDaS1A_S1B_EUlS1A_E_NS1_11comp_targetILNS1_3genE9ELNS1_11target_archE1100ELNS1_3gpuE3ELNS1_3repE0EEENS1_30default_config_static_selectorELNS0_4arch9wavefront6targetE0EEEvT1_
; %bb.0:
	.section	.rodata,"a",@progbits
	.p2align	6, 0x0
	.amdhsa_kernel _ZN7rocprim17ROCPRIM_400000_NS6detail17trampoline_kernelINS0_14default_configENS1_25partition_config_selectorILNS1_17partition_subalgoE5ElNS0_10empty_typeEbEEZZNS1_14partition_implILS5_5ELb0ES3_mN6hipcub16HIPCUB_304000_NS21CountingInputIteratorIllEEPS6_NSA_22TransformInputIteratorIbN2at6native12_GLOBAL__N_19NonZeroOpIN3c107complexINSJ_4HalfEEEEEPKSM_lEENS0_5tupleIJPlS6_EEENSR_IJSD_SD_EEES6_PiJS6_EEE10hipError_tPvRmT3_T4_T5_T6_T7_T9_mT8_P12ihipStream_tbDpT10_ENKUlT_T0_E_clISt17integral_constantIbLb0EES1E_IbLb1EEEEDaS1A_S1B_EUlS1A_E_NS1_11comp_targetILNS1_3genE9ELNS1_11target_archE1100ELNS1_3gpuE3ELNS1_3repE0EEENS1_30default_config_static_selectorELNS0_4arch9wavefront6targetE0EEEvT1_
		.amdhsa_group_segment_fixed_size 0
		.amdhsa_private_segment_fixed_size 0
		.amdhsa_kernarg_size 136
		.amdhsa_user_sgpr_count 2
		.amdhsa_user_sgpr_dispatch_ptr 0
		.amdhsa_user_sgpr_queue_ptr 0
		.amdhsa_user_sgpr_kernarg_segment_ptr 1
		.amdhsa_user_sgpr_dispatch_id 0
		.amdhsa_user_sgpr_private_segment_size 0
		.amdhsa_wavefront_size32 1
		.amdhsa_uses_dynamic_stack 0
		.amdhsa_enable_private_segment 0
		.amdhsa_system_sgpr_workgroup_id_x 1
		.amdhsa_system_sgpr_workgroup_id_y 0
		.amdhsa_system_sgpr_workgroup_id_z 0
		.amdhsa_system_sgpr_workgroup_info 0
		.amdhsa_system_vgpr_workitem_id 0
		.amdhsa_next_free_vgpr 1
		.amdhsa_next_free_sgpr 1
		.amdhsa_reserve_vcc 0
		.amdhsa_float_round_mode_32 0
		.amdhsa_float_round_mode_16_64 0
		.amdhsa_float_denorm_mode_32 3
		.amdhsa_float_denorm_mode_16_64 3
		.amdhsa_fp16_overflow 0
		.amdhsa_workgroup_processor_mode 1
		.amdhsa_memory_ordered 1
		.amdhsa_forward_progress 1
		.amdhsa_inst_pref_size 0
		.amdhsa_round_robin_scheduling 0
		.amdhsa_exception_fp_ieee_invalid_op 0
		.amdhsa_exception_fp_denorm_src 0
		.amdhsa_exception_fp_ieee_div_zero 0
		.amdhsa_exception_fp_ieee_overflow 0
		.amdhsa_exception_fp_ieee_underflow 0
		.amdhsa_exception_fp_ieee_inexact 0
		.amdhsa_exception_int_div_zero 0
	.end_amdhsa_kernel
	.section	.text._ZN7rocprim17ROCPRIM_400000_NS6detail17trampoline_kernelINS0_14default_configENS1_25partition_config_selectorILNS1_17partition_subalgoE5ElNS0_10empty_typeEbEEZZNS1_14partition_implILS5_5ELb0ES3_mN6hipcub16HIPCUB_304000_NS21CountingInputIteratorIllEEPS6_NSA_22TransformInputIteratorIbN2at6native12_GLOBAL__N_19NonZeroOpIN3c107complexINSJ_4HalfEEEEEPKSM_lEENS0_5tupleIJPlS6_EEENSR_IJSD_SD_EEES6_PiJS6_EEE10hipError_tPvRmT3_T4_T5_T6_T7_T9_mT8_P12ihipStream_tbDpT10_ENKUlT_T0_E_clISt17integral_constantIbLb0EES1E_IbLb1EEEEDaS1A_S1B_EUlS1A_E_NS1_11comp_targetILNS1_3genE9ELNS1_11target_archE1100ELNS1_3gpuE3ELNS1_3repE0EEENS1_30default_config_static_selectorELNS0_4arch9wavefront6targetE0EEEvT1_,"axG",@progbits,_ZN7rocprim17ROCPRIM_400000_NS6detail17trampoline_kernelINS0_14default_configENS1_25partition_config_selectorILNS1_17partition_subalgoE5ElNS0_10empty_typeEbEEZZNS1_14partition_implILS5_5ELb0ES3_mN6hipcub16HIPCUB_304000_NS21CountingInputIteratorIllEEPS6_NSA_22TransformInputIteratorIbN2at6native12_GLOBAL__N_19NonZeroOpIN3c107complexINSJ_4HalfEEEEEPKSM_lEENS0_5tupleIJPlS6_EEENSR_IJSD_SD_EEES6_PiJS6_EEE10hipError_tPvRmT3_T4_T5_T6_T7_T9_mT8_P12ihipStream_tbDpT10_ENKUlT_T0_E_clISt17integral_constantIbLb0EES1E_IbLb1EEEEDaS1A_S1B_EUlS1A_E_NS1_11comp_targetILNS1_3genE9ELNS1_11target_archE1100ELNS1_3gpuE3ELNS1_3repE0EEENS1_30default_config_static_selectorELNS0_4arch9wavefront6targetE0EEEvT1_,comdat
.Lfunc_end692:
	.size	_ZN7rocprim17ROCPRIM_400000_NS6detail17trampoline_kernelINS0_14default_configENS1_25partition_config_selectorILNS1_17partition_subalgoE5ElNS0_10empty_typeEbEEZZNS1_14partition_implILS5_5ELb0ES3_mN6hipcub16HIPCUB_304000_NS21CountingInputIteratorIllEEPS6_NSA_22TransformInputIteratorIbN2at6native12_GLOBAL__N_19NonZeroOpIN3c107complexINSJ_4HalfEEEEEPKSM_lEENS0_5tupleIJPlS6_EEENSR_IJSD_SD_EEES6_PiJS6_EEE10hipError_tPvRmT3_T4_T5_T6_T7_T9_mT8_P12ihipStream_tbDpT10_ENKUlT_T0_E_clISt17integral_constantIbLb0EES1E_IbLb1EEEEDaS1A_S1B_EUlS1A_E_NS1_11comp_targetILNS1_3genE9ELNS1_11target_archE1100ELNS1_3gpuE3ELNS1_3repE0EEENS1_30default_config_static_selectorELNS0_4arch9wavefront6targetE0EEEvT1_, .Lfunc_end692-_ZN7rocprim17ROCPRIM_400000_NS6detail17trampoline_kernelINS0_14default_configENS1_25partition_config_selectorILNS1_17partition_subalgoE5ElNS0_10empty_typeEbEEZZNS1_14partition_implILS5_5ELb0ES3_mN6hipcub16HIPCUB_304000_NS21CountingInputIteratorIllEEPS6_NSA_22TransformInputIteratorIbN2at6native12_GLOBAL__N_19NonZeroOpIN3c107complexINSJ_4HalfEEEEEPKSM_lEENS0_5tupleIJPlS6_EEENSR_IJSD_SD_EEES6_PiJS6_EEE10hipError_tPvRmT3_T4_T5_T6_T7_T9_mT8_P12ihipStream_tbDpT10_ENKUlT_T0_E_clISt17integral_constantIbLb0EES1E_IbLb1EEEEDaS1A_S1B_EUlS1A_E_NS1_11comp_targetILNS1_3genE9ELNS1_11target_archE1100ELNS1_3gpuE3ELNS1_3repE0EEENS1_30default_config_static_selectorELNS0_4arch9wavefront6targetE0EEEvT1_
                                        ; -- End function
	.set _ZN7rocprim17ROCPRIM_400000_NS6detail17trampoline_kernelINS0_14default_configENS1_25partition_config_selectorILNS1_17partition_subalgoE5ElNS0_10empty_typeEbEEZZNS1_14partition_implILS5_5ELb0ES3_mN6hipcub16HIPCUB_304000_NS21CountingInputIteratorIllEEPS6_NSA_22TransformInputIteratorIbN2at6native12_GLOBAL__N_19NonZeroOpIN3c107complexINSJ_4HalfEEEEEPKSM_lEENS0_5tupleIJPlS6_EEENSR_IJSD_SD_EEES6_PiJS6_EEE10hipError_tPvRmT3_T4_T5_T6_T7_T9_mT8_P12ihipStream_tbDpT10_ENKUlT_T0_E_clISt17integral_constantIbLb0EES1E_IbLb1EEEEDaS1A_S1B_EUlS1A_E_NS1_11comp_targetILNS1_3genE9ELNS1_11target_archE1100ELNS1_3gpuE3ELNS1_3repE0EEENS1_30default_config_static_selectorELNS0_4arch9wavefront6targetE0EEEvT1_.num_vgpr, 0
	.set _ZN7rocprim17ROCPRIM_400000_NS6detail17trampoline_kernelINS0_14default_configENS1_25partition_config_selectorILNS1_17partition_subalgoE5ElNS0_10empty_typeEbEEZZNS1_14partition_implILS5_5ELb0ES3_mN6hipcub16HIPCUB_304000_NS21CountingInputIteratorIllEEPS6_NSA_22TransformInputIteratorIbN2at6native12_GLOBAL__N_19NonZeroOpIN3c107complexINSJ_4HalfEEEEEPKSM_lEENS0_5tupleIJPlS6_EEENSR_IJSD_SD_EEES6_PiJS6_EEE10hipError_tPvRmT3_T4_T5_T6_T7_T9_mT8_P12ihipStream_tbDpT10_ENKUlT_T0_E_clISt17integral_constantIbLb0EES1E_IbLb1EEEEDaS1A_S1B_EUlS1A_E_NS1_11comp_targetILNS1_3genE9ELNS1_11target_archE1100ELNS1_3gpuE3ELNS1_3repE0EEENS1_30default_config_static_selectorELNS0_4arch9wavefront6targetE0EEEvT1_.num_agpr, 0
	.set _ZN7rocprim17ROCPRIM_400000_NS6detail17trampoline_kernelINS0_14default_configENS1_25partition_config_selectorILNS1_17partition_subalgoE5ElNS0_10empty_typeEbEEZZNS1_14partition_implILS5_5ELb0ES3_mN6hipcub16HIPCUB_304000_NS21CountingInputIteratorIllEEPS6_NSA_22TransformInputIteratorIbN2at6native12_GLOBAL__N_19NonZeroOpIN3c107complexINSJ_4HalfEEEEEPKSM_lEENS0_5tupleIJPlS6_EEENSR_IJSD_SD_EEES6_PiJS6_EEE10hipError_tPvRmT3_T4_T5_T6_T7_T9_mT8_P12ihipStream_tbDpT10_ENKUlT_T0_E_clISt17integral_constantIbLb0EES1E_IbLb1EEEEDaS1A_S1B_EUlS1A_E_NS1_11comp_targetILNS1_3genE9ELNS1_11target_archE1100ELNS1_3gpuE3ELNS1_3repE0EEENS1_30default_config_static_selectorELNS0_4arch9wavefront6targetE0EEEvT1_.numbered_sgpr, 0
	.set _ZN7rocprim17ROCPRIM_400000_NS6detail17trampoline_kernelINS0_14default_configENS1_25partition_config_selectorILNS1_17partition_subalgoE5ElNS0_10empty_typeEbEEZZNS1_14partition_implILS5_5ELb0ES3_mN6hipcub16HIPCUB_304000_NS21CountingInputIteratorIllEEPS6_NSA_22TransformInputIteratorIbN2at6native12_GLOBAL__N_19NonZeroOpIN3c107complexINSJ_4HalfEEEEEPKSM_lEENS0_5tupleIJPlS6_EEENSR_IJSD_SD_EEES6_PiJS6_EEE10hipError_tPvRmT3_T4_T5_T6_T7_T9_mT8_P12ihipStream_tbDpT10_ENKUlT_T0_E_clISt17integral_constantIbLb0EES1E_IbLb1EEEEDaS1A_S1B_EUlS1A_E_NS1_11comp_targetILNS1_3genE9ELNS1_11target_archE1100ELNS1_3gpuE3ELNS1_3repE0EEENS1_30default_config_static_selectorELNS0_4arch9wavefront6targetE0EEEvT1_.num_named_barrier, 0
	.set _ZN7rocprim17ROCPRIM_400000_NS6detail17trampoline_kernelINS0_14default_configENS1_25partition_config_selectorILNS1_17partition_subalgoE5ElNS0_10empty_typeEbEEZZNS1_14partition_implILS5_5ELb0ES3_mN6hipcub16HIPCUB_304000_NS21CountingInputIteratorIllEEPS6_NSA_22TransformInputIteratorIbN2at6native12_GLOBAL__N_19NonZeroOpIN3c107complexINSJ_4HalfEEEEEPKSM_lEENS0_5tupleIJPlS6_EEENSR_IJSD_SD_EEES6_PiJS6_EEE10hipError_tPvRmT3_T4_T5_T6_T7_T9_mT8_P12ihipStream_tbDpT10_ENKUlT_T0_E_clISt17integral_constantIbLb0EES1E_IbLb1EEEEDaS1A_S1B_EUlS1A_E_NS1_11comp_targetILNS1_3genE9ELNS1_11target_archE1100ELNS1_3gpuE3ELNS1_3repE0EEENS1_30default_config_static_selectorELNS0_4arch9wavefront6targetE0EEEvT1_.private_seg_size, 0
	.set _ZN7rocprim17ROCPRIM_400000_NS6detail17trampoline_kernelINS0_14default_configENS1_25partition_config_selectorILNS1_17partition_subalgoE5ElNS0_10empty_typeEbEEZZNS1_14partition_implILS5_5ELb0ES3_mN6hipcub16HIPCUB_304000_NS21CountingInputIteratorIllEEPS6_NSA_22TransformInputIteratorIbN2at6native12_GLOBAL__N_19NonZeroOpIN3c107complexINSJ_4HalfEEEEEPKSM_lEENS0_5tupleIJPlS6_EEENSR_IJSD_SD_EEES6_PiJS6_EEE10hipError_tPvRmT3_T4_T5_T6_T7_T9_mT8_P12ihipStream_tbDpT10_ENKUlT_T0_E_clISt17integral_constantIbLb0EES1E_IbLb1EEEEDaS1A_S1B_EUlS1A_E_NS1_11comp_targetILNS1_3genE9ELNS1_11target_archE1100ELNS1_3gpuE3ELNS1_3repE0EEENS1_30default_config_static_selectorELNS0_4arch9wavefront6targetE0EEEvT1_.uses_vcc, 0
	.set _ZN7rocprim17ROCPRIM_400000_NS6detail17trampoline_kernelINS0_14default_configENS1_25partition_config_selectorILNS1_17partition_subalgoE5ElNS0_10empty_typeEbEEZZNS1_14partition_implILS5_5ELb0ES3_mN6hipcub16HIPCUB_304000_NS21CountingInputIteratorIllEEPS6_NSA_22TransformInputIteratorIbN2at6native12_GLOBAL__N_19NonZeroOpIN3c107complexINSJ_4HalfEEEEEPKSM_lEENS0_5tupleIJPlS6_EEENSR_IJSD_SD_EEES6_PiJS6_EEE10hipError_tPvRmT3_T4_T5_T6_T7_T9_mT8_P12ihipStream_tbDpT10_ENKUlT_T0_E_clISt17integral_constantIbLb0EES1E_IbLb1EEEEDaS1A_S1B_EUlS1A_E_NS1_11comp_targetILNS1_3genE9ELNS1_11target_archE1100ELNS1_3gpuE3ELNS1_3repE0EEENS1_30default_config_static_selectorELNS0_4arch9wavefront6targetE0EEEvT1_.uses_flat_scratch, 0
	.set _ZN7rocprim17ROCPRIM_400000_NS6detail17trampoline_kernelINS0_14default_configENS1_25partition_config_selectorILNS1_17partition_subalgoE5ElNS0_10empty_typeEbEEZZNS1_14partition_implILS5_5ELb0ES3_mN6hipcub16HIPCUB_304000_NS21CountingInputIteratorIllEEPS6_NSA_22TransformInputIteratorIbN2at6native12_GLOBAL__N_19NonZeroOpIN3c107complexINSJ_4HalfEEEEEPKSM_lEENS0_5tupleIJPlS6_EEENSR_IJSD_SD_EEES6_PiJS6_EEE10hipError_tPvRmT3_T4_T5_T6_T7_T9_mT8_P12ihipStream_tbDpT10_ENKUlT_T0_E_clISt17integral_constantIbLb0EES1E_IbLb1EEEEDaS1A_S1B_EUlS1A_E_NS1_11comp_targetILNS1_3genE9ELNS1_11target_archE1100ELNS1_3gpuE3ELNS1_3repE0EEENS1_30default_config_static_selectorELNS0_4arch9wavefront6targetE0EEEvT1_.has_dyn_sized_stack, 0
	.set _ZN7rocprim17ROCPRIM_400000_NS6detail17trampoline_kernelINS0_14default_configENS1_25partition_config_selectorILNS1_17partition_subalgoE5ElNS0_10empty_typeEbEEZZNS1_14partition_implILS5_5ELb0ES3_mN6hipcub16HIPCUB_304000_NS21CountingInputIteratorIllEEPS6_NSA_22TransformInputIteratorIbN2at6native12_GLOBAL__N_19NonZeroOpIN3c107complexINSJ_4HalfEEEEEPKSM_lEENS0_5tupleIJPlS6_EEENSR_IJSD_SD_EEES6_PiJS6_EEE10hipError_tPvRmT3_T4_T5_T6_T7_T9_mT8_P12ihipStream_tbDpT10_ENKUlT_T0_E_clISt17integral_constantIbLb0EES1E_IbLb1EEEEDaS1A_S1B_EUlS1A_E_NS1_11comp_targetILNS1_3genE9ELNS1_11target_archE1100ELNS1_3gpuE3ELNS1_3repE0EEENS1_30default_config_static_selectorELNS0_4arch9wavefront6targetE0EEEvT1_.has_recursion, 0
	.set _ZN7rocprim17ROCPRIM_400000_NS6detail17trampoline_kernelINS0_14default_configENS1_25partition_config_selectorILNS1_17partition_subalgoE5ElNS0_10empty_typeEbEEZZNS1_14partition_implILS5_5ELb0ES3_mN6hipcub16HIPCUB_304000_NS21CountingInputIteratorIllEEPS6_NSA_22TransformInputIteratorIbN2at6native12_GLOBAL__N_19NonZeroOpIN3c107complexINSJ_4HalfEEEEEPKSM_lEENS0_5tupleIJPlS6_EEENSR_IJSD_SD_EEES6_PiJS6_EEE10hipError_tPvRmT3_T4_T5_T6_T7_T9_mT8_P12ihipStream_tbDpT10_ENKUlT_T0_E_clISt17integral_constantIbLb0EES1E_IbLb1EEEEDaS1A_S1B_EUlS1A_E_NS1_11comp_targetILNS1_3genE9ELNS1_11target_archE1100ELNS1_3gpuE3ELNS1_3repE0EEENS1_30default_config_static_selectorELNS0_4arch9wavefront6targetE0EEEvT1_.has_indirect_call, 0
	.section	.AMDGPU.csdata,"",@progbits
; Kernel info:
; codeLenInByte = 0
; TotalNumSgprs: 0
; NumVgprs: 0
; ScratchSize: 0
; MemoryBound: 0
; FloatMode: 240
; IeeeMode: 1
; LDSByteSize: 0 bytes/workgroup (compile time only)
; SGPRBlocks: 0
; VGPRBlocks: 0
; NumSGPRsForWavesPerEU: 1
; NumVGPRsForWavesPerEU: 1
; Occupancy: 16
; WaveLimiterHint : 0
; COMPUTE_PGM_RSRC2:SCRATCH_EN: 0
; COMPUTE_PGM_RSRC2:USER_SGPR: 2
; COMPUTE_PGM_RSRC2:TRAP_HANDLER: 0
; COMPUTE_PGM_RSRC2:TGID_X_EN: 1
; COMPUTE_PGM_RSRC2:TGID_Y_EN: 0
; COMPUTE_PGM_RSRC2:TGID_Z_EN: 0
; COMPUTE_PGM_RSRC2:TIDIG_COMP_CNT: 0
	.section	.text._ZN7rocprim17ROCPRIM_400000_NS6detail17trampoline_kernelINS0_14default_configENS1_25partition_config_selectorILNS1_17partition_subalgoE5ElNS0_10empty_typeEbEEZZNS1_14partition_implILS5_5ELb0ES3_mN6hipcub16HIPCUB_304000_NS21CountingInputIteratorIllEEPS6_NSA_22TransformInputIteratorIbN2at6native12_GLOBAL__N_19NonZeroOpIN3c107complexINSJ_4HalfEEEEEPKSM_lEENS0_5tupleIJPlS6_EEENSR_IJSD_SD_EEES6_PiJS6_EEE10hipError_tPvRmT3_T4_T5_T6_T7_T9_mT8_P12ihipStream_tbDpT10_ENKUlT_T0_E_clISt17integral_constantIbLb0EES1E_IbLb1EEEEDaS1A_S1B_EUlS1A_E_NS1_11comp_targetILNS1_3genE8ELNS1_11target_archE1030ELNS1_3gpuE2ELNS1_3repE0EEENS1_30default_config_static_selectorELNS0_4arch9wavefront6targetE0EEEvT1_,"axG",@progbits,_ZN7rocprim17ROCPRIM_400000_NS6detail17trampoline_kernelINS0_14default_configENS1_25partition_config_selectorILNS1_17partition_subalgoE5ElNS0_10empty_typeEbEEZZNS1_14partition_implILS5_5ELb0ES3_mN6hipcub16HIPCUB_304000_NS21CountingInputIteratorIllEEPS6_NSA_22TransformInputIteratorIbN2at6native12_GLOBAL__N_19NonZeroOpIN3c107complexINSJ_4HalfEEEEEPKSM_lEENS0_5tupleIJPlS6_EEENSR_IJSD_SD_EEES6_PiJS6_EEE10hipError_tPvRmT3_T4_T5_T6_T7_T9_mT8_P12ihipStream_tbDpT10_ENKUlT_T0_E_clISt17integral_constantIbLb0EES1E_IbLb1EEEEDaS1A_S1B_EUlS1A_E_NS1_11comp_targetILNS1_3genE8ELNS1_11target_archE1030ELNS1_3gpuE2ELNS1_3repE0EEENS1_30default_config_static_selectorELNS0_4arch9wavefront6targetE0EEEvT1_,comdat
	.globl	_ZN7rocprim17ROCPRIM_400000_NS6detail17trampoline_kernelINS0_14default_configENS1_25partition_config_selectorILNS1_17partition_subalgoE5ElNS0_10empty_typeEbEEZZNS1_14partition_implILS5_5ELb0ES3_mN6hipcub16HIPCUB_304000_NS21CountingInputIteratorIllEEPS6_NSA_22TransformInputIteratorIbN2at6native12_GLOBAL__N_19NonZeroOpIN3c107complexINSJ_4HalfEEEEEPKSM_lEENS0_5tupleIJPlS6_EEENSR_IJSD_SD_EEES6_PiJS6_EEE10hipError_tPvRmT3_T4_T5_T6_T7_T9_mT8_P12ihipStream_tbDpT10_ENKUlT_T0_E_clISt17integral_constantIbLb0EES1E_IbLb1EEEEDaS1A_S1B_EUlS1A_E_NS1_11comp_targetILNS1_3genE8ELNS1_11target_archE1030ELNS1_3gpuE2ELNS1_3repE0EEENS1_30default_config_static_selectorELNS0_4arch9wavefront6targetE0EEEvT1_ ; -- Begin function _ZN7rocprim17ROCPRIM_400000_NS6detail17trampoline_kernelINS0_14default_configENS1_25partition_config_selectorILNS1_17partition_subalgoE5ElNS0_10empty_typeEbEEZZNS1_14partition_implILS5_5ELb0ES3_mN6hipcub16HIPCUB_304000_NS21CountingInputIteratorIllEEPS6_NSA_22TransformInputIteratorIbN2at6native12_GLOBAL__N_19NonZeroOpIN3c107complexINSJ_4HalfEEEEEPKSM_lEENS0_5tupleIJPlS6_EEENSR_IJSD_SD_EEES6_PiJS6_EEE10hipError_tPvRmT3_T4_T5_T6_T7_T9_mT8_P12ihipStream_tbDpT10_ENKUlT_T0_E_clISt17integral_constantIbLb0EES1E_IbLb1EEEEDaS1A_S1B_EUlS1A_E_NS1_11comp_targetILNS1_3genE8ELNS1_11target_archE1030ELNS1_3gpuE2ELNS1_3repE0EEENS1_30default_config_static_selectorELNS0_4arch9wavefront6targetE0EEEvT1_
	.p2align	8
	.type	_ZN7rocprim17ROCPRIM_400000_NS6detail17trampoline_kernelINS0_14default_configENS1_25partition_config_selectorILNS1_17partition_subalgoE5ElNS0_10empty_typeEbEEZZNS1_14partition_implILS5_5ELb0ES3_mN6hipcub16HIPCUB_304000_NS21CountingInputIteratorIllEEPS6_NSA_22TransformInputIteratorIbN2at6native12_GLOBAL__N_19NonZeroOpIN3c107complexINSJ_4HalfEEEEEPKSM_lEENS0_5tupleIJPlS6_EEENSR_IJSD_SD_EEES6_PiJS6_EEE10hipError_tPvRmT3_T4_T5_T6_T7_T9_mT8_P12ihipStream_tbDpT10_ENKUlT_T0_E_clISt17integral_constantIbLb0EES1E_IbLb1EEEEDaS1A_S1B_EUlS1A_E_NS1_11comp_targetILNS1_3genE8ELNS1_11target_archE1030ELNS1_3gpuE2ELNS1_3repE0EEENS1_30default_config_static_selectorELNS0_4arch9wavefront6targetE0EEEvT1_,@function
_ZN7rocprim17ROCPRIM_400000_NS6detail17trampoline_kernelINS0_14default_configENS1_25partition_config_selectorILNS1_17partition_subalgoE5ElNS0_10empty_typeEbEEZZNS1_14partition_implILS5_5ELb0ES3_mN6hipcub16HIPCUB_304000_NS21CountingInputIteratorIllEEPS6_NSA_22TransformInputIteratorIbN2at6native12_GLOBAL__N_19NonZeroOpIN3c107complexINSJ_4HalfEEEEEPKSM_lEENS0_5tupleIJPlS6_EEENSR_IJSD_SD_EEES6_PiJS6_EEE10hipError_tPvRmT3_T4_T5_T6_T7_T9_mT8_P12ihipStream_tbDpT10_ENKUlT_T0_E_clISt17integral_constantIbLb0EES1E_IbLb1EEEEDaS1A_S1B_EUlS1A_E_NS1_11comp_targetILNS1_3genE8ELNS1_11target_archE1030ELNS1_3gpuE2ELNS1_3repE0EEENS1_30default_config_static_selectorELNS0_4arch9wavefront6targetE0EEEvT1_: ; @_ZN7rocprim17ROCPRIM_400000_NS6detail17trampoline_kernelINS0_14default_configENS1_25partition_config_selectorILNS1_17partition_subalgoE5ElNS0_10empty_typeEbEEZZNS1_14partition_implILS5_5ELb0ES3_mN6hipcub16HIPCUB_304000_NS21CountingInputIteratorIllEEPS6_NSA_22TransformInputIteratorIbN2at6native12_GLOBAL__N_19NonZeroOpIN3c107complexINSJ_4HalfEEEEEPKSM_lEENS0_5tupleIJPlS6_EEENSR_IJSD_SD_EEES6_PiJS6_EEE10hipError_tPvRmT3_T4_T5_T6_T7_T9_mT8_P12ihipStream_tbDpT10_ENKUlT_T0_E_clISt17integral_constantIbLb0EES1E_IbLb1EEEEDaS1A_S1B_EUlS1A_E_NS1_11comp_targetILNS1_3genE8ELNS1_11target_archE1030ELNS1_3gpuE2ELNS1_3repE0EEENS1_30default_config_static_selectorELNS0_4arch9wavefront6targetE0EEEvT1_
; %bb.0:
	.section	.rodata,"a",@progbits
	.p2align	6, 0x0
	.amdhsa_kernel _ZN7rocprim17ROCPRIM_400000_NS6detail17trampoline_kernelINS0_14default_configENS1_25partition_config_selectorILNS1_17partition_subalgoE5ElNS0_10empty_typeEbEEZZNS1_14partition_implILS5_5ELb0ES3_mN6hipcub16HIPCUB_304000_NS21CountingInputIteratorIllEEPS6_NSA_22TransformInputIteratorIbN2at6native12_GLOBAL__N_19NonZeroOpIN3c107complexINSJ_4HalfEEEEEPKSM_lEENS0_5tupleIJPlS6_EEENSR_IJSD_SD_EEES6_PiJS6_EEE10hipError_tPvRmT3_T4_T5_T6_T7_T9_mT8_P12ihipStream_tbDpT10_ENKUlT_T0_E_clISt17integral_constantIbLb0EES1E_IbLb1EEEEDaS1A_S1B_EUlS1A_E_NS1_11comp_targetILNS1_3genE8ELNS1_11target_archE1030ELNS1_3gpuE2ELNS1_3repE0EEENS1_30default_config_static_selectorELNS0_4arch9wavefront6targetE0EEEvT1_
		.amdhsa_group_segment_fixed_size 0
		.amdhsa_private_segment_fixed_size 0
		.amdhsa_kernarg_size 136
		.amdhsa_user_sgpr_count 2
		.amdhsa_user_sgpr_dispatch_ptr 0
		.amdhsa_user_sgpr_queue_ptr 0
		.amdhsa_user_sgpr_kernarg_segment_ptr 1
		.amdhsa_user_sgpr_dispatch_id 0
		.amdhsa_user_sgpr_private_segment_size 0
		.amdhsa_wavefront_size32 1
		.amdhsa_uses_dynamic_stack 0
		.amdhsa_enable_private_segment 0
		.amdhsa_system_sgpr_workgroup_id_x 1
		.amdhsa_system_sgpr_workgroup_id_y 0
		.amdhsa_system_sgpr_workgroup_id_z 0
		.amdhsa_system_sgpr_workgroup_info 0
		.amdhsa_system_vgpr_workitem_id 0
		.amdhsa_next_free_vgpr 1
		.amdhsa_next_free_sgpr 1
		.amdhsa_reserve_vcc 0
		.amdhsa_float_round_mode_32 0
		.amdhsa_float_round_mode_16_64 0
		.amdhsa_float_denorm_mode_32 3
		.amdhsa_float_denorm_mode_16_64 3
		.amdhsa_fp16_overflow 0
		.amdhsa_workgroup_processor_mode 1
		.amdhsa_memory_ordered 1
		.amdhsa_forward_progress 1
		.amdhsa_inst_pref_size 0
		.amdhsa_round_robin_scheduling 0
		.amdhsa_exception_fp_ieee_invalid_op 0
		.amdhsa_exception_fp_denorm_src 0
		.amdhsa_exception_fp_ieee_div_zero 0
		.amdhsa_exception_fp_ieee_overflow 0
		.amdhsa_exception_fp_ieee_underflow 0
		.amdhsa_exception_fp_ieee_inexact 0
		.amdhsa_exception_int_div_zero 0
	.end_amdhsa_kernel
	.section	.text._ZN7rocprim17ROCPRIM_400000_NS6detail17trampoline_kernelINS0_14default_configENS1_25partition_config_selectorILNS1_17partition_subalgoE5ElNS0_10empty_typeEbEEZZNS1_14partition_implILS5_5ELb0ES3_mN6hipcub16HIPCUB_304000_NS21CountingInputIteratorIllEEPS6_NSA_22TransformInputIteratorIbN2at6native12_GLOBAL__N_19NonZeroOpIN3c107complexINSJ_4HalfEEEEEPKSM_lEENS0_5tupleIJPlS6_EEENSR_IJSD_SD_EEES6_PiJS6_EEE10hipError_tPvRmT3_T4_T5_T6_T7_T9_mT8_P12ihipStream_tbDpT10_ENKUlT_T0_E_clISt17integral_constantIbLb0EES1E_IbLb1EEEEDaS1A_S1B_EUlS1A_E_NS1_11comp_targetILNS1_3genE8ELNS1_11target_archE1030ELNS1_3gpuE2ELNS1_3repE0EEENS1_30default_config_static_selectorELNS0_4arch9wavefront6targetE0EEEvT1_,"axG",@progbits,_ZN7rocprim17ROCPRIM_400000_NS6detail17trampoline_kernelINS0_14default_configENS1_25partition_config_selectorILNS1_17partition_subalgoE5ElNS0_10empty_typeEbEEZZNS1_14partition_implILS5_5ELb0ES3_mN6hipcub16HIPCUB_304000_NS21CountingInputIteratorIllEEPS6_NSA_22TransformInputIteratorIbN2at6native12_GLOBAL__N_19NonZeroOpIN3c107complexINSJ_4HalfEEEEEPKSM_lEENS0_5tupleIJPlS6_EEENSR_IJSD_SD_EEES6_PiJS6_EEE10hipError_tPvRmT3_T4_T5_T6_T7_T9_mT8_P12ihipStream_tbDpT10_ENKUlT_T0_E_clISt17integral_constantIbLb0EES1E_IbLb1EEEEDaS1A_S1B_EUlS1A_E_NS1_11comp_targetILNS1_3genE8ELNS1_11target_archE1030ELNS1_3gpuE2ELNS1_3repE0EEENS1_30default_config_static_selectorELNS0_4arch9wavefront6targetE0EEEvT1_,comdat
.Lfunc_end693:
	.size	_ZN7rocprim17ROCPRIM_400000_NS6detail17trampoline_kernelINS0_14default_configENS1_25partition_config_selectorILNS1_17partition_subalgoE5ElNS0_10empty_typeEbEEZZNS1_14partition_implILS5_5ELb0ES3_mN6hipcub16HIPCUB_304000_NS21CountingInputIteratorIllEEPS6_NSA_22TransformInputIteratorIbN2at6native12_GLOBAL__N_19NonZeroOpIN3c107complexINSJ_4HalfEEEEEPKSM_lEENS0_5tupleIJPlS6_EEENSR_IJSD_SD_EEES6_PiJS6_EEE10hipError_tPvRmT3_T4_T5_T6_T7_T9_mT8_P12ihipStream_tbDpT10_ENKUlT_T0_E_clISt17integral_constantIbLb0EES1E_IbLb1EEEEDaS1A_S1B_EUlS1A_E_NS1_11comp_targetILNS1_3genE8ELNS1_11target_archE1030ELNS1_3gpuE2ELNS1_3repE0EEENS1_30default_config_static_selectorELNS0_4arch9wavefront6targetE0EEEvT1_, .Lfunc_end693-_ZN7rocprim17ROCPRIM_400000_NS6detail17trampoline_kernelINS0_14default_configENS1_25partition_config_selectorILNS1_17partition_subalgoE5ElNS0_10empty_typeEbEEZZNS1_14partition_implILS5_5ELb0ES3_mN6hipcub16HIPCUB_304000_NS21CountingInputIteratorIllEEPS6_NSA_22TransformInputIteratorIbN2at6native12_GLOBAL__N_19NonZeroOpIN3c107complexINSJ_4HalfEEEEEPKSM_lEENS0_5tupleIJPlS6_EEENSR_IJSD_SD_EEES6_PiJS6_EEE10hipError_tPvRmT3_T4_T5_T6_T7_T9_mT8_P12ihipStream_tbDpT10_ENKUlT_T0_E_clISt17integral_constantIbLb0EES1E_IbLb1EEEEDaS1A_S1B_EUlS1A_E_NS1_11comp_targetILNS1_3genE8ELNS1_11target_archE1030ELNS1_3gpuE2ELNS1_3repE0EEENS1_30default_config_static_selectorELNS0_4arch9wavefront6targetE0EEEvT1_
                                        ; -- End function
	.set _ZN7rocprim17ROCPRIM_400000_NS6detail17trampoline_kernelINS0_14default_configENS1_25partition_config_selectorILNS1_17partition_subalgoE5ElNS0_10empty_typeEbEEZZNS1_14partition_implILS5_5ELb0ES3_mN6hipcub16HIPCUB_304000_NS21CountingInputIteratorIllEEPS6_NSA_22TransformInputIteratorIbN2at6native12_GLOBAL__N_19NonZeroOpIN3c107complexINSJ_4HalfEEEEEPKSM_lEENS0_5tupleIJPlS6_EEENSR_IJSD_SD_EEES6_PiJS6_EEE10hipError_tPvRmT3_T4_T5_T6_T7_T9_mT8_P12ihipStream_tbDpT10_ENKUlT_T0_E_clISt17integral_constantIbLb0EES1E_IbLb1EEEEDaS1A_S1B_EUlS1A_E_NS1_11comp_targetILNS1_3genE8ELNS1_11target_archE1030ELNS1_3gpuE2ELNS1_3repE0EEENS1_30default_config_static_selectorELNS0_4arch9wavefront6targetE0EEEvT1_.num_vgpr, 0
	.set _ZN7rocprim17ROCPRIM_400000_NS6detail17trampoline_kernelINS0_14default_configENS1_25partition_config_selectorILNS1_17partition_subalgoE5ElNS0_10empty_typeEbEEZZNS1_14partition_implILS5_5ELb0ES3_mN6hipcub16HIPCUB_304000_NS21CountingInputIteratorIllEEPS6_NSA_22TransformInputIteratorIbN2at6native12_GLOBAL__N_19NonZeroOpIN3c107complexINSJ_4HalfEEEEEPKSM_lEENS0_5tupleIJPlS6_EEENSR_IJSD_SD_EEES6_PiJS6_EEE10hipError_tPvRmT3_T4_T5_T6_T7_T9_mT8_P12ihipStream_tbDpT10_ENKUlT_T0_E_clISt17integral_constantIbLb0EES1E_IbLb1EEEEDaS1A_S1B_EUlS1A_E_NS1_11comp_targetILNS1_3genE8ELNS1_11target_archE1030ELNS1_3gpuE2ELNS1_3repE0EEENS1_30default_config_static_selectorELNS0_4arch9wavefront6targetE0EEEvT1_.num_agpr, 0
	.set _ZN7rocprim17ROCPRIM_400000_NS6detail17trampoline_kernelINS0_14default_configENS1_25partition_config_selectorILNS1_17partition_subalgoE5ElNS0_10empty_typeEbEEZZNS1_14partition_implILS5_5ELb0ES3_mN6hipcub16HIPCUB_304000_NS21CountingInputIteratorIllEEPS6_NSA_22TransformInputIteratorIbN2at6native12_GLOBAL__N_19NonZeroOpIN3c107complexINSJ_4HalfEEEEEPKSM_lEENS0_5tupleIJPlS6_EEENSR_IJSD_SD_EEES6_PiJS6_EEE10hipError_tPvRmT3_T4_T5_T6_T7_T9_mT8_P12ihipStream_tbDpT10_ENKUlT_T0_E_clISt17integral_constantIbLb0EES1E_IbLb1EEEEDaS1A_S1B_EUlS1A_E_NS1_11comp_targetILNS1_3genE8ELNS1_11target_archE1030ELNS1_3gpuE2ELNS1_3repE0EEENS1_30default_config_static_selectorELNS0_4arch9wavefront6targetE0EEEvT1_.numbered_sgpr, 0
	.set _ZN7rocprim17ROCPRIM_400000_NS6detail17trampoline_kernelINS0_14default_configENS1_25partition_config_selectorILNS1_17partition_subalgoE5ElNS0_10empty_typeEbEEZZNS1_14partition_implILS5_5ELb0ES3_mN6hipcub16HIPCUB_304000_NS21CountingInputIteratorIllEEPS6_NSA_22TransformInputIteratorIbN2at6native12_GLOBAL__N_19NonZeroOpIN3c107complexINSJ_4HalfEEEEEPKSM_lEENS0_5tupleIJPlS6_EEENSR_IJSD_SD_EEES6_PiJS6_EEE10hipError_tPvRmT3_T4_T5_T6_T7_T9_mT8_P12ihipStream_tbDpT10_ENKUlT_T0_E_clISt17integral_constantIbLb0EES1E_IbLb1EEEEDaS1A_S1B_EUlS1A_E_NS1_11comp_targetILNS1_3genE8ELNS1_11target_archE1030ELNS1_3gpuE2ELNS1_3repE0EEENS1_30default_config_static_selectorELNS0_4arch9wavefront6targetE0EEEvT1_.num_named_barrier, 0
	.set _ZN7rocprim17ROCPRIM_400000_NS6detail17trampoline_kernelINS0_14default_configENS1_25partition_config_selectorILNS1_17partition_subalgoE5ElNS0_10empty_typeEbEEZZNS1_14partition_implILS5_5ELb0ES3_mN6hipcub16HIPCUB_304000_NS21CountingInputIteratorIllEEPS6_NSA_22TransformInputIteratorIbN2at6native12_GLOBAL__N_19NonZeroOpIN3c107complexINSJ_4HalfEEEEEPKSM_lEENS0_5tupleIJPlS6_EEENSR_IJSD_SD_EEES6_PiJS6_EEE10hipError_tPvRmT3_T4_T5_T6_T7_T9_mT8_P12ihipStream_tbDpT10_ENKUlT_T0_E_clISt17integral_constantIbLb0EES1E_IbLb1EEEEDaS1A_S1B_EUlS1A_E_NS1_11comp_targetILNS1_3genE8ELNS1_11target_archE1030ELNS1_3gpuE2ELNS1_3repE0EEENS1_30default_config_static_selectorELNS0_4arch9wavefront6targetE0EEEvT1_.private_seg_size, 0
	.set _ZN7rocprim17ROCPRIM_400000_NS6detail17trampoline_kernelINS0_14default_configENS1_25partition_config_selectorILNS1_17partition_subalgoE5ElNS0_10empty_typeEbEEZZNS1_14partition_implILS5_5ELb0ES3_mN6hipcub16HIPCUB_304000_NS21CountingInputIteratorIllEEPS6_NSA_22TransformInputIteratorIbN2at6native12_GLOBAL__N_19NonZeroOpIN3c107complexINSJ_4HalfEEEEEPKSM_lEENS0_5tupleIJPlS6_EEENSR_IJSD_SD_EEES6_PiJS6_EEE10hipError_tPvRmT3_T4_T5_T6_T7_T9_mT8_P12ihipStream_tbDpT10_ENKUlT_T0_E_clISt17integral_constantIbLb0EES1E_IbLb1EEEEDaS1A_S1B_EUlS1A_E_NS1_11comp_targetILNS1_3genE8ELNS1_11target_archE1030ELNS1_3gpuE2ELNS1_3repE0EEENS1_30default_config_static_selectorELNS0_4arch9wavefront6targetE0EEEvT1_.uses_vcc, 0
	.set _ZN7rocprim17ROCPRIM_400000_NS6detail17trampoline_kernelINS0_14default_configENS1_25partition_config_selectorILNS1_17partition_subalgoE5ElNS0_10empty_typeEbEEZZNS1_14partition_implILS5_5ELb0ES3_mN6hipcub16HIPCUB_304000_NS21CountingInputIteratorIllEEPS6_NSA_22TransformInputIteratorIbN2at6native12_GLOBAL__N_19NonZeroOpIN3c107complexINSJ_4HalfEEEEEPKSM_lEENS0_5tupleIJPlS6_EEENSR_IJSD_SD_EEES6_PiJS6_EEE10hipError_tPvRmT3_T4_T5_T6_T7_T9_mT8_P12ihipStream_tbDpT10_ENKUlT_T0_E_clISt17integral_constantIbLb0EES1E_IbLb1EEEEDaS1A_S1B_EUlS1A_E_NS1_11comp_targetILNS1_3genE8ELNS1_11target_archE1030ELNS1_3gpuE2ELNS1_3repE0EEENS1_30default_config_static_selectorELNS0_4arch9wavefront6targetE0EEEvT1_.uses_flat_scratch, 0
	.set _ZN7rocprim17ROCPRIM_400000_NS6detail17trampoline_kernelINS0_14default_configENS1_25partition_config_selectorILNS1_17partition_subalgoE5ElNS0_10empty_typeEbEEZZNS1_14partition_implILS5_5ELb0ES3_mN6hipcub16HIPCUB_304000_NS21CountingInputIteratorIllEEPS6_NSA_22TransformInputIteratorIbN2at6native12_GLOBAL__N_19NonZeroOpIN3c107complexINSJ_4HalfEEEEEPKSM_lEENS0_5tupleIJPlS6_EEENSR_IJSD_SD_EEES6_PiJS6_EEE10hipError_tPvRmT3_T4_T5_T6_T7_T9_mT8_P12ihipStream_tbDpT10_ENKUlT_T0_E_clISt17integral_constantIbLb0EES1E_IbLb1EEEEDaS1A_S1B_EUlS1A_E_NS1_11comp_targetILNS1_3genE8ELNS1_11target_archE1030ELNS1_3gpuE2ELNS1_3repE0EEENS1_30default_config_static_selectorELNS0_4arch9wavefront6targetE0EEEvT1_.has_dyn_sized_stack, 0
	.set _ZN7rocprim17ROCPRIM_400000_NS6detail17trampoline_kernelINS0_14default_configENS1_25partition_config_selectorILNS1_17partition_subalgoE5ElNS0_10empty_typeEbEEZZNS1_14partition_implILS5_5ELb0ES3_mN6hipcub16HIPCUB_304000_NS21CountingInputIteratorIllEEPS6_NSA_22TransformInputIteratorIbN2at6native12_GLOBAL__N_19NonZeroOpIN3c107complexINSJ_4HalfEEEEEPKSM_lEENS0_5tupleIJPlS6_EEENSR_IJSD_SD_EEES6_PiJS6_EEE10hipError_tPvRmT3_T4_T5_T6_T7_T9_mT8_P12ihipStream_tbDpT10_ENKUlT_T0_E_clISt17integral_constantIbLb0EES1E_IbLb1EEEEDaS1A_S1B_EUlS1A_E_NS1_11comp_targetILNS1_3genE8ELNS1_11target_archE1030ELNS1_3gpuE2ELNS1_3repE0EEENS1_30default_config_static_selectorELNS0_4arch9wavefront6targetE0EEEvT1_.has_recursion, 0
	.set _ZN7rocprim17ROCPRIM_400000_NS6detail17trampoline_kernelINS0_14default_configENS1_25partition_config_selectorILNS1_17partition_subalgoE5ElNS0_10empty_typeEbEEZZNS1_14partition_implILS5_5ELb0ES3_mN6hipcub16HIPCUB_304000_NS21CountingInputIteratorIllEEPS6_NSA_22TransformInputIteratorIbN2at6native12_GLOBAL__N_19NonZeroOpIN3c107complexINSJ_4HalfEEEEEPKSM_lEENS0_5tupleIJPlS6_EEENSR_IJSD_SD_EEES6_PiJS6_EEE10hipError_tPvRmT3_T4_T5_T6_T7_T9_mT8_P12ihipStream_tbDpT10_ENKUlT_T0_E_clISt17integral_constantIbLb0EES1E_IbLb1EEEEDaS1A_S1B_EUlS1A_E_NS1_11comp_targetILNS1_3genE8ELNS1_11target_archE1030ELNS1_3gpuE2ELNS1_3repE0EEENS1_30default_config_static_selectorELNS0_4arch9wavefront6targetE0EEEvT1_.has_indirect_call, 0
	.section	.AMDGPU.csdata,"",@progbits
; Kernel info:
; codeLenInByte = 0
; TotalNumSgprs: 0
; NumVgprs: 0
; ScratchSize: 0
; MemoryBound: 0
; FloatMode: 240
; IeeeMode: 1
; LDSByteSize: 0 bytes/workgroup (compile time only)
; SGPRBlocks: 0
; VGPRBlocks: 0
; NumSGPRsForWavesPerEU: 1
; NumVGPRsForWavesPerEU: 1
; Occupancy: 16
; WaveLimiterHint : 0
; COMPUTE_PGM_RSRC2:SCRATCH_EN: 0
; COMPUTE_PGM_RSRC2:USER_SGPR: 2
; COMPUTE_PGM_RSRC2:TRAP_HANDLER: 0
; COMPUTE_PGM_RSRC2:TGID_X_EN: 1
; COMPUTE_PGM_RSRC2:TGID_Y_EN: 0
; COMPUTE_PGM_RSRC2:TGID_Z_EN: 0
; COMPUTE_PGM_RSRC2:TIDIG_COMP_CNT: 0
	.section	.text._ZN7rocprim17ROCPRIM_400000_NS6detail17trampoline_kernelINS0_14default_configENS1_22reduce_config_selectorIiEEZNS1_11reduce_implILb1ES3_PiS7_iN6hipcub16HIPCUB_304000_NS6detail34convert_binary_result_type_wrapperINS9_3SumENS9_22TransformInputIteratorIbN2at6native12_GLOBAL__N_19NonZeroOpIbEEPKblEEiEEEE10hipError_tPvRmT1_T2_T3_mT4_P12ihipStream_tbEUlT_E0_NS1_11comp_targetILNS1_3genE0ELNS1_11target_archE4294967295ELNS1_3gpuE0ELNS1_3repE0EEENS1_30default_config_static_selectorELNS0_4arch9wavefront6targetE0EEEvSQ_,"axG",@progbits,_ZN7rocprim17ROCPRIM_400000_NS6detail17trampoline_kernelINS0_14default_configENS1_22reduce_config_selectorIiEEZNS1_11reduce_implILb1ES3_PiS7_iN6hipcub16HIPCUB_304000_NS6detail34convert_binary_result_type_wrapperINS9_3SumENS9_22TransformInputIteratorIbN2at6native12_GLOBAL__N_19NonZeroOpIbEEPKblEEiEEEE10hipError_tPvRmT1_T2_T3_mT4_P12ihipStream_tbEUlT_E0_NS1_11comp_targetILNS1_3genE0ELNS1_11target_archE4294967295ELNS1_3gpuE0ELNS1_3repE0EEENS1_30default_config_static_selectorELNS0_4arch9wavefront6targetE0EEEvSQ_,comdat
	.globl	_ZN7rocprim17ROCPRIM_400000_NS6detail17trampoline_kernelINS0_14default_configENS1_22reduce_config_selectorIiEEZNS1_11reduce_implILb1ES3_PiS7_iN6hipcub16HIPCUB_304000_NS6detail34convert_binary_result_type_wrapperINS9_3SumENS9_22TransformInputIteratorIbN2at6native12_GLOBAL__N_19NonZeroOpIbEEPKblEEiEEEE10hipError_tPvRmT1_T2_T3_mT4_P12ihipStream_tbEUlT_E0_NS1_11comp_targetILNS1_3genE0ELNS1_11target_archE4294967295ELNS1_3gpuE0ELNS1_3repE0EEENS1_30default_config_static_selectorELNS0_4arch9wavefront6targetE0EEEvSQ_ ; -- Begin function _ZN7rocprim17ROCPRIM_400000_NS6detail17trampoline_kernelINS0_14default_configENS1_22reduce_config_selectorIiEEZNS1_11reduce_implILb1ES3_PiS7_iN6hipcub16HIPCUB_304000_NS6detail34convert_binary_result_type_wrapperINS9_3SumENS9_22TransformInputIteratorIbN2at6native12_GLOBAL__N_19NonZeroOpIbEEPKblEEiEEEE10hipError_tPvRmT1_T2_T3_mT4_P12ihipStream_tbEUlT_E0_NS1_11comp_targetILNS1_3genE0ELNS1_11target_archE4294967295ELNS1_3gpuE0ELNS1_3repE0EEENS1_30default_config_static_selectorELNS0_4arch9wavefront6targetE0EEEvSQ_
	.p2align	8
	.type	_ZN7rocprim17ROCPRIM_400000_NS6detail17trampoline_kernelINS0_14default_configENS1_22reduce_config_selectorIiEEZNS1_11reduce_implILb1ES3_PiS7_iN6hipcub16HIPCUB_304000_NS6detail34convert_binary_result_type_wrapperINS9_3SumENS9_22TransformInputIteratorIbN2at6native12_GLOBAL__N_19NonZeroOpIbEEPKblEEiEEEE10hipError_tPvRmT1_T2_T3_mT4_P12ihipStream_tbEUlT_E0_NS1_11comp_targetILNS1_3genE0ELNS1_11target_archE4294967295ELNS1_3gpuE0ELNS1_3repE0EEENS1_30default_config_static_selectorELNS0_4arch9wavefront6targetE0EEEvSQ_,@function
_ZN7rocprim17ROCPRIM_400000_NS6detail17trampoline_kernelINS0_14default_configENS1_22reduce_config_selectorIiEEZNS1_11reduce_implILb1ES3_PiS7_iN6hipcub16HIPCUB_304000_NS6detail34convert_binary_result_type_wrapperINS9_3SumENS9_22TransformInputIteratorIbN2at6native12_GLOBAL__N_19NonZeroOpIbEEPKblEEiEEEE10hipError_tPvRmT1_T2_T3_mT4_P12ihipStream_tbEUlT_E0_NS1_11comp_targetILNS1_3genE0ELNS1_11target_archE4294967295ELNS1_3gpuE0ELNS1_3repE0EEENS1_30default_config_static_selectorELNS0_4arch9wavefront6targetE0EEEvSQ_: ; @_ZN7rocprim17ROCPRIM_400000_NS6detail17trampoline_kernelINS0_14default_configENS1_22reduce_config_selectorIiEEZNS1_11reduce_implILb1ES3_PiS7_iN6hipcub16HIPCUB_304000_NS6detail34convert_binary_result_type_wrapperINS9_3SumENS9_22TransformInputIteratorIbN2at6native12_GLOBAL__N_19NonZeroOpIbEEPKblEEiEEEE10hipError_tPvRmT1_T2_T3_mT4_P12ihipStream_tbEUlT_E0_NS1_11comp_targetILNS1_3genE0ELNS1_11target_archE4294967295ELNS1_3gpuE0ELNS1_3repE0EEENS1_30default_config_static_selectorELNS0_4arch9wavefront6targetE0EEEvSQ_
; %bb.0:
	.section	.rodata,"a",@progbits
	.p2align	6, 0x0
	.amdhsa_kernel _ZN7rocprim17ROCPRIM_400000_NS6detail17trampoline_kernelINS0_14default_configENS1_22reduce_config_selectorIiEEZNS1_11reduce_implILb1ES3_PiS7_iN6hipcub16HIPCUB_304000_NS6detail34convert_binary_result_type_wrapperINS9_3SumENS9_22TransformInputIteratorIbN2at6native12_GLOBAL__N_19NonZeroOpIbEEPKblEEiEEEE10hipError_tPvRmT1_T2_T3_mT4_P12ihipStream_tbEUlT_E0_NS1_11comp_targetILNS1_3genE0ELNS1_11target_archE4294967295ELNS1_3gpuE0ELNS1_3repE0EEENS1_30default_config_static_selectorELNS0_4arch9wavefront6targetE0EEEvSQ_
		.amdhsa_group_segment_fixed_size 0
		.amdhsa_private_segment_fixed_size 0
		.amdhsa_kernarg_size 56
		.amdhsa_user_sgpr_count 2
		.amdhsa_user_sgpr_dispatch_ptr 0
		.amdhsa_user_sgpr_queue_ptr 0
		.amdhsa_user_sgpr_kernarg_segment_ptr 1
		.amdhsa_user_sgpr_dispatch_id 0
		.amdhsa_user_sgpr_private_segment_size 0
		.amdhsa_wavefront_size32 1
		.amdhsa_uses_dynamic_stack 0
		.amdhsa_enable_private_segment 0
		.amdhsa_system_sgpr_workgroup_id_x 1
		.amdhsa_system_sgpr_workgroup_id_y 0
		.amdhsa_system_sgpr_workgroup_id_z 0
		.amdhsa_system_sgpr_workgroup_info 0
		.amdhsa_system_vgpr_workitem_id 0
		.amdhsa_next_free_vgpr 1
		.amdhsa_next_free_sgpr 1
		.amdhsa_reserve_vcc 0
		.amdhsa_float_round_mode_32 0
		.amdhsa_float_round_mode_16_64 0
		.amdhsa_float_denorm_mode_32 3
		.amdhsa_float_denorm_mode_16_64 3
		.amdhsa_fp16_overflow 0
		.amdhsa_workgroup_processor_mode 1
		.amdhsa_memory_ordered 1
		.amdhsa_forward_progress 1
		.amdhsa_inst_pref_size 0
		.amdhsa_round_robin_scheduling 0
		.amdhsa_exception_fp_ieee_invalid_op 0
		.amdhsa_exception_fp_denorm_src 0
		.amdhsa_exception_fp_ieee_div_zero 0
		.amdhsa_exception_fp_ieee_overflow 0
		.amdhsa_exception_fp_ieee_underflow 0
		.amdhsa_exception_fp_ieee_inexact 0
		.amdhsa_exception_int_div_zero 0
	.end_amdhsa_kernel
	.section	.text._ZN7rocprim17ROCPRIM_400000_NS6detail17trampoline_kernelINS0_14default_configENS1_22reduce_config_selectorIiEEZNS1_11reduce_implILb1ES3_PiS7_iN6hipcub16HIPCUB_304000_NS6detail34convert_binary_result_type_wrapperINS9_3SumENS9_22TransformInputIteratorIbN2at6native12_GLOBAL__N_19NonZeroOpIbEEPKblEEiEEEE10hipError_tPvRmT1_T2_T3_mT4_P12ihipStream_tbEUlT_E0_NS1_11comp_targetILNS1_3genE0ELNS1_11target_archE4294967295ELNS1_3gpuE0ELNS1_3repE0EEENS1_30default_config_static_selectorELNS0_4arch9wavefront6targetE0EEEvSQ_,"axG",@progbits,_ZN7rocprim17ROCPRIM_400000_NS6detail17trampoline_kernelINS0_14default_configENS1_22reduce_config_selectorIiEEZNS1_11reduce_implILb1ES3_PiS7_iN6hipcub16HIPCUB_304000_NS6detail34convert_binary_result_type_wrapperINS9_3SumENS9_22TransformInputIteratorIbN2at6native12_GLOBAL__N_19NonZeroOpIbEEPKblEEiEEEE10hipError_tPvRmT1_T2_T3_mT4_P12ihipStream_tbEUlT_E0_NS1_11comp_targetILNS1_3genE0ELNS1_11target_archE4294967295ELNS1_3gpuE0ELNS1_3repE0EEENS1_30default_config_static_selectorELNS0_4arch9wavefront6targetE0EEEvSQ_,comdat
.Lfunc_end694:
	.size	_ZN7rocprim17ROCPRIM_400000_NS6detail17trampoline_kernelINS0_14default_configENS1_22reduce_config_selectorIiEEZNS1_11reduce_implILb1ES3_PiS7_iN6hipcub16HIPCUB_304000_NS6detail34convert_binary_result_type_wrapperINS9_3SumENS9_22TransformInputIteratorIbN2at6native12_GLOBAL__N_19NonZeroOpIbEEPKblEEiEEEE10hipError_tPvRmT1_T2_T3_mT4_P12ihipStream_tbEUlT_E0_NS1_11comp_targetILNS1_3genE0ELNS1_11target_archE4294967295ELNS1_3gpuE0ELNS1_3repE0EEENS1_30default_config_static_selectorELNS0_4arch9wavefront6targetE0EEEvSQ_, .Lfunc_end694-_ZN7rocprim17ROCPRIM_400000_NS6detail17trampoline_kernelINS0_14default_configENS1_22reduce_config_selectorIiEEZNS1_11reduce_implILb1ES3_PiS7_iN6hipcub16HIPCUB_304000_NS6detail34convert_binary_result_type_wrapperINS9_3SumENS9_22TransformInputIteratorIbN2at6native12_GLOBAL__N_19NonZeroOpIbEEPKblEEiEEEE10hipError_tPvRmT1_T2_T3_mT4_P12ihipStream_tbEUlT_E0_NS1_11comp_targetILNS1_3genE0ELNS1_11target_archE4294967295ELNS1_3gpuE0ELNS1_3repE0EEENS1_30default_config_static_selectorELNS0_4arch9wavefront6targetE0EEEvSQ_
                                        ; -- End function
	.set _ZN7rocprim17ROCPRIM_400000_NS6detail17trampoline_kernelINS0_14default_configENS1_22reduce_config_selectorIiEEZNS1_11reduce_implILb1ES3_PiS7_iN6hipcub16HIPCUB_304000_NS6detail34convert_binary_result_type_wrapperINS9_3SumENS9_22TransformInputIteratorIbN2at6native12_GLOBAL__N_19NonZeroOpIbEEPKblEEiEEEE10hipError_tPvRmT1_T2_T3_mT4_P12ihipStream_tbEUlT_E0_NS1_11comp_targetILNS1_3genE0ELNS1_11target_archE4294967295ELNS1_3gpuE0ELNS1_3repE0EEENS1_30default_config_static_selectorELNS0_4arch9wavefront6targetE0EEEvSQ_.num_vgpr, 0
	.set _ZN7rocprim17ROCPRIM_400000_NS6detail17trampoline_kernelINS0_14default_configENS1_22reduce_config_selectorIiEEZNS1_11reduce_implILb1ES3_PiS7_iN6hipcub16HIPCUB_304000_NS6detail34convert_binary_result_type_wrapperINS9_3SumENS9_22TransformInputIteratorIbN2at6native12_GLOBAL__N_19NonZeroOpIbEEPKblEEiEEEE10hipError_tPvRmT1_T2_T3_mT4_P12ihipStream_tbEUlT_E0_NS1_11comp_targetILNS1_3genE0ELNS1_11target_archE4294967295ELNS1_3gpuE0ELNS1_3repE0EEENS1_30default_config_static_selectorELNS0_4arch9wavefront6targetE0EEEvSQ_.num_agpr, 0
	.set _ZN7rocprim17ROCPRIM_400000_NS6detail17trampoline_kernelINS0_14default_configENS1_22reduce_config_selectorIiEEZNS1_11reduce_implILb1ES3_PiS7_iN6hipcub16HIPCUB_304000_NS6detail34convert_binary_result_type_wrapperINS9_3SumENS9_22TransformInputIteratorIbN2at6native12_GLOBAL__N_19NonZeroOpIbEEPKblEEiEEEE10hipError_tPvRmT1_T2_T3_mT4_P12ihipStream_tbEUlT_E0_NS1_11comp_targetILNS1_3genE0ELNS1_11target_archE4294967295ELNS1_3gpuE0ELNS1_3repE0EEENS1_30default_config_static_selectorELNS0_4arch9wavefront6targetE0EEEvSQ_.numbered_sgpr, 0
	.set _ZN7rocprim17ROCPRIM_400000_NS6detail17trampoline_kernelINS0_14default_configENS1_22reduce_config_selectorIiEEZNS1_11reduce_implILb1ES3_PiS7_iN6hipcub16HIPCUB_304000_NS6detail34convert_binary_result_type_wrapperINS9_3SumENS9_22TransformInputIteratorIbN2at6native12_GLOBAL__N_19NonZeroOpIbEEPKblEEiEEEE10hipError_tPvRmT1_T2_T3_mT4_P12ihipStream_tbEUlT_E0_NS1_11comp_targetILNS1_3genE0ELNS1_11target_archE4294967295ELNS1_3gpuE0ELNS1_3repE0EEENS1_30default_config_static_selectorELNS0_4arch9wavefront6targetE0EEEvSQ_.num_named_barrier, 0
	.set _ZN7rocprim17ROCPRIM_400000_NS6detail17trampoline_kernelINS0_14default_configENS1_22reduce_config_selectorIiEEZNS1_11reduce_implILb1ES3_PiS7_iN6hipcub16HIPCUB_304000_NS6detail34convert_binary_result_type_wrapperINS9_3SumENS9_22TransformInputIteratorIbN2at6native12_GLOBAL__N_19NonZeroOpIbEEPKblEEiEEEE10hipError_tPvRmT1_T2_T3_mT4_P12ihipStream_tbEUlT_E0_NS1_11comp_targetILNS1_3genE0ELNS1_11target_archE4294967295ELNS1_3gpuE0ELNS1_3repE0EEENS1_30default_config_static_selectorELNS0_4arch9wavefront6targetE0EEEvSQ_.private_seg_size, 0
	.set _ZN7rocprim17ROCPRIM_400000_NS6detail17trampoline_kernelINS0_14default_configENS1_22reduce_config_selectorIiEEZNS1_11reduce_implILb1ES3_PiS7_iN6hipcub16HIPCUB_304000_NS6detail34convert_binary_result_type_wrapperINS9_3SumENS9_22TransformInputIteratorIbN2at6native12_GLOBAL__N_19NonZeroOpIbEEPKblEEiEEEE10hipError_tPvRmT1_T2_T3_mT4_P12ihipStream_tbEUlT_E0_NS1_11comp_targetILNS1_3genE0ELNS1_11target_archE4294967295ELNS1_3gpuE0ELNS1_3repE0EEENS1_30default_config_static_selectorELNS0_4arch9wavefront6targetE0EEEvSQ_.uses_vcc, 0
	.set _ZN7rocprim17ROCPRIM_400000_NS6detail17trampoline_kernelINS0_14default_configENS1_22reduce_config_selectorIiEEZNS1_11reduce_implILb1ES3_PiS7_iN6hipcub16HIPCUB_304000_NS6detail34convert_binary_result_type_wrapperINS9_3SumENS9_22TransformInputIteratorIbN2at6native12_GLOBAL__N_19NonZeroOpIbEEPKblEEiEEEE10hipError_tPvRmT1_T2_T3_mT4_P12ihipStream_tbEUlT_E0_NS1_11comp_targetILNS1_3genE0ELNS1_11target_archE4294967295ELNS1_3gpuE0ELNS1_3repE0EEENS1_30default_config_static_selectorELNS0_4arch9wavefront6targetE0EEEvSQ_.uses_flat_scratch, 0
	.set _ZN7rocprim17ROCPRIM_400000_NS6detail17trampoline_kernelINS0_14default_configENS1_22reduce_config_selectorIiEEZNS1_11reduce_implILb1ES3_PiS7_iN6hipcub16HIPCUB_304000_NS6detail34convert_binary_result_type_wrapperINS9_3SumENS9_22TransformInputIteratorIbN2at6native12_GLOBAL__N_19NonZeroOpIbEEPKblEEiEEEE10hipError_tPvRmT1_T2_T3_mT4_P12ihipStream_tbEUlT_E0_NS1_11comp_targetILNS1_3genE0ELNS1_11target_archE4294967295ELNS1_3gpuE0ELNS1_3repE0EEENS1_30default_config_static_selectorELNS0_4arch9wavefront6targetE0EEEvSQ_.has_dyn_sized_stack, 0
	.set _ZN7rocprim17ROCPRIM_400000_NS6detail17trampoline_kernelINS0_14default_configENS1_22reduce_config_selectorIiEEZNS1_11reduce_implILb1ES3_PiS7_iN6hipcub16HIPCUB_304000_NS6detail34convert_binary_result_type_wrapperINS9_3SumENS9_22TransformInputIteratorIbN2at6native12_GLOBAL__N_19NonZeroOpIbEEPKblEEiEEEE10hipError_tPvRmT1_T2_T3_mT4_P12ihipStream_tbEUlT_E0_NS1_11comp_targetILNS1_3genE0ELNS1_11target_archE4294967295ELNS1_3gpuE0ELNS1_3repE0EEENS1_30default_config_static_selectorELNS0_4arch9wavefront6targetE0EEEvSQ_.has_recursion, 0
	.set _ZN7rocprim17ROCPRIM_400000_NS6detail17trampoline_kernelINS0_14default_configENS1_22reduce_config_selectorIiEEZNS1_11reduce_implILb1ES3_PiS7_iN6hipcub16HIPCUB_304000_NS6detail34convert_binary_result_type_wrapperINS9_3SumENS9_22TransformInputIteratorIbN2at6native12_GLOBAL__N_19NonZeroOpIbEEPKblEEiEEEE10hipError_tPvRmT1_T2_T3_mT4_P12ihipStream_tbEUlT_E0_NS1_11comp_targetILNS1_3genE0ELNS1_11target_archE4294967295ELNS1_3gpuE0ELNS1_3repE0EEENS1_30default_config_static_selectorELNS0_4arch9wavefront6targetE0EEEvSQ_.has_indirect_call, 0
	.section	.AMDGPU.csdata,"",@progbits
; Kernel info:
; codeLenInByte = 0
; TotalNumSgprs: 0
; NumVgprs: 0
; ScratchSize: 0
; MemoryBound: 0
; FloatMode: 240
; IeeeMode: 1
; LDSByteSize: 0 bytes/workgroup (compile time only)
; SGPRBlocks: 0
; VGPRBlocks: 0
; NumSGPRsForWavesPerEU: 1
; NumVGPRsForWavesPerEU: 1
; Occupancy: 16
; WaveLimiterHint : 0
; COMPUTE_PGM_RSRC2:SCRATCH_EN: 0
; COMPUTE_PGM_RSRC2:USER_SGPR: 2
; COMPUTE_PGM_RSRC2:TRAP_HANDLER: 0
; COMPUTE_PGM_RSRC2:TGID_X_EN: 1
; COMPUTE_PGM_RSRC2:TGID_Y_EN: 0
; COMPUTE_PGM_RSRC2:TGID_Z_EN: 0
; COMPUTE_PGM_RSRC2:TIDIG_COMP_CNT: 0
	.section	.text._ZN7rocprim17ROCPRIM_400000_NS6detail17trampoline_kernelINS0_14default_configENS1_22reduce_config_selectorIiEEZNS1_11reduce_implILb1ES3_PiS7_iN6hipcub16HIPCUB_304000_NS6detail34convert_binary_result_type_wrapperINS9_3SumENS9_22TransformInputIteratorIbN2at6native12_GLOBAL__N_19NonZeroOpIbEEPKblEEiEEEE10hipError_tPvRmT1_T2_T3_mT4_P12ihipStream_tbEUlT_E0_NS1_11comp_targetILNS1_3genE5ELNS1_11target_archE942ELNS1_3gpuE9ELNS1_3repE0EEENS1_30default_config_static_selectorELNS0_4arch9wavefront6targetE0EEEvSQ_,"axG",@progbits,_ZN7rocprim17ROCPRIM_400000_NS6detail17trampoline_kernelINS0_14default_configENS1_22reduce_config_selectorIiEEZNS1_11reduce_implILb1ES3_PiS7_iN6hipcub16HIPCUB_304000_NS6detail34convert_binary_result_type_wrapperINS9_3SumENS9_22TransformInputIteratorIbN2at6native12_GLOBAL__N_19NonZeroOpIbEEPKblEEiEEEE10hipError_tPvRmT1_T2_T3_mT4_P12ihipStream_tbEUlT_E0_NS1_11comp_targetILNS1_3genE5ELNS1_11target_archE942ELNS1_3gpuE9ELNS1_3repE0EEENS1_30default_config_static_selectorELNS0_4arch9wavefront6targetE0EEEvSQ_,comdat
	.globl	_ZN7rocprim17ROCPRIM_400000_NS6detail17trampoline_kernelINS0_14default_configENS1_22reduce_config_selectorIiEEZNS1_11reduce_implILb1ES3_PiS7_iN6hipcub16HIPCUB_304000_NS6detail34convert_binary_result_type_wrapperINS9_3SumENS9_22TransformInputIteratorIbN2at6native12_GLOBAL__N_19NonZeroOpIbEEPKblEEiEEEE10hipError_tPvRmT1_T2_T3_mT4_P12ihipStream_tbEUlT_E0_NS1_11comp_targetILNS1_3genE5ELNS1_11target_archE942ELNS1_3gpuE9ELNS1_3repE0EEENS1_30default_config_static_selectorELNS0_4arch9wavefront6targetE0EEEvSQ_ ; -- Begin function _ZN7rocprim17ROCPRIM_400000_NS6detail17trampoline_kernelINS0_14default_configENS1_22reduce_config_selectorIiEEZNS1_11reduce_implILb1ES3_PiS7_iN6hipcub16HIPCUB_304000_NS6detail34convert_binary_result_type_wrapperINS9_3SumENS9_22TransformInputIteratorIbN2at6native12_GLOBAL__N_19NonZeroOpIbEEPKblEEiEEEE10hipError_tPvRmT1_T2_T3_mT4_P12ihipStream_tbEUlT_E0_NS1_11comp_targetILNS1_3genE5ELNS1_11target_archE942ELNS1_3gpuE9ELNS1_3repE0EEENS1_30default_config_static_selectorELNS0_4arch9wavefront6targetE0EEEvSQ_
	.p2align	8
	.type	_ZN7rocprim17ROCPRIM_400000_NS6detail17trampoline_kernelINS0_14default_configENS1_22reduce_config_selectorIiEEZNS1_11reduce_implILb1ES3_PiS7_iN6hipcub16HIPCUB_304000_NS6detail34convert_binary_result_type_wrapperINS9_3SumENS9_22TransformInputIteratorIbN2at6native12_GLOBAL__N_19NonZeroOpIbEEPKblEEiEEEE10hipError_tPvRmT1_T2_T3_mT4_P12ihipStream_tbEUlT_E0_NS1_11comp_targetILNS1_3genE5ELNS1_11target_archE942ELNS1_3gpuE9ELNS1_3repE0EEENS1_30default_config_static_selectorELNS0_4arch9wavefront6targetE0EEEvSQ_,@function
_ZN7rocprim17ROCPRIM_400000_NS6detail17trampoline_kernelINS0_14default_configENS1_22reduce_config_selectorIiEEZNS1_11reduce_implILb1ES3_PiS7_iN6hipcub16HIPCUB_304000_NS6detail34convert_binary_result_type_wrapperINS9_3SumENS9_22TransformInputIteratorIbN2at6native12_GLOBAL__N_19NonZeroOpIbEEPKblEEiEEEE10hipError_tPvRmT1_T2_T3_mT4_P12ihipStream_tbEUlT_E0_NS1_11comp_targetILNS1_3genE5ELNS1_11target_archE942ELNS1_3gpuE9ELNS1_3repE0EEENS1_30default_config_static_selectorELNS0_4arch9wavefront6targetE0EEEvSQ_: ; @_ZN7rocprim17ROCPRIM_400000_NS6detail17trampoline_kernelINS0_14default_configENS1_22reduce_config_selectorIiEEZNS1_11reduce_implILb1ES3_PiS7_iN6hipcub16HIPCUB_304000_NS6detail34convert_binary_result_type_wrapperINS9_3SumENS9_22TransformInputIteratorIbN2at6native12_GLOBAL__N_19NonZeroOpIbEEPKblEEiEEEE10hipError_tPvRmT1_T2_T3_mT4_P12ihipStream_tbEUlT_E0_NS1_11comp_targetILNS1_3genE5ELNS1_11target_archE942ELNS1_3gpuE9ELNS1_3repE0EEENS1_30default_config_static_selectorELNS0_4arch9wavefront6targetE0EEEvSQ_
; %bb.0:
	.section	.rodata,"a",@progbits
	.p2align	6, 0x0
	.amdhsa_kernel _ZN7rocprim17ROCPRIM_400000_NS6detail17trampoline_kernelINS0_14default_configENS1_22reduce_config_selectorIiEEZNS1_11reduce_implILb1ES3_PiS7_iN6hipcub16HIPCUB_304000_NS6detail34convert_binary_result_type_wrapperINS9_3SumENS9_22TransformInputIteratorIbN2at6native12_GLOBAL__N_19NonZeroOpIbEEPKblEEiEEEE10hipError_tPvRmT1_T2_T3_mT4_P12ihipStream_tbEUlT_E0_NS1_11comp_targetILNS1_3genE5ELNS1_11target_archE942ELNS1_3gpuE9ELNS1_3repE0EEENS1_30default_config_static_selectorELNS0_4arch9wavefront6targetE0EEEvSQ_
		.amdhsa_group_segment_fixed_size 0
		.amdhsa_private_segment_fixed_size 0
		.amdhsa_kernarg_size 56
		.amdhsa_user_sgpr_count 2
		.amdhsa_user_sgpr_dispatch_ptr 0
		.amdhsa_user_sgpr_queue_ptr 0
		.amdhsa_user_sgpr_kernarg_segment_ptr 1
		.amdhsa_user_sgpr_dispatch_id 0
		.amdhsa_user_sgpr_private_segment_size 0
		.amdhsa_wavefront_size32 1
		.amdhsa_uses_dynamic_stack 0
		.amdhsa_enable_private_segment 0
		.amdhsa_system_sgpr_workgroup_id_x 1
		.amdhsa_system_sgpr_workgroup_id_y 0
		.amdhsa_system_sgpr_workgroup_id_z 0
		.amdhsa_system_sgpr_workgroup_info 0
		.amdhsa_system_vgpr_workitem_id 0
		.amdhsa_next_free_vgpr 1
		.amdhsa_next_free_sgpr 1
		.amdhsa_reserve_vcc 0
		.amdhsa_float_round_mode_32 0
		.amdhsa_float_round_mode_16_64 0
		.amdhsa_float_denorm_mode_32 3
		.amdhsa_float_denorm_mode_16_64 3
		.amdhsa_fp16_overflow 0
		.amdhsa_workgroup_processor_mode 1
		.amdhsa_memory_ordered 1
		.amdhsa_forward_progress 1
		.amdhsa_inst_pref_size 0
		.amdhsa_round_robin_scheduling 0
		.amdhsa_exception_fp_ieee_invalid_op 0
		.amdhsa_exception_fp_denorm_src 0
		.amdhsa_exception_fp_ieee_div_zero 0
		.amdhsa_exception_fp_ieee_overflow 0
		.amdhsa_exception_fp_ieee_underflow 0
		.amdhsa_exception_fp_ieee_inexact 0
		.amdhsa_exception_int_div_zero 0
	.end_amdhsa_kernel
	.section	.text._ZN7rocprim17ROCPRIM_400000_NS6detail17trampoline_kernelINS0_14default_configENS1_22reduce_config_selectorIiEEZNS1_11reduce_implILb1ES3_PiS7_iN6hipcub16HIPCUB_304000_NS6detail34convert_binary_result_type_wrapperINS9_3SumENS9_22TransformInputIteratorIbN2at6native12_GLOBAL__N_19NonZeroOpIbEEPKblEEiEEEE10hipError_tPvRmT1_T2_T3_mT4_P12ihipStream_tbEUlT_E0_NS1_11comp_targetILNS1_3genE5ELNS1_11target_archE942ELNS1_3gpuE9ELNS1_3repE0EEENS1_30default_config_static_selectorELNS0_4arch9wavefront6targetE0EEEvSQ_,"axG",@progbits,_ZN7rocprim17ROCPRIM_400000_NS6detail17trampoline_kernelINS0_14default_configENS1_22reduce_config_selectorIiEEZNS1_11reduce_implILb1ES3_PiS7_iN6hipcub16HIPCUB_304000_NS6detail34convert_binary_result_type_wrapperINS9_3SumENS9_22TransformInputIteratorIbN2at6native12_GLOBAL__N_19NonZeroOpIbEEPKblEEiEEEE10hipError_tPvRmT1_T2_T3_mT4_P12ihipStream_tbEUlT_E0_NS1_11comp_targetILNS1_3genE5ELNS1_11target_archE942ELNS1_3gpuE9ELNS1_3repE0EEENS1_30default_config_static_selectorELNS0_4arch9wavefront6targetE0EEEvSQ_,comdat
.Lfunc_end695:
	.size	_ZN7rocprim17ROCPRIM_400000_NS6detail17trampoline_kernelINS0_14default_configENS1_22reduce_config_selectorIiEEZNS1_11reduce_implILb1ES3_PiS7_iN6hipcub16HIPCUB_304000_NS6detail34convert_binary_result_type_wrapperINS9_3SumENS9_22TransformInputIteratorIbN2at6native12_GLOBAL__N_19NonZeroOpIbEEPKblEEiEEEE10hipError_tPvRmT1_T2_T3_mT4_P12ihipStream_tbEUlT_E0_NS1_11comp_targetILNS1_3genE5ELNS1_11target_archE942ELNS1_3gpuE9ELNS1_3repE0EEENS1_30default_config_static_selectorELNS0_4arch9wavefront6targetE0EEEvSQ_, .Lfunc_end695-_ZN7rocprim17ROCPRIM_400000_NS6detail17trampoline_kernelINS0_14default_configENS1_22reduce_config_selectorIiEEZNS1_11reduce_implILb1ES3_PiS7_iN6hipcub16HIPCUB_304000_NS6detail34convert_binary_result_type_wrapperINS9_3SumENS9_22TransformInputIteratorIbN2at6native12_GLOBAL__N_19NonZeroOpIbEEPKblEEiEEEE10hipError_tPvRmT1_T2_T3_mT4_P12ihipStream_tbEUlT_E0_NS1_11comp_targetILNS1_3genE5ELNS1_11target_archE942ELNS1_3gpuE9ELNS1_3repE0EEENS1_30default_config_static_selectorELNS0_4arch9wavefront6targetE0EEEvSQ_
                                        ; -- End function
	.set _ZN7rocprim17ROCPRIM_400000_NS6detail17trampoline_kernelINS0_14default_configENS1_22reduce_config_selectorIiEEZNS1_11reduce_implILb1ES3_PiS7_iN6hipcub16HIPCUB_304000_NS6detail34convert_binary_result_type_wrapperINS9_3SumENS9_22TransformInputIteratorIbN2at6native12_GLOBAL__N_19NonZeroOpIbEEPKblEEiEEEE10hipError_tPvRmT1_T2_T3_mT4_P12ihipStream_tbEUlT_E0_NS1_11comp_targetILNS1_3genE5ELNS1_11target_archE942ELNS1_3gpuE9ELNS1_3repE0EEENS1_30default_config_static_selectorELNS0_4arch9wavefront6targetE0EEEvSQ_.num_vgpr, 0
	.set _ZN7rocprim17ROCPRIM_400000_NS6detail17trampoline_kernelINS0_14default_configENS1_22reduce_config_selectorIiEEZNS1_11reduce_implILb1ES3_PiS7_iN6hipcub16HIPCUB_304000_NS6detail34convert_binary_result_type_wrapperINS9_3SumENS9_22TransformInputIteratorIbN2at6native12_GLOBAL__N_19NonZeroOpIbEEPKblEEiEEEE10hipError_tPvRmT1_T2_T3_mT4_P12ihipStream_tbEUlT_E0_NS1_11comp_targetILNS1_3genE5ELNS1_11target_archE942ELNS1_3gpuE9ELNS1_3repE0EEENS1_30default_config_static_selectorELNS0_4arch9wavefront6targetE0EEEvSQ_.num_agpr, 0
	.set _ZN7rocprim17ROCPRIM_400000_NS6detail17trampoline_kernelINS0_14default_configENS1_22reduce_config_selectorIiEEZNS1_11reduce_implILb1ES3_PiS7_iN6hipcub16HIPCUB_304000_NS6detail34convert_binary_result_type_wrapperINS9_3SumENS9_22TransformInputIteratorIbN2at6native12_GLOBAL__N_19NonZeroOpIbEEPKblEEiEEEE10hipError_tPvRmT1_T2_T3_mT4_P12ihipStream_tbEUlT_E0_NS1_11comp_targetILNS1_3genE5ELNS1_11target_archE942ELNS1_3gpuE9ELNS1_3repE0EEENS1_30default_config_static_selectorELNS0_4arch9wavefront6targetE0EEEvSQ_.numbered_sgpr, 0
	.set _ZN7rocprim17ROCPRIM_400000_NS6detail17trampoline_kernelINS0_14default_configENS1_22reduce_config_selectorIiEEZNS1_11reduce_implILb1ES3_PiS7_iN6hipcub16HIPCUB_304000_NS6detail34convert_binary_result_type_wrapperINS9_3SumENS9_22TransformInputIteratorIbN2at6native12_GLOBAL__N_19NonZeroOpIbEEPKblEEiEEEE10hipError_tPvRmT1_T2_T3_mT4_P12ihipStream_tbEUlT_E0_NS1_11comp_targetILNS1_3genE5ELNS1_11target_archE942ELNS1_3gpuE9ELNS1_3repE0EEENS1_30default_config_static_selectorELNS0_4arch9wavefront6targetE0EEEvSQ_.num_named_barrier, 0
	.set _ZN7rocprim17ROCPRIM_400000_NS6detail17trampoline_kernelINS0_14default_configENS1_22reduce_config_selectorIiEEZNS1_11reduce_implILb1ES3_PiS7_iN6hipcub16HIPCUB_304000_NS6detail34convert_binary_result_type_wrapperINS9_3SumENS9_22TransformInputIteratorIbN2at6native12_GLOBAL__N_19NonZeroOpIbEEPKblEEiEEEE10hipError_tPvRmT1_T2_T3_mT4_P12ihipStream_tbEUlT_E0_NS1_11comp_targetILNS1_3genE5ELNS1_11target_archE942ELNS1_3gpuE9ELNS1_3repE0EEENS1_30default_config_static_selectorELNS0_4arch9wavefront6targetE0EEEvSQ_.private_seg_size, 0
	.set _ZN7rocprim17ROCPRIM_400000_NS6detail17trampoline_kernelINS0_14default_configENS1_22reduce_config_selectorIiEEZNS1_11reduce_implILb1ES3_PiS7_iN6hipcub16HIPCUB_304000_NS6detail34convert_binary_result_type_wrapperINS9_3SumENS9_22TransformInputIteratorIbN2at6native12_GLOBAL__N_19NonZeroOpIbEEPKblEEiEEEE10hipError_tPvRmT1_T2_T3_mT4_P12ihipStream_tbEUlT_E0_NS1_11comp_targetILNS1_3genE5ELNS1_11target_archE942ELNS1_3gpuE9ELNS1_3repE0EEENS1_30default_config_static_selectorELNS0_4arch9wavefront6targetE0EEEvSQ_.uses_vcc, 0
	.set _ZN7rocprim17ROCPRIM_400000_NS6detail17trampoline_kernelINS0_14default_configENS1_22reduce_config_selectorIiEEZNS1_11reduce_implILb1ES3_PiS7_iN6hipcub16HIPCUB_304000_NS6detail34convert_binary_result_type_wrapperINS9_3SumENS9_22TransformInputIteratorIbN2at6native12_GLOBAL__N_19NonZeroOpIbEEPKblEEiEEEE10hipError_tPvRmT1_T2_T3_mT4_P12ihipStream_tbEUlT_E0_NS1_11comp_targetILNS1_3genE5ELNS1_11target_archE942ELNS1_3gpuE9ELNS1_3repE0EEENS1_30default_config_static_selectorELNS0_4arch9wavefront6targetE0EEEvSQ_.uses_flat_scratch, 0
	.set _ZN7rocprim17ROCPRIM_400000_NS6detail17trampoline_kernelINS0_14default_configENS1_22reduce_config_selectorIiEEZNS1_11reduce_implILb1ES3_PiS7_iN6hipcub16HIPCUB_304000_NS6detail34convert_binary_result_type_wrapperINS9_3SumENS9_22TransformInputIteratorIbN2at6native12_GLOBAL__N_19NonZeroOpIbEEPKblEEiEEEE10hipError_tPvRmT1_T2_T3_mT4_P12ihipStream_tbEUlT_E0_NS1_11comp_targetILNS1_3genE5ELNS1_11target_archE942ELNS1_3gpuE9ELNS1_3repE0EEENS1_30default_config_static_selectorELNS0_4arch9wavefront6targetE0EEEvSQ_.has_dyn_sized_stack, 0
	.set _ZN7rocprim17ROCPRIM_400000_NS6detail17trampoline_kernelINS0_14default_configENS1_22reduce_config_selectorIiEEZNS1_11reduce_implILb1ES3_PiS7_iN6hipcub16HIPCUB_304000_NS6detail34convert_binary_result_type_wrapperINS9_3SumENS9_22TransformInputIteratorIbN2at6native12_GLOBAL__N_19NonZeroOpIbEEPKblEEiEEEE10hipError_tPvRmT1_T2_T3_mT4_P12ihipStream_tbEUlT_E0_NS1_11comp_targetILNS1_3genE5ELNS1_11target_archE942ELNS1_3gpuE9ELNS1_3repE0EEENS1_30default_config_static_selectorELNS0_4arch9wavefront6targetE0EEEvSQ_.has_recursion, 0
	.set _ZN7rocprim17ROCPRIM_400000_NS6detail17trampoline_kernelINS0_14default_configENS1_22reduce_config_selectorIiEEZNS1_11reduce_implILb1ES3_PiS7_iN6hipcub16HIPCUB_304000_NS6detail34convert_binary_result_type_wrapperINS9_3SumENS9_22TransformInputIteratorIbN2at6native12_GLOBAL__N_19NonZeroOpIbEEPKblEEiEEEE10hipError_tPvRmT1_T2_T3_mT4_P12ihipStream_tbEUlT_E0_NS1_11comp_targetILNS1_3genE5ELNS1_11target_archE942ELNS1_3gpuE9ELNS1_3repE0EEENS1_30default_config_static_selectorELNS0_4arch9wavefront6targetE0EEEvSQ_.has_indirect_call, 0
	.section	.AMDGPU.csdata,"",@progbits
; Kernel info:
; codeLenInByte = 0
; TotalNumSgprs: 0
; NumVgprs: 0
; ScratchSize: 0
; MemoryBound: 0
; FloatMode: 240
; IeeeMode: 1
; LDSByteSize: 0 bytes/workgroup (compile time only)
; SGPRBlocks: 0
; VGPRBlocks: 0
; NumSGPRsForWavesPerEU: 1
; NumVGPRsForWavesPerEU: 1
; Occupancy: 16
; WaveLimiterHint : 0
; COMPUTE_PGM_RSRC2:SCRATCH_EN: 0
; COMPUTE_PGM_RSRC2:USER_SGPR: 2
; COMPUTE_PGM_RSRC2:TRAP_HANDLER: 0
; COMPUTE_PGM_RSRC2:TGID_X_EN: 1
; COMPUTE_PGM_RSRC2:TGID_Y_EN: 0
; COMPUTE_PGM_RSRC2:TGID_Z_EN: 0
; COMPUTE_PGM_RSRC2:TIDIG_COMP_CNT: 0
	.section	.text._ZN7rocprim17ROCPRIM_400000_NS6detail17trampoline_kernelINS0_14default_configENS1_22reduce_config_selectorIiEEZNS1_11reduce_implILb1ES3_PiS7_iN6hipcub16HIPCUB_304000_NS6detail34convert_binary_result_type_wrapperINS9_3SumENS9_22TransformInputIteratorIbN2at6native12_GLOBAL__N_19NonZeroOpIbEEPKblEEiEEEE10hipError_tPvRmT1_T2_T3_mT4_P12ihipStream_tbEUlT_E0_NS1_11comp_targetILNS1_3genE4ELNS1_11target_archE910ELNS1_3gpuE8ELNS1_3repE0EEENS1_30default_config_static_selectorELNS0_4arch9wavefront6targetE0EEEvSQ_,"axG",@progbits,_ZN7rocprim17ROCPRIM_400000_NS6detail17trampoline_kernelINS0_14default_configENS1_22reduce_config_selectorIiEEZNS1_11reduce_implILb1ES3_PiS7_iN6hipcub16HIPCUB_304000_NS6detail34convert_binary_result_type_wrapperINS9_3SumENS9_22TransformInputIteratorIbN2at6native12_GLOBAL__N_19NonZeroOpIbEEPKblEEiEEEE10hipError_tPvRmT1_T2_T3_mT4_P12ihipStream_tbEUlT_E0_NS1_11comp_targetILNS1_3genE4ELNS1_11target_archE910ELNS1_3gpuE8ELNS1_3repE0EEENS1_30default_config_static_selectorELNS0_4arch9wavefront6targetE0EEEvSQ_,comdat
	.globl	_ZN7rocprim17ROCPRIM_400000_NS6detail17trampoline_kernelINS0_14default_configENS1_22reduce_config_selectorIiEEZNS1_11reduce_implILb1ES3_PiS7_iN6hipcub16HIPCUB_304000_NS6detail34convert_binary_result_type_wrapperINS9_3SumENS9_22TransformInputIteratorIbN2at6native12_GLOBAL__N_19NonZeroOpIbEEPKblEEiEEEE10hipError_tPvRmT1_T2_T3_mT4_P12ihipStream_tbEUlT_E0_NS1_11comp_targetILNS1_3genE4ELNS1_11target_archE910ELNS1_3gpuE8ELNS1_3repE0EEENS1_30default_config_static_selectorELNS0_4arch9wavefront6targetE0EEEvSQ_ ; -- Begin function _ZN7rocprim17ROCPRIM_400000_NS6detail17trampoline_kernelINS0_14default_configENS1_22reduce_config_selectorIiEEZNS1_11reduce_implILb1ES3_PiS7_iN6hipcub16HIPCUB_304000_NS6detail34convert_binary_result_type_wrapperINS9_3SumENS9_22TransformInputIteratorIbN2at6native12_GLOBAL__N_19NonZeroOpIbEEPKblEEiEEEE10hipError_tPvRmT1_T2_T3_mT4_P12ihipStream_tbEUlT_E0_NS1_11comp_targetILNS1_3genE4ELNS1_11target_archE910ELNS1_3gpuE8ELNS1_3repE0EEENS1_30default_config_static_selectorELNS0_4arch9wavefront6targetE0EEEvSQ_
	.p2align	8
	.type	_ZN7rocprim17ROCPRIM_400000_NS6detail17trampoline_kernelINS0_14default_configENS1_22reduce_config_selectorIiEEZNS1_11reduce_implILb1ES3_PiS7_iN6hipcub16HIPCUB_304000_NS6detail34convert_binary_result_type_wrapperINS9_3SumENS9_22TransformInputIteratorIbN2at6native12_GLOBAL__N_19NonZeroOpIbEEPKblEEiEEEE10hipError_tPvRmT1_T2_T3_mT4_P12ihipStream_tbEUlT_E0_NS1_11comp_targetILNS1_3genE4ELNS1_11target_archE910ELNS1_3gpuE8ELNS1_3repE0EEENS1_30default_config_static_selectorELNS0_4arch9wavefront6targetE0EEEvSQ_,@function
_ZN7rocprim17ROCPRIM_400000_NS6detail17trampoline_kernelINS0_14default_configENS1_22reduce_config_selectorIiEEZNS1_11reduce_implILb1ES3_PiS7_iN6hipcub16HIPCUB_304000_NS6detail34convert_binary_result_type_wrapperINS9_3SumENS9_22TransformInputIteratorIbN2at6native12_GLOBAL__N_19NonZeroOpIbEEPKblEEiEEEE10hipError_tPvRmT1_T2_T3_mT4_P12ihipStream_tbEUlT_E0_NS1_11comp_targetILNS1_3genE4ELNS1_11target_archE910ELNS1_3gpuE8ELNS1_3repE0EEENS1_30default_config_static_selectorELNS0_4arch9wavefront6targetE0EEEvSQ_: ; @_ZN7rocprim17ROCPRIM_400000_NS6detail17trampoline_kernelINS0_14default_configENS1_22reduce_config_selectorIiEEZNS1_11reduce_implILb1ES3_PiS7_iN6hipcub16HIPCUB_304000_NS6detail34convert_binary_result_type_wrapperINS9_3SumENS9_22TransformInputIteratorIbN2at6native12_GLOBAL__N_19NonZeroOpIbEEPKblEEiEEEE10hipError_tPvRmT1_T2_T3_mT4_P12ihipStream_tbEUlT_E0_NS1_11comp_targetILNS1_3genE4ELNS1_11target_archE910ELNS1_3gpuE8ELNS1_3repE0EEENS1_30default_config_static_selectorELNS0_4arch9wavefront6targetE0EEEvSQ_
; %bb.0:
	.section	.rodata,"a",@progbits
	.p2align	6, 0x0
	.amdhsa_kernel _ZN7rocprim17ROCPRIM_400000_NS6detail17trampoline_kernelINS0_14default_configENS1_22reduce_config_selectorIiEEZNS1_11reduce_implILb1ES3_PiS7_iN6hipcub16HIPCUB_304000_NS6detail34convert_binary_result_type_wrapperINS9_3SumENS9_22TransformInputIteratorIbN2at6native12_GLOBAL__N_19NonZeroOpIbEEPKblEEiEEEE10hipError_tPvRmT1_T2_T3_mT4_P12ihipStream_tbEUlT_E0_NS1_11comp_targetILNS1_3genE4ELNS1_11target_archE910ELNS1_3gpuE8ELNS1_3repE0EEENS1_30default_config_static_selectorELNS0_4arch9wavefront6targetE0EEEvSQ_
		.amdhsa_group_segment_fixed_size 0
		.amdhsa_private_segment_fixed_size 0
		.amdhsa_kernarg_size 56
		.amdhsa_user_sgpr_count 2
		.amdhsa_user_sgpr_dispatch_ptr 0
		.amdhsa_user_sgpr_queue_ptr 0
		.amdhsa_user_sgpr_kernarg_segment_ptr 1
		.amdhsa_user_sgpr_dispatch_id 0
		.amdhsa_user_sgpr_private_segment_size 0
		.amdhsa_wavefront_size32 1
		.amdhsa_uses_dynamic_stack 0
		.amdhsa_enable_private_segment 0
		.amdhsa_system_sgpr_workgroup_id_x 1
		.amdhsa_system_sgpr_workgroup_id_y 0
		.amdhsa_system_sgpr_workgroup_id_z 0
		.amdhsa_system_sgpr_workgroup_info 0
		.amdhsa_system_vgpr_workitem_id 0
		.amdhsa_next_free_vgpr 1
		.amdhsa_next_free_sgpr 1
		.amdhsa_reserve_vcc 0
		.amdhsa_float_round_mode_32 0
		.amdhsa_float_round_mode_16_64 0
		.amdhsa_float_denorm_mode_32 3
		.amdhsa_float_denorm_mode_16_64 3
		.amdhsa_fp16_overflow 0
		.amdhsa_workgroup_processor_mode 1
		.amdhsa_memory_ordered 1
		.amdhsa_forward_progress 1
		.amdhsa_inst_pref_size 0
		.amdhsa_round_robin_scheduling 0
		.amdhsa_exception_fp_ieee_invalid_op 0
		.amdhsa_exception_fp_denorm_src 0
		.amdhsa_exception_fp_ieee_div_zero 0
		.amdhsa_exception_fp_ieee_overflow 0
		.amdhsa_exception_fp_ieee_underflow 0
		.amdhsa_exception_fp_ieee_inexact 0
		.amdhsa_exception_int_div_zero 0
	.end_amdhsa_kernel
	.section	.text._ZN7rocprim17ROCPRIM_400000_NS6detail17trampoline_kernelINS0_14default_configENS1_22reduce_config_selectorIiEEZNS1_11reduce_implILb1ES3_PiS7_iN6hipcub16HIPCUB_304000_NS6detail34convert_binary_result_type_wrapperINS9_3SumENS9_22TransformInputIteratorIbN2at6native12_GLOBAL__N_19NonZeroOpIbEEPKblEEiEEEE10hipError_tPvRmT1_T2_T3_mT4_P12ihipStream_tbEUlT_E0_NS1_11comp_targetILNS1_3genE4ELNS1_11target_archE910ELNS1_3gpuE8ELNS1_3repE0EEENS1_30default_config_static_selectorELNS0_4arch9wavefront6targetE0EEEvSQ_,"axG",@progbits,_ZN7rocprim17ROCPRIM_400000_NS6detail17trampoline_kernelINS0_14default_configENS1_22reduce_config_selectorIiEEZNS1_11reduce_implILb1ES3_PiS7_iN6hipcub16HIPCUB_304000_NS6detail34convert_binary_result_type_wrapperINS9_3SumENS9_22TransformInputIteratorIbN2at6native12_GLOBAL__N_19NonZeroOpIbEEPKblEEiEEEE10hipError_tPvRmT1_T2_T3_mT4_P12ihipStream_tbEUlT_E0_NS1_11comp_targetILNS1_3genE4ELNS1_11target_archE910ELNS1_3gpuE8ELNS1_3repE0EEENS1_30default_config_static_selectorELNS0_4arch9wavefront6targetE0EEEvSQ_,comdat
.Lfunc_end696:
	.size	_ZN7rocprim17ROCPRIM_400000_NS6detail17trampoline_kernelINS0_14default_configENS1_22reduce_config_selectorIiEEZNS1_11reduce_implILb1ES3_PiS7_iN6hipcub16HIPCUB_304000_NS6detail34convert_binary_result_type_wrapperINS9_3SumENS9_22TransformInputIteratorIbN2at6native12_GLOBAL__N_19NonZeroOpIbEEPKblEEiEEEE10hipError_tPvRmT1_T2_T3_mT4_P12ihipStream_tbEUlT_E0_NS1_11comp_targetILNS1_3genE4ELNS1_11target_archE910ELNS1_3gpuE8ELNS1_3repE0EEENS1_30default_config_static_selectorELNS0_4arch9wavefront6targetE0EEEvSQ_, .Lfunc_end696-_ZN7rocprim17ROCPRIM_400000_NS6detail17trampoline_kernelINS0_14default_configENS1_22reduce_config_selectorIiEEZNS1_11reduce_implILb1ES3_PiS7_iN6hipcub16HIPCUB_304000_NS6detail34convert_binary_result_type_wrapperINS9_3SumENS9_22TransformInputIteratorIbN2at6native12_GLOBAL__N_19NonZeroOpIbEEPKblEEiEEEE10hipError_tPvRmT1_T2_T3_mT4_P12ihipStream_tbEUlT_E0_NS1_11comp_targetILNS1_3genE4ELNS1_11target_archE910ELNS1_3gpuE8ELNS1_3repE0EEENS1_30default_config_static_selectorELNS0_4arch9wavefront6targetE0EEEvSQ_
                                        ; -- End function
	.set _ZN7rocprim17ROCPRIM_400000_NS6detail17trampoline_kernelINS0_14default_configENS1_22reduce_config_selectorIiEEZNS1_11reduce_implILb1ES3_PiS7_iN6hipcub16HIPCUB_304000_NS6detail34convert_binary_result_type_wrapperINS9_3SumENS9_22TransformInputIteratorIbN2at6native12_GLOBAL__N_19NonZeroOpIbEEPKblEEiEEEE10hipError_tPvRmT1_T2_T3_mT4_P12ihipStream_tbEUlT_E0_NS1_11comp_targetILNS1_3genE4ELNS1_11target_archE910ELNS1_3gpuE8ELNS1_3repE0EEENS1_30default_config_static_selectorELNS0_4arch9wavefront6targetE0EEEvSQ_.num_vgpr, 0
	.set _ZN7rocprim17ROCPRIM_400000_NS6detail17trampoline_kernelINS0_14default_configENS1_22reduce_config_selectorIiEEZNS1_11reduce_implILb1ES3_PiS7_iN6hipcub16HIPCUB_304000_NS6detail34convert_binary_result_type_wrapperINS9_3SumENS9_22TransformInputIteratorIbN2at6native12_GLOBAL__N_19NonZeroOpIbEEPKblEEiEEEE10hipError_tPvRmT1_T2_T3_mT4_P12ihipStream_tbEUlT_E0_NS1_11comp_targetILNS1_3genE4ELNS1_11target_archE910ELNS1_3gpuE8ELNS1_3repE0EEENS1_30default_config_static_selectorELNS0_4arch9wavefront6targetE0EEEvSQ_.num_agpr, 0
	.set _ZN7rocprim17ROCPRIM_400000_NS6detail17trampoline_kernelINS0_14default_configENS1_22reduce_config_selectorIiEEZNS1_11reduce_implILb1ES3_PiS7_iN6hipcub16HIPCUB_304000_NS6detail34convert_binary_result_type_wrapperINS9_3SumENS9_22TransformInputIteratorIbN2at6native12_GLOBAL__N_19NonZeroOpIbEEPKblEEiEEEE10hipError_tPvRmT1_T2_T3_mT4_P12ihipStream_tbEUlT_E0_NS1_11comp_targetILNS1_3genE4ELNS1_11target_archE910ELNS1_3gpuE8ELNS1_3repE0EEENS1_30default_config_static_selectorELNS0_4arch9wavefront6targetE0EEEvSQ_.numbered_sgpr, 0
	.set _ZN7rocprim17ROCPRIM_400000_NS6detail17trampoline_kernelINS0_14default_configENS1_22reduce_config_selectorIiEEZNS1_11reduce_implILb1ES3_PiS7_iN6hipcub16HIPCUB_304000_NS6detail34convert_binary_result_type_wrapperINS9_3SumENS9_22TransformInputIteratorIbN2at6native12_GLOBAL__N_19NonZeroOpIbEEPKblEEiEEEE10hipError_tPvRmT1_T2_T3_mT4_P12ihipStream_tbEUlT_E0_NS1_11comp_targetILNS1_3genE4ELNS1_11target_archE910ELNS1_3gpuE8ELNS1_3repE0EEENS1_30default_config_static_selectorELNS0_4arch9wavefront6targetE0EEEvSQ_.num_named_barrier, 0
	.set _ZN7rocprim17ROCPRIM_400000_NS6detail17trampoline_kernelINS0_14default_configENS1_22reduce_config_selectorIiEEZNS1_11reduce_implILb1ES3_PiS7_iN6hipcub16HIPCUB_304000_NS6detail34convert_binary_result_type_wrapperINS9_3SumENS9_22TransformInputIteratorIbN2at6native12_GLOBAL__N_19NonZeroOpIbEEPKblEEiEEEE10hipError_tPvRmT1_T2_T3_mT4_P12ihipStream_tbEUlT_E0_NS1_11comp_targetILNS1_3genE4ELNS1_11target_archE910ELNS1_3gpuE8ELNS1_3repE0EEENS1_30default_config_static_selectorELNS0_4arch9wavefront6targetE0EEEvSQ_.private_seg_size, 0
	.set _ZN7rocprim17ROCPRIM_400000_NS6detail17trampoline_kernelINS0_14default_configENS1_22reduce_config_selectorIiEEZNS1_11reduce_implILb1ES3_PiS7_iN6hipcub16HIPCUB_304000_NS6detail34convert_binary_result_type_wrapperINS9_3SumENS9_22TransformInputIteratorIbN2at6native12_GLOBAL__N_19NonZeroOpIbEEPKblEEiEEEE10hipError_tPvRmT1_T2_T3_mT4_P12ihipStream_tbEUlT_E0_NS1_11comp_targetILNS1_3genE4ELNS1_11target_archE910ELNS1_3gpuE8ELNS1_3repE0EEENS1_30default_config_static_selectorELNS0_4arch9wavefront6targetE0EEEvSQ_.uses_vcc, 0
	.set _ZN7rocprim17ROCPRIM_400000_NS6detail17trampoline_kernelINS0_14default_configENS1_22reduce_config_selectorIiEEZNS1_11reduce_implILb1ES3_PiS7_iN6hipcub16HIPCUB_304000_NS6detail34convert_binary_result_type_wrapperINS9_3SumENS9_22TransformInputIteratorIbN2at6native12_GLOBAL__N_19NonZeroOpIbEEPKblEEiEEEE10hipError_tPvRmT1_T2_T3_mT4_P12ihipStream_tbEUlT_E0_NS1_11comp_targetILNS1_3genE4ELNS1_11target_archE910ELNS1_3gpuE8ELNS1_3repE0EEENS1_30default_config_static_selectorELNS0_4arch9wavefront6targetE0EEEvSQ_.uses_flat_scratch, 0
	.set _ZN7rocprim17ROCPRIM_400000_NS6detail17trampoline_kernelINS0_14default_configENS1_22reduce_config_selectorIiEEZNS1_11reduce_implILb1ES3_PiS7_iN6hipcub16HIPCUB_304000_NS6detail34convert_binary_result_type_wrapperINS9_3SumENS9_22TransformInputIteratorIbN2at6native12_GLOBAL__N_19NonZeroOpIbEEPKblEEiEEEE10hipError_tPvRmT1_T2_T3_mT4_P12ihipStream_tbEUlT_E0_NS1_11comp_targetILNS1_3genE4ELNS1_11target_archE910ELNS1_3gpuE8ELNS1_3repE0EEENS1_30default_config_static_selectorELNS0_4arch9wavefront6targetE0EEEvSQ_.has_dyn_sized_stack, 0
	.set _ZN7rocprim17ROCPRIM_400000_NS6detail17trampoline_kernelINS0_14default_configENS1_22reduce_config_selectorIiEEZNS1_11reduce_implILb1ES3_PiS7_iN6hipcub16HIPCUB_304000_NS6detail34convert_binary_result_type_wrapperINS9_3SumENS9_22TransformInputIteratorIbN2at6native12_GLOBAL__N_19NonZeroOpIbEEPKblEEiEEEE10hipError_tPvRmT1_T2_T3_mT4_P12ihipStream_tbEUlT_E0_NS1_11comp_targetILNS1_3genE4ELNS1_11target_archE910ELNS1_3gpuE8ELNS1_3repE0EEENS1_30default_config_static_selectorELNS0_4arch9wavefront6targetE0EEEvSQ_.has_recursion, 0
	.set _ZN7rocprim17ROCPRIM_400000_NS6detail17trampoline_kernelINS0_14default_configENS1_22reduce_config_selectorIiEEZNS1_11reduce_implILb1ES3_PiS7_iN6hipcub16HIPCUB_304000_NS6detail34convert_binary_result_type_wrapperINS9_3SumENS9_22TransformInputIteratorIbN2at6native12_GLOBAL__N_19NonZeroOpIbEEPKblEEiEEEE10hipError_tPvRmT1_T2_T3_mT4_P12ihipStream_tbEUlT_E0_NS1_11comp_targetILNS1_3genE4ELNS1_11target_archE910ELNS1_3gpuE8ELNS1_3repE0EEENS1_30default_config_static_selectorELNS0_4arch9wavefront6targetE0EEEvSQ_.has_indirect_call, 0
	.section	.AMDGPU.csdata,"",@progbits
; Kernel info:
; codeLenInByte = 0
; TotalNumSgprs: 0
; NumVgprs: 0
; ScratchSize: 0
; MemoryBound: 0
; FloatMode: 240
; IeeeMode: 1
; LDSByteSize: 0 bytes/workgroup (compile time only)
; SGPRBlocks: 0
; VGPRBlocks: 0
; NumSGPRsForWavesPerEU: 1
; NumVGPRsForWavesPerEU: 1
; Occupancy: 16
; WaveLimiterHint : 0
; COMPUTE_PGM_RSRC2:SCRATCH_EN: 0
; COMPUTE_PGM_RSRC2:USER_SGPR: 2
; COMPUTE_PGM_RSRC2:TRAP_HANDLER: 0
; COMPUTE_PGM_RSRC2:TGID_X_EN: 1
; COMPUTE_PGM_RSRC2:TGID_Y_EN: 0
; COMPUTE_PGM_RSRC2:TGID_Z_EN: 0
; COMPUTE_PGM_RSRC2:TIDIG_COMP_CNT: 0
	.section	.text._ZN7rocprim17ROCPRIM_400000_NS6detail17trampoline_kernelINS0_14default_configENS1_22reduce_config_selectorIiEEZNS1_11reduce_implILb1ES3_PiS7_iN6hipcub16HIPCUB_304000_NS6detail34convert_binary_result_type_wrapperINS9_3SumENS9_22TransformInputIteratorIbN2at6native12_GLOBAL__N_19NonZeroOpIbEEPKblEEiEEEE10hipError_tPvRmT1_T2_T3_mT4_P12ihipStream_tbEUlT_E0_NS1_11comp_targetILNS1_3genE3ELNS1_11target_archE908ELNS1_3gpuE7ELNS1_3repE0EEENS1_30default_config_static_selectorELNS0_4arch9wavefront6targetE0EEEvSQ_,"axG",@progbits,_ZN7rocprim17ROCPRIM_400000_NS6detail17trampoline_kernelINS0_14default_configENS1_22reduce_config_selectorIiEEZNS1_11reduce_implILb1ES3_PiS7_iN6hipcub16HIPCUB_304000_NS6detail34convert_binary_result_type_wrapperINS9_3SumENS9_22TransformInputIteratorIbN2at6native12_GLOBAL__N_19NonZeroOpIbEEPKblEEiEEEE10hipError_tPvRmT1_T2_T3_mT4_P12ihipStream_tbEUlT_E0_NS1_11comp_targetILNS1_3genE3ELNS1_11target_archE908ELNS1_3gpuE7ELNS1_3repE0EEENS1_30default_config_static_selectorELNS0_4arch9wavefront6targetE0EEEvSQ_,comdat
	.globl	_ZN7rocprim17ROCPRIM_400000_NS6detail17trampoline_kernelINS0_14default_configENS1_22reduce_config_selectorIiEEZNS1_11reduce_implILb1ES3_PiS7_iN6hipcub16HIPCUB_304000_NS6detail34convert_binary_result_type_wrapperINS9_3SumENS9_22TransformInputIteratorIbN2at6native12_GLOBAL__N_19NonZeroOpIbEEPKblEEiEEEE10hipError_tPvRmT1_T2_T3_mT4_P12ihipStream_tbEUlT_E0_NS1_11comp_targetILNS1_3genE3ELNS1_11target_archE908ELNS1_3gpuE7ELNS1_3repE0EEENS1_30default_config_static_selectorELNS0_4arch9wavefront6targetE0EEEvSQ_ ; -- Begin function _ZN7rocprim17ROCPRIM_400000_NS6detail17trampoline_kernelINS0_14default_configENS1_22reduce_config_selectorIiEEZNS1_11reduce_implILb1ES3_PiS7_iN6hipcub16HIPCUB_304000_NS6detail34convert_binary_result_type_wrapperINS9_3SumENS9_22TransformInputIteratorIbN2at6native12_GLOBAL__N_19NonZeroOpIbEEPKblEEiEEEE10hipError_tPvRmT1_T2_T3_mT4_P12ihipStream_tbEUlT_E0_NS1_11comp_targetILNS1_3genE3ELNS1_11target_archE908ELNS1_3gpuE7ELNS1_3repE0EEENS1_30default_config_static_selectorELNS0_4arch9wavefront6targetE0EEEvSQ_
	.p2align	8
	.type	_ZN7rocprim17ROCPRIM_400000_NS6detail17trampoline_kernelINS0_14default_configENS1_22reduce_config_selectorIiEEZNS1_11reduce_implILb1ES3_PiS7_iN6hipcub16HIPCUB_304000_NS6detail34convert_binary_result_type_wrapperINS9_3SumENS9_22TransformInputIteratorIbN2at6native12_GLOBAL__N_19NonZeroOpIbEEPKblEEiEEEE10hipError_tPvRmT1_T2_T3_mT4_P12ihipStream_tbEUlT_E0_NS1_11comp_targetILNS1_3genE3ELNS1_11target_archE908ELNS1_3gpuE7ELNS1_3repE0EEENS1_30default_config_static_selectorELNS0_4arch9wavefront6targetE0EEEvSQ_,@function
_ZN7rocprim17ROCPRIM_400000_NS6detail17trampoline_kernelINS0_14default_configENS1_22reduce_config_selectorIiEEZNS1_11reduce_implILb1ES3_PiS7_iN6hipcub16HIPCUB_304000_NS6detail34convert_binary_result_type_wrapperINS9_3SumENS9_22TransformInputIteratorIbN2at6native12_GLOBAL__N_19NonZeroOpIbEEPKblEEiEEEE10hipError_tPvRmT1_T2_T3_mT4_P12ihipStream_tbEUlT_E0_NS1_11comp_targetILNS1_3genE3ELNS1_11target_archE908ELNS1_3gpuE7ELNS1_3repE0EEENS1_30default_config_static_selectorELNS0_4arch9wavefront6targetE0EEEvSQ_: ; @_ZN7rocprim17ROCPRIM_400000_NS6detail17trampoline_kernelINS0_14default_configENS1_22reduce_config_selectorIiEEZNS1_11reduce_implILb1ES3_PiS7_iN6hipcub16HIPCUB_304000_NS6detail34convert_binary_result_type_wrapperINS9_3SumENS9_22TransformInputIteratorIbN2at6native12_GLOBAL__N_19NonZeroOpIbEEPKblEEiEEEE10hipError_tPvRmT1_T2_T3_mT4_P12ihipStream_tbEUlT_E0_NS1_11comp_targetILNS1_3genE3ELNS1_11target_archE908ELNS1_3gpuE7ELNS1_3repE0EEENS1_30default_config_static_selectorELNS0_4arch9wavefront6targetE0EEEvSQ_
; %bb.0:
	.section	.rodata,"a",@progbits
	.p2align	6, 0x0
	.amdhsa_kernel _ZN7rocprim17ROCPRIM_400000_NS6detail17trampoline_kernelINS0_14default_configENS1_22reduce_config_selectorIiEEZNS1_11reduce_implILb1ES3_PiS7_iN6hipcub16HIPCUB_304000_NS6detail34convert_binary_result_type_wrapperINS9_3SumENS9_22TransformInputIteratorIbN2at6native12_GLOBAL__N_19NonZeroOpIbEEPKblEEiEEEE10hipError_tPvRmT1_T2_T3_mT4_P12ihipStream_tbEUlT_E0_NS1_11comp_targetILNS1_3genE3ELNS1_11target_archE908ELNS1_3gpuE7ELNS1_3repE0EEENS1_30default_config_static_selectorELNS0_4arch9wavefront6targetE0EEEvSQ_
		.amdhsa_group_segment_fixed_size 0
		.amdhsa_private_segment_fixed_size 0
		.amdhsa_kernarg_size 56
		.amdhsa_user_sgpr_count 2
		.amdhsa_user_sgpr_dispatch_ptr 0
		.amdhsa_user_sgpr_queue_ptr 0
		.amdhsa_user_sgpr_kernarg_segment_ptr 1
		.amdhsa_user_sgpr_dispatch_id 0
		.amdhsa_user_sgpr_private_segment_size 0
		.amdhsa_wavefront_size32 1
		.amdhsa_uses_dynamic_stack 0
		.amdhsa_enable_private_segment 0
		.amdhsa_system_sgpr_workgroup_id_x 1
		.amdhsa_system_sgpr_workgroup_id_y 0
		.amdhsa_system_sgpr_workgroup_id_z 0
		.amdhsa_system_sgpr_workgroup_info 0
		.amdhsa_system_vgpr_workitem_id 0
		.amdhsa_next_free_vgpr 1
		.amdhsa_next_free_sgpr 1
		.amdhsa_reserve_vcc 0
		.amdhsa_float_round_mode_32 0
		.amdhsa_float_round_mode_16_64 0
		.amdhsa_float_denorm_mode_32 3
		.amdhsa_float_denorm_mode_16_64 3
		.amdhsa_fp16_overflow 0
		.amdhsa_workgroup_processor_mode 1
		.amdhsa_memory_ordered 1
		.amdhsa_forward_progress 1
		.amdhsa_inst_pref_size 0
		.amdhsa_round_robin_scheduling 0
		.amdhsa_exception_fp_ieee_invalid_op 0
		.amdhsa_exception_fp_denorm_src 0
		.amdhsa_exception_fp_ieee_div_zero 0
		.amdhsa_exception_fp_ieee_overflow 0
		.amdhsa_exception_fp_ieee_underflow 0
		.amdhsa_exception_fp_ieee_inexact 0
		.amdhsa_exception_int_div_zero 0
	.end_amdhsa_kernel
	.section	.text._ZN7rocprim17ROCPRIM_400000_NS6detail17trampoline_kernelINS0_14default_configENS1_22reduce_config_selectorIiEEZNS1_11reduce_implILb1ES3_PiS7_iN6hipcub16HIPCUB_304000_NS6detail34convert_binary_result_type_wrapperINS9_3SumENS9_22TransformInputIteratorIbN2at6native12_GLOBAL__N_19NonZeroOpIbEEPKblEEiEEEE10hipError_tPvRmT1_T2_T3_mT4_P12ihipStream_tbEUlT_E0_NS1_11comp_targetILNS1_3genE3ELNS1_11target_archE908ELNS1_3gpuE7ELNS1_3repE0EEENS1_30default_config_static_selectorELNS0_4arch9wavefront6targetE0EEEvSQ_,"axG",@progbits,_ZN7rocprim17ROCPRIM_400000_NS6detail17trampoline_kernelINS0_14default_configENS1_22reduce_config_selectorIiEEZNS1_11reduce_implILb1ES3_PiS7_iN6hipcub16HIPCUB_304000_NS6detail34convert_binary_result_type_wrapperINS9_3SumENS9_22TransformInputIteratorIbN2at6native12_GLOBAL__N_19NonZeroOpIbEEPKblEEiEEEE10hipError_tPvRmT1_T2_T3_mT4_P12ihipStream_tbEUlT_E0_NS1_11comp_targetILNS1_3genE3ELNS1_11target_archE908ELNS1_3gpuE7ELNS1_3repE0EEENS1_30default_config_static_selectorELNS0_4arch9wavefront6targetE0EEEvSQ_,comdat
.Lfunc_end697:
	.size	_ZN7rocprim17ROCPRIM_400000_NS6detail17trampoline_kernelINS0_14default_configENS1_22reduce_config_selectorIiEEZNS1_11reduce_implILb1ES3_PiS7_iN6hipcub16HIPCUB_304000_NS6detail34convert_binary_result_type_wrapperINS9_3SumENS9_22TransformInputIteratorIbN2at6native12_GLOBAL__N_19NonZeroOpIbEEPKblEEiEEEE10hipError_tPvRmT1_T2_T3_mT4_P12ihipStream_tbEUlT_E0_NS1_11comp_targetILNS1_3genE3ELNS1_11target_archE908ELNS1_3gpuE7ELNS1_3repE0EEENS1_30default_config_static_selectorELNS0_4arch9wavefront6targetE0EEEvSQ_, .Lfunc_end697-_ZN7rocprim17ROCPRIM_400000_NS6detail17trampoline_kernelINS0_14default_configENS1_22reduce_config_selectorIiEEZNS1_11reduce_implILb1ES3_PiS7_iN6hipcub16HIPCUB_304000_NS6detail34convert_binary_result_type_wrapperINS9_3SumENS9_22TransformInputIteratorIbN2at6native12_GLOBAL__N_19NonZeroOpIbEEPKblEEiEEEE10hipError_tPvRmT1_T2_T3_mT4_P12ihipStream_tbEUlT_E0_NS1_11comp_targetILNS1_3genE3ELNS1_11target_archE908ELNS1_3gpuE7ELNS1_3repE0EEENS1_30default_config_static_selectorELNS0_4arch9wavefront6targetE0EEEvSQ_
                                        ; -- End function
	.set _ZN7rocprim17ROCPRIM_400000_NS6detail17trampoline_kernelINS0_14default_configENS1_22reduce_config_selectorIiEEZNS1_11reduce_implILb1ES3_PiS7_iN6hipcub16HIPCUB_304000_NS6detail34convert_binary_result_type_wrapperINS9_3SumENS9_22TransformInputIteratorIbN2at6native12_GLOBAL__N_19NonZeroOpIbEEPKblEEiEEEE10hipError_tPvRmT1_T2_T3_mT4_P12ihipStream_tbEUlT_E0_NS1_11comp_targetILNS1_3genE3ELNS1_11target_archE908ELNS1_3gpuE7ELNS1_3repE0EEENS1_30default_config_static_selectorELNS0_4arch9wavefront6targetE0EEEvSQ_.num_vgpr, 0
	.set _ZN7rocprim17ROCPRIM_400000_NS6detail17trampoline_kernelINS0_14default_configENS1_22reduce_config_selectorIiEEZNS1_11reduce_implILb1ES3_PiS7_iN6hipcub16HIPCUB_304000_NS6detail34convert_binary_result_type_wrapperINS9_3SumENS9_22TransformInputIteratorIbN2at6native12_GLOBAL__N_19NonZeroOpIbEEPKblEEiEEEE10hipError_tPvRmT1_T2_T3_mT4_P12ihipStream_tbEUlT_E0_NS1_11comp_targetILNS1_3genE3ELNS1_11target_archE908ELNS1_3gpuE7ELNS1_3repE0EEENS1_30default_config_static_selectorELNS0_4arch9wavefront6targetE0EEEvSQ_.num_agpr, 0
	.set _ZN7rocprim17ROCPRIM_400000_NS6detail17trampoline_kernelINS0_14default_configENS1_22reduce_config_selectorIiEEZNS1_11reduce_implILb1ES3_PiS7_iN6hipcub16HIPCUB_304000_NS6detail34convert_binary_result_type_wrapperINS9_3SumENS9_22TransformInputIteratorIbN2at6native12_GLOBAL__N_19NonZeroOpIbEEPKblEEiEEEE10hipError_tPvRmT1_T2_T3_mT4_P12ihipStream_tbEUlT_E0_NS1_11comp_targetILNS1_3genE3ELNS1_11target_archE908ELNS1_3gpuE7ELNS1_3repE0EEENS1_30default_config_static_selectorELNS0_4arch9wavefront6targetE0EEEvSQ_.numbered_sgpr, 0
	.set _ZN7rocprim17ROCPRIM_400000_NS6detail17trampoline_kernelINS0_14default_configENS1_22reduce_config_selectorIiEEZNS1_11reduce_implILb1ES3_PiS7_iN6hipcub16HIPCUB_304000_NS6detail34convert_binary_result_type_wrapperINS9_3SumENS9_22TransformInputIteratorIbN2at6native12_GLOBAL__N_19NonZeroOpIbEEPKblEEiEEEE10hipError_tPvRmT1_T2_T3_mT4_P12ihipStream_tbEUlT_E0_NS1_11comp_targetILNS1_3genE3ELNS1_11target_archE908ELNS1_3gpuE7ELNS1_3repE0EEENS1_30default_config_static_selectorELNS0_4arch9wavefront6targetE0EEEvSQ_.num_named_barrier, 0
	.set _ZN7rocprim17ROCPRIM_400000_NS6detail17trampoline_kernelINS0_14default_configENS1_22reduce_config_selectorIiEEZNS1_11reduce_implILb1ES3_PiS7_iN6hipcub16HIPCUB_304000_NS6detail34convert_binary_result_type_wrapperINS9_3SumENS9_22TransformInputIteratorIbN2at6native12_GLOBAL__N_19NonZeroOpIbEEPKblEEiEEEE10hipError_tPvRmT1_T2_T3_mT4_P12ihipStream_tbEUlT_E0_NS1_11comp_targetILNS1_3genE3ELNS1_11target_archE908ELNS1_3gpuE7ELNS1_3repE0EEENS1_30default_config_static_selectorELNS0_4arch9wavefront6targetE0EEEvSQ_.private_seg_size, 0
	.set _ZN7rocprim17ROCPRIM_400000_NS6detail17trampoline_kernelINS0_14default_configENS1_22reduce_config_selectorIiEEZNS1_11reduce_implILb1ES3_PiS7_iN6hipcub16HIPCUB_304000_NS6detail34convert_binary_result_type_wrapperINS9_3SumENS9_22TransformInputIteratorIbN2at6native12_GLOBAL__N_19NonZeroOpIbEEPKblEEiEEEE10hipError_tPvRmT1_T2_T3_mT4_P12ihipStream_tbEUlT_E0_NS1_11comp_targetILNS1_3genE3ELNS1_11target_archE908ELNS1_3gpuE7ELNS1_3repE0EEENS1_30default_config_static_selectorELNS0_4arch9wavefront6targetE0EEEvSQ_.uses_vcc, 0
	.set _ZN7rocprim17ROCPRIM_400000_NS6detail17trampoline_kernelINS0_14default_configENS1_22reduce_config_selectorIiEEZNS1_11reduce_implILb1ES3_PiS7_iN6hipcub16HIPCUB_304000_NS6detail34convert_binary_result_type_wrapperINS9_3SumENS9_22TransformInputIteratorIbN2at6native12_GLOBAL__N_19NonZeroOpIbEEPKblEEiEEEE10hipError_tPvRmT1_T2_T3_mT4_P12ihipStream_tbEUlT_E0_NS1_11comp_targetILNS1_3genE3ELNS1_11target_archE908ELNS1_3gpuE7ELNS1_3repE0EEENS1_30default_config_static_selectorELNS0_4arch9wavefront6targetE0EEEvSQ_.uses_flat_scratch, 0
	.set _ZN7rocprim17ROCPRIM_400000_NS6detail17trampoline_kernelINS0_14default_configENS1_22reduce_config_selectorIiEEZNS1_11reduce_implILb1ES3_PiS7_iN6hipcub16HIPCUB_304000_NS6detail34convert_binary_result_type_wrapperINS9_3SumENS9_22TransformInputIteratorIbN2at6native12_GLOBAL__N_19NonZeroOpIbEEPKblEEiEEEE10hipError_tPvRmT1_T2_T3_mT4_P12ihipStream_tbEUlT_E0_NS1_11comp_targetILNS1_3genE3ELNS1_11target_archE908ELNS1_3gpuE7ELNS1_3repE0EEENS1_30default_config_static_selectorELNS0_4arch9wavefront6targetE0EEEvSQ_.has_dyn_sized_stack, 0
	.set _ZN7rocprim17ROCPRIM_400000_NS6detail17trampoline_kernelINS0_14default_configENS1_22reduce_config_selectorIiEEZNS1_11reduce_implILb1ES3_PiS7_iN6hipcub16HIPCUB_304000_NS6detail34convert_binary_result_type_wrapperINS9_3SumENS9_22TransformInputIteratorIbN2at6native12_GLOBAL__N_19NonZeroOpIbEEPKblEEiEEEE10hipError_tPvRmT1_T2_T3_mT4_P12ihipStream_tbEUlT_E0_NS1_11comp_targetILNS1_3genE3ELNS1_11target_archE908ELNS1_3gpuE7ELNS1_3repE0EEENS1_30default_config_static_selectorELNS0_4arch9wavefront6targetE0EEEvSQ_.has_recursion, 0
	.set _ZN7rocprim17ROCPRIM_400000_NS6detail17trampoline_kernelINS0_14default_configENS1_22reduce_config_selectorIiEEZNS1_11reduce_implILb1ES3_PiS7_iN6hipcub16HIPCUB_304000_NS6detail34convert_binary_result_type_wrapperINS9_3SumENS9_22TransformInputIteratorIbN2at6native12_GLOBAL__N_19NonZeroOpIbEEPKblEEiEEEE10hipError_tPvRmT1_T2_T3_mT4_P12ihipStream_tbEUlT_E0_NS1_11comp_targetILNS1_3genE3ELNS1_11target_archE908ELNS1_3gpuE7ELNS1_3repE0EEENS1_30default_config_static_selectorELNS0_4arch9wavefront6targetE0EEEvSQ_.has_indirect_call, 0
	.section	.AMDGPU.csdata,"",@progbits
; Kernel info:
; codeLenInByte = 0
; TotalNumSgprs: 0
; NumVgprs: 0
; ScratchSize: 0
; MemoryBound: 0
; FloatMode: 240
; IeeeMode: 1
; LDSByteSize: 0 bytes/workgroup (compile time only)
; SGPRBlocks: 0
; VGPRBlocks: 0
; NumSGPRsForWavesPerEU: 1
; NumVGPRsForWavesPerEU: 1
; Occupancy: 16
; WaveLimiterHint : 0
; COMPUTE_PGM_RSRC2:SCRATCH_EN: 0
; COMPUTE_PGM_RSRC2:USER_SGPR: 2
; COMPUTE_PGM_RSRC2:TRAP_HANDLER: 0
; COMPUTE_PGM_RSRC2:TGID_X_EN: 1
; COMPUTE_PGM_RSRC2:TGID_Y_EN: 0
; COMPUTE_PGM_RSRC2:TGID_Z_EN: 0
; COMPUTE_PGM_RSRC2:TIDIG_COMP_CNT: 0
	.section	.text._ZN7rocprim17ROCPRIM_400000_NS6detail17trampoline_kernelINS0_14default_configENS1_22reduce_config_selectorIiEEZNS1_11reduce_implILb1ES3_PiS7_iN6hipcub16HIPCUB_304000_NS6detail34convert_binary_result_type_wrapperINS9_3SumENS9_22TransformInputIteratorIbN2at6native12_GLOBAL__N_19NonZeroOpIbEEPKblEEiEEEE10hipError_tPvRmT1_T2_T3_mT4_P12ihipStream_tbEUlT_E0_NS1_11comp_targetILNS1_3genE2ELNS1_11target_archE906ELNS1_3gpuE6ELNS1_3repE0EEENS1_30default_config_static_selectorELNS0_4arch9wavefront6targetE0EEEvSQ_,"axG",@progbits,_ZN7rocprim17ROCPRIM_400000_NS6detail17trampoline_kernelINS0_14default_configENS1_22reduce_config_selectorIiEEZNS1_11reduce_implILb1ES3_PiS7_iN6hipcub16HIPCUB_304000_NS6detail34convert_binary_result_type_wrapperINS9_3SumENS9_22TransformInputIteratorIbN2at6native12_GLOBAL__N_19NonZeroOpIbEEPKblEEiEEEE10hipError_tPvRmT1_T2_T3_mT4_P12ihipStream_tbEUlT_E0_NS1_11comp_targetILNS1_3genE2ELNS1_11target_archE906ELNS1_3gpuE6ELNS1_3repE0EEENS1_30default_config_static_selectorELNS0_4arch9wavefront6targetE0EEEvSQ_,comdat
	.globl	_ZN7rocprim17ROCPRIM_400000_NS6detail17trampoline_kernelINS0_14default_configENS1_22reduce_config_selectorIiEEZNS1_11reduce_implILb1ES3_PiS7_iN6hipcub16HIPCUB_304000_NS6detail34convert_binary_result_type_wrapperINS9_3SumENS9_22TransformInputIteratorIbN2at6native12_GLOBAL__N_19NonZeroOpIbEEPKblEEiEEEE10hipError_tPvRmT1_T2_T3_mT4_P12ihipStream_tbEUlT_E0_NS1_11comp_targetILNS1_3genE2ELNS1_11target_archE906ELNS1_3gpuE6ELNS1_3repE0EEENS1_30default_config_static_selectorELNS0_4arch9wavefront6targetE0EEEvSQ_ ; -- Begin function _ZN7rocprim17ROCPRIM_400000_NS6detail17trampoline_kernelINS0_14default_configENS1_22reduce_config_selectorIiEEZNS1_11reduce_implILb1ES3_PiS7_iN6hipcub16HIPCUB_304000_NS6detail34convert_binary_result_type_wrapperINS9_3SumENS9_22TransformInputIteratorIbN2at6native12_GLOBAL__N_19NonZeroOpIbEEPKblEEiEEEE10hipError_tPvRmT1_T2_T3_mT4_P12ihipStream_tbEUlT_E0_NS1_11comp_targetILNS1_3genE2ELNS1_11target_archE906ELNS1_3gpuE6ELNS1_3repE0EEENS1_30default_config_static_selectorELNS0_4arch9wavefront6targetE0EEEvSQ_
	.p2align	8
	.type	_ZN7rocprim17ROCPRIM_400000_NS6detail17trampoline_kernelINS0_14default_configENS1_22reduce_config_selectorIiEEZNS1_11reduce_implILb1ES3_PiS7_iN6hipcub16HIPCUB_304000_NS6detail34convert_binary_result_type_wrapperINS9_3SumENS9_22TransformInputIteratorIbN2at6native12_GLOBAL__N_19NonZeroOpIbEEPKblEEiEEEE10hipError_tPvRmT1_T2_T3_mT4_P12ihipStream_tbEUlT_E0_NS1_11comp_targetILNS1_3genE2ELNS1_11target_archE906ELNS1_3gpuE6ELNS1_3repE0EEENS1_30default_config_static_selectorELNS0_4arch9wavefront6targetE0EEEvSQ_,@function
_ZN7rocprim17ROCPRIM_400000_NS6detail17trampoline_kernelINS0_14default_configENS1_22reduce_config_selectorIiEEZNS1_11reduce_implILb1ES3_PiS7_iN6hipcub16HIPCUB_304000_NS6detail34convert_binary_result_type_wrapperINS9_3SumENS9_22TransformInputIteratorIbN2at6native12_GLOBAL__N_19NonZeroOpIbEEPKblEEiEEEE10hipError_tPvRmT1_T2_T3_mT4_P12ihipStream_tbEUlT_E0_NS1_11comp_targetILNS1_3genE2ELNS1_11target_archE906ELNS1_3gpuE6ELNS1_3repE0EEENS1_30default_config_static_selectorELNS0_4arch9wavefront6targetE0EEEvSQ_: ; @_ZN7rocprim17ROCPRIM_400000_NS6detail17trampoline_kernelINS0_14default_configENS1_22reduce_config_selectorIiEEZNS1_11reduce_implILb1ES3_PiS7_iN6hipcub16HIPCUB_304000_NS6detail34convert_binary_result_type_wrapperINS9_3SumENS9_22TransformInputIteratorIbN2at6native12_GLOBAL__N_19NonZeroOpIbEEPKblEEiEEEE10hipError_tPvRmT1_T2_T3_mT4_P12ihipStream_tbEUlT_E0_NS1_11comp_targetILNS1_3genE2ELNS1_11target_archE906ELNS1_3gpuE6ELNS1_3repE0EEENS1_30default_config_static_selectorELNS0_4arch9wavefront6targetE0EEEvSQ_
; %bb.0:
	.section	.rodata,"a",@progbits
	.p2align	6, 0x0
	.amdhsa_kernel _ZN7rocprim17ROCPRIM_400000_NS6detail17trampoline_kernelINS0_14default_configENS1_22reduce_config_selectorIiEEZNS1_11reduce_implILb1ES3_PiS7_iN6hipcub16HIPCUB_304000_NS6detail34convert_binary_result_type_wrapperINS9_3SumENS9_22TransformInputIteratorIbN2at6native12_GLOBAL__N_19NonZeroOpIbEEPKblEEiEEEE10hipError_tPvRmT1_T2_T3_mT4_P12ihipStream_tbEUlT_E0_NS1_11comp_targetILNS1_3genE2ELNS1_11target_archE906ELNS1_3gpuE6ELNS1_3repE0EEENS1_30default_config_static_selectorELNS0_4arch9wavefront6targetE0EEEvSQ_
		.amdhsa_group_segment_fixed_size 0
		.amdhsa_private_segment_fixed_size 0
		.amdhsa_kernarg_size 56
		.amdhsa_user_sgpr_count 2
		.amdhsa_user_sgpr_dispatch_ptr 0
		.amdhsa_user_sgpr_queue_ptr 0
		.amdhsa_user_sgpr_kernarg_segment_ptr 1
		.amdhsa_user_sgpr_dispatch_id 0
		.amdhsa_user_sgpr_private_segment_size 0
		.amdhsa_wavefront_size32 1
		.amdhsa_uses_dynamic_stack 0
		.amdhsa_enable_private_segment 0
		.amdhsa_system_sgpr_workgroup_id_x 1
		.amdhsa_system_sgpr_workgroup_id_y 0
		.amdhsa_system_sgpr_workgroup_id_z 0
		.amdhsa_system_sgpr_workgroup_info 0
		.amdhsa_system_vgpr_workitem_id 0
		.amdhsa_next_free_vgpr 1
		.amdhsa_next_free_sgpr 1
		.amdhsa_reserve_vcc 0
		.amdhsa_float_round_mode_32 0
		.amdhsa_float_round_mode_16_64 0
		.amdhsa_float_denorm_mode_32 3
		.amdhsa_float_denorm_mode_16_64 3
		.amdhsa_fp16_overflow 0
		.amdhsa_workgroup_processor_mode 1
		.amdhsa_memory_ordered 1
		.amdhsa_forward_progress 1
		.amdhsa_inst_pref_size 0
		.amdhsa_round_robin_scheduling 0
		.amdhsa_exception_fp_ieee_invalid_op 0
		.amdhsa_exception_fp_denorm_src 0
		.amdhsa_exception_fp_ieee_div_zero 0
		.amdhsa_exception_fp_ieee_overflow 0
		.amdhsa_exception_fp_ieee_underflow 0
		.amdhsa_exception_fp_ieee_inexact 0
		.amdhsa_exception_int_div_zero 0
	.end_amdhsa_kernel
	.section	.text._ZN7rocprim17ROCPRIM_400000_NS6detail17trampoline_kernelINS0_14default_configENS1_22reduce_config_selectorIiEEZNS1_11reduce_implILb1ES3_PiS7_iN6hipcub16HIPCUB_304000_NS6detail34convert_binary_result_type_wrapperINS9_3SumENS9_22TransformInputIteratorIbN2at6native12_GLOBAL__N_19NonZeroOpIbEEPKblEEiEEEE10hipError_tPvRmT1_T2_T3_mT4_P12ihipStream_tbEUlT_E0_NS1_11comp_targetILNS1_3genE2ELNS1_11target_archE906ELNS1_3gpuE6ELNS1_3repE0EEENS1_30default_config_static_selectorELNS0_4arch9wavefront6targetE0EEEvSQ_,"axG",@progbits,_ZN7rocprim17ROCPRIM_400000_NS6detail17trampoline_kernelINS0_14default_configENS1_22reduce_config_selectorIiEEZNS1_11reduce_implILb1ES3_PiS7_iN6hipcub16HIPCUB_304000_NS6detail34convert_binary_result_type_wrapperINS9_3SumENS9_22TransformInputIteratorIbN2at6native12_GLOBAL__N_19NonZeroOpIbEEPKblEEiEEEE10hipError_tPvRmT1_T2_T3_mT4_P12ihipStream_tbEUlT_E0_NS1_11comp_targetILNS1_3genE2ELNS1_11target_archE906ELNS1_3gpuE6ELNS1_3repE0EEENS1_30default_config_static_selectorELNS0_4arch9wavefront6targetE0EEEvSQ_,comdat
.Lfunc_end698:
	.size	_ZN7rocprim17ROCPRIM_400000_NS6detail17trampoline_kernelINS0_14default_configENS1_22reduce_config_selectorIiEEZNS1_11reduce_implILb1ES3_PiS7_iN6hipcub16HIPCUB_304000_NS6detail34convert_binary_result_type_wrapperINS9_3SumENS9_22TransformInputIteratorIbN2at6native12_GLOBAL__N_19NonZeroOpIbEEPKblEEiEEEE10hipError_tPvRmT1_T2_T3_mT4_P12ihipStream_tbEUlT_E0_NS1_11comp_targetILNS1_3genE2ELNS1_11target_archE906ELNS1_3gpuE6ELNS1_3repE0EEENS1_30default_config_static_selectorELNS0_4arch9wavefront6targetE0EEEvSQ_, .Lfunc_end698-_ZN7rocprim17ROCPRIM_400000_NS6detail17trampoline_kernelINS0_14default_configENS1_22reduce_config_selectorIiEEZNS1_11reduce_implILb1ES3_PiS7_iN6hipcub16HIPCUB_304000_NS6detail34convert_binary_result_type_wrapperINS9_3SumENS9_22TransformInputIteratorIbN2at6native12_GLOBAL__N_19NonZeroOpIbEEPKblEEiEEEE10hipError_tPvRmT1_T2_T3_mT4_P12ihipStream_tbEUlT_E0_NS1_11comp_targetILNS1_3genE2ELNS1_11target_archE906ELNS1_3gpuE6ELNS1_3repE0EEENS1_30default_config_static_selectorELNS0_4arch9wavefront6targetE0EEEvSQ_
                                        ; -- End function
	.set _ZN7rocprim17ROCPRIM_400000_NS6detail17trampoline_kernelINS0_14default_configENS1_22reduce_config_selectorIiEEZNS1_11reduce_implILb1ES3_PiS7_iN6hipcub16HIPCUB_304000_NS6detail34convert_binary_result_type_wrapperINS9_3SumENS9_22TransformInputIteratorIbN2at6native12_GLOBAL__N_19NonZeroOpIbEEPKblEEiEEEE10hipError_tPvRmT1_T2_T3_mT4_P12ihipStream_tbEUlT_E0_NS1_11comp_targetILNS1_3genE2ELNS1_11target_archE906ELNS1_3gpuE6ELNS1_3repE0EEENS1_30default_config_static_selectorELNS0_4arch9wavefront6targetE0EEEvSQ_.num_vgpr, 0
	.set _ZN7rocprim17ROCPRIM_400000_NS6detail17trampoline_kernelINS0_14default_configENS1_22reduce_config_selectorIiEEZNS1_11reduce_implILb1ES3_PiS7_iN6hipcub16HIPCUB_304000_NS6detail34convert_binary_result_type_wrapperINS9_3SumENS9_22TransformInputIteratorIbN2at6native12_GLOBAL__N_19NonZeroOpIbEEPKblEEiEEEE10hipError_tPvRmT1_T2_T3_mT4_P12ihipStream_tbEUlT_E0_NS1_11comp_targetILNS1_3genE2ELNS1_11target_archE906ELNS1_3gpuE6ELNS1_3repE0EEENS1_30default_config_static_selectorELNS0_4arch9wavefront6targetE0EEEvSQ_.num_agpr, 0
	.set _ZN7rocprim17ROCPRIM_400000_NS6detail17trampoline_kernelINS0_14default_configENS1_22reduce_config_selectorIiEEZNS1_11reduce_implILb1ES3_PiS7_iN6hipcub16HIPCUB_304000_NS6detail34convert_binary_result_type_wrapperINS9_3SumENS9_22TransformInputIteratorIbN2at6native12_GLOBAL__N_19NonZeroOpIbEEPKblEEiEEEE10hipError_tPvRmT1_T2_T3_mT4_P12ihipStream_tbEUlT_E0_NS1_11comp_targetILNS1_3genE2ELNS1_11target_archE906ELNS1_3gpuE6ELNS1_3repE0EEENS1_30default_config_static_selectorELNS0_4arch9wavefront6targetE0EEEvSQ_.numbered_sgpr, 0
	.set _ZN7rocprim17ROCPRIM_400000_NS6detail17trampoline_kernelINS0_14default_configENS1_22reduce_config_selectorIiEEZNS1_11reduce_implILb1ES3_PiS7_iN6hipcub16HIPCUB_304000_NS6detail34convert_binary_result_type_wrapperINS9_3SumENS9_22TransformInputIteratorIbN2at6native12_GLOBAL__N_19NonZeroOpIbEEPKblEEiEEEE10hipError_tPvRmT1_T2_T3_mT4_P12ihipStream_tbEUlT_E0_NS1_11comp_targetILNS1_3genE2ELNS1_11target_archE906ELNS1_3gpuE6ELNS1_3repE0EEENS1_30default_config_static_selectorELNS0_4arch9wavefront6targetE0EEEvSQ_.num_named_barrier, 0
	.set _ZN7rocprim17ROCPRIM_400000_NS6detail17trampoline_kernelINS0_14default_configENS1_22reduce_config_selectorIiEEZNS1_11reduce_implILb1ES3_PiS7_iN6hipcub16HIPCUB_304000_NS6detail34convert_binary_result_type_wrapperINS9_3SumENS9_22TransformInputIteratorIbN2at6native12_GLOBAL__N_19NonZeroOpIbEEPKblEEiEEEE10hipError_tPvRmT1_T2_T3_mT4_P12ihipStream_tbEUlT_E0_NS1_11comp_targetILNS1_3genE2ELNS1_11target_archE906ELNS1_3gpuE6ELNS1_3repE0EEENS1_30default_config_static_selectorELNS0_4arch9wavefront6targetE0EEEvSQ_.private_seg_size, 0
	.set _ZN7rocprim17ROCPRIM_400000_NS6detail17trampoline_kernelINS0_14default_configENS1_22reduce_config_selectorIiEEZNS1_11reduce_implILb1ES3_PiS7_iN6hipcub16HIPCUB_304000_NS6detail34convert_binary_result_type_wrapperINS9_3SumENS9_22TransformInputIteratorIbN2at6native12_GLOBAL__N_19NonZeroOpIbEEPKblEEiEEEE10hipError_tPvRmT1_T2_T3_mT4_P12ihipStream_tbEUlT_E0_NS1_11comp_targetILNS1_3genE2ELNS1_11target_archE906ELNS1_3gpuE6ELNS1_3repE0EEENS1_30default_config_static_selectorELNS0_4arch9wavefront6targetE0EEEvSQ_.uses_vcc, 0
	.set _ZN7rocprim17ROCPRIM_400000_NS6detail17trampoline_kernelINS0_14default_configENS1_22reduce_config_selectorIiEEZNS1_11reduce_implILb1ES3_PiS7_iN6hipcub16HIPCUB_304000_NS6detail34convert_binary_result_type_wrapperINS9_3SumENS9_22TransformInputIteratorIbN2at6native12_GLOBAL__N_19NonZeroOpIbEEPKblEEiEEEE10hipError_tPvRmT1_T2_T3_mT4_P12ihipStream_tbEUlT_E0_NS1_11comp_targetILNS1_3genE2ELNS1_11target_archE906ELNS1_3gpuE6ELNS1_3repE0EEENS1_30default_config_static_selectorELNS0_4arch9wavefront6targetE0EEEvSQ_.uses_flat_scratch, 0
	.set _ZN7rocprim17ROCPRIM_400000_NS6detail17trampoline_kernelINS0_14default_configENS1_22reduce_config_selectorIiEEZNS1_11reduce_implILb1ES3_PiS7_iN6hipcub16HIPCUB_304000_NS6detail34convert_binary_result_type_wrapperINS9_3SumENS9_22TransformInputIteratorIbN2at6native12_GLOBAL__N_19NonZeroOpIbEEPKblEEiEEEE10hipError_tPvRmT1_T2_T3_mT4_P12ihipStream_tbEUlT_E0_NS1_11comp_targetILNS1_3genE2ELNS1_11target_archE906ELNS1_3gpuE6ELNS1_3repE0EEENS1_30default_config_static_selectorELNS0_4arch9wavefront6targetE0EEEvSQ_.has_dyn_sized_stack, 0
	.set _ZN7rocprim17ROCPRIM_400000_NS6detail17trampoline_kernelINS0_14default_configENS1_22reduce_config_selectorIiEEZNS1_11reduce_implILb1ES3_PiS7_iN6hipcub16HIPCUB_304000_NS6detail34convert_binary_result_type_wrapperINS9_3SumENS9_22TransformInputIteratorIbN2at6native12_GLOBAL__N_19NonZeroOpIbEEPKblEEiEEEE10hipError_tPvRmT1_T2_T3_mT4_P12ihipStream_tbEUlT_E0_NS1_11comp_targetILNS1_3genE2ELNS1_11target_archE906ELNS1_3gpuE6ELNS1_3repE0EEENS1_30default_config_static_selectorELNS0_4arch9wavefront6targetE0EEEvSQ_.has_recursion, 0
	.set _ZN7rocprim17ROCPRIM_400000_NS6detail17trampoline_kernelINS0_14default_configENS1_22reduce_config_selectorIiEEZNS1_11reduce_implILb1ES3_PiS7_iN6hipcub16HIPCUB_304000_NS6detail34convert_binary_result_type_wrapperINS9_3SumENS9_22TransformInputIteratorIbN2at6native12_GLOBAL__N_19NonZeroOpIbEEPKblEEiEEEE10hipError_tPvRmT1_T2_T3_mT4_P12ihipStream_tbEUlT_E0_NS1_11comp_targetILNS1_3genE2ELNS1_11target_archE906ELNS1_3gpuE6ELNS1_3repE0EEENS1_30default_config_static_selectorELNS0_4arch9wavefront6targetE0EEEvSQ_.has_indirect_call, 0
	.section	.AMDGPU.csdata,"",@progbits
; Kernel info:
; codeLenInByte = 0
; TotalNumSgprs: 0
; NumVgprs: 0
; ScratchSize: 0
; MemoryBound: 0
; FloatMode: 240
; IeeeMode: 1
; LDSByteSize: 0 bytes/workgroup (compile time only)
; SGPRBlocks: 0
; VGPRBlocks: 0
; NumSGPRsForWavesPerEU: 1
; NumVGPRsForWavesPerEU: 1
; Occupancy: 16
; WaveLimiterHint : 0
; COMPUTE_PGM_RSRC2:SCRATCH_EN: 0
; COMPUTE_PGM_RSRC2:USER_SGPR: 2
; COMPUTE_PGM_RSRC2:TRAP_HANDLER: 0
; COMPUTE_PGM_RSRC2:TGID_X_EN: 1
; COMPUTE_PGM_RSRC2:TGID_Y_EN: 0
; COMPUTE_PGM_RSRC2:TGID_Z_EN: 0
; COMPUTE_PGM_RSRC2:TIDIG_COMP_CNT: 0
	.section	.text._ZN7rocprim17ROCPRIM_400000_NS6detail17trampoline_kernelINS0_14default_configENS1_22reduce_config_selectorIiEEZNS1_11reduce_implILb1ES3_PiS7_iN6hipcub16HIPCUB_304000_NS6detail34convert_binary_result_type_wrapperINS9_3SumENS9_22TransformInputIteratorIbN2at6native12_GLOBAL__N_19NonZeroOpIbEEPKblEEiEEEE10hipError_tPvRmT1_T2_T3_mT4_P12ihipStream_tbEUlT_E0_NS1_11comp_targetILNS1_3genE10ELNS1_11target_archE1201ELNS1_3gpuE5ELNS1_3repE0EEENS1_30default_config_static_selectorELNS0_4arch9wavefront6targetE0EEEvSQ_,"axG",@progbits,_ZN7rocprim17ROCPRIM_400000_NS6detail17trampoline_kernelINS0_14default_configENS1_22reduce_config_selectorIiEEZNS1_11reduce_implILb1ES3_PiS7_iN6hipcub16HIPCUB_304000_NS6detail34convert_binary_result_type_wrapperINS9_3SumENS9_22TransformInputIteratorIbN2at6native12_GLOBAL__N_19NonZeroOpIbEEPKblEEiEEEE10hipError_tPvRmT1_T2_T3_mT4_P12ihipStream_tbEUlT_E0_NS1_11comp_targetILNS1_3genE10ELNS1_11target_archE1201ELNS1_3gpuE5ELNS1_3repE0EEENS1_30default_config_static_selectorELNS0_4arch9wavefront6targetE0EEEvSQ_,comdat
	.globl	_ZN7rocprim17ROCPRIM_400000_NS6detail17trampoline_kernelINS0_14default_configENS1_22reduce_config_selectorIiEEZNS1_11reduce_implILb1ES3_PiS7_iN6hipcub16HIPCUB_304000_NS6detail34convert_binary_result_type_wrapperINS9_3SumENS9_22TransformInputIteratorIbN2at6native12_GLOBAL__N_19NonZeroOpIbEEPKblEEiEEEE10hipError_tPvRmT1_T2_T3_mT4_P12ihipStream_tbEUlT_E0_NS1_11comp_targetILNS1_3genE10ELNS1_11target_archE1201ELNS1_3gpuE5ELNS1_3repE0EEENS1_30default_config_static_selectorELNS0_4arch9wavefront6targetE0EEEvSQ_ ; -- Begin function _ZN7rocprim17ROCPRIM_400000_NS6detail17trampoline_kernelINS0_14default_configENS1_22reduce_config_selectorIiEEZNS1_11reduce_implILb1ES3_PiS7_iN6hipcub16HIPCUB_304000_NS6detail34convert_binary_result_type_wrapperINS9_3SumENS9_22TransformInputIteratorIbN2at6native12_GLOBAL__N_19NonZeroOpIbEEPKblEEiEEEE10hipError_tPvRmT1_T2_T3_mT4_P12ihipStream_tbEUlT_E0_NS1_11comp_targetILNS1_3genE10ELNS1_11target_archE1201ELNS1_3gpuE5ELNS1_3repE0EEENS1_30default_config_static_selectorELNS0_4arch9wavefront6targetE0EEEvSQ_
	.p2align	8
	.type	_ZN7rocprim17ROCPRIM_400000_NS6detail17trampoline_kernelINS0_14default_configENS1_22reduce_config_selectorIiEEZNS1_11reduce_implILb1ES3_PiS7_iN6hipcub16HIPCUB_304000_NS6detail34convert_binary_result_type_wrapperINS9_3SumENS9_22TransformInputIteratorIbN2at6native12_GLOBAL__N_19NonZeroOpIbEEPKblEEiEEEE10hipError_tPvRmT1_T2_T3_mT4_P12ihipStream_tbEUlT_E0_NS1_11comp_targetILNS1_3genE10ELNS1_11target_archE1201ELNS1_3gpuE5ELNS1_3repE0EEENS1_30default_config_static_selectorELNS0_4arch9wavefront6targetE0EEEvSQ_,@function
_ZN7rocprim17ROCPRIM_400000_NS6detail17trampoline_kernelINS0_14default_configENS1_22reduce_config_selectorIiEEZNS1_11reduce_implILb1ES3_PiS7_iN6hipcub16HIPCUB_304000_NS6detail34convert_binary_result_type_wrapperINS9_3SumENS9_22TransformInputIteratorIbN2at6native12_GLOBAL__N_19NonZeroOpIbEEPKblEEiEEEE10hipError_tPvRmT1_T2_T3_mT4_P12ihipStream_tbEUlT_E0_NS1_11comp_targetILNS1_3genE10ELNS1_11target_archE1201ELNS1_3gpuE5ELNS1_3repE0EEENS1_30default_config_static_selectorELNS0_4arch9wavefront6targetE0EEEvSQ_: ; @_ZN7rocprim17ROCPRIM_400000_NS6detail17trampoline_kernelINS0_14default_configENS1_22reduce_config_selectorIiEEZNS1_11reduce_implILb1ES3_PiS7_iN6hipcub16HIPCUB_304000_NS6detail34convert_binary_result_type_wrapperINS9_3SumENS9_22TransformInputIteratorIbN2at6native12_GLOBAL__N_19NonZeroOpIbEEPKblEEiEEEE10hipError_tPvRmT1_T2_T3_mT4_P12ihipStream_tbEUlT_E0_NS1_11comp_targetILNS1_3genE10ELNS1_11target_archE1201ELNS1_3gpuE5ELNS1_3repE0EEENS1_30default_config_static_selectorELNS0_4arch9wavefront6targetE0EEEvSQ_
; %bb.0:
	s_clause 0x1
	s_load_b256 s[12:19], s[0:1], 0x0
	s_load_b128 s[20:23], s[0:1], 0x20
	s_lshl_b32 s2, ttmp9, 12
	s_mov_b32 s3, 0
	v_mbcnt_lo_u32_b32 v18, -1, 0
	v_lshlrev_b32_e32 v19, 2, v0
	s_mov_b32 s24, ttmp9
	s_mov_b32 s25, s3
	s_lshl_b64 s[8:9], s[2:3], 2
	s_wait_kmcnt 0x0
	s_lshl_b64 s[4:5], s[14:15], 2
	s_lshr_b64 s[6:7], s[16:17], 12
	s_add_nc_u64 s[4:5], s[12:13], s[4:5]
	s_cmp_lg_u64 s[6:7], s[24:25]
	s_add_nc_u64 s[26:27], s[4:5], s[8:9]
	s_cbranch_scc0 .LBB699_6
; %bb.1:
	s_clause 0xf
	global_load_b32 v1, v19, s[26:27]
	global_load_b32 v2, v19, s[26:27] offset:1024
	global_load_b32 v3, v19, s[26:27] offset:2048
	;; [unrolled: 1-line block ×15, first 2 shown]
	s_mov_b32 s3, exec_lo
	s_wait_loadcnt 0xe
	v_add_nc_u32_e32 v1, v2, v1
	s_wait_loadcnt 0xc
	s_delay_alu instid0(VALU_DEP_1) | instskip(SKIP_1) | instid1(VALU_DEP_1)
	v_add3_u32 v1, v1, v3, v4
	s_wait_loadcnt 0xa
	v_add3_u32 v1, v1, v5, v6
	s_wait_loadcnt 0x8
	s_delay_alu instid0(VALU_DEP_1) | instskip(SKIP_1) | instid1(VALU_DEP_1)
	v_add3_u32 v1, v1, v7, v8
	s_wait_loadcnt 0x6
	v_add3_u32 v1, v1, v9, v10
	;; [unrolled: 5-line block ×3, first 2 shown]
	s_wait_loadcnt 0x0
	s_delay_alu instid0(VALU_DEP_1) | instskip(NEXT) | instid1(VALU_DEP_1)
	v_add3_u32 v1, v1, v15, v16
	v_mov_b32_dpp v2, v1 quad_perm:[1,0,3,2] row_mask:0xf bank_mask:0xf
	s_delay_alu instid0(VALU_DEP_1) | instskip(NEXT) | instid1(VALU_DEP_1)
	v_add_nc_u32_e32 v1, v2, v1
	v_mov_b32_dpp v2, v1 quad_perm:[2,3,0,1] row_mask:0xf bank_mask:0xf
	s_delay_alu instid0(VALU_DEP_1) | instskip(NEXT) | instid1(VALU_DEP_1)
	v_add_nc_u32_e32 v1, v1, v2
	v_mov_b32_dpp v2, v1 row_ror:4 row_mask:0xf bank_mask:0xf
	s_delay_alu instid0(VALU_DEP_1) | instskip(NEXT) | instid1(VALU_DEP_1)
	v_add_nc_u32_e32 v1, v1, v2
	v_mov_b32_dpp v2, v1 row_ror:8 row_mask:0xf bank_mask:0xf
	s_delay_alu instid0(VALU_DEP_1)
	v_add_nc_u32_e32 v1, v1, v2
	ds_swizzle_b32 v2, v1 offset:swizzle(BROADCAST,32,15)
	s_wait_dscnt 0x0
	v_dual_mov_b32 v2, 0 :: v_dual_add_nc_u32 v1, v1, v2
	ds_bpermute_b32 v1, v2, v1 offset:124
	v_cmpx_eq_u32_e32 0, v18
	s_cbranch_execz .LBB699_3
; %bb.2:
	v_lshrrev_b32_e32 v2, 3, v0
	s_delay_alu instid0(VALU_DEP_1)
	v_and_b32_e32 v2, 28, v2
	s_wait_dscnt 0x0
	ds_store_b32 v2, v1
.LBB699_3:
	s_or_b32 exec_lo, exec_lo, s3
	s_delay_alu instid0(SALU_CYCLE_1)
	s_mov_b32 s3, exec_lo
	s_wait_dscnt 0x0
	s_barrier_signal -1
	s_barrier_wait -1
	global_inv scope:SCOPE_SE
	v_cmpx_gt_u32_e32 32, v0
	s_cbranch_execz .LBB699_5
; %bb.4:
	v_and_b32_e32 v1, 7, v18
	s_delay_alu instid0(VALU_DEP_1) | instskip(SKIP_4) | instid1(VALU_DEP_2)
	v_lshlrev_b32_e32 v2, 2, v1
	v_cmp_ne_u32_e32 vcc_lo, 7, v1
	ds_load_b32 v2, v2
	v_add_co_ci_u32_e64 v3, null, 0, v18, vcc_lo
	v_cmp_gt_u32_e32 vcc_lo, 6, v1
	v_lshlrev_b32_e32 v3, 2, v3
	s_wait_alu 0xfffd
	v_cndmask_b32_e64 v1, 0, 2, vcc_lo
	s_delay_alu instid0(VALU_DEP_1)
	v_add_lshl_u32 v1, v1, v18, 2
	s_wait_dscnt 0x0
	ds_bpermute_b32 v3, v3, v2
	s_wait_dscnt 0x0
	v_add_nc_u32_e32 v2, v3, v2
	v_lshlrev_b32_e32 v3, 2, v18
	ds_bpermute_b32 v1, v1, v2
	s_wait_dscnt 0x0
	v_add_nc_u32_e32 v1, v1, v2
	v_or_b32_e32 v2, 16, v3
	ds_bpermute_b32 v2, v2, v1
	s_wait_dscnt 0x0
	v_add_nc_u32_e32 v1, v2, v1
.LBB699_5:
	s_or_b32 exec_lo, exec_lo, s3
	s_branch .LBB699_44
.LBB699_6:
                                        ; implicit-def: $vgpr1
	s_cbranch_execz .LBB699_44
; %bb.7:
	v_mov_b32_e32 v1, 0
	s_sub_co_i32 s28, s16, s2
	s_mov_b32 s2, exec_lo
	s_delay_alu instid0(VALU_DEP_1)
	v_dual_mov_b32 v2, v1 :: v_dual_mov_b32 v3, v1
	v_dual_mov_b32 v4, v1 :: v_dual_mov_b32 v5, v1
	;; [unrolled: 1-line block ×7, first 2 shown]
	v_mov_b32_e32 v16, v1
	v_cmpx_gt_u32_e64 s28, v0
	s_cbranch_execz .LBB699_9
; %bb.8:
	global_load_b32 v2, v19, s[26:27]
	v_mov_b32_e32 v17, v1
	v_dual_mov_b32 v3, v1 :: v_dual_mov_b32 v4, v1
	v_dual_mov_b32 v5, v1 :: v_dual_mov_b32 v6, v1
	;; [unrolled: 1-line block ×7, first 2 shown]
	s_wait_loadcnt 0x0
	v_mov_b32_e32 v1, v2
	v_mov_b32_e32 v2, v3
	;; [unrolled: 1-line block ×16, first 2 shown]
.LBB699_9:
	s_or_b32 exec_lo, exec_lo, s2
	v_or_b32_e32 v17, 0x100, v0
	s_delay_alu instid0(VALU_DEP_1)
	v_cmp_gt_u32_e32 vcc_lo, s28, v17
	s_and_saveexec_b32 s2, vcc_lo
	s_cbranch_execz .LBB699_11
; %bb.10:
	global_load_b32 v2, v19, s[26:27] offset:1024
.LBB699_11:
	s_or_b32 exec_lo, exec_lo, s2
	v_or_b32_e32 v17, 0x200, v0
	s_delay_alu instid0(VALU_DEP_1)
	v_cmp_gt_u32_e64 s2, s28, v17
	s_and_saveexec_b32 s3, s2
	s_cbranch_execz .LBB699_13
; %bb.12:
	global_load_b32 v3, v19, s[26:27] offset:2048
.LBB699_13:
	s_or_b32 exec_lo, exec_lo, s3
	v_or_b32_e32 v17, 0x300, v0
	s_delay_alu instid0(VALU_DEP_1)
	v_cmp_gt_u32_e64 s3, s28, v17
	s_and_saveexec_b32 s4, s3
	;; [unrolled: 9-line block ×14, first 2 shown]
	s_cbranch_execz .LBB699_39
; %bb.38:
	global_load_b32 v16, v19, s[26:27] offset:15360
.LBB699_39:
	s_wait_alu 0xfffe
	s_or_b32 exec_lo, exec_lo, s29
	s_wait_loadcnt 0x0
	v_cndmask_b32_e32 v2, 0, v2, vcc_lo
	v_cndmask_b32_e64 v3, 0, v3, s2
	v_cndmask_b32_e64 v4, 0, v4, s3
	v_cmp_ne_u32_e32 vcc_lo, 31, v18
	s_min_u32 s2, s28, 0x100
	v_add_nc_u32_e32 v1, v2, v1
	v_cndmask_b32_e64 v2, 0, v5, s4
	v_cndmask_b32_e64 v5, 0, v6, s5
	v_cndmask_b32_e64 v6, 0, v15, s14
	s_mov_b32 s3, exec_lo
	v_add3_u32 v1, v1, v3, v4
	v_cndmask_b32_e64 v3, 0, v7, s6
	v_cndmask_b32_e64 v4, 0, v8, s7
	s_delay_alu instid0(VALU_DEP_3) | instskip(SKIP_2) | instid1(VALU_DEP_3)
	v_add3_u32 v1, v1, v2, v5
	v_cndmask_b32_e64 v2, 0, v9, s8
	v_cndmask_b32_e64 v5, 0, v10, s9
	v_add3_u32 v1, v1, v3, v4
	v_cndmask_b32_e64 v3, 0, v11, s10
	v_cndmask_b32_e64 v4, 0, v12, s11
	s_delay_alu instid0(VALU_DEP_3) | instskip(SKIP_2) | instid1(VALU_DEP_3)
	v_add3_u32 v1, v1, v2, v5
	v_cndmask_b32_e64 v2, 0, v13, s12
	v_cndmask_b32_e64 v5, 0, v14, s13
	v_add3_u32 v1, v1, v3, v4
	v_cndmask_b32_e64 v3, 0, v16, s15
	s_wait_alu 0xfffd
	v_add_co_ci_u32_e64 v4, null, 0, v18, vcc_lo
	v_cmp_gt_u32_e32 vcc_lo, 30, v18
	v_add3_u32 v1, v1, v2, v5
	s_delay_alu instid0(VALU_DEP_3)
	v_lshlrev_b32_e32 v2, 2, v4
	v_add_nc_u32_e32 v4, 1, v18
	s_wait_alu 0xfffd
	v_cndmask_b32_e64 v5, 0, 2, vcc_lo
	v_add3_u32 v1, v1, v6, v3
	v_and_b32_e32 v3, 0xe0, v0
	ds_bpermute_b32 v2, v2, v1
	s_wait_alu 0xfffe
	v_sub_nc_u32_e64 v3, s2, v3 clamp
	s_delay_alu instid0(VALU_DEP_1)
	v_cmp_lt_u32_e32 vcc_lo, v4, v3
	v_add_lshl_u32 v4, v5, v18, 2
	s_wait_dscnt 0x0
	s_wait_alu 0xfffd
	v_cndmask_b32_e32 v2, 0, v2, vcc_lo
	v_cmp_gt_u32_e32 vcc_lo, 28, v18
	s_delay_alu instid0(VALU_DEP_2) | instskip(SKIP_4) | instid1(VALU_DEP_1)
	v_add_nc_u32_e32 v1, v1, v2
	s_wait_alu 0xfffd
	v_cndmask_b32_e64 v5, 0, 4, vcc_lo
	ds_bpermute_b32 v2, v4, v1
	v_add_nc_u32_e32 v4, 2, v18
	v_cmp_lt_u32_e32 vcc_lo, v4, v3
	v_add_lshl_u32 v4, v5, v18, 2
	s_wait_dscnt 0x0
	s_wait_alu 0xfffd
	v_cndmask_b32_e32 v2, 0, v2, vcc_lo
	v_cmp_gt_u32_e32 vcc_lo, 24, v18
	s_delay_alu instid0(VALU_DEP_2) | instskip(SKIP_4) | instid1(VALU_DEP_1)
	v_add_nc_u32_e32 v1, v1, v2
	s_wait_alu 0xfffd
	v_cndmask_b32_e64 v5, 0, 8, vcc_lo
	ds_bpermute_b32 v2, v4, v1
	v_add_nc_u32_e32 v4, 4, v18
	v_cmp_lt_u32_e32 vcc_lo, v4, v3
	v_add_lshl_u32 v4, v5, v18, 2
	v_add_nc_u32_e32 v5, 8, v18
	s_wait_dscnt 0x0
	s_wait_alu 0xfffd
	v_cndmask_b32_e32 v2, 0, v2, vcc_lo
	s_delay_alu instid0(VALU_DEP_2) | instskip(NEXT) | instid1(VALU_DEP_2)
	v_cmp_lt_u32_e32 vcc_lo, v5, v3
	v_add_nc_u32_e32 v1, v1, v2
	v_lshlrev_b32_e32 v2, 2, v18
	ds_bpermute_b32 v4, v4, v1
	v_or_b32_e32 v5, 64, v2
	s_wait_dscnt 0x0
	s_wait_alu 0xfffd
	v_cndmask_b32_e32 v4, 0, v4, vcc_lo
	s_delay_alu instid0(VALU_DEP_1) | instskip(SKIP_2) | instid1(VALU_DEP_1)
	v_add_nc_u32_e32 v1, v1, v4
	ds_bpermute_b32 v4, v5, v1
	v_add_nc_u32_e32 v5, 16, v18
	v_cmp_lt_u32_e32 vcc_lo, v5, v3
	s_wait_dscnt 0x0
	s_wait_alu 0xfffd
	v_cndmask_b32_e32 v3, 0, v4, vcc_lo
	s_delay_alu instid0(VALU_DEP_1)
	v_add_nc_u32_e32 v1, v1, v3
	v_cmpx_eq_u32_e32 0, v18
; %bb.40:
	v_lshrrev_b32_e32 v3, 3, v0
	s_delay_alu instid0(VALU_DEP_1)
	v_and_b32_e32 v3, 28, v3
	ds_store_b32 v3, v1 offset:32
; %bb.41:
	s_or_b32 exec_lo, exec_lo, s3
	s_delay_alu instid0(SALU_CYCLE_1)
	s_mov_b32 s3, exec_lo
	s_wait_dscnt 0x0
	s_barrier_signal -1
	s_barrier_wait -1
	global_inv scope:SCOPE_SE
	v_cmpx_gt_u32_e32 8, v0
	s_cbranch_execz .LBB699_43
; %bb.42:
	ds_load_b32 v1, v2 offset:32
	v_and_b32_e32 v3, 7, v18
	s_add_co_i32 s2, s2, 31
	v_or_b32_e32 v2, 16, v2
	s_wait_alu 0xfffe
	s_lshr_b32 s2, s2, 5
	v_cmp_ne_u32_e32 vcc_lo, 7, v3
	v_add_nc_u32_e32 v5, 1, v3
	s_wait_alu 0xfffd
	v_add_co_ci_u32_e64 v4, null, 0, v18, vcc_lo
	v_cmp_gt_u32_e32 vcc_lo, 6, v3
	s_delay_alu instid0(VALU_DEP_2)
	v_lshlrev_b32_e32 v4, 2, v4
	s_wait_alu 0xfffd
	v_cndmask_b32_e64 v6, 0, 2, vcc_lo
	s_wait_alu 0xfffe
	v_cmp_gt_u32_e32 vcc_lo, s2, v5
	s_wait_dscnt 0x0
	ds_bpermute_b32 v4, v4, v1
	v_add_lshl_u32 v5, v6, v18, 2
	s_wait_dscnt 0x0
	s_wait_alu 0xfffd
	v_cndmask_b32_e32 v4, 0, v4, vcc_lo
	s_delay_alu instid0(VALU_DEP_1) | instskip(SKIP_3) | instid1(VALU_DEP_2)
	v_add_nc_u32_e32 v1, v4, v1
	ds_bpermute_b32 v4, v5, v1
	v_add_nc_u32_e32 v5, 2, v3
	v_add_nc_u32_e32 v3, 4, v3
	v_cmp_gt_u32_e32 vcc_lo, s2, v5
	s_wait_dscnt 0x0
	s_wait_alu 0xfffd
	v_cndmask_b32_e32 v4, 0, v4, vcc_lo
	v_cmp_gt_u32_e32 vcc_lo, s2, v3
	s_delay_alu instid0(VALU_DEP_2) | instskip(SKIP_4) | instid1(VALU_DEP_1)
	v_add_nc_u32_e32 v1, v1, v4
	ds_bpermute_b32 v2, v2, v1
	s_wait_dscnt 0x0
	s_wait_alu 0xfffd
	v_cndmask_b32_e32 v2, 0, v2, vcc_lo
	v_add_nc_u32_e32 v1, v1, v2
.LBB699_43:
	s_wait_alu 0xfffe
	s_or_b32 exec_lo, exec_lo, s3
.LBB699_44:
	s_load_b32 s0, s[0:1], 0x30
	s_mov_b32 s1, exec_lo
	v_cmpx_eq_u32_e32 0, v0
	s_cbranch_execz .LBB699_46
; %bb.45:
	s_mul_u64 s[2:3], s[22:23], s[20:21]
	s_wait_alu 0xfffe
	s_lshl_b64 s[2:3], s[2:3], 2
	s_cmp_eq_u64 s[16:17], 0
	s_wait_alu 0xfffe
	s_add_nc_u64 s[2:3], s[18:19], s[2:3]
	s_cselect_b32 s1, -1, 0
	s_wait_kmcnt 0x0
	v_cndmask_b32_e64 v0, v1, s0, s1
	v_mov_b32_e32 v1, 0
	s_lshl_b64 s[0:1], s[24:25], 2
	s_wait_alu 0xfffe
	s_add_nc_u64 s[0:1], s[2:3], s[0:1]
	global_store_b32 v1, v0, s[0:1]
.LBB699_46:
	s_endpgm
	.section	.rodata,"a",@progbits
	.p2align	6, 0x0
	.amdhsa_kernel _ZN7rocprim17ROCPRIM_400000_NS6detail17trampoline_kernelINS0_14default_configENS1_22reduce_config_selectorIiEEZNS1_11reduce_implILb1ES3_PiS7_iN6hipcub16HIPCUB_304000_NS6detail34convert_binary_result_type_wrapperINS9_3SumENS9_22TransformInputIteratorIbN2at6native12_GLOBAL__N_19NonZeroOpIbEEPKblEEiEEEE10hipError_tPvRmT1_T2_T3_mT4_P12ihipStream_tbEUlT_E0_NS1_11comp_targetILNS1_3genE10ELNS1_11target_archE1201ELNS1_3gpuE5ELNS1_3repE0EEENS1_30default_config_static_selectorELNS0_4arch9wavefront6targetE0EEEvSQ_
		.amdhsa_group_segment_fixed_size 64
		.amdhsa_private_segment_fixed_size 0
		.amdhsa_kernarg_size 56
		.amdhsa_user_sgpr_count 2
		.amdhsa_user_sgpr_dispatch_ptr 0
		.amdhsa_user_sgpr_queue_ptr 0
		.amdhsa_user_sgpr_kernarg_segment_ptr 1
		.amdhsa_user_sgpr_dispatch_id 0
		.amdhsa_user_sgpr_private_segment_size 0
		.amdhsa_wavefront_size32 1
		.amdhsa_uses_dynamic_stack 0
		.amdhsa_enable_private_segment 0
		.amdhsa_system_sgpr_workgroup_id_x 1
		.amdhsa_system_sgpr_workgroup_id_y 0
		.amdhsa_system_sgpr_workgroup_id_z 0
		.amdhsa_system_sgpr_workgroup_info 0
		.amdhsa_system_vgpr_workitem_id 0
		.amdhsa_next_free_vgpr 20
		.amdhsa_next_free_sgpr 30
		.amdhsa_reserve_vcc 1
		.amdhsa_float_round_mode_32 0
		.amdhsa_float_round_mode_16_64 0
		.amdhsa_float_denorm_mode_32 3
		.amdhsa_float_denorm_mode_16_64 3
		.amdhsa_fp16_overflow 0
		.amdhsa_workgroup_processor_mode 1
		.amdhsa_memory_ordered 1
		.amdhsa_forward_progress 1
		.amdhsa_inst_pref_size 20
		.amdhsa_round_robin_scheduling 0
		.amdhsa_exception_fp_ieee_invalid_op 0
		.amdhsa_exception_fp_denorm_src 0
		.amdhsa_exception_fp_ieee_div_zero 0
		.amdhsa_exception_fp_ieee_overflow 0
		.amdhsa_exception_fp_ieee_underflow 0
		.amdhsa_exception_fp_ieee_inexact 0
		.amdhsa_exception_int_div_zero 0
	.end_amdhsa_kernel
	.section	.text._ZN7rocprim17ROCPRIM_400000_NS6detail17trampoline_kernelINS0_14default_configENS1_22reduce_config_selectorIiEEZNS1_11reduce_implILb1ES3_PiS7_iN6hipcub16HIPCUB_304000_NS6detail34convert_binary_result_type_wrapperINS9_3SumENS9_22TransformInputIteratorIbN2at6native12_GLOBAL__N_19NonZeroOpIbEEPKblEEiEEEE10hipError_tPvRmT1_T2_T3_mT4_P12ihipStream_tbEUlT_E0_NS1_11comp_targetILNS1_3genE10ELNS1_11target_archE1201ELNS1_3gpuE5ELNS1_3repE0EEENS1_30default_config_static_selectorELNS0_4arch9wavefront6targetE0EEEvSQ_,"axG",@progbits,_ZN7rocprim17ROCPRIM_400000_NS6detail17trampoline_kernelINS0_14default_configENS1_22reduce_config_selectorIiEEZNS1_11reduce_implILb1ES3_PiS7_iN6hipcub16HIPCUB_304000_NS6detail34convert_binary_result_type_wrapperINS9_3SumENS9_22TransformInputIteratorIbN2at6native12_GLOBAL__N_19NonZeroOpIbEEPKblEEiEEEE10hipError_tPvRmT1_T2_T3_mT4_P12ihipStream_tbEUlT_E0_NS1_11comp_targetILNS1_3genE10ELNS1_11target_archE1201ELNS1_3gpuE5ELNS1_3repE0EEENS1_30default_config_static_selectorELNS0_4arch9wavefront6targetE0EEEvSQ_,comdat
.Lfunc_end699:
	.size	_ZN7rocprim17ROCPRIM_400000_NS6detail17trampoline_kernelINS0_14default_configENS1_22reduce_config_selectorIiEEZNS1_11reduce_implILb1ES3_PiS7_iN6hipcub16HIPCUB_304000_NS6detail34convert_binary_result_type_wrapperINS9_3SumENS9_22TransformInputIteratorIbN2at6native12_GLOBAL__N_19NonZeroOpIbEEPKblEEiEEEE10hipError_tPvRmT1_T2_T3_mT4_P12ihipStream_tbEUlT_E0_NS1_11comp_targetILNS1_3genE10ELNS1_11target_archE1201ELNS1_3gpuE5ELNS1_3repE0EEENS1_30default_config_static_selectorELNS0_4arch9wavefront6targetE0EEEvSQ_, .Lfunc_end699-_ZN7rocprim17ROCPRIM_400000_NS6detail17trampoline_kernelINS0_14default_configENS1_22reduce_config_selectorIiEEZNS1_11reduce_implILb1ES3_PiS7_iN6hipcub16HIPCUB_304000_NS6detail34convert_binary_result_type_wrapperINS9_3SumENS9_22TransformInputIteratorIbN2at6native12_GLOBAL__N_19NonZeroOpIbEEPKblEEiEEEE10hipError_tPvRmT1_T2_T3_mT4_P12ihipStream_tbEUlT_E0_NS1_11comp_targetILNS1_3genE10ELNS1_11target_archE1201ELNS1_3gpuE5ELNS1_3repE0EEENS1_30default_config_static_selectorELNS0_4arch9wavefront6targetE0EEEvSQ_
                                        ; -- End function
	.set _ZN7rocprim17ROCPRIM_400000_NS6detail17trampoline_kernelINS0_14default_configENS1_22reduce_config_selectorIiEEZNS1_11reduce_implILb1ES3_PiS7_iN6hipcub16HIPCUB_304000_NS6detail34convert_binary_result_type_wrapperINS9_3SumENS9_22TransformInputIteratorIbN2at6native12_GLOBAL__N_19NonZeroOpIbEEPKblEEiEEEE10hipError_tPvRmT1_T2_T3_mT4_P12ihipStream_tbEUlT_E0_NS1_11comp_targetILNS1_3genE10ELNS1_11target_archE1201ELNS1_3gpuE5ELNS1_3repE0EEENS1_30default_config_static_selectorELNS0_4arch9wavefront6targetE0EEEvSQ_.num_vgpr, 20
	.set _ZN7rocprim17ROCPRIM_400000_NS6detail17trampoline_kernelINS0_14default_configENS1_22reduce_config_selectorIiEEZNS1_11reduce_implILb1ES3_PiS7_iN6hipcub16HIPCUB_304000_NS6detail34convert_binary_result_type_wrapperINS9_3SumENS9_22TransformInputIteratorIbN2at6native12_GLOBAL__N_19NonZeroOpIbEEPKblEEiEEEE10hipError_tPvRmT1_T2_T3_mT4_P12ihipStream_tbEUlT_E0_NS1_11comp_targetILNS1_3genE10ELNS1_11target_archE1201ELNS1_3gpuE5ELNS1_3repE0EEENS1_30default_config_static_selectorELNS0_4arch9wavefront6targetE0EEEvSQ_.num_agpr, 0
	.set _ZN7rocprim17ROCPRIM_400000_NS6detail17trampoline_kernelINS0_14default_configENS1_22reduce_config_selectorIiEEZNS1_11reduce_implILb1ES3_PiS7_iN6hipcub16HIPCUB_304000_NS6detail34convert_binary_result_type_wrapperINS9_3SumENS9_22TransformInputIteratorIbN2at6native12_GLOBAL__N_19NonZeroOpIbEEPKblEEiEEEE10hipError_tPvRmT1_T2_T3_mT4_P12ihipStream_tbEUlT_E0_NS1_11comp_targetILNS1_3genE10ELNS1_11target_archE1201ELNS1_3gpuE5ELNS1_3repE0EEENS1_30default_config_static_selectorELNS0_4arch9wavefront6targetE0EEEvSQ_.numbered_sgpr, 30
	.set _ZN7rocprim17ROCPRIM_400000_NS6detail17trampoline_kernelINS0_14default_configENS1_22reduce_config_selectorIiEEZNS1_11reduce_implILb1ES3_PiS7_iN6hipcub16HIPCUB_304000_NS6detail34convert_binary_result_type_wrapperINS9_3SumENS9_22TransformInputIteratorIbN2at6native12_GLOBAL__N_19NonZeroOpIbEEPKblEEiEEEE10hipError_tPvRmT1_T2_T3_mT4_P12ihipStream_tbEUlT_E0_NS1_11comp_targetILNS1_3genE10ELNS1_11target_archE1201ELNS1_3gpuE5ELNS1_3repE0EEENS1_30default_config_static_selectorELNS0_4arch9wavefront6targetE0EEEvSQ_.num_named_barrier, 0
	.set _ZN7rocprim17ROCPRIM_400000_NS6detail17trampoline_kernelINS0_14default_configENS1_22reduce_config_selectorIiEEZNS1_11reduce_implILb1ES3_PiS7_iN6hipcub16HIPCUB_304000_NS6detail34convert_binary_result_type_wrapperINS9_3SumENS9_22TransformInputIteratorIbN2at6native12_GLOBAL__N_19NonZeroOpIbEEPKblEEiEEEE10hipError_tPvRmT1_T2_T3_mT4_P12ihipStream_tbEUlT_E0_NS1_11comp_targetILNS1_3genE10ELNS1_11target_archE1201ELNS1_3gpuE5ELNS1_3repE0EEENS1_30default_config_static_selectorELNS0_4arch9wavefront6targetE0EEEvSQ_.private_seg_size, 0
	.set _ZN7rocprim17ROCPRIM_400000_NS6detail17trampoline_kernelINS0_14default_configENS1_22reduce_config_selectorIiEEZNS1_11reduce_implILb1ES3_PiS7_iN6hipcub16HIPCUB_304000_NS6detail34convert_binary_result_type_wrapperINS9_3SumENS9_22TransformInputIteratorIbN2at6native12_GLOBAL__N_19NonZeroOpIbEEPKblEEiEEEE10hipError_tPvRmT1_T2_T3_mT4_P12ihipStream_tbEUlT_E0_NS1_11comp_targetILNS1_3genE10ELNS1_11target_archE1201ELNS1_3gpuE5ELNS1_3repE0EEENS1_30default_config_static_selectorELNS0_4arch9wavefront6targetE0EEEvSQ_.uses_vcc, 1
	.set _ZN7rocprim17ROCPRIM_400000_NS6detail17trampoline_kernelINS0_14default_configENS1_22reduce_config_selectorIiEEZNS1_11reduce_implILb1ES3_PiS7_iN6hipcub16HIPCUB_304000_NS6detail34convert_binary_result_type_wrapperINS9_3SumENS9_22TransformInputIteratorIbN2at6native12_GLOBAL__N_19NonZeroOpIbEEPKblEEiEEEE10hipError_tPvRmT1_T2_T3_mT4_P12ihipStream_tbEUlT_E0_NS1_11comp_targetILNS1_3genE10ELNS1_11target_archE1201ELNS1_3gpuE5ELNS1_3repE0EEENS1_30default_config_static_selectorELNS0_4arch9wavefront6targetE0EEEvSQ_.uses_flat_scratch, 0
	.set _ZN7rocprim17ROCPRIM_400000_NS6detail17trampoline_kernelINS0_14default_configENS1_22reduce_config_selectorIiEEZNS1_11reduce_implILb1ES3_PiS7_iN6hipcub16HIPCUB_304000_NS6detail34convert_binary_result_type_wrapperINS9_3SumENS9_22TransformInputIteratorIbN2at6native12_GLOBAL__N_19NonZeroOpIbEEPKblEEiEEEE10hipError_tPvRmT1_T2_T3_mT4_P12ihipStream_tbEUlT_E0_NS1_11comp_targetILNS1_3genE10ELNS1_11target_archE1201ELNS1_3gpuE5ELNS1_3repE0EEENS1_30default_config_static_selectorELNS0_4arch9wavefront6targetE0EEEvSQ_.has_dyn_sized_stack, 0
	.set _ZN7rocprim17ROCPRIM_400000_NS6detail17trampoline_kernelINS0_14default_configENS1_22reduce_config_selectorIiEEZNS1_11reduce_implILb1ES3_PiS7_iN6hipcub16HIPCUB_304000_NS6detail34convert_binary_result_type_wrapperINS9_3SumENS9_22TransformInputIteratorIbN2at6native12_GLOBAL__N_19NonZeroOpIbEEPKblEEiEEEE10hipError_tPvRmT1_T2_T3_mT4_P12ihipStream_tbEUlT_E0_NS1_11comp_targetILNS1_3genE10ELNS1_11target_archE1201ELNS1_3gpuE5ELNS1_3repE0EEENS1_30default_config_static_selectorELNS0_4arch9wavefront6targetE0EEEvSQ_.has_recursion, 0
	.set _ZN7rocprim17ROCPRIM_400000_NS6detail17trampoline_kernelINS0_14default_configENS1_22reduce_config_selectorIiEEZNS1_11reduce_implILb1ES3_PiS7_iN6hipcub16HIPCUB_304000_NS6detail34convert_binary_result_type_wrapperINS9_3SumENS9_22TransformInputIteratorIbN2at6native12_GLOBAL__N_19NonZeroOpIbEEPKblEEiEEEE10hipError_tPvRmT1_T2_T3_mT4_P12ihipStream_tbEUlT_E0_NS1_11comp_targetILNS1_3genE10ELNS1_11target_archE1201ELNS1_3gpuE5ELNS1_3repE0EEENS1_30default_config_static_selectorELNS0_4arch9wavefront6targetE0EEEvSQ_.has_indirect_call, 0
	.section	.AMDGPU.csdata,"",@progbits
; Kernel info:
; codeLenInByte = 2448
; TotalNumSgprs: 32
; NumVgprs: 20
; ScratchSize: 0
; MemoryBound: 0
; FloatMode: 240
; IeeeMode: 1
; LDSByteSize: 64 bytes/workgroup (compile time only)
; SGPRBlocks: 0
; VGPRBlocks: 2
; NumSGPRsForWavesPerEU: 32
; NumVGPRsForWavesPerEU: 20
; Occupancy: 16
; WaveLimiterHint : 1
; COMPUTE_PGM_RSRC2:SCRATCH_EN: 0
; COMPUTE_PGM_RSRC2:USER_SGPR: 2
; COMPUTE_PGM_RSRC2:TRAP_HANDLER: 0
; COMPUTE_PGM_RSRC2:TGID_X_EN: 1
; COMPUTE_PGM_RSRC2:TGID_Y_EN: 0
; COMPUTE_PGM_RSRC2:TGID_Z_EN: 0
; COMPUTE_PGM_RSRC2:TIDIG_COMP_CNT: 0
	.section	.text._ZN7rocprim17ROCPRIM_400000_NS6detail17trampoline_kernelINS0_14default_configENS1_22reduce_config_selectorIiEEZNS1_11reduce_implILb1ES3_PiS7_iN6hipcub16HIPCUB_304000_NS6detail34convert_binary_result_type_wrapperINS9_3SumENS9_22TransformInputIteratorIbN2at6native12_GLOBAL__N_19NonZeroOpIbEEPKblEEiEEEE10hipError_tPvRmT1_T2_T3_mT4_P12ihipStream_tbEUlT_E0_NS1_11comp_targetILNS1_3genE10ELNS1_11target_archE1200ELNS1_3gpuE4ELNS1_3repE0EEENS1_30default_config_static_selectorELNS0_4arch9wavefront6targetE0EEEvSQ_,"axG",@progbits,_ZN7rocprim17ROCPRIM_400000_NS6detail17trampoline_kernelINS0_14default_configENS1_22reduce_config_selectorIiEEZNS1_11reduce_implILb1ES3_PiS7_iN6hipcub16HIPCUB_304000_NS6detail34convert_binary_result_type_wrapperINS9_3SumENS9_22TransformInputIteratorIbN2at6native12_GLOBAL__N_19NonZeroOpIbEEPKblEEiEEEE10hipError_tPvRmT1_T2_T3_mT4_P12ihipStream_tbEUlT_E0_NS1_11comp_targetILNS1_3genE10ELNS1_11target_archE1200ELNS1_3gpuE4ELNS1_3repE0EEENS1_30default_config_static_selectorELNS0_4arch9wavefront6targetE0EEEvSQ_,comdat
	.globl	_ZN7rocprim17ROCPRIM_400000_NS6detail17trampoline_kernelINS0_14default_configENS1_22reduce_config_selectorIiEEZNS1_11reduce_implILb1ES3_PiS7_iN6hipcub16HIPCUB_304000_NS6detail34convert_binary_result_type_wrapperINS9_3SumENS9_22TransformInputIteratorIbN2at6native12_GLOBAL__N_19NonZeroOpIbEEPKblEEiEEEE10hipError_tPvRmT1_T2_T3_mT4_P12ihipStream_tbEUlT_E0_NS1_11comp_targetILNS1_3genE10ELNS1_11target_archE1200ELNS1_3gpuE4ELNS1_3repE0EEENS1_30default_config_static_selectorELNS0_4arch9wavefront6targetE0EEEvSQ_ ; -- Begin function _ZN7rocprim17ROCPRIM_400000_NS6detail17trampoline_kernelINS0_14default_configENS1_22reduce_config_selectorIiEEZNS1_11reduce_implILb1ES3_PiS7_iN6hipcub16HIPCUB_304000_NS6detail34convert_binary_result_type_wrapperINS9_3SumENS9_22TransformInputIteratorIbN2at6native12_GLOBAL__N_19NonZeroOpIbEEPKblEEiEEEE10hipError_tPvRmT1_T2_T3_mT4_P12ihipStream_tbEUlT_E0_NS1_11comp_targetILNS1_3genE10ELNS1_11target_archE1200ELNS1_3gpuE4ELNS1_3repE0EEENS1_30default_config_static_selectorELNS0_4arch9wavefront6targetE0EEEvSQ_
	.p2align	8
	.type	_ZN7rocprim17ROCPRIM_400000_NS6detail17trampoline_kernelINS0_14default_configENS1_22reduce_config_selectorIiEEZNS1_11reduce_implILb1ES3_PiS7_iN6hipcub16HIPCUB_304000_NS6detail34convert_binary_result_type_wrapperINS9_3SumENS9_22TransformInputIteratorIbN2at6native12_GLOBAL__N_19NonZeroOpIbEEPKblEEiEEEE10hipError_tPvRmT1_T2_T3_mT4_P12ihipStream_tbEUlT_E0_NS1_11comp_targetILNS1_3genE10ELNS1_11target_archE1200ELNS1_3gpuE4ELNS1_3repE0EEENS1_30default_config_static_selectorELNS0_4arch9wavefront6targetE0EEEvSQ_,@function
_ZN7rocprim17ROCPRIM_400000_NS6detail17trampoline_kernelINS0_14default_configENS1_22reduce_config_selectorIiEEZNS1_11reduce_implILb1ES3_PiS7_iN6hipcub16HIPCUB_304000_NS6detail34convert_binary_result_type_wrapperINS9_3SumENS9_22TransformInputIteratorIbN2at6native12_GLOBAL__N_19NonZeroOpIbEEPKblEEiEEEE10hipError_tPvRmT1_T2_T3_mT4_P12ihipStream_tbEUlT_E0_NS1_11comp_targetILNS1_3genE10ELNS1_11target_archE1200ELNS1_3gpuE4ELNS1_3repE0EEENS1_30default_config_static_selectorELNS0_4arch9wavefront6targetE0EEEvSQ_: ; @_ZN7rocprim17ROCPRIM_400000_NS6detail17trampoline_kernelINS0_14default_configENS1_22reduce_config_selectorIiEEZNS1_11reduce_implILb1ES3_PiS7_iN6hipcub16HIPCUB_304000_NS6detail34convert_binary_result_type_wrapperINS9_3SumENS9_22TransformInputIteratorIbN2at6native12_GLOBAL__N_19NonZeroOpIbEEPKblEEiEEEE10hipError_tPvRmT1_T2_T3_mT4_P12ihipStream_tbEUlT_E0_NS1_11comp_targetILNS1_3genE10ELNS1_11target_archE1200ELNS1_3gpuE4ELNS1_3repE0EEENS1_30default_config_static_selectorELNS0_4arch9wavefront6targetE0EEEvSQ_
; %bb.0:
	.section	.rodata,"a",@progbits
	.p2align	6, 0x0
	.amdhsa_kernel _ZN7rocprim17ROCPRIM_400000_NS6detail17trampoline_kernelINS0_14default_configENS1_22reduce_config_selectorIiEEZNS1_11reduce_implILb1ES3_PiS7_iN6hipcub16HIPCUB_304000_NS6detail34convert_binary_result_type_wrapperINS9_3SumENS9_22TransformInputIteratorIbN2at6native12_GLOBAL__N_19NonZeroOpIbEEPKblEEiEEEE10hipError_tPvRmT1_T2_T3_mT4_P12ihipStream_tbEUlT_E0_NS1_11comp_targetILNS1_3genE10ELNS1_11target_archE1200ELNS1_3gpuE4ELNS1_3repE0EEENS1_30default_config_static_selectorELNS0_4arch9wavefront6targetE0EEEvSQ_
		.amdhsa_group_segment_fixed_size 0
		.amdhsa_private_segment_fixed_size 0
		.amdhsa_kernarg_size 56
		.amdhsa_user_sgpr_count 2
		.amdhsa_user_sgpr_dispatch_ptr 0
		.amdhsa_user_sgpr_queue_ptr 0
		.amdhsa_user_sgpr_kernarg_segment_ptr 1
		.amdhsa_user_sgpr_dispatch_id 0
		.amdhsa_user_sgpr_private_segment_size 0
		.amdhsa_wavefront_size32 1
		.amdhsa_uses_dynamic_stack 0
		.amdhsa_enable_private_segment 0
		.amdhsa_system_sgpr_workgroup_id_x 1
		.amdhsa_system_sgpr_workgroup_id_y 0
		.amdhsa_system_sgpr_workgroup_id_z 0
		.amdhsa_system_sgpr_workgroup_info 0
		.amdhsa_system_vgpr_workitem_id 0
		.amdhsa_next_free_vgpr 1
		.amdhsa_next_free_sgpr 1
		.amdhsa_reserve_vcc 0
		.amdhsa_float_round_mode_32 0
		.amdhsa_float_round_mode_16_64 0
		.amdhsa_float_denorm_mode_32 3
		.amdhsa_float_denorm_mode_16_64 3
		.amdhsa_fp16_overflow 0
		.amdhsa_workgroup_processor_mode 1
		.amdhsa_memory_ordered 1
		.amdhsa_forward_progress 1
		.amdhsa_inst_pref_size 0
		.amdhsa_round_robin_scheduling 0
		.amdhsa_exception_fp_ieee_invalid_op 0
		.amdhsa_exception_fp_denorm_src 0
		.amdhsa_exception_fp_ieee_div_zero 0
		.amdhsa_exception_fp_ieee_overflow 0
		.amdhsa_exception_fp_ieee_underflow 0
		.amdhsa_exception_fp_ieee_inexact 0
		.amdhsa_exception_int_div_zero 0
	.end_amdhsa_kernel
	.section	.text._ZN7rocprim17ROCPRIM_400000_NS6detail17trampoline_kernelINS0_14default_configENS1_22reduce_config_selectorIiEEZNS1_11reduce_implILb1ES3_PiS7_iN6hipcub16HIPCUB_304000_NS6detail34convert_binary_result_type_wrapperINS9_3SumENS9_22TransformInputIteratorIbN2at6native12_GLOBAL__N_19NonZeroOpIbEEPKblEEiEEEE10hipError_tPvRmT1_T2_T3_mT4_P12ihipStream_tbEUlT_E0_NS1_11comp_targetILNS1_3genE10ELNS1_11target_archE1200ELNS1_3gpuE4ELNS1_3repE0EEENS1_30default_config_static_selectorELNS0_4arch9wavefront6targetE0EEEvSQ_,"axG",@progbits,_ZN7rocprim17ROCPRIM_400000_NS6detail17trampoline_kernelINS0_14default_configENS1_22reduce_config_selectorIiEEZNS1_11reduce_implILb1ES3_PiS7_iN6hipcub16HIPCUB_304000_NS6detail34convert_binary_result_type_wrapperINS9_3SumENS9_22TransformInputIteratorIbN2at6native12_GLOBAL__N_19NonZeroOpIbEEPKblEEiEEEE10hipError_tPvRmT1_T2_T3_mT4_P12ihipStream_tbEUlT_E0_NS1_11comp_targetILNS1_3genE10ELNS1_11target_archE1200ELNS1_3gpuE4ELNS1_3repE0EEENS1_30default_config_static_selectorELNS0_4arch9wavefront6targetE0EEEvSQ_,comdat
.Lfunc_end700:
	.size	_ZN7rocprim17ROCPRIM_400000_NS6detail17trampoline_kernelINS0_14default_configENS1_22reduce_config_selectorIiEEZNS1_11reduce_implILb1ES3_PiS7_iN6hipcub16HIPCUB_304000_NS6detail34convert_binary_result_type_wrapperINS9_3SumENS9_22TransformInputIteratorIbN2at6native12_GLOBAL__N_19NonZeroOpIbEEPKblEEiEEEE10hipError_tPvRmT1_T2_T3_mT4_P12ihipStream_tbEUlT_E0_NS1_11comp_targetILNS1_3genE10ELNS1_11target_archE1200ELNS1_3gpuE4ELNS1_3repE0EEENS1_30default_config_static_selectorELNS0_4arch9wavefront6targetE0EEEvSQ_, .Lfunc_end700-_ZN7rocprim17ROCPRIM_400000_NS6detail17trampoline_kernelINS0_14default_configENS1_22reduce_config_selectorIiEEZNS1_11reduce_implILb1ES3_PiS7_iN6hipcub16HIPCUB_304000_NS6detail34convert_binary_result_type_wrapperINS9_3SumENS9_22TransformInputIteratorIbN2at6native12_GLOBAL__N_19NonZeroOpIbEEPKblEEiEEEE10hipError_tPvRmT1_T2_T3_mT4_P12ihipStream_tbEUlT_E0_NS1_11comp_targetILNS1_3genE10ELNS1_11target_archE1200ELNS1_3gpuE4ELNS1_3repE0EEENS1_30default_config_static_selectorELNS0_4arch9wavefront6targetE0EEEvSQ_
                                        ; -- End function
	.set _ZN7rocprim17ROCPRIM_400000_NS6detail17trampoline_kernelINS0_14default_configENS1_22reduce_config_selectorIiEEZNS1_11reduce_implILb1ES3_PiS7_iN6hipcub16HIPCUB_304000_NS6detail34convert_binary_result_type_wrapperINS9_3SumENS9_22TransformInputIteratorIbN2at6native12_GLOBAL__N_19NonZeroOpIbEEPKblEEiEEEE10hipError_tPvRmT1_T2_T3_mT4_P12ihipStream_tbEUlT_E0_NS1_11comp_targetILNS1_3genE10ELNS1_11target_archE1200ELNS1_3gpuE4ELNS1_3repE0EEENS1_30default_config_static_selectorELNS0_4arch9wavefront6targetE0EEEvSQ_.num_vgpr, 0
	.set _ZN7rocprim17ROCPRIM_400000_NS6detail17trampoline_kernelINS0_14default_configENS1_22reduce_config_selectorIiEEZNS1_11reduce_implILb1ES3_PiS7_iN6hipcub16HIPCUB_304000_NS6detail34convert_binary_result_type_wrapperINS9_3SumENS9_22TransformInputIteratorIbN2at6native12_GLOBAL__N_19NonZeroOpIbEEPKblEEiEEEE10hipError_tPvRmT1_T2_T3_mT4_P12ihipStream_tbEUlT_E0_NS1_11comp_targetILNS1_3genE10ELNS1_11target_archE1200ELNS1_3gpuE4ELNS1_3repE0EEENS1_30default_config_static_selectorELNS0_4arch9wavefront6targetE0EEEvSQ_.num_agpr, 0
	.set _ZN7rocprim17ROCPRIM_400000_NS6detail17trampoline_kernelINS0_14default_configENS1_22reduce_config_selectorIiEEZNS1_11reduce_implILb1ES3_PiS7_iN6hipcub16HIPCUB_304000_NS6detail34convert_binary_result_type_wrapperINS9_3SumENS9_22TransformInputIteratorIbN2at6native12_GLOBAL__N_19NonZeroOpIbEEPKblEEiEEEE10hipError_tPvRmT1_T2_T3_mT4_P12ihipStream_tbEUlT_E0_NS1_11comp_targetILNS1_3genE10ELNS1_11target_archE1200ELNS1_3gpuE4ELNS1_3repE0EEENS1_30default_config_static_selectorELNS0_4arch9wavefront6targetE0EEEvSQ_.numbered_sgpr, 0
	.set _ZN7rocprim17ROCPRIM_400000_NS6detail17trampoline_kernelINS0_14default_configENS1_22reduce_config_selectorIiEEZNS1_11reduce_implILb1ES3_PiS7_iN6hipcub16HIPCUB_304000_NS6detail34convert_binary_result_type_wrapperINS9_3SumENS9_22TransformInputIteratorIbN2at6native12_GLOBAL__N_19NonZeroOpIbEEPKblEEiEEEE10hipError_tPvRmT1_T2_T3_mT4_P12ihipStream_tbEUlT_E0_NS1_11comp_targetILNS1_3genE10ELNS1_11target_archE1200ELNS1_3gpuE4ELNS1_3repE0EEENS1_30default_config_static_selectorELNS0_4arch9wavefront6targetE0EEEvSQ_.num_named_barrier, 0
	.set _ZN7rocprim17ROCPRIM_400000_NS6detail17trampoline_kernelINS0_14default_configENS1_22reduce_config_selectorIiEEZNS1_11reduce_implILb1ES3_PiS7_iN6hipcub16HIPCUB_304000_NS6detail34convert_binary_result_type_wrapperINS9_3SumENS9_22TransformInputIteratorIbN2at6native12_GLOBAL__N_19NonZeroOpIbEEPKblEEiEEEE10hipError_tPvRmT1_T2_T3_mT4_P12ihipStream_tbEUlT_E0_NS1_11comp_targetILNS1_3genE10ELNS1_11target_archE1200ELNS1_3gpuE4ELNS1_3repE0EEENS1_30default_config_static_selectorELNS0_4arch9wavefront6targetE0EEEvSQ_.private_seg_size, 0
	.set _ZN7rocprim17ROCPRIM_400000_NS6detail17trampoline_kernelINS0_14default_configENS1_22reduce_config_selectorIiEEZNS1_11reduce_implILb1ES3_PiS7_iN6hipcub16HIPCUB_304000_NS6detail34convert_binary_result_type_wrapperINS9_3SumENS9_22TransformInputIteratorIbN2at6native12_GLOBAL__N_19NonZeroOpIbEEPKblEEiEEEE10hipError_tPvRmT1_T2_T3_mT4_P12ihipStream_tbEUlT_E0_NS1_11comp_targetILNS1_3genE10ELNS1_11target_archE1200ELNS1_3gpuE4ELNS1_3repE0EEENS1_30default_config_static_selectorELNS0_4arch9wavefront6targetE0EEEvSQ_.uses_vcc, 0
	.set _ZN7rocprim17ROCPRIM_400000_NS6detail17trampoline_kernelINS0_14default_configENS1_22reduce_config_selectorIiEEZNS1_11reduce_implILb1ES3_PiS7_iN6hipcub16HIPCUB_304000_NS6detail34convert_binary_result_type_wrapperINS9_3SumENS9_22TransformInputIteratorIbN2at6native12_GLOBAL__N_19NonZeroOpIbEEPKblEEiEEEE10hipError_tPvRmT1_T2_T3_mT4_P12ihipStream_tbEUlT_E0_NS1_11comp_targetILNS1_3genE10ELNS1_11target_archE1200ELNS1_3gpuE4ELNS1_3repE0EEENS1_30default_config_static_selectorELNS0_4arch9wavefront6targetE0EEEvSQ_.uses_flat_scratch, 0
	.set _ZN7rocprim17ROCPRIM_400000_NS6detail17trampoline_kernelINS0_14default_configENS1_22reduce_config_selectorIiEEZNS1_11reduce_implILb1ES3_PiS7_iN6hipcub16HIPCUB_304000_NS6detail34convert_binary_result_type_wrapperINS9_3SumENS9_22TransformInputIteratorIbN2at6native12_GLOBAL__N_19NonZeroOpIbEEPKblEEiEEEE10hipError_tPvRmT1_T2_T3_mT4_P12ihipStream_tbEUlT_E0_NS1_11comp_targetILNS1_3genE10ELNS1_11target_archE1200ELNS1_3gpuE4ELNS1_3repE0EEENS1_30default_config_static_selectorELNS0_4arch9wavefront6targetE0EEEvSQ_.has_dyn_sized_stack, 0
	.set _ZN7rocprim17ROCPRIM_400000_NS6detail17trampoline_kernelINS0_14default_configENS1_22reduce_config_selectorIiEEZNS1_11reduce_implILb1ES3_PiS7_iN6hipcub16HIPCUB_304000_NS6detail34convert_binary_result_type_wrapperINS9_3SumENS9_22TransformInputIteratorIbN2at6native12_GLOBAL__N_19NonZeroOpIbEEPKblEEiEEEE10hipError_tPvRmT1_T2_T3_mT4_P12ihipStream_tbEUlT_E0_NS1_11comp_targetILNS1_3genE10ELNS1_11target_archE1200ELNS1_3gpuE4ELNS1_3repE0EEENS1_30default_config_static_selectorELNS0_4arch9wavefront6targetE0EEEvSQ_.has_recursion, 0
	.set _ZN7rocprim17ROCPRIM_400000_NS6detail17trampoline_kernelINS0_14default_configENS1_22reduce_config_selectorIiEEZNS1_11reduce_implILb1ES3_PiS7_iN6hipcub16HIPCUB_304000_NS6detail34convert_binary_result_type_wrapperINS9_3SumENS9_22TransformInputIteratorIbN2at6native12_GLOBAL__N_19NonZeroOpIbEEPKblEEiEEEE10hipError_tPvRmT1_T2_T3_mT4_P12ihipStream_tbEUlT_E0_NS1_11comp_targetILNS1_3genE10ELNS1_11target_archE1200ELNS1_3gpuE4ELNS1_3repE0EEENS1_30default_config_static_selectorELNS0_4arch9wavefront6targetE0EEEvSQ_.has_indirect_call, 0
	.section	.AMDGPU.csdata,"",@progbits
; Kernel info:
; codeLenInByte = 0
; TotalNumSgprs: 0
; NumVgprs: 0
; ScratchSize: 0
; MemoryBound: 0
; FloatMode: 240
; IeeeMode: 1
; LDSByteSize: 0 bytes/workgroup (compile time only)
; SGPRBlocks: 0
; VGPRBlocks: 0
; NumSGPRsForWavesPerEU: 1
; NumVGPRsForWavesPerEU: 1
; Occupancy: 16
; WaveLimiterHint : 0
; COMPUTE_PGM_RSRC2:SCRATCH_EN: 0
; COMPUTE_PGM_RSRC2:USER_SGPR: 2
; COMPUTE_PGM_RSRC2:TRAP_HANDLER: 0
; COMPUTE_PGM_RSRC2:TGID_X_EN: 1
; COMPUTE_PGM_RSRC2:TGID_Y_EN: 0
; COMPUTE_PGM_RSRC2:TGID_Z_EN: 0
; COMPUTE_PGM_RSRC2:TIDIG_COMP_CNT: 0
	.section	.text._ZN7rocprim17ROCPRIM_400000_NS6detail17trampoline_kernelINS0_14default_configENS1_22reduce_config_selectorIiEEZNS1_11reduce_implILb1ES3_PiS7_iN6hipcub16HIPCUB_304000_NS6detail34convert_binary_result_type_wrapperINS9_3SumENS9_22TransformInputIteratorIbN2at6native12_GLOBAL__N_19NonZeroOpIbEEPKblEEiEEEE10hipError_tPvRmT1_T2_T3_mT4_P12ihipStream_tbEUlT_E0_NS1_11comp_targetILNS1_3genE9ELNS1_11target_archE1100ELNS1_3gpuE3ELNS1_3repE0EEENS1_30default_config_static_selectorELNS0_4arch9wavefront6targetE0EEEvSQ_,"axG",@progbits,_ZN7rocprim17ROCPRIM_400000_NS6detail17trampoline_kernelINS0_14default_configENS1_22reduce_config_selectorIiEEZNS1_11reduce_implILb1ES3_PiS7_iN6hipcub16HIPCUB_304000_NS6detail34convert_binary_result_type_wrapperINS9_3SumENS9_22TransformInputIteratorIbN2at6native12_GLOBAL__N_19NonZeroOpIbEEPKblEEiEEEE10hipError_tPvRmT1_T2_T3_mT4_P12ihipStream_tbEUlT_E0_NS1_11comp_targetILNS1_3genE9ELNS1_11target_archE1100ELNS1_3gpuE3ELNS1_3repE0EEENS1_30default_config_static_selectorELNS0_4arch9wavefront6targetE0EEEvSQ_,comdat
	.globl	_ZN7rocprim17ROCPRIM_400000_NS6detail17trampoline_kernelINS0_14default_configENS1_22reduce_config_selectorIiEEZNS1_11reduce_implILb1ES3_PiS7_iN6hipcub16HIPCUB_304000_NS6detail34convert_binary_result_type_wrapperINS9_3SumENS9_22TransformInputIteratorIbN2at6native12_GLOBAL__N_19NonZeroOpIbEEPKblEEiEEEE10hipError_tPvRmT1_T2_T3_mT4_P12ihipStream_tbEUlT_E0_NS1_11comp_targetILNS1_3genE9ELNS1_11target_archE1100ELNS1_3gpuE3ELNS1_3repE0EEENS1_30default_config_static_selectorELNS0_4arch9wavefront6targetE0EEEvSQ_ ; -- Begin function _ZN7rocprim17ROCPRIM_400000_NS6detail17trampoline_kernelINS0_14default_configENS1_22reduce_config_selectorIiEEZNS1_11reduce_implILb1ES3_PiS7_iN6hipcub16HIPCUB_304000_NS6detail34convert_binary_result_type_wrapperINS9_3SumENS9_22TransformInputIteratorIbN2at6native12_GLOBAL__N_19NonZeroOpIbEEPKblEEiEEEE10hipError_tPvRmT1_T2_T3_mT4_P12ihipStream_tbEUlT_E0_NS1_11comp_targetILNS1_3genE9ELNS1_11target_archE1100ELNS1_3gpuE3ELNS1_3repE0EEENS1_30default_config_static_selectorELNS0_4arch9wavefront6targetE0EEEvSQ_
	.p2align	8
	.type	_ZN7rocprim17ROCPRIM_400000_NS6detail17trampoline_kernelINS0_14default_configENS1_22reduce_config_selectorIiEEZNS1_11reduce_implILb1ES3_PiS7_iN6hipcub16HIPCUB_304000_NS6detail34convert_binary_result_type_wrapperINS9_3SumENS9_22TransformInputIteratorIbN2at6native12_GLOBAL__N_19NonZeroOpIbEEPKblEEiEEEE10hipError_tPvRmT1_T2_T3_mT4_P12ihipStream_tbEUlT_E0_NS1_11comp_targetILNS1_3genE9ELNS1_11target_archE1100ELNS1_3gpuE3ELNS1_3repE0EEENS1_30default_config_static_selectorELNS0_4arch9wavefront6targetE0EEEvSQ_,@function
_ZN7rocprim17ROCPRIM_400000_NS6detail17trampoline_kernelINS0_14default_configENS1_22reduce_config_selectorIiEEZNS1_11reduce_implILb1ES3_PiS7_iN6hipcub16HIPCUB_304000_NS6detail34convert_binary_result_type_wrapperINS9_3SumENS9_22TransformInputIteratorIbN2at6native12_GLOBAL__N_19NonZeroOpIbEEPKblEEiEEEE10hipError_tPvRmT1_T2_T3_mT4_P12ihipStream_tbEUlT_E0_NS1_11comp_targetILNS1_3genE9ELNS1_11target_archE1100ELNS1_3gpuE3ELNS1_3repE0EEENS1_30default_config_static_selectorELNS0_4arch9wavefront6targetE0EEEvSQ_: ; @_ZN7rocprim17ROCPRIM_400000_NS6detail17trampoline_kernelINS0_14default_configENS1_22reduce_config_selectorIiEEZNS1_11reduce_implILb1ES3_PiS7_iN6hipcub16HIPCUB_304000_NS6detail34convert_binary_result_type_wrapperINS9_3SumENS9_22TransformInputIteratorIbN2at6native12_GLOBAL__N_19NonZeroOpIbEEPKblEEiEEEE10hipError_tPvRmT1_T2_T3_mT4_P12ihipStream_tbEUlT_E0_NS1_11comp_targetILNS1_3genE9ELNS1_11target_archE1100ELNS1_3gpuE3ELNS1_3repE0EEENS1_30default_config_static_selectorELNS0_4arch9wavefront6targetE0EEEvSQ_
; %bb.0:
	.section	.rodata,"a",@progbits
	.p2align	6, 0x0
	.amdhsa_kernel _ZN7rocprim17ROCPRIM_400000_NS6detail17trampoline_kernelINS0_14default_configENS1_22reduce_config_selectorIiEEZNS1_11reduce_implILb1ES3_PiS7_iN6hipcub16HIPCUB_304000_NS6detail34convert_binary_result_type_wrapperINS9_3SumENS9_22TransformInputIteratorIbN2at6native12_GLOBAL__N_19NonZeroOpIbEEPKblEEiEEEE10hipError_tPvRmT1_T2_T3_mT4_P12ihipStream_tbEUlT_E0_NS1_11comp_targetILNS1_3genE9ELNS1_11target_archE1100ELNS1_3gpuE3ELNS1_3repE0EEENS1_30default_config_static_selectorELNS0_4arch9wavefront6targetE0EEEvSQ_
		.amdhsa_group_segment_fixed_size 0
		.amdhsa_private_segment_fixed_size 0
		.amdhsa_kernarg_size 56
		.amdhsa_user_sgpr_count 2
		.amdhsa_user_sgpr_dispatch_ptr 0
		.amdhsa_user_sgpr_queue_ptr 0
		.amdhsa_user_sgpr_kernarg_segment_ptr 1
		.amdhsa_user_sgpr_dispatch_id 0
		.amdhsa_user_sgpr_private_segment_size 0
		.amdhsa_wavefront_size32 1
		.amdhsa_uses_dynamic_stack 0
		.amdhsa_enable_private_segment 0
		.amdhsa_system_sgpr_workgroup_id_x 1
		.amdhsa_system_sgpr_workgroup_id_y 0
		.amdhsa_system_sgpr_workgroup_id_z 0
		.amdhsa_system_sgpr_workgroup_info 0
		.amdhsa_system_vgpr_workitem_id 0
		.amdhsa_next_free_vgpr 1
		.amdhsa_next_free_sgpr 1
		.amdhsa_reserve_vcc 0
		.amdhsa_float_round_mode_32 0
		.amdhsa_float_round_mode_16_64 0
		.amdhsa_float_denorm_mode_32 3
		.amdhsa_float_denorm_mode_16_64 3
		.amdhsa_fp16_overflow 0
		.amdhsa_workgroup_processor_mode 1
		.amdhsa_memory_ordered 1
		.amdhsa_forward_progress 1
		.amdhsa_inst_pref_size 0
		.amdhsa_round_robin_scheduling 0
		.amdhsa_exception_fp_ieee_invalid_op 0
		.amdhsa_exception_fp_denorm_src 0
		.amdhsa_exception_fp_ieee_div_zero 0
		.amdhsa_exception_fp_ieee_overflow 0
		.amdhsa_exception_fp_ieee_underflow 0
		.amdhsa_exception_fp_ieee_inexact 0
		.amdhsa_exception_int_div_zero 0
	.end_amdhsa_kernel
	.section	.text._ZN7rocprim17ROCPRIM_400000_NS6detail17trampoline_kernelINS0_14default_configENS1_22reduce_config_selectorIiEEZNS1_11reduce_implILb1ES3_PiS7_iN6hipcub16HIPCUB_304000_NS6detail34convert_binary_result_type_wrapperINS9_3SumENS9_22TransformInputIteratorIbN2at6native12_GLOBAL__N_19NonZeroOpIbEEPKblEEiEEEE10hipError_tPvRmT1_T2_T3_mT4_P12ihipStream_tbEUlT_E0_NS1_11comp_targetILNS1_3genE9ELNS1_11target_archE1100ELNS1_3gpuE3ELNS1_3repE0EEENS1_30default_config_static_selectorELNS0_4arch9wavefront6targetE0EEEvSQ_,"axG",@progbits,_ZN7rocprim17ROCPRIM_400000_NS6detail17trampoline_kernelINS0_14default_configENS1_22reduce_config_selectorIiEEZNS1_11reduce_implILb1ES3_PiS7_iN6hipcub16HIPCUB_304000_NS6detail34convert_binary_result_type_wrapperINS9_3SumENS9_22TransformInputIteratorIbN2at6native12_GLOBAL__N_19NonZeroOpIbEEPKblEEiEEEE10hipError_tPvRmT1_T2_T3_mT4_P12ihipStream_tbEUlT_E0_NS1_11comp_targetILNS1_3genE9ELNS1_11target_archE1100ELNS1_3gpuE3ELNS1_3repE0EEENS1_30default_config_static_selectorELNS0_4arch9wavefront6targetE0EEEvSQ_,comdat
.Lfunc_end701:
	.size	_ZN7rocprim17ROCPRIM_400000_NS6detail17trampoline_kernelINS0_14default_configENS1_22reduce_config_selectorIiEEZNS1_11reduce_implILb1ES3_PiS7_iN6hipcub16HIPCUB_304000_NS6detail34convert_binary_result_type_wrapperINS9_3SumENS9_22TransformInputIteratorIbN2at6native12_GLOBAL__N_19NonZeroOpIbEEPKblEEiEEEE10hipError_tPvRmT1_T2_T3_mT4_P12ihipStream_tbEUlT_E0_NS1_11comp_targetILNS1_3genE9ELNS1_11target_archE1100ELNS1_3gpuE3ELNS1_3repE0EEENS1_30default_config_static_selectorELNS0_4arch9wavefront6targetE0EEEvSQ_, .Lfunc_end701-_ZN7rocprim17ROCPRIM_400000_NS6detail17trampoline_kernelINS0_14default_configENS1_22reduce_config_selectorIiEEZNS1_11reduce_implILb1ES3_PiS7_iN6hipcub16HIPCUB_304000_NS6detail34convert_binary_result_type_wrapperINS9_3SumENS9_22TransformInputIteratorIbN2at6native12_GLOBAL__N_19NonZeroOpIbEEPKblEEiEEEE10hipError_tPvRmT1_T2_T3_mT4_P12ihipStream_tbEUlT_E0_NS1_11comp_targetILNS1_3genE9ELNS1_11target_archE1100ELNS1_3gpuE3ELNS1_3repE0EEENS1_30default_config_static_selectorELNS0_4arch9wavefront6targetE0EEEvSQ_
                                        ; -- End function
	.set _ZN7rocprim17ROCPRIM_400000_NS6detail17trampoline_kernelINS0_14default_configENS1_22reduce_config_selectorIiEEZNS1_11reduce_implILb1ES3_PiS7_iN6hipcub16HIPCUB_304000_NS6detail34convert_binary_result_type_wrapperINS9_3SumENS9_22TransformInputIteratorIbN2at6native12_GLOBAL__N_19NonZeroOpIbEEPKblEEiEEEE10hipError_tPvRmT1_T2_T3_mT4_P12ihipStream_tbEUlT_E0_NS1_11comp_targetILNS1_3genE9ELNS1_11target_archE1100ELNS1_3gpuE3ELNS1_3repE0EEENS1_30default_config_static_selectorELNS0_4arch9wavefront6targetE0EEEvSQ_.num_vgpr, 0
	.set _ZN7rocprim17ROCPRIM_400000_NS6detail17trampoline_kernelINS0_14default_configENS1_22reduce_config_selectorIiEEZNS1_11reduce_implILb1ES3_PiS7_iN6hipcub16HIPCUB_304000_NS6detail34convert_binary_result_type_wrapperINS9_3SumENS9_22TransformInputIteratorIbN2at6native12_GLOBAL__N_19NonZeroOpIbEEPKblEEiEEEE10hipError_tPvRmT1_T2_T3_mT4_P12ihipStream_tbEUlT_E0_NS1_11comp_targetILNS1_3genE9ELNS1_11target_archE1100ELNS1_3gpuE3ELNS1_3repE0EEENS1_30default_config_static_selectorELNS0_4arch9wavefront6targetE0EEEvSQ_.num_agpr, 0
	.set _ZN7rocprim17ROCPRIM_400000_NS6detail17trampoline_kernelINS0_14default_configENS1_22reduce_config_selectorIiEEZNS1_11reduce_implILb1ES3_PiS7_iN6hipcub16HIPCUB_304000_NS6detail34convert_binary_result_type_wrapperINS9_3SumENS9_22TransformInputIteratorIbN2at6native12_GLOBAL__N_19NonZeroOpIbEEPKblEEiEEEE10hipError_tPvRmT1_T2_T3_mT4_P12ihipStream_tbEUlT_E0_NS1_11comp_targetILNS1_3genE9ELNS1_11target_archE1100ELNS1_3gpuE3ELNS1_3repE0EEENS1_30default_config_static_selectorELNS0_4arch9wavefront6targetE0EEEvSQ_.numbered_sgpr, 0
	.set _ZN7rocprim17ROCPRIM_400000_NS6detail17trampoline_kernelINS0_14default_configENS1_22reduce_config_selectorIiEEZNS1_11reduce_implILb1ES3_PiS7_iN6hipcub16HIPCUB_304000_NS6detail34convert_binary_result_type_wrapperINS9_3SumENS9_22TransformInputIteratorIbN2at6native12_GLOBAL__N_19NonZeroOpIbEEPKblEEiEEEE10hipError_tPvRmT1_T2_T3_mT4_P12ihipStream_tbEUlT_E0_NS1_11comp_targetILNS1_3genE9ELNS1_11target_archE1100ELNS1_3gpuE3ELNS1_3repE0EEENS1_30default_config_static_selectorELNS0_4arch9wavefront6targetE0EEEvSQ_.num_named_barrier, 0
	.set _ZN7rocprim17ROCPRIM_400000_NS6detail17trampoline_kernelINS0_14default_configENS1_22reduce_config_selectorIiEEZNS1_11reduce_implILb1ES3_PiS7_iN6hipcub16HIPCUB_304000_NS6detail34convert_binary_result_type_wrapperINS9_3SumENS9_22TransformInputIteratorIbN2at6native12_GLOBAL__N_19NonZeroOpIbEEPKblEEiEEEE10hipError_tPvRmT1_T2_T3_mT4_P12ihipStream_tbEUlT_E0_NS1_11comp_targetILNS1_3genE9ELNS1_11target_archE1100ELNS1_3gpuE3ELNS1_3repE0EEENS1_30default_config_static_selectorELNS0_4arch9wavefront6targetE0EEEvSQ_.private_seg_size, 0
	.set _ZN7rocprim17ROCPRIM_400000_NS6detail17trampoline_kernelINS0_14default_configENS1_22reduce_config_selectorIiEEZNS1_11reduce_implILb1ES3_PiS7_iN6hipcub16HIPCUB_304000_NS6detail34convert_binary_result_type_wrapperINS9_3SumENS9_22TransformInputIteratorIbN2at6native12_GLOBAL__N_19NonZeroOpIbEEPKblEEiEEEE10hipError_tPvRmT1_T2_T3_mT4_P12ihipStream_tbEUlT_E0_NS1_11comp_targetILNS1_3genE9ELNS1_11target_archE1100ELNS1_3gpuE3ELNS1_3repE0EEENS1_30default_config_static_selectorELNS0_4arch9wavefront6targetE0EEEvSQ_.uses_vcc, 0
	.set _ZN7rocprim17ROCPRIM_400000_NS6detail17trampoline_kernelINS0_14default_configENS1_22reduce_config_selectorIiEEZNS1_11reduce_implILb1ES3_PiS7_iN6hipcub16HIPCUB_304000_NS6detail34convert_binary_result_type_wrapperINS9_3SumENS9_22TransformInputIteratorIbN2at6native12_GLOBAL__N_19NonZeroOpIbEEPKblEEiEEEE10hipError_tPvRmT1_T2_T3_mT4_P12ihipStream_tbEUlT_E0_NS1_11comp_targetILNS1_3genE9ELNS1_11target_archE1100ELNS1_3gpuE3ELNS1_3repE0EEENS1_30default_config_static_selectorELNS0_4arch9wavefront6targetE0EEEvSQ_.uses_flat_scratch, 0
	.set _ZN7rocprim17ROCPRIM_400000_NS6detail17trampoline_kernelINS0_14default_configENS1_22reduce_config_selectorIiEEZNS1_11reduce_implILb1ES3_PiS7_iN6hipcub16HIPCUB_304000_NS6detail34convert_binary_result_type_wrapperINS9_3SumENS9_22TransformInputIteratorIbN2at6native12_GLOBAL__N_19NonZeroOpIbEEPKblEEiEEEE10hipError_tPvRmT1_T2_T3_mT4_P12ihipStream_tbEUlT_E0_NS1_11comp_targetILNS1_3genE9ELNS1_11target_archE1100ELNS1_3gpuE3ELNS1_3repE0EEENS1_30default_config_static_selectorELNS0_4arch9wavefront6targetE0EEEvSQ_.has_dyn_sized_stack, 0
	.set _ZN7rocprim17ROCPRIM_400000_NS6detail17trampoline_kernelINS0_14default_configENS1_22reduce_config_selectorIiEEZNS1_11reduce_implILb1ES3_PiS7_iN6hipcub16HIPCUB_304000_NS6detail34convert_binary_result_type_wrapperINS9_3SumENS9_22TransformInputIteratorIbN2at6native12_GLOBAL__N_19NonZeroOpIbEEPKblEEiEEEE10hipError_tPvRmT1_T2_T3_mT4_P12ihipStream_tbEUlT_E0_NS1_11comp_targetILNS1_3genE9ELNS1_11target_archE1100ELNS1_3gpuE3ELNS1_3repE0EEENS1_30default_config_static_selectorELNS0_4arch9wavefront6targetE0EEEvSQ_.has_recursion, 0
	.set _ZN7rocprim17ROCPRIM_400000_NS6detail17trampoline_kernelINS0_14default_configENS1_22reduce_config_selectorIiEEZNS1_11reduce_implILb1ES3_PiS7_iN6hipcub16HIPCUB_304000_NS6detail34convert_binary_result_type_wrapperINS9_3SumENS9_22TransformInputIteratorIbN2at6native12_GLOBAL__N_19NonZeroOpIbEEPKblEEiEEEE10hipError_tPvRmT1_T2_T3_mT4_P12ihipStream_tbEUlT_E0_NS1_11comp_targetILNS1_3genE9ELNS1_11target_archE1100ELNS1_3gpuE3ELNS1_3repE0EEENS1_30default_config_static_selectorELNS0_4arch9wavefront6targetE0EEEvSQ_.has_indirect_call, 0
	.section	.AMDGPU.csdata,"",@progbits
; Kernel info:
; codeLenInByte = 0
; TotalNumSgprs: 0
; NumVgprs: 0
; ScratchSize: 0
; MemoryBound: 0
; FloatMode: 240
; IeeeMode: 1
; LDSByteSize: 0 bytes/workgroup (compile time only)
; SGPRBlocks: 0
; VGPRBlocks: 0
; NumSGPRsForWavesPerEU: 1
; NumVGPRsForWavesPerEU: 1
; Occupancy: 16
; WaveLimiterHint : 0
; COMPUTE_PGM_RSRC2:SCRATCH_EN: 0
; COMPUTE_PGM_RSRC2:USER_SGPR: 2
; COMPUTE_PGM_RSRC2:TRAP_HANDLER: 0
; COMPUTE_PGM_RSRC2:TGID_X_EN: 1
; COMPUTE_PGM_RSRC2:TGID_Y_EN: 0
; COMPUTE_PGM_RSRC2:TGID_Z_EN: 0
; COMPUTE_PGM_RSRC2:TIDIG_COMP_CNT: 0
	.section	.text._ZN7rocprim17ROCPRIM_400000_NS6detail17trampoline_kernelINS0_14default_configENS1_22reduce_config_selectorIiEEZNS1_11reduce_implILb1ES3_PiS7_iN6hipcub16HIPCUB_304000_NS6detail34convert_binary_result_type_wrapperINS9_3SumENS9_22TransformInputIteratorIbN2at6native12_GLOBAL__N_19NonZeroOpIbEEPKblEEiEEEE10hipError_tPvRmT1_T2_T3_mT4_P12ihipStream_tbEUlT_E0_NS1_11comp_targetILNS1_3genE8ELNS1_11target_archE1030ELNS1_3gpuE2ELNS1_3repE0EEENS1_30default_config_static_selectorELNS0_4arch9wavefront6targetE0EEEvSQ_,"axG",@progbits,_ZN7rocprim17ROCPRIM_400000_NS6detail17trampoline_kernelINS0_14default_configENS1_22reduce_config_selectorIiEEZNS1_11reduce_implILb1ES3_PiS7_iN6hipcub16HIPCUB_304000_NS6detail34convert_binary_result_type_wrapperINS9_3SumENS9_22TransformInputIteratorIbN2at6native12_GLOBAL__N_19NonZeroOpIbEEPKblEEiEEEE10hipError_tPvRmT1_T2_T3_mT4_P12ihipStream_tbEUlT_E0_NS1_11comp_targetILNS1_3genE8ELNS1_11target_archE1030ELNS1_3gpuE2ELNS1_3repE0EEENS1_30default_config_static_selectorELNS0_4arch9wavefront6targetE0EEEvSQ_,comdat
	.globl	_ZN7rocprim17ROCPRIM_400000_NS6detail17trampoline_kernelINS0_14default_configENS1_22reduce_config_selectorIiEEZNS1_11reduce_implILb1ES3_PiS7_iN6hipcub16HIPCUB_304000_NS6detail34convert_binary_result_type_wrapperINS9_3SumENS9_22TransformInputIteratorIbN2at6native12_GLOBAL__N_19NonZeroOpIbEEPKblEEiEEEE10hipError_tPvRmT1_T2_T3_mT4_P12ihipStream_tbEUlT_E0_NS1_11comp_targetILNS1_3genE8ELNS1_11target_archE1030ELNS1_3gpuE2ELNS1_3repE0EEENS1_30default_config_static_selectorELNS0_4arch9wavefront6targetE0EEEvSQ_ ; -- Begin function _ZN7rocprim17ROCPRIM_400000_NS6detail17trampoline_kernelINS0_14default_configENS1_22reduce_config_selectorIiEEZNS1_11reduce_implILb1ES3_PiS7_iN6hipcub16HIPCUB_304000_NS6detail34convert_binary_result_type_wrapperINS9_3SumENS9_22TransformInputIteratorIbN2at6native12_GLOBAL__N_19NonZeroOpIbEEPKblEEiEEEE10hipError_tPvRmT1_T2_T3_mT4_P12ihipStream_tbEUlT_E0_NS1_11comp_targetILNS1_3genE8ELNS1_11target_archE1030ELNS1_3gpuE2ELNS1_3repE0EEENS1_30default_config_static_selectorELNS0_4arch9wavefront6targetE0EEEvSQ_
	.p2align	8
	.type	_ZN7rocprim17ROCPRIM_400000_NS6detail17trampoline_kernelINS0_14default_configENS1_22reduce_config_selectorIiEEZNS1_11reduce_implILb1ES3_PiS7_iN6hipcub16HIPCUB_304000_NS6detail34convert_binary_result_type_wrapperINS9_3SumENS9_22TransformInputIteratorIbN2at6native12_GLOBAL__N_19NonZeroOpIbEEPKblEEiEEEE10hipError_tPvRmT1_T2_T3_mT4_P12ihipStream_tbEUlT_E0_NS1_11comp_targetILNS1_3genE8ELNS1_11target_archE1030ELNS1_3gpuE2ELNS1_3repE0EEENS1_30default_config_static_selectorELNS0_4arch9wavefront6targetE0EEEvSQ_,@function
_ZN7rocprim17ROCPRIM_400000_NS6detail17trampoline_kernelINS0_14default_configENS1_22reduce_config_selectorIiEEZNS1_11reduce_implILb1ES3_PiS7_iN6hipcub16HIPCUB_304000_NS6detail34convert_binary_result_type_wrapperINS9_3SumENS9_22TransformInputIteratorIbN2at6native12_GLOBAL__N_19NonZeroOpIbEEPKblEEiEEEE10hipError_tPvRmT1_T2_T3_mT4_P12ihipStream_tbEUlT_E0_NS1_11comp_targetILNS1_3genE8ELNS1_11target_archE1030ELNS1_3gpuE2ELNS1_3repE0EEENS1_30default_config_static_selectorELNS0_4arch9wavefront6targetE0EEEvSQ_: ; @_ZN7rocprim17ROCPRIM_400000_NS6detail17trampoline_kernelINS0_14default_configENS1_22reduce_config_selectorIiEEZNS1_11reduce_implILb1ES3_PiS7_iN6hipcub16HIPCUB_304000_NS6detail34convert_binary_result_type_wrapperINS9_3SumENS9_22TransformInputIteratorIbN2at6native12_GLOBAL__N_19NonZeroOpIbEEPKblEEiEEEE10hipError_tPvRmT1_T2_T3_mT4_P12ihipStream_tbEUlT_E0_NS1_11comp_targetILNS1_3genE8ELNS1_11target_archE1030ELNS1_3gpuE2ELNS1_3repE0EEENS1_30default_config_static_selectorELNS0_4arch9wavefront6targetE0EEEvSQ_
; %bb.0:
	.section	.rodata,"a",@progbits
	.p2align	6, 0x0
	.amdhsa_kernel _ZN7rocprim17ROCPRIM_400000_NS6detail17trampoline_kernelINS0_14default_configENS1_22reduce_config_selectorIiEEZNS1_11reduce_implILb1ES3_PiS7_iN6hipcub16HIPCUB_304000_NS6detail34convert_binary_result_type_wrapperINS9_3SumENS9_22TransformInputIteratorIbN2at6native12_GLOBAL__N_19NonZeroOpIbEEPKblEEiEEEE10hipError_tPvRmT1_T2_T3_mT4_P12ihipStream_tbEUlT_E0_NS1_11comp_targetILNS1_3genE8ELNS1_11target_archE1030ELNS1_3gpuE2ELNS1_3repE0EEENS1_30default_config_static_selectorELNS0_4arch9wavefront6targetE0EEEvSQ_
		.amdhsa_group_segment_fixed_size 0
		.amdhsa_private_segment_fixed_size 0
		.amdhsa_kernarg_size 56
		.amdhsa_user_sgpr_count 2
		.amdhsa_user_sgpr_dispatch_ptr 0
		.amdhsa_user_sgpr_queue_ptr 0
		.amdhsa_user_sgpr_kernarg_segment_ptr 1
		.amdhsa_user_sgpr_dispatch_id 0
		.amdhsa_user_sgpr_private_segment_size 0
		.amdhsa_wavefront_size32 1
		.amdhsa_uses_dynamic_stack 0
		.amdhsa_enable_private_segment 0
		.amdhsa_system_sgpr_workgroup_id_x 1
		.amdhsa_system_sgpr_workgroup_id_y 0
		.amdhsa_system_sgpr_workgroup_id_z 0
		.amdhsa_system_sgpr_workgroup_info 0
		.amdhsa_system_vgpr_workitem_id 0
		.amdhsa_next_free_vgpr 1
		.amdhsa_next_free_sgpr 1
		.amdhsa_reserve_vcc 0
		.amdhsa_float_round_mode_32 0
		.amdhsa_float_round_mode_16_64 0
		.amdhsa_float_denorm_mode_32 3
		.amdhsa_float_denorm_mode_16_64 3
		.amdhsa_fp16_overflow 0
		.amdhsa_workgroup_processor_mode 1
		.amdhsa_memory_ordered 1
		.amdhsa_forward_progress 1
		.amdhsa_inst_pref_size 0
		.amdhsa_round_robin_scheduling 0
		.amdhsa_exception_fp_ieee_invalid_op 0
		.amdhsa_exception_fp_denorm_src 0
		.amdhsa_exception_fp_ieee_div_zero 0
		.amdhsa_exception_fp_ieee_overflow 0
		.amdhsa_exception_fp_ieee_underflow 0
		.amdhsa_exception_fp_ieee_inexact 0
		.amdhsa_exception_int_div_zero 0
	.end_amdhsa_kernel
	.section	.text._ZN7rocprim17ROCPRIM_400000_NS6detail17trampoline_kernelINS0_14default_configENS1_22reduce_config_selectorIiEEZNS1_11reduce_implILb1ES3_PiS7_iN6hipcub16HIPCUB_304000_NS6detail34convert_binary_result_type_wrapperINS9_3SumENS9_22TransformInputIteratorIbN2at6native12_GLOBAL__N_19NonZeroOpIbEEPKblEEiEEEE10hipError_tPvRmT1_T2_T3_mT4_P12ihipStream_tbEUlT_E0_NS1_11comp_targetILNS1_3genE8ELNS1_11target_archE1030ELNS1_3gpuE2ELNS1_3repE0EEENS1_30default_config_static_selectorELNS0_4arch9wavefront6targetE0EEEvSQ_,"axG",@progbits,_ZN7rocprim17ROCPRIM_400000_NS6detail17trampoline_kernelINS0_14default_configENS1_22reduce_config_selectorIiEEZNS1_11reduce_implILb1ES3_PiS7_iN6hipcub16HIPCUB_304000_NS6detail34convert_binary_result_type_wrapperINS9_3SumENS9_22TransformInputIteratorIbN2at6native12_GLOBAL__N_19NonZeroOpIbEEPKblEEiEEEE10hipError_tPvRmT1_T2_T3_mT4_P12ihipStream_tbEUlT_E0_NS1_11comp_targetILNS1_3genE8ELNS1_11target_archE1030ELNS1_3gpuE2ELNS1_3repE0EEENS1_30default_config_static_selectorELNS0_4arch9wavefront6targetE0EEEvSQ_,comdat
.Lfunc_end702:
	.size	_ZN7rocprim17ROCPRIM_400000_NS6detail17trampoline_kernelINS0_14default_configENS1_22reduce_config_selectorIiEEZNS1_11reduce_implILb1ES3_PiS7_iN6hipcub16HIPCUB_304000_NS6detail34convert_binary_result_type_wrapperINS9_3SumENS9_22TransformInputIteratorIbN2at6native12_GLOBAL__N_19NonZeroOpIbEEPKblEEiEEEE10hipError_tPvRmT1_T2_T3_mT4_P12ihipStream_tbEUlT_E0_NS1_11comp_targetILNS1_3genE8ELNS1_11target_archE1030ELNS1_3gpuE2ELNS1_3repE0EEENS1_30default_config_static_selectorELNS0_4arch9wavefront6targetE0EEEvSQ_, .Lfunc_end702-_ZN7rocprim17ROCPRIM_400000_NS6detail17trampoline_kernelINS0_14default_configENS1_22reduce_config_selectorIiEEZNS1_11reduce_implILb1ES3_PiS7_iN6hipcub16HIPCUB_304000_NS6detail34convert_binary_result_type_wrapperINS9_3SumENS9_22TransformInputIteratorIbN2at6native12_GLOBAL__N_19NonZeroOpIbEEPKblEEiEEEE10hipError_tPvRmT1_T2_T3_mT4_P12ihipStream_tbEUlT_E0_NS1_11comp_targetILNS1_3genE8ELNS1_11target_archE1030ELNS1_3gpuE2ELNS1_3repE0EEENS1_30default_config_static_selectorELNS0_4arch9wavefront6targetE0EEEvSQ_
                                        ; -- End function
	.set _ZN7rocprim17ROCPRIM_400000_NS6detail17trampoline_kernelINS0_14default_configENS1_22reduce_config_selectorIiEEZNS1_11reduce_implILb1ES3_PiS7_iN6hipcub16HIPCUB_304000_NS6detail34convert_binary_result_type_wrapperINS9_3SumENS9_22TransformInputIteratorIbN2at6native12_GLOBAL__N_19NonZeroOpIbEEPKblEEiEEEE10hipError_tPvRmT1_T2_T3_mT4_P12ihipStream_tbEUlT_E0_NS1_11comp_targetILNS1_3genE8ELNS1_11target_archE1030ELNS1_3gpuE2ELNS1_3repE0EEENS1_30default_config_static_selectorELNS0_4arch9wavefront6targetE0EEEvSQ_.num_vgpr, 0
	.set _ZN7rocprim17ROCPRIM_400000_NS6detail17trampoline_kernelINS0_14default_configENS1_22reduce_config_selectorIiEEZNS1_11reduce_implILb1ES3_PiS7_iN6hipcub16HIPCUB_304000_NS6detail34convert_binary_result_type_wrapperINS9_3SumENS9_22TransformInputIteratorIbN2at6native12_GLOBAL__N_19NonZeroOpIbEEPKblEEiEEEE10hipError_tPvRmT1_T2_T3_mT4_P12ihipStream_tbEUlT_E0_NS1_11comp_targetILNS1_3genE8ELNS1_11target_archE1030ELNS1_3gpuE2ELNS1_3repE0EEENS1_30default_config_static_selectorELNS0_4arch9wavefront6targetE0EEEvSQ_.num_agpr, 0
	.set _ZN7rocprim17ROCPRIM_400000_NS6detail17trampoline_kernelINS0_14default_configENS1_22reduce_config_selectorIiEEZNS1_11reduce_implILb1ES3_PiS7_iN6hipcub16HIPCUB_304000_NS6detail34convert_binary_result_type_wrapperINS9_3SumENS9_22TransformInputIteratorIbN2at6native12_GLOBAL__N_19NonZeroOpIbEEPKblEEiEEEE10hipError_tPvRmT1_T2_T3_mT4_P12ihipStream_tbEUlT_E0_NS1_11comp_targetILNS1_3genE8ELNS1_11target_archE1030ELNS1_3gpuE2ELNS1_3repE0EEENS1_30default_config_static_selectorELNS0_4arch9wavefront6targetE0EEEvSQ_.numbered_sgpr, 0
	.set _ZN7rocprim17ROCPRIM_400000_NS6detail17trampoline_kernelINS0_14default_configENS1_22reduce_config_selectorIiEEZNS1_11reduce_implILb1ES3_PiS7_iN6hipcub16HIPCUB_304000_NS6detail34convert_binary_result_type_wrapperINS9_3SumENS9_22TransformInputIteratorIbN2at6native12_GLOBAL__N_19NonZeroOpIbEEPKblEEiEEEE10hipError_tPvRmT1_T2_T3_mT4_P12ihipStream_tbEUlT_E0_NS1_11comp_targetILNS1_3genE8ELNS1_11target_archE1030ELNS1_3gpuE2ELNS1_3repE0EEENS1_30default_config_static_selectorELNS0_4arch9wavefront6targetE0EEEvSQ_.num_named_barrier, 0
	.set _ZN7rocprim17ROCPRIM_400000_NS6detail17trampoline_kernelINS0_14default_configENS1_22reduce_config_selectorIiEEZNS1_11reduce_implILb1ES3_PiS7_iN6hipcub16HIPCUB_304000_NS6detail34convert_binary_result_type_wrapperINS9_3SumENS9_22TransformInputIteratorIbN2at6native12_GLOBAL__N_19NonZeroOpIbEEPKblEEiEEEE10hipError_tPvRmT1_T2_T3_mT4_P12ihipStream_tbEUlT_E0_NS1_11comp_targetILNS1_3genE8ELNS1_11target_archE1030ELNS1_3gpuE2ELNS1_3repE0EEENS1_30default_config_static_selectorELNS0_4arch9wavefront6targetE0EEEvSQ_.private_seg_size, 0
	.set _ZN7rocprim17ROCPRIM_400000_NS6detail17trampoline_kernelINS0_14default_configENS1_22reduce_config_selectorIiEEZNS1_11reduce_implILb1ES3_PiS7_iN6hipcub16HIPCUB_304000_NS6detail34convert_binary_result_type_wrapperINS9_3SumENS9_22TransformInputIteratorIbN2at6native12_GLOBAL__N_19NonZeroOpIbEEPKblEEiEEEE10hipError_tPvRmT1_T2_T3_mT4_P12ihipStream_tbEUlT_E0_NS1_11comp_targetILNS1_3genE8ELNS1_11target_archE1030ELNS1_3gpuE2ELNS1_3repE0EEENS1_30default_config_static_selectorELNS0_4arch9wavefront6targetE0EEEvSQ_.uses_vcc, 0
	.set _ZN7rocprim17ROCPRIM_400000_NS6detail17trampoline_kernelINS0_14default_configENS1_22reduce_config_selectorIiEEZNS1_11reduce_implILb1ES3_PiS7_iN6hipcub16HIPCUB_304000_NS6detail34convert_binary_result_type_wrapperINS9_3SumENS9_22TransformInputIteratorIbN2at6native12_GLOBAL__N_19NonZeroOpIbEEPKblEEiEEEE10hipError_tPvRmT1_T2_T3_mT4_P12ihipStream_tbEUlT_E0_NS1_11comp_targetILNS1_3genE8ELNS1_11target_archE1030ELNS1_3gpuE2ELNS1_3repE0EEENS1_30default_config_static_selectorELNS0_4arch9wavefront6targetE0EEEvSQ_.uses_flat_scratch, 0
	.set _ZN7rocprim17ROCPRIM_400000_NS6detail17trampoline_kernelINS0_14default_configENS1_22reduce_config_selectorIiEEZNS1_11reduce_implILb1ES3_PiS7_iN6hipcub16HIPCUB_304000_NS6detail34convert_binary_result_type_wrapperINS9_3SumENS9_22TransformInputIteratorIbN2at6native12_GLOBAL__N_19NonZeroOpIbEEPKblEEiEEEE10hipError_tPvRmT1_T2_T3_mT4_P12ihipStream_tbEUlT_E0_NS1_11comp_targetILNS1_3genE8ELNS1_11target_archE1030ELNS1_3gpuE2ELNS1_3repE0EEENS1_30default_config_static_selectorELNS0_4arch9wavefront6targetE0EEEvSQ_.has_dyn_sized_stack, 0
	.set _ZN7rocprim17ROCPRIM_400000_NS6detail17trampoline_kernelINS0_14default_configENS1_22reduce_config_selectorIiEEZNS1_11reduce_implILb1ES3_PiS7_iN6hipcub16HIPCUB_304000_NS6detail34convert_binary_result_type_wrapperINS9_3SumENS9_22TransformInputIteratorIbN2at6native12_GLOBAL__N_19NonZeroOpIbEEPKblEEiEEEE10hipError_tPvRmT1_T2_T3_mT4_P12ihipStream_tbEUlT_E0_NS1_11comp_targetILNS1_3genE8ELNS1_11target_archE1030ELNS1_3gpuE2ELNS1_3repE0EEENS1_30default_config_static_selectorELNS0_4arch9wavefront6targetE0EEEvSQ_.has_recursion, 0
	.set _ZN7rocprim17ROCPRIM_400000_NS6detail17trampoline_kernelINS0_14default_configENS1_22reduce_config_selectorIiEEZNS1_11reduce_implILb1ES3_PiS7_iN6hipcub16HIPCUB_304000_NS6detail34convert_binary_result_type_wrapperINS9_3SumENS9_22TransformInputIteratorIbN2at6native12_GLOBAL__N_19NonZeroOpIbEEPKblEEiEEEE10hipError_tPvRmT1_T2_T3_mT4_P12ihipStream_tbEUlT_E0_NS1_11comp_targetILNS1_3genE8ELNS1_11target_archE1030ELNS1_3gpuE2ELNS1_3repE0EEENS1_30default_config_static_selectorELNS0_4arch9wavefront6targetE0EEEvSQ_.has_indirect_call, 0
	.section	.AMDGPU.csdata,"",@progbits
; Kernel info:
; codeLenInByte = 0
; TotalNumSgprs: 0
; NumVgprs: 0
; ScratchSize: 0
; MemoryBound: 0
; FloatMode: 240
; IeeeMode: 1
; LDSByteSize: 0 bytes/workgroup (compile time only)
; SGPRBlocks: 0
; VGPRBlocks: 0
; NumSGPRsForWavesPerEU: 1
; NumVGPRsForWavesPerEU: 1
; Occupancy: 16
; WaveLimiterHint : 0
; COMPUTE_PGM_RSRC2:SCRATCH_EN: 0
; COMPUTE_PGM_RSRC2:USER_SGPR: 2
; COMPUTE_PGM_RSRC2:TRAP_HANDLER: 0
; COMPUTE_PGM_RSRC2:TGID_X_EN: 1
; COMPUTE_PGM_RSRC2:TGID_Y_EN: 0
; COMPUTE_PGM_RSRC2:TGID_Z_EN: 0
; COMPUTE_PGM_RSRC2:TIDIG_COMP_CNT: 0
	.section	.text._ZN7rocprim17ROCPRIM_400000_NS6detail17trampoline_kernelINS0_14default_configENS1_22reduce_config_selectorIiEEZNS1_11reduce_implILb1ES3_PiS7_iN6hipcub16HIPCUB_304000_NS6detail34convert_binary_result_type_wrapperINS9_3SumENS9_22TransformInputIteratorIbN2at6native12_GLOBAL__N_19NonZeroOpIbEEPKblEEiEEEE10hipError_tPvRmT1_T2_T3_mT4_P12ihipStream_tbEUlT_E1_NS1_11comp_targetILNS1_3genE0ELNS1_11target_archE4294967295ELNS1_3gpuE0ELNS1_3repE0EEENS1_30default_config_static_selectorELNS0_4arch9wavefront6targetE0EEEvSQ_,"axG",@progbits,_ZN7rocprim17ROCPRIM_400000_NS6detail17trampoline_kernelINS0_14default_configENS1_22reduce_config_selectorIiEEZNS1_11reduce_implILb1ES3_PiS7_iN6hipcub16HIPCUB_304000_NS6detail34convert_binary_result_type_wrapperINS9_3SumENS9_22TransformInputIteratorIbN2at6native12_GLOBAL__N_19NonZeroOpIbEEPKblEEiEEEE10hipError_tPvRmT1_T2_T3_mT4_P12ihipStream_tbEUlT_E1_NS1_11comp_targetILNS1_3genE0ELNS1_11target_archE4294967295ELNS1_3gpuE0ELNS1_3repE0EEENS1_30default_config_static_selectorELNS0_4arch9wavefront6targetE0EEEvSQ_,comdat
	.globl	_ZN7rocprim17ROCPRIM_400000_NS6detail17trampoline_kernelINS0_14default_configENS1_22reduce_config_selectorIiEEZNS1_11reduce_implILb1ES3_PiS7_iN6hipcub16HIPCUB_304000_NS6detail34convert_binary_result_type_wrapperINS9_3SumENS9_22TransformInputIteratorIbN2at6native12_GLOBAL__N_19NonZeroOpIbEEPKblEEiEEEE10hipError_tPvRmT1_T2_T3_mT4_P12ihipStream_tbEUlT_E1_NS1_11comp_targetILNS1_3genE0ELNS1_11target_archE4294967295ELNS1_3gpuE0ELNS1_3repE0EEENS1_30default_config_static_selectorELNS0_4arch9wavefront6targetE0EEEvSQ_ ; -- Begin function _ZN7rocprim17ROCPRIM_400000_NS6detail17trampoline_kernelINS0_14default_configENS1_22reduce_config_selectorIiEEZNS1_11reduce_implILb1ES3_PiS7_iN6hipcub16HIPCUB_304000_NS6detail34convert_binary_result_type_wrapperINS9_3SumENS9_22TransformInputIteratorIbN2at6native12_GLOBAL__N_19NonZeroOpIbEEPKblEEiEEEE10hipError_tPvRmT1_T2_T3_mT4_P12ihipStream_tbEUlT_E1_NS1_11comp_targetILNS1_3genE0ELNS1_11target_archE4294967295ELNS1_3gpuE0ELNS1_3repE0EEENS1_30default_config_static_selectorELNS0_4arch9wavefront6targetE0EEEvSQ_
	.p2align	8
	.type	_ZN7rocprim17ROCPRIM_400000_NS6detail17trampoline_kernelINS0_14default_configENS1_22reduce_config_selectorIiEEZNS1_11reduce_implILb1ES3_PiS7_iN6hipcub16HIPCUB_304000_NS6detail34convert_binary_result_type_wrapperINS9_3SumENS9_22TransformInputIteratorIbN2at6native12_GLOBAL__N_19NonZeroOpIbEEPKblEEiEEEE10hipError_tPvRmT1_T2_T3_mT4_P12ihipStream_tbEUlT_E1_NS1_11comp_targetILNS1_3genE0ELNS1_11target_archE4294967295ELNS1_3gpuE0ELNS1_3repE0EEENS1_30default_config_static_selectorELNS0_4arch9wavefront6targetE0EEEvSQ_,@function
_ZN7rocprim17ROCPRIM_400000_NS6detail17trampoline_kernelINS0_14default_configENS1_22reduce_config_selectorIiEEZNS1_11reduce_implILb1ES3_PiS7_iN6hipcub16HIPCUB_304000_NS6detail34convert_binary_result_type_wrapperINS9_3SumENS9_22TransformInputIteratorIbN2at6native12_GLOBAL__N_19NonZeroOpIbEEPKblEEiEEEE10hipError_tPvRmT1_T2_T3_mT4_P12ihipStream_tbEUlT_E1_NS1_11comp_targetILNS1_3genE0ELNS1_11target_archE4294967295ELNS1_3gpuE0ELNS1_3repE0EEENS1_30default_config_static_selectorELNS0_4arch9wavefront6targetE0EEEvSQ_: ; @_ZN7rocprim17ROCPRIM_400000_NS6detail17trampoline_kernelINS0_14default_configENS1_22reduce_config_selectorIiEEZNS1_11reduce_implILb1ES3_PiS7_iN6hipcub16HIPCUB_304000_NS6detail34convert_binary_result_type_wrapperINS9_3SumENS9_22TransformInputIteratorIbN2at6native12_GLOBAL__N_19NonZeroOpIbEEPKblEEiEEEE10hipError_tPvRmT1_T2_T3_mT4_P12ihipStream_tbEUlT_E1_NS1_11comp_targetILNS1_3genE0ELNS1_11target_archE4294967295ELNS1_3gpuE0ELNS1_3repE0EEENS1_30default_config_static_selectorELNS0_4arch9wavefront6targetE0EEEvSQ_
; %bb.0:
	.section	.rodata,"a",@progbits
	.p2align	6, 0x0
	.amdhsa_kernel _ZN7rocprim17ROCPRIM_400000_NS6detail17trampoline_kernelINS0_14default_configENS1_22reduce_config_selectorIiEEZNS1_11reduce_implILb1ES3_PiS7_iN6hipcub16HIPCUB_304000_NS6detail34convert_binary_result_type_wrapperINS9_3SumENS9_22TransformInputIteratorIbN2at6native12_GLOBAL__N_19NonZeroOpIbEEPKblEEiEEEE10hipError_tPvRmT1_T2_T3_mT4_P12ihipStream_tbEUlT_E1_NS1_11comp_targetILNS1_3genE0ELNS1_11target_archE4294967295ELNS1_3gpuE0ELNS1_3repE0EEENS1_30default_config_static_selectorELNS0_4arch9wavefront6targetE0EEEvSQ_
		.amdhsa_group_segment_fixed_size 0
		.amdhsa_private_segment_fixed_size 0
		.amdhsa_kernarg_size 40
		.amdhsa_user_sgpr_count 2
		.amdhsa_user_sgpr_dispatch_ptr 0
		.amdhsa_user_sgpr_queue_ptr 0
		.amdhsa_user_sgpr_kernarg_segment_ptr 1
		.amdhsa_user_sgpr_dispatch_id 0
		.amdhsa_user_sgpr_private_segment_size 0
		.amdhsa_wavefront_size32 1
		.amdhsa_uses_dynamic_stack 0
		.amdhsa_enable_private_segment 0
		.amdhsa_system_sgpr_workgroup_id_x 1
		.amdhsa_system_sgpr_workgroup_id_y 0
		.amdhsa_system_sgpr_workgroup_id_z 0
		.amdhsa_system_sgpr_workgroup_info 0
		.amdhsa_system_vgpr_workitem_id 0
		.amdhsa_next_free_vgpr 1
		.amdhsa_next_free_sgpr 1
		.amdhsa_reserve_vcc 0
		.amdhsa_float_round_mode_32 0
		.amdhsa_float_round_mode_16_64 0
		.amdhsa_float_denorm_mode_32 3
		.amdhsa_float_denorm_mode_16_64 3
		.amdhsa_fp16_overflow 0
		.amdhsa_workgroup_processor_mode 1
		.amdhsa_memory_ordered 1
		.amdhsa_forward_progress 1
		.amdhsa_inst_pref_size 0
		.amdhsa_round_robin_scheduling 0
		.amdhsa_exception_fp_ieee_invalid_op 0
		.amdhsa_exception_fp_denorm_src 0
		.amdhsa_exception_fp_ieee_div_zero 0
		.amdhsa_exception_fp_ieee_overflow 0
		.amdhsa_exception_fp_ieee_underflow 0
		.amdhsa_exception_fp_ieee_inexact 0
		.amdhsa_exception_int_div_zero 0
	.end_amdhsa_kernel
	.section	.text._ZN7rocprim17ROCPRIM_400000_NS6detail17trampoline_kernelINS0_14default_configENS1_22reduce_config_selectorIiEEZNS1_11reduce_implILb1ES3_PiS7_iN6hipcub16HIPCUB_304000_NS6detail34convert_binary_result_type_wrapperINS9_3SumENS9_22TransformInputIteratorIbN2at6native12_GLOBAL__N_19NonZeroOpIbEEPKblEEiEEEE10hipError_tPvRmT1_T2_T3_mT4_P12ihipStream_tbEUlT_E1_NS1_11comp_targetILNS1_3genE0ELNS1_11target_archE4294967295ELNS1_3gpuE0ELNS1_3repE0EEENS1_30default_config_static_selectorELNS0_4arch9wavefront6targetE0EEEvSQ_,"axG",@progbits,_ZN7rocprim17ROCPRIM_400000_NS6detail17trampoline_kernelINS0_14default_configENS1_22reduce_config_selectorIiEEZNS1_11reduce_implILb1ES3_PiS7_iN6hipcub16HIPCUB_304000_NS6detail34convert_binary_result_type_wrapperINS9_3SumENS9_22TransformInputIteratorIbN2at6native12_GLOBAL__N_19NonZeroOpIbEEPKblEEiEEEE10hipError_tPvRmT1_T2_T3_mT4_P12ihipStream_tbEUlT_E1_NS1_11comp_targetILNS1_3genE0ELNS1_11target_archE4294967295ELNS1_3gpuE0ELNS1_3repE0EEENS1_30default_config_static_selectorELNS0_4arch9wavefront6targetE0EEEvSQ_,comdat
.Lfunc_end703:
	.size	_ZN7rocprim17ROCPRIM_400000_NS6detail17trampoline_kernelINS0_14default_configENS1_22reduce_config_selectorIiEEZNS1_11reduce_implILb1ES3_PiS7_iN6hipcub16HIPCUB_304000_NS6detail34convert_binary_result_type_wrapperINS9_3SumENS9_22TransformInputIteratorIbN2at6native12_GLOBAL__N_19NonZeroOpIbEEPKblEEiEEEE10hipError_tPvRmT1_T2_T3_mT4_P12ihipStream_tbEUlT_E1_NS1_11comp_targetILNS1_3genE0ELNS1_11target_archE4294967295ELNS1_3gpuE0ELNS1_3repE0EEENS1_30default_config_static_selectorELNS0_4arch9wavefront6targetE0EEEvSQ_, .Lfunc_end703-_ZN7rocprim17ROCPRIM_400000_NS6detail17trampoline_kernelINS0_14default_configENS1_22reduce_config_selectorIiEEZNS1_11reduce_implILb1ES3_PiS7_iN6hipcub16HIPCUB_304000_NS6detail34convert_binary_result_type_wrapperINS9_3SumENS9_22TransformInputIteratorIbN2at6native12_GLOBAL__N_19NonZeroOpIbEEPKblEEiEEEE10hipError_tPvRmT1_T2_T3_mT4_P12ihipStream_tbEUlT_E1_NS1_11comp_targetILNS1_3genE0ELNS1_11target_archE4294967295ELNS1_3gpuE0ELNS1_3repE0EEENS1_30default_config_static_selectorELNS0_4arch9wavefront6targetE0EEEvSQ_
                                        ; -- End function
	.set _ZN7rocprim17ROCPRIM_400000_NS6detail17trampoline_kernelINS0_14default_configENS1_22reduce_config_selectorIiEEZNS1_11reduce_implILb1ES3_PiS7_iN6hipcub16HIPCUB_304000_NS6detail34convert_binary_result_type_wrapperINS9_3SumENS9_22TransformInputIteratorIbN2at6native12_GLOBAL__N_19NonZeroOpIbEEPKblEEiEEEE10hipError_tPvRmT1_T2_T3_mT4_P12ihipStream_tbEUlT_E1_NS1_11comp_targetILNS1_3genE0ELNS1_11target_archE4294967295ELNS1_3gpuE0ELNS1_3repE0EEENS1_30default_config_static_selectorELNS0_4arch9wavefront6targetE0EEEvSQ_.num_vgpr, 0
	.set _ZN7rocprim17ROCPRIM_400000_NS6detail17trampoline_kernelINS0_14default_configENS1_22reduce_config_selectorIiEEZNS1_11reduce_implILb1ES3_PiS7_iN6hipcub16HIPCUB_304000_NS6detail34convert_binary_result_type_wrapperINS9_3SumENS9_22TransformInputIteratorIbN2at6native12_GLOBAL__N_19NonZeroOpIbEEPKblEEiEEEE10hipError_tPvRmT1_T2_T3_mT4_P12ihipStream_tbEUlT_E1_NS1_11comp_targetILNS1_3genE0ELNS1_11target_archE4294967295ELNS1_3gpuE0ELNS1_3repE0EEENS1_30default_config_static_selectorELNS0_4arch9wavefront6targetE0EEEvSQ_.num_agpr, 0
	.set _ZN7rocprim17ROCPRIM_400000_NS6detail17trampoline_kernelINS0_14default_configENS1_22reduce_config_selectorIiEEZNS1_11reduce_implILb1ES3_PiS7_iN6hipcub16HIPCUB_304000_NS6detail34convert_binary_result_type_wrapperINS9_3SumENS9_22TransformInputIteratorIbN2at6native12_GLOBAL__N_19NonZeroOpIbEEPKblEEiEEEE10hipError_tPvRmT1_T2_T3_mT4_P12ihipStream_tbEUlT_E1_NS1_11comp_targetILNS1_3genE0ELNS1_11target_archE4294967295ELNS1_3gpuE0ELNS1_3repE0EEENS1_30default_config_static_selectorELNS0_4arch9wavefront6targetE0EEEvSQ_.numbered_sgpr, 0
	.set _ZN7rocprim17ROCPRIM_400000_NS6detail17trampoline_kernelINS0_14default_configENS1_22reduce_config_selectorIiEEZNS1_11reduce_implILb1ES3_PiS7_iN6hipcub16HIPCUB_304000_NS6detail34convert_binary_result_type_wrapperINS9_3SumENS9_22TransformInputIteratorIbN2at6native12_GLOBAL__N_19NonZeroOpIbEEPKblEEiEEEE10hipError_tPvRmT1_T2_T3_mT4_P12ihipStream_tbEUlT_E1_NS1_11comp_targetILNS1_3genE0ELNS1_11target_archE4294967295ELNS1_3gpuE0ELNS1_3repE0EEENS1_30default_config_static_selectorELNS0_4arch9wavefront6targetE0EEEvSQ_.num_named_barrier, 0
	.set _ZN7rocprim17ROCPRIM_400000_NS6detail17trampoline_kernelINS0_14default_configENS1_22reduce_config_selectorIiEEZNS1_11reduce_implILb1ES3_PiS7_iN6hipcub16HIPCUB_304000_NS6detail34convert_binary_result_type_wrapperINS9_3SumENS9_22TransformInputIteratorIbN2at6native12_GLOBAL__N_19NonZeroOpIbEEPKblEEiEEEE10hipError_tPvRmT1_T2_T3_mT4_P12ihipStream_tbEUlT_E1_NS1_11comp_targetILNS1_3genE0ELNS1_11target_archE4294967295ELNS1_3gpuE0ELNS1_3repE0EEENS1_30default_config_static_selectorELNS0_4arch9wavefront6targetE0EEEvSQ_.private_seg_size, 0
	.set _ZN7rocprim17ROCPRIM_400000_NS6detail17trampoline_kernelINS0_14default_configENS1_22reduce_config_selectorIiEEZNS1_11reduce_implILb1ES3_PiS7_iN6hipcub16HIPCUB_304000_NS6detail34convert_binary_result_type_wrapperINS9_3SumENS9_22TransformInputIteratorIbN2at6native12_GLOBAL__N_19NonZeroOpIbEEPKblEEiEEEE10hipError_tPvRmT1_T2_T3_mT4_P12ihipStream_tbEUlT_E1_NS1_11comp_targetILNS1_3genE0ELNS1_11target_archE4294967295ELNS1_3gpuE0ELNS1_3repE0EEENS1_30default_config_static_selectorELNS0_4arch9wavefront6targetE0EEEvSQ_.uses_vcc, 0
	.set _ZN7rocprim17ROCPRIM_400000_NS6detail17trampoline_kernelINS0_14default_configENS1_22reduce_config_selectorIiEEZNS1_11reduce_implILb1ES3_PiS7_iN6hipcub16HIPCUB_304000_NS6detail34convert_binary_result_type_wrapperINS9_3SumENS9_22TransformInputIteratorIbN2at6native12_GLOBAL__N_19NonZeroOpIbEEPKblEEiEEEE10hipError_tPvRmT1_T2_T3_mT4_P12ihipStream_tbEUlT_E1_NS1_11comp_targetILNS1_3genE0ELNS1_11target_archE4294967295ELNS1_3gpuE0ELNS1_3repE0EEENS1_30default_config_static_selectorELNS0_4arch9wavefront6targetE0EEEvSQ_.uses_flat_scratch, 0
	.set _ZN7rocprim17ROCPRIM_400000_NS6detail17trampoline_kernelINS0_14default_configENS1_22reduce_config_selectorIiEEZNS1_11reduce_implILb1ES3_PiS7_iN6hipcub16HIPCUB_304000_NS6detail34convert_binary_result_type_wrapperINS9_3SumENS9_22TransformInputIteratorIbN2at6native12_GLOBAL__N_19NonZeroOpIbEEPKblEEiEEEE10hipError_tPvRmT1_T2_T3_mT4_P12ihipStream_tbEUlT_E1_NS1_11comp_targetILNS1_3genE0ELNS1_11target_archE4294967295ELNS1_3gpuE0ELNS1_3repE0EEENS1_30default_config_static_selectorELNS0_4arch9wavefront6targetE0EEEvSQ_.has_dyn_sized_stack, 0
	.set _ZN7rocprim17ROCPRIM_400000_NS6detail17trampoline_kernelINS0_14default_configENS1_22reduce_config_selectorIiEEZNS1_11reduce_implILb1ES3_PiS7_iN6hipcub16HIPCUB_304000_NS6detail34convert_binary_result_type_wrapperINS9_3SumENS9_22TransformInputIteratorIbN2at6native12_GLOBAL__N_19NonZeroOpIbEEPKblEEiEEEE10hipError_tPvRmT1_T2_T3_mT4_P12ihipStream_tbEUlT_E1_NS1_11comp_targetILNS1_3genE0ELNS1_11target_archE4294967295ELNS1_3gpuE0ELNS1_3repE0EEENS1_30default_config_static_selectorELNS0_4arch9wavefront6targetE0EEEvSQ_.has_recursion, 0
	.set _ZN7rocprim17ROCPRIM_400000_NS6detail17trampoline_kernelINS0_14default_configENS1_22reduce_config_selectorIiEEZNS1_11reduce_implILb1ES3_PiS7_iN6hipcub16HIPCUB_304000_NS6detail34convert_binary_result_type_wrapperINS9_3SumENS9_22TransformInputIteratorIbN2at6native12_GLOBAL__N_19NonZeroOpIbEEPKblEEiEEEE10hipError_tPvRmT1_T2_T3_mT4_P12ihipStream_tbEUlT_E1_NS1_11comp_targetILNS1_3genE0ELNS1_11target_archE4294967295ELNS1_3gpuE0ELNS1_3repE0EEENS1_30default_config_static_selectorELNS0_4arch9wavefront6targetE0EEEvSQ_.has_indirect_call, 0
	.section	.AMDGPU.csdata,"",@progbits
; Kernel info:
; codeLenInByte = 0
; TotalNumSgprs: 0
; NumVgprs: 0
; ScratchSize: 0
; MemoryBound: 0
; FloatMode: 240
; IeeeMode: 1
; LDSByteSize: 0 bytes/workgroup (compile time only)
; SGPRBlocks: 0
; VGPRBlocks: 0
; NumSGPRsForWavesPerEU: 1
; NumVGPRsForWavesPerEU: 1
; Occupancy: 16
; WaveLimiterHint : 0
; COMPUTE_PGM_RSRC2:SCRATCH_EN: 0
; COMPUTE_PGM_RSRC2:USER_SGPR: 2
; COMPUTE_PGM_RSRC2:TRAP_HANDLER: 0
; COMPUTE_PGM_RSRC2:TGID_X_EN: 1
; COMPUTE_PGM_RSRC2:TGID_Y_EN: 0
; COMPUTE_PGM_RSRC2:TGID_Z_EN: 0
; COMPUTE_PGM_RSRC2:TIDIG_COMP_CNT: 0
	.section	.text._ZN7rocprim17ROCPRIM_400000_NS6detail17trampoline_kernelINS0_14default_configENS1_22reduce_config_selectorIiEEZNS1_11reduce_implILb1ES3_PiS7_iN6hipcub16HIPCUB_304000_NS6detail34convert_binary_result_type_wrapperINS9_3SumENS9_22TransformInputIteratorIbN2at6native12_GLOBAL__N_19NonZeroOpIbEEPKblEEiEEEE10hipError_tPvRmT1_T2_T3_mT4_P12ihipStream_tbEUlT_E1_NS1_11comp_targetILNS1_3genE5ELNS1_11target_archE942ELNS1_3gpuE9ELNS1_3repE0EEENS1_30default_config_static_selectorELNS0_4arch9wavefront6targetE0EEEvSQ_,"axG",@progbits,_ZN7rocprim17ROCPRIM_400000_NS6detail17trampoline_kernelINS0_14default_configENS1_22reduce_config_selectorIiEEZNS1_11reduce_implILb1ES3_PiS7_iN6hipcub16HIPCUB_304000_NS6detail34convert_binary_result_type_wrapperINS9_3SumENS9_22TransformInputIteratorIbN2at6native12_GLOBAL__N_19NonZeroOpIbEEPKblEEiEEEE10hipError_tPvRmT1_T2_T3_mT4_P12ihipStream_tbEUlT_E1_NS1_11comp_targetILNS1_3genE5ELNS1_11target_archE942ELNS1_3gpuE9ELNS1_3repE0EEENS1_30default_config_static_selectorELNS0_4arch9wavefront6targetE0EEEvSQ_,comdat
	.globl	_ZN7rocprim17ROCPRIM_400000_NS6detail17trampoline_kernelINS0_14default_configENS1_22reduce_config_selectorIiEEZNS1_11reduce_implILb1ES3_PiS7_iN6hipcub16HIPCUB_304000_NS6detail34convert_binary_result_type_wrapperINS9_3SumENS9_22TransformInputIteratorIbN2at6native12_GLOBAL__N_19NonZeroOpIbEEPKblEEiEEEE10hipError_tPvRmT1_T2_T3_mT4_P12ihipStream_tbEUlT_E1_NS1_11comp_targetILNS1_3genE5ELNS1_11target_archE942ELNS1_3gpuE9ELNS1_3repE0EEENS1_30default_config_static_selectorELNS0_4arch9wavefront6targetE0EEEvSQ_ ; -- Begin function _ZN7rocprim17ROCPRIM_400000_NS6detail17trampoline_kernelINS0_14default_configENS1_22reduce_config_selectorIiEEZNS1_11reduce_implILb1ES3_PiS7_iN6hipcub16HIPCUB_304000_NS6detail34convert_binary_result_type_wrapperINS9_3SumENS9_22TransformInputIteratorIbN2at6native12_GLOBAL__N_19NonZeroOpIbEEPKblEEiEEEE10hipError_tPvRmT1_T2_T3_mT4_P12ihipStream_tbEUlT_E1_NS1_11comp_targetILNS1_3genE5ELNS1_11target_archE942ELNS1_3gpuE9ELNS1_3repE0EEENS1_30default_config_static_selectorELNS0_4arch9wavefront6targetE0EEEvSQ_
	.p2align	8
	.type	_ZN7rocprim17ROCPRIM_400000_NS6detail17trampoline_kernelINS0_14default_configENS1_22reduce_config_selectorIiEEZNS1_11reduce_implILb1ES3_PiS7_iN6hipcub16HIPCUB_304000_NS6detail34convert_binary_result_type_wrapperINS9_3SumENS9_22TransformInputIteratorIbN2at6native12_GLOBAL__N_19NonZeroOpIbEEPKblEEiEEEE10hipError_tPvRmT1_T2_T3_mT4_P12ihipStream_tbEUlT_E1_NS1_11comp_targetILNS1_3genE5ELNS1_11target_archE942ELNS1_3gpuE9ELNS1_3repE0EEENS1_30default_config_static_selectorELNS0_4arch9wavefront6targetE0EEEvSQ_,@function
_ZN7rocprim17ROCPRIM_400000_NS6detail17trampoline_kernelINS0_14default_configENS1_22reduce_config_selectorIiEEZNS1_11reduce_implILb1ES3_PiS7_iN6hipcub16HIPCUB_304000_NS6detail34convert_binary_result_type_wrapperINS9_3SumENS9_22TransformInputIteratorIbN2at6native12_GLOBAL__N_19NonZeroOpIbEEPKblEEiEEEE10hipError_tPvRmT1_T2_T3_mT4_P12ihipStream_tbEUlT_E1_NS1_11comp_targetILNS1_3genE5ELNS1_11target_archE942ELNS1_3gpuE9ELNS1_3repE0EEENS1_30default_config_static_selectorELNS0_4arch9wavefront6targetE0EEEvSQ_: ; @_ZN7rocprim17ROCPRIM_400000_NS6detail17trampoline_kernelINS0_14default_configENS1_22reduce_config_selectorIiEEZNS1_11reduce_implILb1ES3_PiS7_iN6hipcub16HIPCUB_304000_NS6detail34convert_binary_result_type_wrapperINS9_3SumENS9_22TransformInputIteratorIbN2at6native12_GLOBAL__N_19NonZeroOpIbEEPKblEEiEEEE10hipError_tPvRmT1_T2_T3_mT4_P12ihipStream_tbEUlT_E1_NS1_11comp_targetILNS1_3genE5ELNS1_11target_archE942ELNS1_3gpuE9ELNS1_3repE0EEENS1_30default_config_static_selectorELNS0_4arch9wavefront6targetE0EEEvSQ_
; %bb.0:
	.section	.rodata,"a",@progbits
	.p2align	6, 0x0
	.amdhsa_kernel _ZN7rocprim17ROCPRIM_400000_NS6detail17trampoline_kernelINS0_14default_configENS1_22reduce_config_selectorIiEEZNS1_11reduce_implILb1ES3_PiS7_iN6hipcub16HIPCUB_304000_NS6detail34convert_binary_result_type_wrapperINS9_3SumENS9_22TransformInputIteratorIbN2at6native12_GLOBAL__N_19NonZeroOpIbEEPKblEEiEEEE10hipError_tPvRmT1_T2_T3_mT4_P12ihipStream_tbEUlT_E1_NS1_11comp_targetILNS1_3genE5ELNS1_11target_archE942ELNS1_3gpuE9ELNS1_3repE0EEENS1_30default_config_static_selectorELNS0_4arch9wavefront6targetE0EEEvSQ_
		.amdhsa_group_segment_fixed_size 0
		.amdhsa_private_segment_fixed_size 0
		.amdhsa_kernarg_size 40
		.amdhsa_user_sgpr_count 2
		.amdhsa_user_sgpr_dispatch_ptr 0
		.amdhsa_user_sgpr_queue_ptr 0
		.amdhsa_user_sgpr_kernarg_segment_ptr 1
		.amdhsa_user_sgpr_dispatch_id 0
		.amdhsa_user_sgpr_private_segment_size 0
		.amdhsa_wavefront_size32 1
		.amdhsa_uses_dynamic_stack 0
		.amdhsa_enable_private_segment 0
		.amdhsa_system_sgpr_workgroup_id_x 1
		.amdhsa_system_sgpr_workgroup_id_y 0
		.amdhsa_system_sgpr_workgroup_id_z 0
		.amdhsa_system_sgpr_workgroup_info 0
		.amdhsa_system_vgpr_workitem_id 0
		.amdhsa_next_free_vgpr 1
		.amdhsa_next_free_sgpr 1
		.amdhsa_reserve_vcc 0
		.amdhsa_float_round_mode_32 0
		.amdhsa_float_round_mode_16_64 0
		.amdhsa_float_denorm_mode_32 3
		.amdhsa_float_denorm_mode_16_64 3
		.amdhsa_fp16_overflow 0
		.amdhsa_workgroup_processor_mode 1
		.amdhsa_memory_ordered 1
		.amdhsa_forward_progress 1
		.amdhsa_inst_pref_size 0
		.amdhsa_round_robin_scheduling 0
		.amdhsa_exception_fp_ieee_invalid_op 0
		.amdhsa_exception_fp_denorm_src 0
		.amdhsa_exception_fp_ieee_div_zero 0
		.amdhsa_exception_fp_ieee_overflow 0
		.amdhsa_exception_fp_ieee_underflow 0
		.amdhsa_exception_fp_ieee_inexact 0
		.amdhsa_exception_int_div_zero 0
	.end_amdhsa_kernel
	.section	.text._ZN7rocprim17ROCPRIM_400000_NS6detail17trampoline_kernelINS0_14default_configENS1_22reduce_config_selectorIiEEZNS1_11reduce_implILb1ES3_PiS7_iN6hipcub16HIPCUB_304000_NS6detail34convert_binary_result_type_wrapperINS9_3SumENS9_22TransformInputIteratorIbN2at6native12_GLOBAL__N_19NonZeroOpIbEEPKblEEiEEEE10hipError_tPvRmT1_T2_T3_mT4_P12ihipStream_tbEUlT_E1_NS1_11comp_targetILNS1_3genE5ELNS1_11target_archE942ELNS1_3gpuE9ELNS1_3repE0EEENS1_30default_config_static_selectorELNS0_4arch9wavefront6targetE0EEEvSQ_,"axG",@progbits,_ZN7rocprim17ROCPRIM_400000_NS6detail17trampoline_kernelINS0_14default_configENS1_22reduce_config_selectorIiEEZNS1_11reduce_implILb1ES3_PiS7_iN6hipcub16HIPCUB_304000_NS6detail34convert_binary_result_type_wrapperINS9_3SumENS9_22TransformInputIteratorIbN2at6native12_GLOBAL__N_19NonZeroOpIbEEPKblEEiEEEE10hipError_tPvRmT1_T2_T3_mT4_P12ihipStream_tbEUlT_E1_NS1_11comp_targetILNS1_3genE5ELNS1_11target_archE942ELNS1_3gpuE9ELNS1_3repE0EEENS1_30default_config_static_selectorELNS0_4arch9wavefront6targetE0EEEvSQ_,comdat
.Lfunc_end704:
	.size	_ZN7rocprim17ROCPRIM_400000_NS6detail17trampoline_kernelINS0_14default_configENS1_22reduce_config_selectorIiEEZNS1_11reduce_implILb1ES3_PiS7_iN6hipcub16HIPCUB_304000_NS6detail34convert_binary_result_type_wrapperINS9_3SumENS9_22TransformInputIteratorIbN2at6native12_GLOBAL__N_19NonZeroOpIbEEPKblEEiEEEE10hipError_tPvRmT1_T2_T3_mT4_P12ihipStream_tbEUlT_E1_NS1_11comp_targetILNS1_3genE5ELNS1_11target_archE942ELNS1_3gpuE9ELNS1_3repE0EEENS1_30default_config_static_selectorELNS0_4arch9wavefront6targetE0EEEvSQ_, .Lfunc_end704-_ZN7rocprim17ROCPRIM_400000_NS6detail17trampoline_kernelINS0_14default_configENS1_22reduce_config_selectorIiEEZNS1_11reduce_implILb1ES3_PiS7_iN6hipcub16HIPCUB_304000_NS6detail34convert_binary_result_type_wrapperINS9_3SumENS9_22TransformInputIteratorIbN2at6native12_GLOBAL__N_19NonZeroOpIbEEPKblEEiEEEE10hipError_tPvRmT1_T2_T3_mT4_P12ihipStream_tbEUlT_E1_NS1_11comp_targetILNS1_3genE5ELNS1_11target_archE942ELNS1_3gpuE9ELNS1_3repE0EEENS1_30default_config_static_selectorELNS0_4arch9wavefront6targetE0EEEvSQ_
                                        ; -- End function
	.set _ZN7rocprim17ROCPRIM_400000_NS6detail17trampoline_kernelINS0_14default_configENS1_22reduce_config_selectorIiEEZNS1_11reduce_implILb1ES3_PiS7_iN6hipcub16HIPCUB_304000_NS6detail34convert_binary_result_type_wrapperINS9_3SumENS9_22TransformInputIteratorIbN2at6native12_GLOBAL__N_19NonZeroOpIbEEPKblEEiEEEE10hipError_tPvRmT1_T2_T3_mT4_P12ihipStream_tbEUlT_E1_NS1_11comp_targetILNS1_3genE5ELNS1_11target_archE942ELNS1_3gpuE9ELNS1_3repE0EEENS1_30default_config_static_selectorELNS0_4arch9wavefront6targetE0EEEvSQ_.num_vgpr, 0
	.set _ZN7rocprim17ROCPRIM_400000_NS6detail17trampoline_kernelINS0_14default_configENS1_22reduce_config_selectorIiEEZNS1_11reduce_implILb1ES3_PiS7_iN6hipcub16HIPCUB_304000_NS6detail34convert_binary_result_type_wrapperINS9_3SumENS9_22TransformInputIteratorIbN2at6native12_GLOBAL__N_19NonZeroOpIbEEPKblEEiEEEE10hipError_tPvRmT1_T2_T3_mT4_P12ihipStream_tbEUlT_E1_NS1_11comp_targetILNS1_3genE5ELNS1_11target_archE942ELNS1_3gpuE9ELNS1_3repE0EEENS1_30default_config_static_selectorELNS0_4arch9wavefront6targetE0EEEvSQ_.num_agpr, 0
	.set _ZN7rocprim17ROCPRIM_400000_NS6detail17trampoline_kernelINS0_14default_configENS1_22reduce_config_selectorIiEEZNS1_11reduce_implILb1ES3_PiS7_iN6hipcub16HIPCUB_304000_NS6detail34convert_binary_result_type_wrapperINS9_3SumENS9_22TransformInputIteratorIbN2at6native12_GLOBAL__N_19NonZeroOpIbEEPKblEEiEEEE10hipError_tPvRmT1_T2_T3_mT4_P12ihipStream_tbEUlT_E1_NS1_11comp_targetILNS1_3genE5ELNS1_11target_archE942ELNS1_3gpuE9ELNS1_3repE0EEENS1_30default_config_static_selectorELNS0_4arch9wavefront6targetE0EEEvSQ_.numbered_sgpr, 0
	.set _ZN7rocprim17ROCPRIM_400000_NS6detail17trampoline_kernelINS0_14default_configENS1_22reduce_config_selectorIiEEZNS1_11reduce_implILb1ES3_PiS7_iN6hipcub16HIPCUB_304000_NS6detail34convert_binary_result_type_wrapperINS9_3SumENS9_22TransformInputIteratorIbN2at6native12_GLOBAL__N_19NonZeroOpIbEEPKblEEiEEEE10hipError_tPvRmT1_T2_T3_mT4_P12ihipStream_tbEUlT_E1_NS1_11comp_targetILNS1_3genE5ELNS1_11target_archE942ELNS1_3gpuE9ELNS1_3repE0EEENS1_30default_config_static_selectorELNS0_4arch9wavefront6targetE0EEEvSQ_.num_named_barrier, 0
	.set _ZN7rocprim17ROCPRIM_400000_NS6detail17trampoline_kernelINS0_14default_configENS1_22reduce_config_selectorIiEEZNS1_11reduce_implILb1ES3_PiS7_iN6hipcub16HIPCUB_304000_NS6detail34convert_binary_result_type_wrapperINS9_3SumENS9_22TransformInputIteratorIbN2at6native12_GLOBAL__N_19NonZeroOpIbEEPKblEEiEEEE10hipError_tPvRmT1_T2_T3_mT4_P12ihipStream_tbEUlT_E1_NS1_11comp_targetILNS1_3genE5ELNS1_11target_archE942ELNS1_3gpuE9ELNS1_3repE0EEENS1_30default_config_static_selectorELNS0_4arch9wavefront6targetE0EEEvSQ_.private_seg_size, 0
	.set _ZN7rocprim17ROCPRIM_400000_NS6detail17trampoline_kernelINS0_14default_configENS1_22reduce_config_selectorIiEEZNS1_11reduce_implILb1ES3_PiS7_iN6hipcub16HIPCUB_304000_NS6detail34convert_binary_result_type_wrapperINS9_3SumENS9_22TransformInputIteratorIbN2at6native12_GLOBAL__N_19NonZeroOpIbEEPKblEEiEEEE10hipError_tPvRmT1_T2_T3_mT4_P12ihipStream_tbEUlT_E1_NS1_11comp_targetILNS1_3genE5ELNS1_11target_archE942ELNS1_3gpuE9ELNS1_3repE0EEENS1_30default_config_static_selectorELNS0_4arch9wavefront6targetE0EEEvSQ_.uses_vcc, 0
	.set _ZN7rocprim17ROCPRIM_400000_NS6detail17trampoline_kernelINS0_14default_configENS1_22reduce_config_selectorIiEEZNS1_11reduce_implILb1ES3_PiS7_iN6hipcub16HIPCUB_304000_NS6detail34convert_binary_result_type_wrapperINS9_3SumENS9_22TransformInputIteratorIbN2at6native12_GLOBAL__N_19NonZeroOpIbEEPKblEEiEEEE10hipError_tPvRmT1_T2_T3_mT4_P12ihipStream_tbEUlT_E1_NS1_11comp_targetILNS1_3genE5ELNS1_11target_archE942ELNS1_3gpuE9ELNS1_3repE0EEENS1_30default_config_static_selectorELNS0_4arch9wavefront6targetE0EEEvSQ_.uses_flat_scratch, 0
	.set _ZN7rocprim17ROCPRIM_400000_NS6detail17trampoline_kernelINS0_14default_configENS1_22reduce_config_selectorIiEEZNS1_11reduce_implILb1ES3_PiS7_iN6hipcub16HIPCUB_304000_NS6detail34convert_binary_result_type_wrapperINS9_3SumENS9_22TransformInputIteratorIbN2at6native12_GLOBAL__N_19NonZeroOpIbEEPKblEEiEEEE10hipError_tPvRmT1_T2_T3_mT4_P12ihipStream_tbEUlT_E1_NS1_11comp_targetILNS1_3genE5ELNS1_11target_archE942ELNS1_3gpuE9ELNS1_3repE0EEENS1_30default_config_static_selectorELNS0_4arch9wavefront6targetE0EEEvSQ_.has_dyn_sized_stack, 0
	.set _ZN7rocprim17ROCPRIM_400000_NS6detail17trampoline_kernelINS0_14default_configENS1_22reduce_config_selectorIiEEZNS1_11reduce_implILb1ES3_PiS7_iN6hipcub16HIPCUB_304000_NS6detail34convert_binary_result_type_wrapperINS9_3SumENS9_22TransformInputIteratorIbN2at6native12_GLOBAL__N_19NonZeroOpIbEEPKblEEiEEEE10hipError_tPvRmT1_T2_T3_mT4_P12ihipStream_tbEUlT_E1_NS1_11comp_targetILNS1_3genE5ELNS1_11target_archE942ELNS1_3gpuE9ELNS1_3repE0EEENS1_30default_config_static_selectorELNS0_4arch9wavefront6targetE0EEEvSQ_.has_recursion, 0
	.set _ZN7rocprim17ROCPRIM_400000_NS6detail17trampoline_kernelINS0_14default_configENS1_22reduce_config_selectorIiEEZNS1_11reduce_implILb1ES3_PiS7_iN6hipcub16HIPCUB_304000_NS6detail34convert_binary_result_type_wrapperINS9_3SumENS9_22TransformInputIteratorIbN2at6native12_GLOBAL__N_19NonZeroOpIbEEPKblEEiEEEE10hipError_tPvRmT1_T2_T3_mT4_P12ihipStream_tbEUlT_E1_NS1_11comp_targetILNS1_3genE5ELNS1_11target_archE942ELNS1_3gpuE9ELNS1_3repE0EEENS1_30default_config_static_selectorELNS0_4arch9wavefront6targetE0EEEvSQ_.has_indirect_call, 0
	.section	.AMDGPU.csdata,"",@progbits
; Kernel info:
; codeLenInByte = 0
; TotalNumSgprs: 0
; NumVgprs: 0
; ScratchSize: 0
; MemoryBound: 0
; FloatMode: 240
; IeeeMode: 1
; LDSByteSize: 0 bytes/workgroup (compile time only)
; SGPRBlocks: 0
; VGPRBlocks: 0
; NumSGPRsForWavesPerEU: 1
; NumVGPRsForWavesPerEU: 1
; Occupancy: 16
; WaveLimiterHint : 0
; COMPUTE_PGM_RSRC2:SCRATCH_EN: 0
; COMPUTE_PGM_RSRC2:USER_SGPR: 2
; COMPUTE_PGM_RSRC2:TRAP_HANDLER: 0
; COMPUTE_PGM_RSRC2:TGID_X_EN: 1
; COMPUTE_PGM_RSRC2:TGID_Y_EN: 0
; COMPUTE_PGM_RSRC2:TGID_Z_EN: 0
; COMPUTE_PGM_RSRC2:TIDIG_COMP_CNT: 0
	.section	.text._ZN7rocprim17ROCPRIM_400000_NS6detail17trampoline_kernelINS0_14default_configENS1_22reduce_config_selectorIiEEZNS1_11reduce_implILb1ES3_PiS7_iN6hipcub16HIPCUB_304000_NS6detail34convert_binary_result_type_wrapperINS9_3SumENS9_22TransformInputIteratorIbN2at6native12_GLOBAL__N_19NonZeroOpIbEEPKblEEiEEEE10hipError_tPvRmT1_T2_T3_mT4_P12ihipStream_tbEUlT_E1_NS1_11comp_targetILNS1_3genE4ELNS1_11target_archE910ELNS1_3gpuE8ELNS1_3repE0EEENS1_30default_config_static_selectorELNS0_4arch9wavefront6targetE0EEEvSQ_,"axG",@progbits,_ZN7rocprim17ROCPRIM_400000_NS6detail17trampoline_kernelINS0_14default_configENS1_22reduce_config_selectorIiEEZNS1_11reduce_implILb1ES3_PiS7_iN6hipcub16HIPCUB_304000_NS6detail34convert_binary_result_type_wrapperINS9_3SumENS9_22TransformInputIteratorIbN2at6native12_GLOBAL__N_19NonZeroOpIbEEPKblEEiEEEE10hipError_tPvRmT1_T2_T3_mT4_P12ihipStream_tbEUlT_E1_NS1_11comp_targetILNS1_3genE4ELNS1_11target_archE910ELNS1_3gpuE8ELNS1_3repE0EEENS1_30default_config_static_selectorELNS0_4arch9wavefront6targetE0EEEvSQ_,comdat
	.globl	_ZN7rocprim17ROCPRIM_400000_NS6detail17trampoline_kernelINS0_14default_configENS1_22reduce_config_selectorIiEEZNS1_11reduce_implILb1ES3_PiS7_iN6hipcub16HIPCUB_304000_NS6detail34convert_binary_result_type_wrapperINS9_3SumENS9_22TransformInputIteratorIbN2at6native12_GLOBAL__N_19NonZeroOpIbEEPKblEEiEEEE10hipError_tPvRmT1_T2_T3_mT4_P12ihipStream_tbEUlT_E1_NS1_11comp_targetILNS1_3genE4ELNS1_11target_archE910ELNS1_3gpuE8ELNS1_3repE0EEENS1_30default_config_static_selectorELNS0_4arch9wavefront6targetE0EEEvSQ_ ; -- Begin function _ZN7rocprim17ROCPRIM_400000_NS6detail17trampoline_kernelINS0_14default_configENS1_22reduce_config_selectorIiEEZNS1_11reduce_implILb1ES3_PiS7_iN6hipcub16HIPCUB_304000_NS6detail34convert_binary_result_type_wrapperINS9_3SumENS9_22TransformInputIteratorIbN2at6native12_GLOBAL__N_19NonZeroOpIbEEPKblEEiEEEE10hipError_tPvRmT1_T2_T3_mT4_P12ihipStream_tbEUlT_E1_NS1_11comp_targetILNS1_3genE4ELNS1_11target_archE910ELNS1_3gpuE8ELNS1_3repE0EEENS1_30default_config_static_selectorELNS0_4arch9wavefront6targetE0EEEvSQ_
	.p2align	8
	.type	_ZN7rocprim17ROCPRIM_400000_NS6detail17trampoline_kernelINS0_14default_configENS1_22reduce_config_selectorIiEEZNS1_11reduce_implILb1ES3_PiS7_iN6hipcub16HIPCUB_304000_NS6detail34convert_binary_result_type_wrapperINS9_3SumENS9_22TransformInputIteratorIbN2at6native12_GLOBAL__N_19NonZeroOpIbEEPKblEEiEEEE10hipError_tPvRmT1_T2_T3_mT4_P12ihipStream_tbEUlT_E1_NS1_11comp_targetILNS1_3genE4ELNS1_11target_archE910ELNS1_3gpuE8ELNS1_3repE0EEENS1_30default_config_static_selectorELNS0_4arch9wavefront6targetE0EEEvSQ_,@function
_ZN7rocprim17ROCPRIM_400000_NS6detail17trampoline_kernelINS0_14default_configENS1_22reduce_config_selectorIiEEZNS1_11reduce_implILb1ES3_PiS7_iN6hipcub16HIPCUB_304000_NS6detail34convert_binary_result_type_wrapperINS9_3SumENS9_22TransformInputIteratorIbN2at6native12_GLOBAL__N_19NonZeroOpIbEEPKblEEiEEEE10hipError_tPvRmT1_T2_T3_mT4_P12ihipStream_tbEUlT_E1_NS1_11comp_targetILNS1_3genE4ELNS1_11target_archE910ELNS1_3gpuE8ELNS1_3repE0EEENS1_30default_config_static_selectorELNS0_4arch9wavefront6targetE0EEEvSQ_: ; @_ZN7rocprim17ROCPRIM_400000_NS6detail17trampoline_kernelINS0_14default_configENS1_22reduce_config_selectorIiEEZNS1_11reduce_implILb1ES3_PiS7_iN6hipcub16HIPCUB_304000_NS6detail34convert_binary_result_type_wrapperINS9_3SumENS9_22TransformInputIteratorIbN2at6native12_GLOBAL__N_19NonZeroOpIbEEPKblEEiEEEE10hipError_tPvRmT1_T2_T3_mT4_P12ihipStream_tbEUlT_E1_NS1_11comp_targetILNS1_3genE4ELNS1_11target_archE910ELNS1_3gpuE8ELNS1_3repE0EEENS1_30default_config_static_selectorELNS0_4arch9wavefront6targetE0EEEvSQ_
; %bb.0:
	.section	.rodata,"a",@progbits
	.p2align	6, 0x0
	.amdhsa_kernel _ZN7rocprim17ROCPRIM_400000_NS6detail17trampoline_kernelINS0_14default_configENS1_22reduce_config_selectorIiEEZNS1_11reduce_implILb1ES3_PiS7_iN6hipcub16HIPCUB_304000_NS6detail34convert_binary_result_type_wrapperINS9_3SumENS9_22TransformInputIteratorIbN2at6native12_GLOBAL__N_19NonZeroOpIbEEPKblEEiEEEE10hipError_tPvRmT1_T2_T3_mT4_P12ihipStream_tbEUlT_E1_NS1_11comp_targetILNS1_3genE4ELNS1_11target_archE910ELNS1_3gpuE8ELNS1_3repE0EEENS1_30default_config_static_selectorELNS0_4arch9wavefront6targetE0EEEvSQ_
		.amdhsa_group_segment_fixed_size 0
		.amdhsa_private_segment_fixed_size 0
		.amdhsa_kernarg_size 40
		.amdhsa_user_sgpr_count 2
		.amdhsa_user_sgpr_dispatch_ptr 0
		.amdhsa_user_sgpr_queue_ptr 0
		.amdhsa_user_sgpr_kernarg_segment_ptr 1
		.amdhsa_user_sgpr_dispatch_id 0
		.amdhsa_user_sgpr_private_segment_size 0
		.amdhsa_wavefront_size32 1
		.amdhsa_uses_dynamic_stack 0
		.amdhsa_enable_private_segment 0
		.amdhsa_system_sgpr_workgroup_id_x 1
		.amdhsa_system_sgpr_workgroup_id_y 0
		.amdhsa_system_sgpr_workgroup_id_z 0
		.amdhsa_system_sgpr_workgroup_info 0
		.amdhsa_system_vgpr_workitem_id 0
		.amdhsa_next_free_vgpr 1
		.amdhsa_next_free_sgpr 1
		.amdhsa_reserve_vcc 0
		.amdhsa_float_round_mode_32 0
		.amdhsa_float_round_mode_16_64 0
		.amdhsa_float_denorm_mode_32 3
		.amdhsa_float_denorm_mode_16_64 3
		.amdhsa_fp16_overflow 0
		.amdhsa_workgroup_processor_mode 1
		.amdhsa_memory_ordered 1
		.amdhsa_forward_progress 1
		.amdhsa_inst_pref_size 0
		.amdhsa_round_robin_scheduling 0
		.amdhsa_exception_fp_ieee_invalid_op 0
		.amdhsa_exception_fp_denorm_src 0
		.amdhsa_exception_fp_ieee_div_zero 0
		.amdhsa_exception_fp_ieee_overflow 0
		.amdhsa_exception_fp_ieee_underflow 0
		.amdhsa_exception_fp_ieee_inexact 0
		.amdhsa_exception_int_div_zero 0
	.end_amdhsa_kernel
	.section	.text._ZN7rocprim17ROCPRIM_400000_NS6detail17trampoline_kernelINS0_14default_configENS1_22reduce_config_selectorIiEEZNS1_11reduce_implILb1ES3_PiS7_iN6hipcub16HIPCUB_304000_NS6detail34convert_binary_result_type_wrapperINS9_3SumENS9_22TransformInputIteratorIbN2at6native12_GLOBAL__N_19NonZeroOpIbEEPKblEEiEEEE10hipError_tPvRmT1_T2_T3_mT4_P12ihipStream_tbEUlT_E1_NS1_11comp_targetILNS1_3genE4ELNS1_11target_archE910ELNS1_3gpuE8ELNS1_3repE0EEENS1_30default_config_static_selectorELNS0_4arch9wavefront6targetE0EEEvSQ_,"axG",@progbits,_ZN7rocprim17ROCPRIM_400000_NS6detail17trampoline_kernelINS0_14default_configENS1_22reduce_config_selectorIiEEZNS1_11reduce_implILb1ES3_PiS7_iN6hipcub16HIPCUB_304000_NS6detail34convert_binary_result_type_wrapperINS9_3SumENS9_22TransformInputIteratorIbN2at6native12_GLOBAL__N_19NonZeroOpIbEEPKblEEiEEEE10hipError_tPvRmT1_T2_T3_mT4_P12ihipStream_tbEUlT_E1_NS1_11comp_targetILNS1_3genE4ELNS1_11target_archE910ELNS1_3gpuE8ELNS1_3repE0EEENS1_30default_config_static_selectorELNS0_4arch9wavefront6targetE0EEEvSQ_,comdat
.Lfunc_end705:
	.size	_ZN7rocprim17ROCPRIM_400000_NS6detail17trampoline_kernelINS0_14default_configENS1_22reduce_config_selectorIiEEZNS1_11reduce_implILb1ES3_PiS7_iN6hipcub16HIPCUB_304000_NS6detail34convert_binary_result_type_wrapperINS9_3SumENS9_22TransformInputIteratorIbN2at6native12_GLOBAL__N_19NonZeroOpIbEEPKblEEiEEEE10hipError_tPvRmT1_T2_T3_mT4_P12ihipStream_tbEUlT_E1_NS1_11comp_targetILNS1_3genE4ELNS1_11target_archE910ELNS1_3gpuE8ELNS1_3repE0EEENS1_30default_config_static_selectorELNS0_4arch9wavefront6targetE0EEEvSQ_, .Lfunc_end705-_ZN7rocprim17ROCPRIM_400000_NS6detail17trampoline_kernelINS0_14default_configENS1_22reduce_config_selectorIiEEZNS1_11reduce_implILb1ES3_PiS7_iN6hipcub16HIPCUB_304000_NS6detail34convert_binary_result_type_wrapperINS9_3SumENS9_22TransformInputIteratorIbN2at6native12_GLOBAL__N_19NonZeroOpIbEEPKblEEiEEEE10hipError_tPvRmT1_T2_T3_mT4_P12ihipStream_tbEUlT_E1_NS1_11comp_targetILNS1_3genE4ELNS1_11target_archE910ELNS1_3gpuE8ELNS1_3repE0EEENS1_30default_config_static_selectorELNS0_4arch9wavefront6targetE0EEEvSQ_
                                        ; -- End function
	.set _ZN7rocprim17ROCPRIM_400000_NS6detail17trampoline_kernelINS0_14default_configENS1_22reduce_config_selectorIiEEZNS1_11reduce_implILb1ES3_PiS7_iN6hipcub16HIPCUB_304000_NS6detail34convert_binary_result_type_wrapperINS9_3SumENS9_22TransformInputIteratorIbN2at6native12_GLOBAL__N_19NonZeroOpIbEEPKblEEiEEEE10hipError_tPvRmT1_T2_T3_mT4_P12ihipStream_tbEUlT_E1_NS1_11comp_targetILNS1_3genE4ELNS1_11target_archE910ELNS1_3gpuE8ELNS1_3repE0EEENS1_30default_config_static_selectorELNS0_4arch9wavefront6targetE0EEEvSQ_.num_vgpr, 0
	.set _ZN7rocprim17ROCPRIM_400000_NS6detail17trampoline_kernelINS0_14default_configENS1_22reduce_config_selectorIiEEZNS1_11reduce_implILb1ES3_PiS7_iN6hipcub16HIPCUB_304000_NS6detail34convert_binary_result_type_wrapperINS9_3SumENS9_22TransformInputIteratorIbN2at6native12_GLOBAL__N_19NonZeroOpIbEEPKblEEiEEEE10hipError_tPvRmT1_T2_T3_mT4_P12ihipStream_tbEUlT_E1_NS1_11comp_targetILNS1_3genE4ELNS1_11target_archE910ELNS1_3gpuE8ELNS1_3repE0EEENS1_30default_config_static_selectorELNS0_4arch9wavefront6targetE0EEEvSQ_.num_agpr, 0
	.set _ZN7rocprim17ROCPRIM_400000_NS6detail17trampoline_kernelINS0_14default_configENS1_22reduce_config_selectorIiEEZNS1_11reduce_implILb1ES3_PiS7_iN6hipcub16HIPCUB_304000_NS6detail34convert_binary_result_type_wrapperINS9_3SumENS9_22TransformInputIteratorIbN2at6native12_GLOBAL__N_19NonZeroOpIbEEPKblEEiEEEE10hipError_tPvRmT1_T2_T3_mT4_P12ihipStream_tbEUlT_E1_NS1_11comp_targetILNS1_3genE4ELNS1_11target_archE910ELNS1_3gpuE8ELNS1_3repE0EEENS1_30default_config_static_selectorELNS0_4arch9wavefront6targetE0EEEvSQ_.numbered_sgpr, 0
	.set _ZN7rocprim17ROCPRIM_400000_NS6detail17trampoline_kernelINS0_14default_configENS1_22reduce_config_selectorIiEEZNS1_11reduce_implILb1ES3_PiS7_iN6hipcub16HIPCUB_304000_NS6detail34convert_binary_result_type_wrapperINS9_3SumENS9_22TransformInputIteratorIbN2at6native12_GLOBAL__N_19NonZeroOpIbEEPKblEEiEEEE10hipError_tPvRmT1_T2_T3_mT4_P12ihipStream_tbEUlT_E1_NS1_11comp_targetILNS1_3genE4ELNS1_11target_archE910ELNS1_3gpuE8ELNS1_3repE0EEENS1_30default_config_static_selectorELNS0_4arch9wavefront6targetE0EEEvSQ_.num_named_barrier, 0
	.set _ZN7rocprim17ROCPRIM_400000_NS6detail17trampoline_kernelINS0_14default_configENS1_22reduce_config_selectorIiEEZNS1_11reduce_implILb1ES3_PiS7_iN6hipcub16HIPCUB_304000_NS6detail34convert_binary_result_type_wrapperINS9_3SumENS9_22TransformInputIteratorIbN2at6native12_GLOBAL__N_19NonZeroOpIbEEPKblEEiEEEE10hipError_tPvRmT1_T2_T3_mT4_P12ihipStream_tbEUlT_E1_NS1_11comp_targetILNS1_3genE4ELNS1_11target_archE910ELNS1_3gpuE8ELNS1_3repE0EEENS1_30default_config_static_selectorELNS0_4arch9wavefront6targetE0EEEvSQ_.private_seg_size, 0
	.set _ZN7rocprim17ROCPRIM_400000_NS6detail17trampoline_kernelINS0_14default_configENS1_22reduce_config_selectorIiEEZNS1_11reduce_implILb1ES3_PiS7_iN6hipcub16HIPCUB_304000_NS6detail34convert_binary_result_type_wrapperINS9_3SumENS9_22TransformInputIteratorIbN2at6native12_GLOBAL__N_19NonZeroOpIbEEPKblEEiEEEE10hipError_tPvRmT1_T2_T3_mT4_P12ihipStream_tbEUlT_E1_NS1_11comp_targetILNS1_3genE4ELNS1_11target_archE910ELNS1_3gpuE8ELNS1_3repE0EEENS1_30default_config_static_selectorELNS0_4arch9wavefront6targetE0EEEvSQ_.uses_vcc, 0
	.set _ZN7rocprim17ROCPRIM_400000_NS6detail17trampoline_kernelINS0_14default_configENS1_22reduce_config_selectorIiEEZNS1_11reduce_implILb1ES3_PiS7_iN6hipcub16HIPCUB_304000_NS6detail34convert_binary_result_type_wrapperINS9_3SumENS9_22TransformInputIteratorIbN2at6native12_GLOBAL__N_19NonZeroOpIbEEPKblEEiEEEE10hipError_tPvRmT1_T2_T3_mT4_P12ihipStream_tbEUlT_E1_NS1_11comp_targetILNS1_3genE4ELNS1_11target_archE910ELNS1_3gpuE8ELNS1_3repE0EEENS1_30default_config_static_selectorELNS0_4arch9wavefront6targetE0EEEvSQ_.uses_flat_scratch, 0
	.set _ZN7rocprim17ROCPRIM_400000_NS6detail17trampoline_kernelINS0_14default_configENS1_22reduce_config_selectorIiEEZNS1_11reduce_implILb1ES3_PiS7_iN6hipcub16HIPCUB_304000_NS6detail34convert_binary_result_type_wrapperINS9_3SumENS9_22TransformInputIteratorIbN2at6native12_GLOBAL__N_19NonZeroOpIbEEPKblEEiEEEE10hipError_tPvRmT1_T2_T3_mT4_P12ihipStream_tbEUlT_E1_NS1_11comp_targetILNS1_3genE4ELNS1_11target_archE910ELNS1_3gpuE8ELNS1_3repE0EEENS1_30default_config_static_selectorELNS0_4arch9wavefront6targetE0EEEvSQ_.has_dyn_sized_stack, 0
	.set _ZN7rocprim17ROCPRIM_400000_NS6detail17trampoline_kernelINS0_14default_configENS1_22reduce_config_selectorIiEEZNS1_11reduce_implILb1ES3_PiS7_iN6hipcub16HIPCUB_304000_NS6detail34convert_binary_result_type_wrapperINS9_3SumENS9_22TransformInputIteratorIbN2at6native12_GLOBAL__N_19NonZeroOpIbEEPKblEEiEEEE10hipError_tPvRmT1_T2_T3_mT4_P12ihipStream_tbEUlT_E1_NS1_11comp_targetILNS1_3genE4ELNS1_11target_archE910ELNS1_3gpuE8ELNS1_3repE0EEENS1_30default_config_static_selectorELNS0_4arch9wavefront6targetE0EEEvSQ_.has_recursion, 0
	.set _ZN7rocprim17ROCPRIM_400000_NS6detail17trampoline_kernelINS0_14default_configENS1_22reduce_config_selectorIiEEZNS1_11reduce_implILb1ES3_PiS7_iN6hipcub16HIPCUB_304000_NS6detail34convert_binary_result_type_wrapperINS9_3SumENS9_22TransformInputIteratorIbN2at6native12_GLOBAL__N_19NonZeroOpIbEEPKblEEiEEEE10hipError_tPvRmT1_T2_T3_mT4_P12ihipStream_tbEUlT_E1_NS1_11comp_targetILNS1_3genE4ELNS1_11target_archE910ELNS1_3gpuE8ELNS1_3repE0EEENS1_30default_config_static_selectorELNS0_4arch9wavefront6targetE0EEEvSQ_.has_indirect_call, 0
	.section	.AMDGPU.csdata,"",@progbits
; Kernel info:
; codeLenInByte = 0
; TotalNumSgprs: 0
; NumVgprs: 0
; ScratchSize: 0
; MemoryBound: 0
; FloatMode: 240
; IeeeMode: 1
; LDSByteSize: 0 bytes/workgroup (compile time only)
; SGPRBlocks: 0
; VGPRBlocks: 0
; NumSGPRsForWavesPerEU: 1
; NumVGPRsForWavesPerEU: 1
; Occupancy: 16
; WaveLimiterHint : 0
; COMPUTE_PGM_RSRC2:SCRATCH_EN: 0
; COMPUTE_PGM_RSRC2:USER_SGPR: 2
; COMPUTE_PGM_RSRC2:TRAP_HANDLER: 0
; COMPUTE_PGM_RSRC2:TGID_X_EN: 1
; COMPUTE_PGM_RSRC2:TGID_Y_EN: 0
; COMPUTE_PGM_RSRC2:TGID_Z_EN: 0
; COMPUTE_PGM_RSRC2:TIDIG_COMP_CNT: 0
	.section	.text._ZN7rocprim17ROCPRIM_400000_NS6detail17trampoline_kernelINS0_14default_configENS1_22reduce_config_selectorIiEEZNS1_11reduce_implILb1ES3_PiS7_iN6hipcub16HIPCUB_304000_NS6detail34convert_binary_result_type_wrapperINS9_3SumENS9_22TransformInputIteratorIbN2at6native12_GLOBAL__N_19NonZeroOpIbEEPKblEEiEEEE10hipError_tPvRmT1_T2_T3_mT4_P12ihipStream_tbEUlT_E1_NS1_11comp_targetILNS1_3genE3ELNS1_11target_archE908ELNS1_3gpuE7ELNS1_3repE0EEENS1_30default_config_static_selectorELNS0_4arch9wavefront6targetE0EEEvSQ_,"axG",@progbits,_ZN7rocprim17ROCPRIM_400000_NS6detail17trampoline_kernelINS0_14default_configENS1_22reduce_config_selectorIiEEZNS1_11reduce_implILb1ES3_PiS7_iN6hipcub16HIPCUB_304000_NS6detail34convert_binary_result_type_wrapperINS9_3SumENS9_22TransformInputIteratorIbN2at6native12_GLOBAL__N_19NonZeroOpIbEEPKblEEiEEEE10hipError_tPvRmT1_T2_T3_mT4_P12ihipStream_tbEUlT_E1_NS1_11comp_targetILNS1_3genE3ELNS1_11target_archE908ELNS1_3gpuE7ELNS1_3repE0EEENS1_30default_config_static_selectorELNS0_4arch9wavefront6targetE0EEEvSQ_,comdat
	.globl	_ZN7rocprim17ROCPRIM_400000_NS6detail17trampoline_kernelINS0_14default_configENS1_22reduce_config_selectorIiEEZNS1_11reduce_implILb1ES3_PiS7_iN6hipcub16HIPCUB_304000_NS6detail34convert_binary_result_type_wrapperINS9_3SumENS9_22TransformInputIteratorIbN2at6native12_GLOBAL__N_19NonZeroOpIbEEPKblEEiEEEE10hipError_tPvRmT1_T2_T3_mT4_P12ihipStream_tbEUlT_E1_NS1_11comp_targetILNS1_3genE3ELNS1_11target_archE908ELNS1_3gpuE7ELNS1_3repE0EEENS1_30default_config_static_selectorELNS0_4arch9wavefront6targetE0EEEvSQ_ ; -- Begin function _ZN7rocprim17ROCPRIM_400000_NS6detail17trampoline_kernelINS0_14default_configENS1_22reduce_config_selectorIiEEZNS1_11reduce_implILb1ES3_PiS7_iN6hipcub16HIPCUB_304000_NS6detail34convert_binary_result_type_wrapperINS9_3SumENS9_22TransformInputIteratorIbN2at6native12_GLOBAL__N_19NonZeroOpIbEEPKblEEiEEEE10hipError_tPvRmT1_T2_T3_mT4_P12ihipStream_tbEUlT_E1_NS1_11comp_targetILNS1_3genE3ELNS1_11target_archE908ELNS1_3gpuE7ELNS1_3repE0EEENS1_30default_config_static_selectorELNS0_4arch9wavefront6targetE0EEEvSQ_
	.p2align	8
	.type	_ZN7rocprim17ROCPRIM_400000_NS6detail17trampoline_kernelINS0_14default_configENS1_22reduce_config_selectorIiEEZNS1_11reduce_implILb1ES3_PiS7_iN6hipcub16HIPCUB_304000_NS6detail34convert_binary_result_type_wrapperINS9_3SumENS9_22TransformInputIteratorIbN2at6native12_GLOBAL__N_19NonZeroOpIbEEPKblEEiEEEE10hipError_tPvRmT1_T2_T3_mT4_P12ihipStream_tbEUlT_E1_NS1_11comp_targetILNS1_3genE3ELNS1_11target_archE908ELNS1_3gpuE7ELNS1_3repE0EEENS1_30default_config_static_selectorELNS0_4arch9wavefront6targetE0EEEvSQ_,@function
_ZN7rocprim17ROCPRIM_400000_NS6detail17trampoline_kernelINS0_14default_configENS1_22reduce_config_selectorIiEEZNS1_11reduce_implILb1ES3_PiS7_iN6hipcub16HIPCUB_304000_NS6detail34convert_binary_result_type_wrapperINS9_3SumENS9_22TransformInputIteratorIbN2at6native12_GLOBAL__N_19NonZeroOpIbEEPKblEEiEEEE10hipError_tPvRmT1_T2_T3_mT4_P12ihipStream_tbEUlT_E1_NS1_11comp_targetILNS1_3genE3ELNS1_11target_archE908ELNS1_3gpuE7ELNS1_3repE0EEENS1_30default_config_static_selectorELNS0_4arch9wavefront6targetE0EEEvSQ_: ; @_ZN7rocprim17ROCPRIM_400000_NS6detail17trampoline_kernelINS0_14default_configENS1_22reduce_config_selectorIiEEZNS1_11reduce_implILb1ES3_PiS7_iN6hipcub16HIPCUB_304000_NS6detail34convert_binary_result_type_wrapperINS9_3SumENS9_22TransformInputIteratorIbN2at6native12_GLOBAL__N_19NonZeroOpIbEEPKblEEiEEEE10hipError_tPvRmT1_T2_T3_mT4_P12ihipStream_tbEUlT_E1_NS1_11comp_targetILNS1_3genE3ELNS1_11target_archE908ELNS1_3gpuE7ELNS1_3repE0EEENS1_30default_config_static_selectorELNS0_4arch9wavefront6targetE0EEEvSQ_
; %bb.0:
	.section	.rodata,"a",@progbits
	.p2align	6, 0x0
	.amdhsa_kernel _ZN7rocprim17ROCPRIM_400000_NS6detail17trampoline_kernelINS0_14default_configENS1_22reduce_config_selectorIiEEZNS1_11reduce_implILb1ES3_PiS7_iN6hipcub16HIPCUB_304000_NS6detail34convert_binary_result_type_wrapperINS9_3SumENS9_22TransformInputIteratorIbN2at6native12_GLOBAL__N_19NonZeroOpIbEEPKblEEiEEEE10hipError_tPvRmT1_T2_T3_mT4_P12ihipStream_tbEUlT_E1_NS1_11comp_targetILNS1_3genE3ELNS1_11target_archE908ELNS1_3gpuE7ELNS1_3repE0EEENS1_30default_config_static_selectorELNS0_4arch9wavefront6targetE0EEEvSQ_
		.amdhsa_group_segment_fixed_size 0
		.amdhsa_private_segment_fixed_size 0
		.amdhsa_kernarg_size 40
		.amdhsa_user_sgpr_count 2
		.amdhsa_user_sgpr_dispatch_ptr 0
		.amdhsa_user_sgpr_queue_ptr 0
		.amdhsa_user_sgpr_kernarg_segment_ptr 1
		.amdhsa_user_sgpr_dispatch_id 0
		.amdhsa_user_sgpr_private_segment_size 0
		.amdhsa_wavefront_size32 1
		.amdhsa_uses_dynamic_stack 0
		.amdhsa_enable_private_segment 0
		.amdhsa_system_sgpr_workgroup_id_x 1
		.amdhsa_system_sgpr_workgroup_id_y 0
		.amdhsa_system_sgpr_workgroup_id_z 0
		.amdhsa_system_sgpr_workgroup_info 0
		.amdhsa_system_vgpr_workitem_id 0
		.amdhsa_next_free_vgpr 1
		.amdhsa_next_free_sgpr 1
		.amdhsa_reserve_vcc 0
		.amdhsa_float_round_mode_32 0
		.amdhsa_float_round_mode_16_64 0
		.amdhsa_float_denorm_mode_32 3
		.amdhsa_float_denorm_mode_16_64 3
		.amdhsa_fp16_overflow 0
		.amdhsa_workgroup_processor_mode 1
		.amdhsa_memory_ordered 1
		.amdhsa_forward_progress 1
		.amdhsa_inst_pref_size 0
		.amdhsa_round_robin_scheduling 0
		.amdhsa_exception_fp_ieee_invalid_op 0
		.amdhsa_exception_fp_denorm_src 0
		.amdhsa_exception_fp_ieee_div_zero 0
		.amdhsa_exception_fp_ieee_overflow 0
		.amdhsa_exception_fp_ieee_underflow 0
		.amdhsa_exception_fp_ieee_inexact 0
		.amdhsa_exception_int_div_zero 0
	.end_amdhsa_kernel
	.section	.text._ZN7rocprim17ROCPRIM_400000_NS6detail17trampoline_kernelINS0_14default_configENS1_22reduce_config_selectorIiEEZNS1_11reduce_implILb1ES3_PiS7_iN6hipcub16HIPCUB_304000_NS6detail34convert_binary_result_type_wrapperINS9_3SumENS9_22TransformInputIteratorIbN2at6native12_GLOBAL__N_19NonZeroOpIbEEPKblEEiEEEE10hipError_tPvRmT1_T2_T3_mT4_P12ihipStream_tbEUlT_E1_NS1_11comp_targetILNS1_3genE3ELNS1_11target_archE908ELNS1_3gpuE7ELNS1_3repE0EEENS1_30default_config_static_selectorELNS0_4arch9wavefront6targetE0EEEvSQ_,"axG",@progbits,_ZN7rocprim17ROCPRIM_400000_NS6detail17trampoline_kernelINS0_14default_configENS1_22reduce_config_selectorIiEEZNS1_11reduce_implILb1ES3_PiS7_iN6hipcub16HIPCUB_304000_NS6detail34convert_binary_result_type_wrapperINS9_3SumENS9_22TransformInputIteratorIbN2at6native12_GLOBAL__N_19NonZeroOpIbEEPKblEEiEEEE10hipError_tPvRmT1_T2_T3_mT4_P12ihipStream_tbEUlT_E1_NS1_11comp_targetILNS1_3genE3ELNS1_11target_archE908ELNS1_3gpuE7ELNS1_3repE0EEENS1_30default_config_static_selectorELNS0_4arch9wavefront6targetE0EEEvSQ_,comdat
.Lfunc_end706:
	.size	_ZN7rocprim17ROCPRIM_400000_NS6detail17trampoline_kernelINS0_14default_configENS1_22reduce_config_selectorIiEEZNS1_11reduce_implILb1ES3_PiS7_iN6hipcub16HIPCUB_304000_NS6detail34convert_binary_result_type_wrapperINS9_3SumENS9_22TransformInputIteratorIbN2at6native12_GLOBAL__N_19NonZeroOpIbEEPKblEEiEEEE10hipError_tPvRmT1_T2_T3_mT4_P12ihipStream_tbEUlT_E1_NS1_11comp_targetILNS1_3genE3ELNS1_11target_archE908ELNS1_3gpuE7ELNS1_3repE0EEENS1_30default_config_static_selectorELNS0_4arch9wavefront6targetE0EEEvSQ_, .Lfunc_end706-_ZN7rocprim17ROCPRIM_400000_NS6detail17trampoline_kernelINS0_14default_configENS1_22reduce_config_selectorIiEEZNS1_11reduce_implILb1ES3_PiS7_iN6hipcub16HIPCUB_304000_NS6detail34convert_binary_result_type_wrapperINS9_3SumENS9_22TransformInputIteratorIbN2at6native12_GLOBAL__N_19NonZeroOpIbEEPKblEEiEEEE10hipError_tPvRmT1_T2_T3_mT4_P12ihipStream_tbEUlT_E1_NS1_11comp_targetILNS1_3genE3ELNS1_11target_archE908ELNS1_3gpuE7ELNS1_3repE0EEENS1_30default_config_static_selectorELNS0_4arch9wavefront6targetE0EEEvSQ_
                                        ; -- End function
	.set _ZN7rocprim17ROCPRIM_400000_NS6detail17trampoline_kernelINS0_14default_configENS1_22reduce_config_selectorIiEEZNS1_11reduce_implILb1ES3_PiS7_iN6hipcub16HIPCUB_304000_NS6detail34convert_binary_result_type_wrapperINS9_3SumENS9_22TransformInputIteratorIbN2at6native12_GLOBAL__N_19NonZeroOpIbEEPKblEEiEEEE10hipError_tPvRmT1_T2_T3_mT4_P12ihipStream_tbEUlT_E1_NS1_11comp_targetILNS1_3genE3ELNS1_11target_archE908ELNS1_3gpuE7ELNS1_3repE0EEENS1_30default_config_static_selectorELNS0_4arch9wavefront6targetE0EEEvSQ_.num_vgpr, 0
	.set _ZN7rocprim17ROCPRIM_400000_NS6detail17trampoline_kernelINS0_14default_configENS1_22reduce_config_selectorIiEEZNS1_11reduce_implILb1ES3_PiS7_iN6hipcub16HIPCUB_304000_NS6detail34convert_binary_result_type_wrapperINS9_3SumENS9_22TransformInputIteratorIbN2at6native12_GLOBAL__N_19NonZeroOpIbEEPKblEEiEEEE10hipError_tPvRmT1_T2_T3_mT4_P12ihipStream_tbEUlT_E1_NS1_11comp_targetILNS1_3genE3ELNS1_11target_archE908ELNS1_3gpuE7ELNS1_3repE0EEENS1_30default_config_static_selectorELNS0_4arch9wavefront6targetE0EEEvSQ_.num_agpr, 0
	.set _ZN7rocprim17ROCPRIM_400000_NS6detail17trampoline_kernelINS0_14default_configENS1_22reduce_config_selectorIiEEZNS1_11reduce_implILb1ES3_PiS7_iN6hipcub16HIPCUB_304000_NS6detail34convert_binary_result_type_wrapperINS9_3SumENS9_22TransformInputIteratorIbN2at6native12_GLOBAL__N_19NonZeroOpIbEEPKblEEiEEEE10hipError_tPvRmT1_T2_T3_mT4_P12ihipStream_tbEUlT_E1_NS1_11comp_targetILNS1_3genE3ELNS1_11target_archE908ELNS1_3gpuE7ELNS1_3repE0EEENS1_30default_config_static_selectorELNS0_4arch9wavefront6targetE0EEEvSQ_.numbered_sgpr, 0
	.set _ZN7rocprim17ROCPRIM_400000_NS6detail17trampoline_kernelINS0_14default_configENS1_22reduce_config_selectorIiEEZNS1_11reduce_implILb1ES3_PiS7_iN6hipcub16HIPCUB_304000_NS6detail34convert_binary_result_type_wrapperINS9_3SumENS9_22TransformInputIteratorIbN2at6native12_GLOBAL__N_19NonZeroOpIbEEPKblEEiEEEE10hipError_tPvRmT1_T2_T3_mT4_P12ihipStream_tbEUlT_E1_NS1_11comp_targetILNS1_3genE3ELNS1_11target_archE908ELNS1_3gpuE7ELNS1_3repE0EEENS1_30default_config_static_selectorELNS0_4arch9wavefront6targetE0EEEvSQ_.num_named_barrier, 0
	.set _ZN7rocprim17ROCPRIM_400000_NS6detail17trampoline_kernelINS0_14default_configENS1_22reduce_config_selectorIiEEZNS1_11reduce_implILb1ES3_PiS7_iN6hipcub16HIPCUB_304000_NS6detail34convert_binary_result_type_wrapperINS9_3SumENS9_22TransformInputIteratorIbN2at6native12_GLOBAL__N_19NonZeroOpIbEEPKblEEiEEEE10hipError_tPvRmT1_T2_T3_mT4_P12ihipStream_tbEUlT_E1_NS1_11comp_targetILNS1_3genE3ELNS1_11target_archE908ELNS1_3gpuE7ELNS1_3repE0EEENS1_30default_config_static_selectorELNS0_4arch9wavefront6targetE0EEEvSQ_.private_seg_size, 0
	.set _ZN7rocprim17ROCPRIM_400000_NS6detail17trampoline_kernelINS0_14default_configENS1_22reduce_config_selectorIiEEZNS1_11reduce_implILb1ES3_PiS7_iN6hipcub16HIPCUB_304000_NS6detail34convert_binary_result_type_wrapperINS9_3SumENS9_22TransformInputIteratorIbN2at6native12_GLOBAL__N_19NonZeroOpIbEEPKblEEiEEEE10hipError_tPvRmT1_T2_T3_mT4_P12ihipStream_tbEUlT_E1_NS1_11comp_targetILNS1_3genE3ELNS1_11target_archE908ELNS1_3gpuE7ELNS1_3repE0EEENS1_30default_config_static_selectorELNS0_4arch9wavefront6targetE0EEEvSQ_.uses_vcc, 0
	.set _ZN7rocprim17ROCPRIM_400000_NS6detail17trampoline_kernelINS0_14default_configENS1_22reduce_config_selectorIiEEZNS1_11reduce_implILb1ES3_PiS7_iN6hipcub16HIPCUB_304000_NS6detail34convert_binary_result_type_wrapperINS9_3SumENS9_22TransformInputIteratorIbN2at6native12_GLOBAL__N_19NonZeroOpIbEEPKblEEiEEEE10hipError_tPvRmT1_T2_T3_mT4_P12ihipStream_tbEUlT_E1_NS1_11comp_targetILNS1_3genE3ELNS1_11target_archE908ELNS1_3gpuE7ELNS1_3repE0EEENS1_30default_config_static_selectorELNS0_4arch9wavefront6targetE0EEEvSQ_.uses_flat_scratch, 0
	.set _ZN7rocprim17ROCPRIM_400000_NS6detail17trampoline_kernelINS0_14default_configENS1_22reduce_config_selectorIiEEZNS1_11reduce_implILb1ES3_PiS7_iN6hipcub16HIPCUB_304000_NS6detail34convert_binary_result_type_wrapperINS9_3SumENS9_22TransformInputIteratorIbN2at6native12_GLOBAL__N_19NonZeroOpIbEEPKblEEiEEEE10hipError_tPvRmT1_T2_T3_mT4_P12ihipStream_tbEUlT_E1_NS1_11comp_targetILNS1_3genE3ELNS1_11target_archE908ELNS1_3gpuE7ELNS1_3repE0EEENS1_30default_config_static_selectorELNS0_4arch9wavefront6targetE0EEEvSQ_.has_dyn_sized_stack, 0
	.set _ZN7rocprim17ROCPRIM_400000_NS6detail17trampoline_kernelINS0_14default_configENS1_22reduce_config_selectorIiEEZNS1_11reduce_implILb1ES3_PiS7_iN6hipcub16HIPCUB_304000_NS6detail34convert_binary_result_type_wrapperINS9_3SumENS9_22TransformInputIteratorIbN2at6native12_GLOBAL__N_19NonZeroOpIbEEPKblEEiEEEE10hipError_tPvRmT1_T2_T3_mT4_P12ihipStream_tbEUlT_E1_NS1_11comp_targetILNS1_3genE3ELNS1_11target_archE908ELNS1_3gpuE7ELNS1_3repE0EEENS1_30default_config_static_selectorELNS0_4arch9wavefront6targetE0EEEvSQ_.has_recursion, 0
	.set _ZN7rocprim17ROCPRIM_400000_NS6detail17trampoline_kernelINS0_14default_configENS1_22reduce_config_selectorIiEEZNS1_11reduce_implILb1ES3_PiS7_iN6hipcub16HIPCUB_304000_NS6detail34convert_binary_result_type_wrapperINS9_3SumENS9_22TransformInputIteratorIbN2at6native12_GLOBAL__N_19NonZeroOpIbEEPKblEEiEEEE10hipError_tPvRmT1_T2_T3_mT4_P12ihipStream_tbEUlT_E1_NS1_11comp_targetILNS1_3genE3ELNS1_11target_archE908ELNS1_3gpuE7ELNS1_3repE0EEENS1_30default_config_static_selectorELNS0_4arch9wavefront6targetE0EEEvSQ_.has_indirect_call, 0
	.section	.AMDGPU.csdata,"",@progbits
; Kernel info:
; codeLenInByte = 0
; TotalNumSgprs: 0
; NumVgprs: 0
; ScratchSize: 0
; MemoryBound: 0
; FloatMode: 240
; IeeeMode: 1
; LDSByteSize: 0 bytes/workgroup (compile time only)
; SGPRBlocks: 0
; VGPRBlocks: 0
; NumSGPRsForWavesPerEU: 1
; NumVGPRsForWavesPerEU: 1
; Occupancy: 16
; WaveLimiterHint : 0
; COMPUTE_PGM_RSRC2:SCRATCH_EN: 0
; COMPUTE_PGM_RSRC2:USER_SGPR: 2
; COMPUTE_PGM_RSRC2:TRAP_HANDLER: 0
; COMPUTE_PGM_RSRC2:TGID_X_EN: 1
; COMPUTE_PGM_RSRC2:TGID_Y_EN: 0
; COMPUTE_PGM_RSRC2:TGID_Z_EN: 0
; COMPUTE_PGM_RSRC2:TIDIG_COMP_CNT: 0
	.section	.text._ZN7rocprim17ROCPRIM_400000_NS6detail17trampoline_kernelINS0_14default_configENS1_22reduce_config_selectorIiEEZNS1_11reduce_implILb1ES3_PiS7_iN6hipcub16HIPCUB_304000_NS6detail34convert_binary_result_type_wrapperINS9_3SumENS9_22TransformInputIteratorIbN2at6native12_GLOBAL__N_19NonZeroOpIbEEPKblEEiEEEE10hipError_tPvRmT1_T2_T3_mT4_P12ihipStream_tbEUlT_E1_NS1_11comp_targetILNS1_3genE2ELNS1_11target_archE906ELNS1_3gpuE6ELNS1_3repE0EEENS1_30default_config_static_selectorELNS0_4arch9wavefront6targetE0EEEvSQ_,"axG",@progbits,_ZN7rocprim17ROCPRIM_400000_NS6detail17trampoline_kernelINS0_14default_configENS1_22reduce_config_selectorIiEEZNS1_11reduce_implILb1ES3_PiS7_iN6hipcub16HIPCUB_304000_NS6detail34convert_binary_result_type_wrapperINS9_3SumENS9_22TransformInputIteratorIbN2at6native12_GLOBAL__N_19NonZeroOpIbEEPKblEEiEEEE10hipError_tPvRmT1_T2_T3_mT4_P12ihipStream_tbEUlT_E1_NS1_11comp_targetILNS1_3genE2ELNS1_11target_archE906ELNS1_3gpuE6ELNS1_3repE0EEENS1_30default_config_static_selectorELNS0_4arch9wavefront6targetE0EEEvSQ_,comdat
	.globl	_ZN7rocprim17ROCPRIM_400000_NS6detail17trampoline_kernelINS0_14default_configENS1_22reduce_config_selectorIiEEZNS1_11reduce_implILb1ES3_PiS7_iN6hipcub16HIPCUB_304000_NS6detail34convert_binary_result_type_wrapperINS9_3SumENS9_22TransformInputIteratorIbN2at6native12_GLOBAL__N_19NonZeroOpIbEEPKblEEiEEEE10hipError_tPvRmT1_T2_T3_mT4_P12ihipStream_tbEUlT_E1_NS1_11comp_targetILNS1_3genE2ELNS1_11target_archE906ELNS1_3gpuE6ELNS1_3repE0EEENS1_30default_config_static_selectorELNS0_4arch9wavefront6targetE0EEEvSQ_ ; -- Begin function _ZN7rocprim17ROCPRIM_400000_NS6detail17trampoline_kernelINS0_14default_configENS1_22reduce_config_selectorIiEEZNS1_11reduce_implILb1ES3_PiS7_iN6hipcub16HIPCUB_304000_NS6detail34convert_binary_result_type_wrapperINS9_3SumENS9_22TransformInputIteratorIbN2at6native12_GLOBAL__N_19NonZeroOpIbEEPKblEEiEEEE10hipError_tPvRmT1_T2_T3_mT4_P12ihipStream_tbEUlT_E1_NS1_11comp_targetILNS1_3genE2ELNS1_11target_archE906ELNS1_3gpuE6ELNS1_3repE0EEENS1_30default_config_static_selectorELNS0_4arch9wavefront6targetE0EEEvSQ_
	.p2align	8
	.type	_ZN7rocprim17ROCPRIM_400000_NS6detail17trampoline_kernelINS0_14default_configENS1_22reduce_config_selectorIiEEZNS1_11reduce_implILb1ES3_PiS7_iN6hipcub16HIPCUB_304000_NS6detail34convert_binary_result_type_wrapperINS9_3SumENS9_22TransformInputIteratorIbN2at6native12_GLOBAL__N_19NonZeroOpIbEEPKblEEiEEEE10hipError_tPvRmT1_T2_T3_mT4_P12ihipStream_tbEUlT_E1_NS1_11comp_targetILNS1_3genE2ELNS1_11target_archE906ELNS1_3gpuE6ELNS1_3repE0EEENS1_30default_config_static_selectorELNS0_4arch9wavefront6targetE0EEEvSQ_,@function
_ZN7rocprim17ROCPRIM_400000_NS6detail17trampoline_kernelINS0_14default_configENS1_22reduce_config_selectorIiEEZNS1_11reduce_implILb1ES3_PiS7_iN6hipcub16HIPCUB_304000_NS6detail34convert_binary_result_type_wrapperINS9_3SumENS9_22TransformInputIteratorIbN2at6native12_GLOBAL__N_19NonZeroOpIbEEPKblEEiEEEE10hipError_tPvRmT1_T2_T3_mT4_P12ihipStream_tbEUlT_E1_NS1_11comp_targetILNS1_3genE2ELNS1_11target_archE906ELNS1_3gpuE6ELNS1_3repE0EEENS1_30default_config_static_selectorELNS0_4arch9wavefront6targetE0EEEvSQ_: ; @_ZN7rocprim17ROCPRIM_400000_NS6detail17trampoline_kernelINS0_14default_configENS1_22reduce_config_selectorIiEEZNS1_11reduce_implILb1ES3_PiS7_iN6hipcub16HIPCUB_304000_NS6detail34convert_binary_result_type_wrapperINS9_3SumENS9_22TransformInputIteratorIbN2at6native12_GLOBAL__N_19NonZeroOpIbEEPKblEEiEEEE10hipError_tPvRmT1_T2_T3_mT4_P12ihipStream_tbEUlT_E1_NS1_11comp_targetILNS1_3genE2ELNS1_11target_archE906ELNS1_3gpuE6ELNS1_3repE0EEENS1_30default_config_static_selectorELNS0_4arch9wavefront6targetE0EEEvSQ_
; %bb.0:
	.section	.rodata,"a",@progbits
	.p2align	6, 0x0
	.amdhsa_kernel _ZN7rocprim17ROCPRIM_400000_NS6detail17trampoline_kernelINS0_14default_configENS1_22reduce_config_selectorIiEEZNS1_11reduce_implILb1ES3_PiS7_iN6hipcub16HIPCUB_304000_NS6detail34convert_binary_result_type_wrapperINS9_3SumENS9_22TransformInputIteratorIbN2at6native12_GLOBAL__N_19NonZeroOpIbEEPKblEEiEEEE10hipError_tPvRmT1_T2_T3_mT4_P12ihipStream_tbEUlT_E1_NS1_11comp_targetILNS1_3genE2ELNS1_11target_archE906ELNS1_3gpuE6ELNS1_3repE0EEENS1_30default_config_static_selectorELNS0_4arch9wavefront6targetE0EEEvSQ_
		.amdhsa_group_segment_fixed_size 0
		.amdhsa_private_segment_fixed_size 0
		.amdhsa_kernarg_size 40
		.amdhsa_user_sgpr_count 2
		.amdhsa_user_sgpr_dispatch_ptr 0
		.amdhsa_user_sgpr_queue_ptr 0
		.amdhsa_user_sgpr_kernarg_segment_ptr 1
		.amdhsa_user_sgpr_dispatch_id 0
		.amdhsa_user_sgpr_private_segment_size 0
		.amdhsa_wavefront_size32 1
		.amdhsa_uses_dynamic_stack 0
		.amdhsa_enable_private_segment 0
		.amdhsa_system_sgpr_workgroup_id_x 1
		.amdhsa_system_sgpr_workgroup_id_y 0
		.amdhsa_system_sgpr_workgroup_id_z 0
		.amdhsa_system_sgpr_workgroup_info 0
		.amdhsa_system_vgpr_workitem_id 0
		.amdhsa_next_free_vgpr 1
		.amdhsa_next_free_sgpr 1
		.amdhsa_reserve_vcc 0
		.amdhsa_float_round_mode_32 0
		.amdhsa_float_round_mode_16_64 0
		.amdhsa_float_denorm_mode_32 3
		.amdhsa_float_denorm_mode_16_64 3
		.amdhsa_fp16_overflow 0
		.amdhsa_workgroup_processor_mode 1
		.amdhsa_memory_ordered 1
		.amdhsa_forward_progress 1
		.amdhsa_inst_pref_size 0
		.amdhsa_round_robin_scheduling 0
		.amdhsa_exception_fp_ieee_invalid_op 0
		.amdhsa_exception_fp_denorm_src 0
		.amdhsa_exception_fp_ieee_div_zero 0
		.amdhsa_exception_fp_ieee_overflow 0
		.amdhsa_exception_fp_ieee_underflow 0
		.amdhsa_exception_fp_ieee_inexact 0
		.amdhsa_exception_int_div_zero 0
	.end_amdhsa_kernel
	.section	.text._ZN7rocprim17ROCPRIM_400000_NS6detail17trampoline_kernelINS0_14default_configENS1_22reduce_config_selectorIiEEZNS1_11reduce_implILb1ES3_PiS7_iN6hipcub16HIPCUB_304000_NS6detail34convert_binary_result_type_wrapperINS9_3SumENS9_22TransformInputIteratorIbN2at6native12_GLOBAL__N_19NonZeroOpIbEEPKblEEiEEEE10hipError_tPvRmT1_T2_T3_mT4_P12ihipStream_tbEUlT_E1_NS1_11comp_targetILNS1_3genE2ELNS1_11target_archE906ELNS1_3gpuE6ELNS1_3repE0EEENS1_30default_config_static_selectorELNS0_4arch9wavefront6targetE0EEEvSQ_,"axG",@progbits,_ZN7rocprim17ROCPRIM_400000_NS6detail17trampoline_kernelINS0_14default_configENS1_22reduce_config_selectorIiEEZNS1_11reduce_implILb1ES3_PiS7_iN6hipcub16HIPCUB_304000_NS6detail34convert_binary_result_type_wrapperINS9_3SumENS9_22TransformInputIteratorIbN2at6native12_GLOBAL__N_19NonZeroOpIbEEPKblEEiEEEE10hipError_tPvRmT1_T2_T3_mT4_P12ihipStream_tbEUlT_E1_NS1_11comp_targetILNS1_3genE2ELNS1_11target_archE906ELNS1_3gpuE6ELNS1_3repE0EEENS1_30default_config_static_selectorELNS0_4arch9wavefront6targetE0EEEvSQ_,comdat
.Lfunc_end707:
	.size	_ZN7rocprim17ROCPRIM_400000_NS6detail17trampoline_kernelINS0_14default_configENS1_22reduce_config_selectorIiEEZNS1_11reduce_implILb1ES3_PiS7_iN6hipcub16HIPCUB_304000_NS6detail34convert_binary_result_type_wrapperINS9_3SumENS9_22TransformInputIteratorIbN2at6native12_GLOBAL__N_19NonZeroOpIbEEPKblEEiEEEE10hipError_tPvRmT1_T2_T3_mT4_P12ihipStream_tbEUlT_E1_NS1_11comp_targetILNS1_3genE2ELNS1_11target_archE906ELNS1_3gpuE6ELNS1_3repE0EEENS1_30default_config_static_selectorELNS0_4arch9wavefront6targetE0EEEvSQ_, .Lfunc_end707-_ZN7rocprim17ROCPRIM_400000_NS6detail17trampoline_kernelINS0_14default_configENS1_22reduce_config_selectorIiEEZNS1_11reduce_implILb1ES3_PiS7_iN6hipcub16HIPCUB_304000_NS6detail34convert_binary_result_type_wrapperINS9_3SumENS9_22TransformInputIteratorIbN2at6native12_GLOBAL__N_19NonZeroOpIbEEPKblEEiEEEE10hipError_tPvRmT1_T2_T3_mT4_P12ihipStream_tbEUlT_E1_NS1_11comp_targetILNS1_3genE2ELNS1_11target_archE906ELNS1_3gpuE6ELNS1_3repE0EEENS1_30default_config_static_selectorELNS0_4arch9wavefront6targetE0EEEvSQ_
                                        ; -- End function
	.set _ZN7rocprim17ROCPRIM_400000_NS6detail17trampoline_kernelINS0_14default_configENS1_22reduce_config_selectorIiEEZNS1_11reduce_implILb1ES3_PiS7_iN6hipcub16HIPCUB_304000_NS6detail34convert_binary_result_type_wrapperINS9_3SumENS9_22TransformInputIteratorIbN2at6native12_GLOBAL__N_19NonZeroOpIbEEPKblEEiEEEE10hipError_tPvRmT1_T2_T3_mT4_P12ihipStream_tbEUlT_E1_NS1_11comp_targetILNS1_3genE2ELNS1_11target_archE906ELNS1_3gpuE6ELNS1_3repE0EEENS1_30default_config_static_selectorELNS0_4arch9wavefront6targetE0EEEvSQ_.num_vgpr, 0
	.set _ZN7rocprim17ROCPRIM_400000_NS6detail17trampoline_kernelINS0_14default_configENS1_22reduce_config_selectorIiEEZNS1_11reduce_implILb1ES3_PiS7_iN6hipcub16HIPCUB_304000_NS6detail34convert_binary_result_type_wrapperINS9_3SumENS9_22TransformInputIteratorIbN2at6native12_GLOBAL__N_19NonZeroOpIbEEPKblEEiEEEE10hipError_tPvRmT1_T2_T3_mT4_P12ihipStream_tbEUlT_E1_NS1_11comp_targetILNS1_3genE2ELNS1_11target_archE906ELNS1_3gpuE6ELNS1_3repE0EEENS1_30default_config_static_selectorELNS0_4arch9wavefront6targetE0EEEvSQ_.num_agpr, 0
	.set _ZN7rocprim17ROCPRIM_400000_NS6detail17trampoline_kernelINS0_14default_configENS1_22reduce_config_selectorIiEEZNS1_11reduce_implILb1ES3_PiS7_iN6hipcub16HIPCUB_304000_NS6detail34convert_binary_result_type_wrapperINS9_3SumENS9_22TransformInputIteratorIbN2at6native12_GLOBAL__N_19NonZeroOpIbEEPKblEEiEEEE10hipError_tPvRmT1_T2_T3_mT4_P12ihipStream_tbEUlT_E1_NS1_11comp_targetILNS1_3genE2ELNS1_11target_archE906ELNS1_3gpuE6ELNS1_3repE0EEENS1_30default_config_static_selectorELNS0_4arch9wavefront6targetE0EEEvSQ_.numbered_sgpr, 0
	.set _ZN7rocprim17ROCPRIM_400000_NS6detail17trampoline_kernelINS0_14default_configENS1_22reduce_config_selectorIiEEZNS1_11reduce_implILb1ES3_PiS7_iN6hipcub16HIPCUB_304000_NS6detail34convert_binary_result_type_wrapperINS9_3SumENS9_22TransformInputIteratorIbN2at6native12_GLOBAL__N_19NonZeroOpIbEEPKblEEiEEEE10hipError_tPvRmT1_T2_T3_mT4_P12ihipStream_tbEUlT_E1_NS1_11comp_targetILNS1_3genE2ELNS1_11target_archE906ELNS1_3gpuE6ELNS1_3repE0EEENS1_30default_config_static_selectorELNS0_4arch9wavefront6targetE0EEEvSQ_.num_named_barrier, 0
	.set _ZN7rocprim17ROCPRIM_400000_NS6detail17trampoline_kernelINS0_14default_configENS1_22reduce_config_selectorIiEEZNS1_11reduce_implILb1ES3_PiS7_iN6hipcub16HIPCUB_304000_NS6detail34convert_binary_result_type_wrapperINS9_3SumENS9_22TransformInputIteratorIbN2at6native12_GLOBAL__N_19NonZeroOpIbEEPKblEEiEEEE10hipError_tPvRmT1_T2_T3_mT4_P12ihipStream_tbEUlT_E1_NS1_11comp_targetILNS1_3genE2ELNS1_11target_archE906ELNS1_3gpuE6ELNS1_3repE0EEENS1_30default_config_static_selectorELNS0_4arch9wavefront6targetE0EEEvSQ_.private_seg_size, 0
	.set _ZN7rocprim17ROCPRIM_400000_NS6detail17trampoline_kernelINS0_14default_configENS1_22reduce_config_selectorIiEEZNS1_11reduce_implILb1ES3_PiS7_iN6hipcub16HIPCUB_304000_NS6detail34convert_binary_result_type_wrapperINS9_3SumENS9_22TransformInputIteratorIbN2at6native12_GLOBAL__N_19NonZeroOpIbEEPKblEEiEEEE10hipError_tPvRmT1_T2_T3_mT4_P12ihipStream_tbEUlT_E1_NS1_11comp_targetILNS1_3genE2ELNS1_11target_archE906ELNS1_3gpuE6ELNS1_3repE0EEENS1_30default_config_static_selectorELNS0_4arch9wavefront6targetE0EEEvSQ_.uses_vcc, 0
	.set _ZN7rocprim17ROCPRIM_400000_NS6detail17trampoline_kernelINS0_14default_configENS1_22reduce_config_selectorIiEEZNS1_11reduce_implILb1ES3_PiS7_iN6hipcub16HIPCUB_304000_NS6detail34convert_binary_result_type_wrapperINS9_3SumENS9_22TransformInputIteratorIbN2at6native12_GLOBAL__N_19NonZeroOpIbEEPKblEEiEEEE10hipError_tPvRmT1_T2_T3_mT4_P12ihipStream_tbEUlT_E1_NS1_11comp_targetILNS1_3genE2ELNS1_11target_archE906ELNS1_3gpuE6ELNS1_3repE0EEENS1_30default_config_static_selectorELNS0_4arch9wavefront6targetE0EEEvSQ_.uses_flat_scratch, 0
	.set _ZN7rocprim17ROCPRIM_400000_NS6detail17trampoline_kernelINS0_14default_configENS1_22reduce_config_selectorIiEEZNS1_11reduce_implILb1ES3_PiS7_iN6hipcub16HIPCUB_304000_NS6detail34convert_binary_result_type_wrapperINS9_3SumENS9_22TransformInputIteratorIbN2at6native12_GLOBAL__N_19NonZeroOpIbEEPKblEEiEEEE10hipError_tPvRmT1_T2_T3_mT4_P12ihipStream_tbEUlT_E1_NS1_11comp_targetILNS1_3genE2ELNS1_11target_archE906ELNS1_3gpuE6ELNS1_3repE0EEENS1_30default_config_static_selectorELNS0_4arch9wavefront6targetE0EEEvSQ_.has_dyn_sized_stack, 0
	.set _ZN7rocprim17ROCPRIM_400000_NS6detail17trampoline_kernelINS0_14default_configENS1_22reduce_config_selectorIiEEZNS1_11reduce_implILb1ES3_PiS7_iN6hipcub16HIPCUB_304000_NS6detail34convert_binary_result_type_wrapperINS9_3SumENS9_22TransformInputIteratorIbN2at6native12_GLOBAL__N_19NonZeroOpIbEEPKblEEiEEEE10hipError_tPvRmT1_T2_T3_mT4_P12ihipStream_tbEUlT_E1_NS1_11comp_targetILNS1_3genE2ELNS1_11target_archE906ELNS1_3gpuE6ELNS1_3repE0EEENS1_30default_config_static_selectorELNS0_4arch9wavefront6targetE0EEEvSQ_.has_recursion, 0
	.set _ZN7rocprim17ROCPRIM_400000_NS6detail17trampoline_kernelINS0_14default_configENS1_22reduce_config_selectorIiEEZNS1_11reduce_implILb1ES3_PiS7_iN6hipcub16HIPCUB_304000_NS6detail34convert_binary_result_type_wrapperINS9_3SumENS9_22TransformInputIteratorIbN2at6native12_GLOBAL__N_19NonZeroOpIbEEPKblEEiEEEE10hipError_tPvRmT1_T2_T3_mT4_P12ihipStream_tbEUlT_E1_NS1_11comp_targetILNS1_3genE2ELNS1_11target_archE906ELNS1_3gpuE6ELNS1_3repE0EEENS1_30default_config_static_selectorELNS0_4arch9wavefront6targetE0EEEvSQ_.has_indirect_call, 0
	.section	.AMDGPU.csdata,"",@progbits
; Kernel info:
; codeLenInByte = 0
; TotalNumSgprs: 0
; NumVgprs: 0
; ScratchSize: 0
; MemoryBound: 0
; FloatMode: 240
; IeeeMode: 1
; LDSByteSize: 0 bytes/workgroup (compile time only)
; SGPRBlocks: 0
; VGPRBlocks: 0
; NumSGPRsForWavesPerEU: 1
; NumVGPRsForWavesPerEU: 1
; Occupancy: 16
; WaveLimiterHint : 0
; COMPUTE_PGM_RSRC2:SCRATCH_EN: 0
; COMPUTE_PGM_RSRC2:USER_SGPR: 2
; COMPUTE_PGM_RSRC2:TRAP_HANDLER: 0
; COMPUTE_PGM_RSRC2:TGID_X_EN: 1
; COMPUTE_PGM_RSRC2:TGID_Y_EN: 0
; COMPUTE_PGM_RSRC2:TGID_Z_EN: 0
; COMPUTE_PGM_RSRC2:TIDIG_COMP_CNT: 0
	.section	.text._ZN7rocprim17ROCPRIM_400000_NS6detail17trampoline_kernelINS0_14default_configENS1_22reduce_config_selectorIiEEZNS1_11reduce_implILb1ES3_PiS7_iN6hipcub16HIPCUB_304000_NS6detail34convert_binary_result_type_wrapperINS9_3SumENS9_22TransformInputIteratorIbN2at6native12_GLOBAL__N_19NonZeroOpIbEEPKblEEiEEEE10hipError_tPvRmT1_T2_T3_mT4_P12ihipStream_tbEUlT_E1_NS1_11comp_targetILNS1_3genE10ELNS1_11target_archE1201ELNS1_3gpuE5ELNS1_3repE0EEENS1_30default_config_static_selectorELNS0_4arch9wavefront6targetE0EEEvSQ_,"axG",@progbits,_ZN7rocprim17ROCPRIM_400000_NS6detail17trampoline_kernelINS0_14default_configENS1_22reduce_config_selectorIiEEZNS1_11reduce_implILb1ES3_PiS7_iN6hipcub16HIPCUB_304000_NS6detail34convert_binary_result_type_wrapperINS9_3SumENS9_22TransformInputIteratorIbN2at6native12_GLOBAL__N_19NonZeroOpIbEEPKblEEiEEEE10hipError_tPvRmT1_T2_T3_mT4_P12ihipStream_tbEUlT_E1_NS1_11comp_targetILNS1_3genE10ELNS1_11target_archE1201ELNS1_3gpuE5ELNS1_3repE0EEENS1_30default_config_static_selectorELNS0_4arch9wavefront6targetE0EEEvSQ_,comdat
	.globl	_ZN7rocprim17ROCPRIM_400000_NS6detail17trampoline_kernelINS0_14default_configENS1_22reduce_config_selectorIiEEZNS1_11reduce_implILb1ES3_PiS7_iN6hipcub16HIPCUB_304000_NS6detail34convert_binary_result_type_wrapperINS9_3SumENS9_22TransformInputIteratorIbN2at6native12_GLOBAL__N_19NonZeroOpIbEEPKblEEiEEEE10hipError_tPvRmT1_T2_T3_mT4_P12ihipStream_tbEUlT_E1_NS1_11comp_targetILNS1_3genE10ELNS1_11target_archE1201ELNS1_3gpuE5ELNS1_3repE0EEENS1_30default_config_static_selectorELNS0_4arch9wavefront6targetE0EEEvSQ_ ; -- Begin function _ZN7rocprim17ROCPRIM_400000_NS6detail17trampoline_kernelINS0_14default_configENS1_22reduce_config_selectorIiEEZNS1_11reduce_implILb1ES3_PiS7_iN6hipcub16HIPCUB_304000_NS6detail34convert_binary_result_type_wrapperINS9_3SumENS9_22TransformInputIteratorIbN2at6native12_GLOBAL__N_19NonZeroOpIbEEPKblEEiEEEE10hipError_tPvRmT1_T2_T3_mT4_P12ihipStream_tbEUlT_E1_NS1_11comp_targetILNS1_3genE10ELNS1_11target_archE1201ELNS1_3gpuE5ELNS1_3repE0EEENS1_30default_config_static_selectorELNS0_4arch9wavefront6targetE0EEEvSQ_
	.p2align	8
	.type	_ZN7rocprim17ROCPRIM_400000_NS6detail17trampoline_kernelINS0_14default_configENS1_22reduce_config_selectorIiEEZNS1_11reduce_implILb1ES3_PiS7_iN6hipcub16HIPCUB_304000_NS6detail34convert_binary_result_type_wrapperINS9_3SumENS9_22TransformInputIteratorIbN2at6native12_GLOBAL__N_19NonZeroOpIbEEPKblEEiEEEE10hipError_tPvRmT1_T2_T3_mT4_P12ihipStream_tbEUlT_E1_NS1_11comp_targetILNS1_3genE10ELNS1_11target_archE1201ELNS1_3gpuE5ELNS1_3repE0EEENS1_30default_config_static_selectorELNS0_4arch9wavefront6targetE0EEEvSQ_,@function
_ZN7rocprim17ROCPRIM_400000_NS6detail17trampoline_kernelINS0_14default_configENS1_22reduce_config_selectorIiEEZNS1_11reduce_implILb1ES3_PiS7_iN6hipcub16HIPCUB_304000_NS6detail34convert_binary_result_type_wrapperINS9_3SumENS9_22TransformInputIteratorIbN2at6native12_GLOBAL__N_19NonZeroOpIbEEPKblEEiEEEE10hipError_tPvRmT1_T2_T3_mT4_P12ihipStream_tbEUlT_E1_NS1_11comp_targetILNS1_3genE10ELNS1_11target_archE1201ELNS1_3gpuE5ELNS1_3repE0EEENS1_30default_config_static_selectorELNS0_4arch9wavefront6targetE0EEEvSQ_: ; @_ZN7rocprim17ROCPRIM_400000_NS6detail17trampoline_kernelINS0_14default_configENS1_22reduce_config_selectorIiEEZNS1_11reduce_implILb1ES3_PiS7_iN6hipcub16HIPCUB_304000_NS6detail34convert_binary_result_type_wrapperINS9_3SumENS9_22TransformInputIteratorIbN2at6native12_GLOBAL__N_19NonZeroOpIbEEPKblEEiEEEE10hipError_tPvRmT1_T2_T3_mT4_P12ihipStream_tbEUlT_E1_NS1_11comp_targetILNS1_3genE10ELNS1_11target_archE1201ELNS1_3gpuE5ELNS1_3repE0EEENS1_30default_config_static_selectorELNS0_4arch9wavefront6targetE0EEEvSQ_
; %bb.0:
	s_clause 0x1
	s_load_b32 s33, s[0:1], 0x4
	s_load_b128 s[36:39], s[0:1], 0x8
	s_mov_b32 s34, ttmp9
	s_wait_kmcnt 0x0
	s_cmp_lt_i32 s33, 8
	s_cbranch_scc1 .LBB708_11
; %bb.1:
	s_cmp_gt_i32 s33, 15
	s_cbranch_scc0 .LBB708_12
; %bb.2:
	s_cmp_gt_i32 s33, 31
	s_cbranch_scc0 .LBB708_13
; %bb.3:
	s_cmp_eq_u32 s33, 32
	s_mov_b32 s42, 0
	s_cbranch_scc0 .LBB708_14
; %bb.4:
	s_mov_b32 s35, 0
	s_lshl_b32 s2, s34, 13
	s_mov_b32 s3, s35
	s_lshr_b64 s[4:5], s[38:39], 13
	s_lshl_b64 s[6:7], s[2:3], 2
	s_cmp_lg_u64 s[4:5], s[34:35]
	s_add_nc_u64 s[40:41], s[36:37], s[6:7]
	s_cbranch_scc0 .LBB708_23
; %bb.5:
	v_lshlrev_b32_e32 v1, 2, v0
	s_mov_b32 s3, exec_lo
	s_clause 0x1f
	global_load_b32 v2, v1, s[40:41]
	global_load_b32 v3, v1, s[40:41] offset:1024
	global_load_b32 v4, v1, s[40:41] offset:2048
	;; [unrolled: 1-line block ×31, first 2 shown]
	s_wait_loadcnt 0x1e
	v_add_nc_u32_e32 v2, v3, v2
	s_wait_loadcnt 0x1c
	s_delay_alu instid0(VALU_DEP_1) | instskip(SKIP_1) | instid1(VALU_DEP_1)
	v_add3_u32 v2, v2, v4, v5
	s_wait_loadcnt 0x1a
	v_add3_u32 v2, v2, v6, v7
	s_wait_loadcnt 0x18
	s_delay_alu instid0(VALU_DEP_1) | instskip(SKIP_1) | instid1(VALU_DEP_1)
	v_add3_u32 v2, v2, v8, v9
	s_wait_loadcnt 0x16
	v_add3_u32 v2, v2, v10, v11
	;; [unrolled: 5-line block ×7, first 2 shown]
	s_wait_loadcnt 0x0
	s_delay_alu instid0(VALU_DEP_1) | instskip(NEXT) | instid1(VALU_DEP_1)
	v_add3_u32 v1, v2, v32, v1
	v_mov_b32_dpp v2, v1 quad_perm:[1,0,3,2] row_mask:0xf bank_mask:0xf
	s_delay_alu instid0(VALU_DEP_1) | instskip(NEXT) | instid1(VALU_DEP_1)
	v_add_nc_u32_e32 v1, v2, v1
	v_mov_b32_dpp v2, v1 quad_perm:[2,3,0,1] row_mask:0xf bank_mask:0xf
	s_delay_alu instid0(VALU_DEP_1) | instskip(NEXT) | instid1(VALU_DEP_1)
	v_add_nc_u32_e32 v1, v1, v2
	v_mov_b32_dpp v2, v1 row_ror:4 row_mask:0xf bank_mask:0xf
	s_delay_alu instid0(VALU_DEP_1) | instskip(NEXT) | instid1(VALU_DEP_1)
	v_add_nc_u32_e32 v1, v1, v2
	v_mov_b32_dpp v2, v1 row_ror:8 row_mask:0xf bank_mask:0xf
	s_delay_alu instid0(VALU_DEP_1)
	v_add_nc_u32_e32 v1, v1, v2
	ds_swizzle_b32 v2, v1 offset:swizzle(BROADCAST,32,15)
	s_wait_dscnt 0x0
	v_dual_mov_b32 v2, 0 :: v_dual_add_nc_u32 v1, v1, v2
	ds_bpermute_b32 v1, v2, v1 offset:124
	v_mbcnt_lo_u32_b32 v2, -1, 0
	s_delay_alu instid0(VALU_DEP_1)
	v_cmpx_eq_u32_e32 0, v2
	s_cbranch_execz .LBB708_7
; %bb.6:
	v_lshrrev_b32_e32 v3, 3, v0
	s_delay_alu instid0(VALU_DEP_1)
	v_and_b32_e32 v3, 28, v3
	s_wait_dscnt 0x0
	ds_store_b32 v3, v1 offset:96
.LBB708_7:
	s_or_b32 exec_lo, exec_lo, s3
	s_delay_alu instid0(SALU_CYCLE_1)
	s_mov_b32 s3, exec_lo
	s_wait_dscnt 0x0
	s_barrier_signal -1
	s_barrier_wait -1
	global_inv scope:SCOPE_SE
	v_cmpx_gt_u32_e32 32, v0
	s_cbranch_execz .LBB708_9
; %bb.8:
	v_lshl_or_b32 v1, v2, 2, 0x60
	v_and_b32_e32 v3, 7, v2
	ds_load_b32 v1, v1
	v_cmp_ne_u32_e32 vcc_lo, 7, v3
	v_add_co_ci_u32_e64 v4, null, 0, v2, vcc_lo
	v_cmp_gt_u32_e32 vcc_lo, 6, v3
	s_delay_alu instid0(VALU_DEP_2) | instskip(SKIP_2) | instid1(VALU_DEP_1)
	v_lshlrev_b32_e32 v4, 2, v4
	s_wait_alu 0xfffd
	v_cndmask_b32_e64 v3, 0, 2, vcc_lo
	v_add_lshl_u32 v3, v3, v2, 2
	v_lshlrev_b32_e32 v2, 2, v2
	s_wait_dscnt 0x0
	ds_bpermute_b32 v4, v4, v1
	v_or_b32_e32 v2, 16, v2
	s_wait_dscnt 0x0
	v_add_nc_u32_e32 v1, v4, v1
	ds_bpermute_b32 v3, v3, v1
	s_wait_dscnt 0x0
	v_add_nc_u32_e32 v1, v3, v1
	ds_bpermute_b32 v2, v2, v1
	s_wait_dscnt 0x0
	v_add_nc_u32_e32 v1, v2, v1
.LBB708_9:
	s_or_b32 exec_lo, exec_lo, s3
.LBB708_10:
	v_cmp_eq_u32_e64 s2, 0, v0
	s_and_b32 vcc_lo, exec_lo, s42
	s_wait_alu 0xfffe
	s_cbranch_vccnz .LBB708_15
	s_branch .LBB708_93
.LBB708_11:
	s_mov_b32 s2, 0
                                        ; implicit-def: $vgpr1
	s_cbranch_execnz .LBB708_166
	s_branch .LBB708_224
.LBB708_12:
	s_mov_b32 s2, 0
                                        ; implicit-def: $vgpr1
	s_cbranch_execnz .LBB708_134
	s_branch .LBB708_142
.LBB708_13:
	s_mov_b32 s42, -1
.LBB708_14:
	s_mov_b32 s2, 0
                                        ; implicit-def: $vgpr1
	s_and_b32 vcc_lo, exec_lo, s42
	s_cbranch_vccz .LBB708_93
.LBB708_15:
	s_cmp_eq_u32 s33, 16
	s_cbranch_scc0 .LBB708_22
; %bb.16:
	s_mov_b32 s35, 0
	s_lshl_b32 s2, s34, 12
	s_mov_b32 s3, s35
	s_lshr_b64 s[4:5], s[38:39], 12
	s_wait_alu 0xfffe
	s_lshl_b64 s[6:7], s[2:3], 2
	s_cmp_lg_u64 s[4:5], s[34:35]
	s_wait_alu 0xfffe
	s_add_nc_u64 s[16:17], s[36:37], s[6:7]
	s_cbranch_scc0 .LBB708_94
; %bb.17:
	v_lshlrev_b32_e32 v1, 2, v0
	s_mov_b32 s3, exec_lo
	s_clause 0xf
	global_load_b32 v2, v1, s[16:17]
	global_load_b32 v3, v1, s[16:17] offset:1024
	global_load_b32 v4, v1, s[16:17] offset:2048
	;; [unrolled: 1-line block ×15, first 2 shown]
	s_wait_loadcnt 0xe
	v_add_nc_u32_e32 v2, v3, v2
	s_wait_loadcnt 0xc
	s_delay_alu instid0(VALU_DEP_1) | instskip(SKIP_1) | instid1(VALU_DEP_1)
	v_add3_u32 v2, v2, v4, v5
	s_wait_loadcnt 0xa
	v_add3_u32 v2, v2, v6, v7
	s_wait_loadcnt 0x8
	s_delay_alu instid0(VALU_DEP_1) | instskip(SKIP_1) | instid1(VALU_DEP_1)
	v_add3_u32 v2, v2, v8, v9
	s_wait_loadcnt 0x6
	v_add3_u32 v2, v2, v10, v11
	;; [unrolled: 5-line block ×3, first 2 shown]
	s_wait_loadcnt 0x0
	s_delay_alu instid0(VALU_DEP_1) | instskip(NEXT) | instid1(VALU_DEP_1)
	v_add3_u32 v1, v2, v16, v1
	v_mov_b32_dpp v2, v1 quad_perm:[1,0,3,2] row_mask:0xf bank_mask:0xf
	s_delay_alu instid0(VALU_DEP_1) | instskip(NEXT) | instid1(VALU_DEP_1)
	v_add_nc_u32_e32 v1, v2, v1
	v_mov_b32_dpp v2, v1 quad_perm:[2,3,0,1] row_mask:0xf bank_mask:0xf
	s_delay_alu instid0(VALU_DEP_1) | instskip(NEXT) | instid1(VALU_DEP_1)
	v_add_nc_u32_e32 v1, v1, v2
	v_mov_b32_dpp v2, v1 row_ror:4 row_mask:0xf bank_mask:0xf
	s_delay_alu instid0(VALU_DEP_1) | instskip(NEXT) | instid1(VALU_DEP_1)
	v_add_nc_u32_e32 v1, v1, v2
	v_mov_b32_dpp v2, v1 row_ror:8 row_mask:0xf bank_mask:0xf
	s_delay_alu instid0(VALU_DEP_1)
	v_add_nc_u32_e32 v1, v1, v2
	ds_swizzle_b32 v2, v1 offset:swizzle(BROADCAST,32,15)
	s_wait_dscnt 0x0
	v_dual_mov_b32 v2, 0 :: v_dual_add_nc_u32 v1, v1, v2
	ds_bpermute_b32 v1, v2, v1 offset:124
	v_mbcnt_lo_u32_b32 v2, -1, 0
	s_delay_alu instid0(VALU_DEP_1)
	v_cmpx_eq_u32_e32 0, v2
	s_cbranch_execz .LBB708_19
; %bb.18:
	v_lshrrev_b32_e32 v3, 3, v0
	s_delay_alu instid0(VALU_DEP_1)
	v_and_b32_e32 v3, 28, v3
	s_wait_dscnt 0x0
	ds_store_b32 v3, v1
.LBB708_19:
	s_wait_alu 0xfffe
	s_or_b32 exec_lo, exec_lo, s3
	s_delay_alu instid0(SALU_CYCLE_1)
	s_mov_b32 s3, exec_lo
	s_wait_dscnt 0x0
	s_barrier_signal -1
	s_barrier_wait -1
	global_inv scope:SCOPE_SE
	v_cmpx_gt_u32_e32 32, v0
	s_cbranch_execz .LBB708_21
; %bb.20:
	v_and_b32_e32 v1, 7, v2
	s_delay_alu instid0(VALU_DEP_1)
	v_lshlrev_b32_e32 v3, 2, v1
	v_cmp_ne_u32_e32 vcc_lo, 7, v1
	ds_load_b32 v3, v3
	s_wait_alu 0xfffd
	v_add_co_ci_u32_e64 v4, null, 0, v2, vcc_lo
	v_cmp_gt_u32_e32 vcc_lo, 6, v1
	s_delay_alu instid0(VALU_DEP_2) | instskip(SKIP_2) | instid1(VALU_DEP_1)
	v_lshlrev_b32_e32 v4, 2, v4
	s_wait_alu 0xfffd
	v_cndmask_b32_e64 v1, 0, 2, vcc_lo
	v_add_lshl_u32 v1, v1, v2, 2
	v_lshlrev_b32_e32 v2, 2, v2
	s_delay_alu instid0(VALU_DEP_1)
	v_or_b32_e32 v2, 16, v2
	s_wait_dscnt 0x0
	ds_bpermute_b32 v4, v4, v3
	s_wait_dscnt 0x0
	v_add_nc_u32_e32 v3, v4, v3
	ds_bpermute_b32 v1, v1, v3
	s_wait_dscnt 0x0
	v_add_nc_u32_e32 v1, v1, v3
	;; [unrolled: 3-line block ×3, first 2 shown]
.LBB708_21:
	s_wait_alu 0xfffe
	s_or_b32 exec_lo, exec_lo, s3
	s_mov_b32 s3, 0
	s_branch .LBB708_95
.LBB708_22:
                                        ; implicit-def: $vgpr1
	s_branch .LBB708_142
.LBB708_23:
                                        ; implicit-def: $vgpr1
	s_cbranch_execz .LBB708_10
; %bb.24:
	v_mov_b32_e32 v1, 0
	s_sub_co_i32 s43, s38, s2
	s_delay_alu instid0(SALU_CYCLE_1) | instskip(NEXT) | instid1(VALU_DEP_2)
	v_cmp_gt_u32_e32 vcc_lo, s43, v0
	v_dual_mov_b32 v2, v1 :: v_dual_mov_b32 v3, v1
	v_dual_mov_b32 v4, v1 :: v_dual_mov_b32 v5, v1
	;; [unrolled: 1-line block ×15, first 2 shown]
	v_mov_b32_e32 v32, v1
	s_and_saveexec_b32 s2, vcc_lo
	s_cbranch_execz .LBB708_26
; %bb.25:
	v_dual_mov_b32 v3, v1 :: v_dual_lshlrev_b32 v2, 2, v0
	v_dual_mov_b32 v32, v1 :: v_dual_mov_b32 v33, v1
	v_dual_mov_b32 v4, v1 :: v_dual_mov_b32 v5, v1
	global_load_b32 v2, v2, s[40:41]
	v_dual_mov_b32 v6, v1 :: v_dual_mov_b32 v7, v1
	v_dual_mov_b32 v8, v1 :: v_dual_mov_b32 v9, v1
	;; [unrolled: 1-line block ×13, first 2 shown]
	s_wait_loadcnt 0x0
	v_mov_b32_e32 v1, v2
	v_mov_b32_e32 v2, v3
	v_mov_b32_e32 v3, v4
	v_mov_b32_e32 v4, v5
	v_mov_b32_e32 v5, v6
	v_mov_b32_e32 v6, v7
	v_mov_b32_e32 v7, v8
	v_mov_b32_e32 v8, v9
	v_mov_b32_e32 v9, v10
	v_mov_b32_e32 v10, v11
	v_mov_b32_e32 v11, v12
	v_mov_b32_e32 v12, v13
	v_mov_b32_e32 v13, v14
	v_mov_b32_e32 v14, v15
	v_mov_b32_e32 v15, v16
	v_mov_b32_e32 v16, v17
	v_mov_b32_e32 v17, v18
	v_mov_b32_e32 v18, v19
	v_mov_b32_e32 v19, v20
	v_mov_b32_e32 v20, v21
	v_mov_b32_e32 v21, v22
	v_mov_b32_e32 v22, v23
	v_mov_b32_e32 v23, v24
	v_mov_b32_e32 v24, v25
	v_mov_b32_e32 v25, v26
	v_mov_b32_e32 v26, v27
	v_mov_b32_e32 v27, v28
	v_mov_b32_e32 v28, v29
	v_mov_b32_e32 v29, v30
	v_mov_b32_e32 v30, v31
	v_mov_b32_e32 v31, v32
	v_mov_b32_e32 v32, v33
.LBB708_26:
	s_or_b32 exec_lo, exec_lo, s2
	v_or_b32_e32 v33, 0x100, v0
	s_delay_alu instid0(VALU_DEP_1)
	v_cmp_gt_u32_e32 vcc_lo, s43, v33
	s_and_saveexec_b32 s2, vcc_lo
	s_cbranch_execz .LBB708_28
; %bb.27:
	v_lshlrev_b32_e32 v2, 2, v0
	global_load_b32 v2, v2, s[40:41] offset:1024
.LBB708_28:
	s_or_b32 exec_lo, exec_lo, s2
	v_or_b32_e32 v33, 0x200, v0
	s_delay_alu instid0(VALU_DEP_1)
	v_cmp_gt_u32_e64 s2, s43, v33
	s_and_saveexec_b32 s3, s2
	s_cbranch_execz .LBB708_30
; %bb.29:
	v_lshlrev_b32_e32 v3, 2, v0
	global_load_b32 v3, v3, s[40:41] offset:2048
.LBB708_30:
	s_or_b32 exec_lo, exec_lo, s3
	v_or_b32_e32 v33, 0x300, v0
	s_delay_alu instid0(VALU_DEP_1)
	v_cmp_gt_u32_e64 s3, s43, v33
	s_and_saveexec_b32 s4, s3
	;; [unrolled: 10-line block ×30, first 2 shown]
	s_cbranch_execz .LBB708_88
; %bb.87:
	v_lshlrev_b32_e32 v32, 2, v0
	global_load_b32 v32, v32, s[40:41] offset:31744
.LBB708_88:
	s_or_b32 exec_lo, exec_lo, s44
	s_wait_loadcnt 0x0
	v_cndmask_b32_e32 v2, 0, v2, vcc_lo
	v_cndmask_b32_e64 v3, 0, v3, s2
	v_cndmask_b32_e64 v4, 0, v4, s3
	s_min_u32 s2, s43, 0x100
	s_mov_b32 s3, exec_lo
	v_add_nc_u32_e32 v1, v2, v1
	v_cndmask_b32_e64 v2, 0, v5, s4
	v_cndmask_b32_e64 v5, 0, v6, s5
	;; [unrolled: 1-line block ×3, first 2 shown]
	s_delay_alu instid0(VALU_DEP_4) | instskip(SKIP_3) | instid1(VALU_DEP_4)
	v_add3_u32 v1, v1, v3, v4
	v_cndmask_b32_e64 v3, 0, v7, s6
	v_cndmask_b32_e64 v4, 0, v8, s7
	v_cndmask_b32_e64 v7, 0, v31, s30
	v_add3_u32 v1, v1, v2, v5
	v_cndmask_b32_e64 v2, 0, v9, s8
	v_cndmask_b32_e64 v5, 0, v10, s9
	s_delay_alu instid0(VALU_DEP_3) | instskip(SKIP_2) | instid1(VALU_DEP_3)
	v_add3_u32 v1, v1, v3, v4
	v_cndmask_b32_e64 v3, 0, v11, s10
	v_cndmask_b32_e64 v4, 0, v12, s11
	v_add3_u32 v1, v1, v2, v5
	v_cndmask_b32_e64 v2, 0, v13, s12
	v_cndmask_b32_e64 v5, 0, v14, s13
	s_delay_alu instid0(VALU_DEP_3) | instskip(SKIP_2) | instid1(VALU_DEP_3)
	v_add3_u32 v1, v1, v3, v4
	v_cndmask_b32_e64 v3, 0, v15, s14
	v_cndmask_b32_e64 v4, 0, v16, s15
	;; [unrolled: 7-line block ×5, first 2 shown]
	v_add3_u32 v1, v1, v2, v5
	v_mbcnt_lo_u32_b32 v2, -1, 0
	v_cndmask_b32_e64 v5, 0, v29, s28
	s_delay_alu instid0(VALU_DEP_3) | instskip(NEXT) | instid1(VALU_DEP_3)
	v_add3_u32 v1, v1, v3, v4
	v_cmp_ne_u32_e32 vcc_lo, 31, v2
	v_cndmask_b32_e64 v3, 0, v32, s31
	s_delay_alu instid0(VALU_DEP_3)
	v_add3_u32 v1, v1, v5, v6
	s_wait_alu 0xfffd
	v_add_co_ci_u32_e64 v4, null, 0, v2, vcc_lo
	v_add_nc_u32_e32 v5, 1, v2
	v_cmp_gt_u32_e32 vcc_lo, 30, v2
	v_add3_u32 v1, v1, v7, v3
	s_delay_alu instid0(VALU_DEP_4)
	v_lshlrev_b32_e32 v4, 2, v4
	s_wait_alu 0xfffd
	v_cndmask_b32_e64 v6, 0, 2, vcc_lo
	ds_bpermute_b32 v3, v4, v1
	v_and_b32_e32 v4, 0xe0, v0
	s_wait_alu 0xfffe
	s_delay_alu instid0(VALU_DEP_1) | instskip(NEXT) | instid1(VALU_DEP_1)
	v_sub_nc_u32_e64 v4, s2, v4 clamp
	v_cmp_lt_u32_e32 vcc_lo, v5, v4
	v_add_lshl_u32 v5, v6, v2, 2
	s_wait_dscnt 0x0
	s_wait_alu 0xfffd
	v_cndmask_b32_e32 v3, 0, v3, vcc_lo
	v_cmp_gt_u32_e32 vcc_lo, 28, v2
	s_delay_alu instid0(VALU_DEP_2) | instskip(SKIP_4) | instid1(VALU_DEP_1)
	v_add_nc_u32_e32 v1, v1, v3
	s_wait_alu 0xfffd
	v_cndmask_b32_e64 v6, 0, 4, vcc_lo
	ds_bpermute_b32 v3, v5, v1
	v_add_nc_u32_e32 v5, 2, v2
	v_cmp_lt_u32_e32 vcc_lo, v5, v4
	v_add_lshl_u32 v5, v6, v2, 2
	s_wait_dscnt 0x0
	s_wait_alu 0xfffd
	v_cndmask_b32_e32 v3, 0, v3, vcc_lo
	v_cmp_gt_u32_e32 vcc_lo, 24, v2
	s_delay_alu instid0(VALU_DEP_2) | instskip(SKIP_4) | instid1(VALU_DEP_1)
	v_add_nc_u32_e32 v1, v1, v3
	s_wait_alu 0xfffd
	v_cndmask_b32_e64 v6, 0, 8, vcc_lo
	ds_bpermute_b32 v3, v5, v1
	v_add_nc_u32_e32 v5, 4, v2
	v_cmp_lt_u32_e32 vcc_lo, v5, v4
	v_add_lshl_u32 v5, v6, v2, 2
	s_wait_dscnt 0x0
	s_wait_alu 0xfffd
	v_cndmask_b32_e32 v3, 0, v3, vcc_lo
	s_delay_alu instid0(VALU_DEP_1) | instskip(SKIP_3) | instid1(VALU_DEP_1)
	v_add_nc_u32_e32 v1, v1, v3
	v_lshlrev_b32_e32 v3, 2, v2
	ds_bpermute_b32 v5, v5, v1
	v_add_nc_u32_e32 v6, 8, v2
	v_cmp_lt_u32_e32 vcc_lo, v6, v4
	v_or_b32_e32 v6, 64, v3
	s_wait_dscnt 0x0
	s_wait_alu 0xfffd
	v_cndmask_b32_e32 v5, 0, v5, vcc_lo
	s_delay_alu instid0(VALU_DEP_1) | instskip(SKIP_2) | instid1(VALU_DEP_1)
	v_add_nc_u32_e32 v1, v1, v5
	ds_bpermute_b32 v5, v6, v1
	v_add_nc_u32_e32 v6, 16, v2
	v_cmp_lt_u32_e32 vcc_lo, v6, v4
	s_wait_dscnt 0x0
	s_wait_alu 0xfffd
	v_cndmask_b32_e32 v4, 0, v5, vcc_lo
	s_delay_alu instid0(VALU_DEP_1)
	v_add_nc_u32_e32 v1, v1, v4
	v_cmpx_eq_u32_e32 0, v2
; %bb.89:
	v_lshrrev_b32_e32 v4, 3, v0
	s_delay_alu instid0(VALU_DEP_1)
	v_and_b32_e32 v4, 28, v4
	ds_store_b32 v4, v1 offset:192
; %bb.90:
	s_or_b32 exec_lo, exec_lo, s3
	s_delay_alu instid0(SALU_CYCLE_1)
	s_mov_b32 s3, exec_lo
	s_wait_dscnt 0x0
	s_barrier_signal -1
	s_barrier_wait -1
	global_inv scope:SCOPE_SE
	v_cmpx_gt_u32_e32 8, v0
	s_cbranch_execz .LBB708_92
; %bb.91:
	ds_load_b32 v1, v3 offset:192
	v_and_b32_e32 v4, 7, v2
	s_add_co_i32 s2, s2, 31
	s_wait_alu 0xfffe
	s_lshr_b32 s2, s2, 5
	s_delay_alu instid0(VALU_DEP_1) | instskip(SKIP_4) | instid1(VALU_DEP_2)
	v_cmp_ne_u32_e32 vcc_lo, 7, v4
	v_add_nc_u32_e32 v6, 1, v4
	s_wait_alu 0xfffd
	v_add_co_ci_u32_e64 v5, null, 0, v2, vcc_lo
	v_cmp_gt_u32_e32 vcc_lo, 6, v4
	v_lshlrev_b32_e32 v5, 2, v5
	s_wait_alu 0xfffd
	v_cndmask_b32_e64 v7, 0, 2, vcc_lo
	s_wait_alu 0xfffe
	v_cmp_gt_u32_e32 vcc_lo, s2, v6
	s_wait_dscnt 0x0
	ds_bpermute_b32 v5, v5, v1
	v_add_lshl_u32 v2, v7, v2, 2
	s_wait_dscnt 0x0
	s_wait_alu 0xfffd
	v_cndmask_b32_e32 v5, 0, v5, vcc_lo
	s_delay_alu instid0(VALU_DEP_1)
	v_add_nc_u32_e32 v1, v5, v1
	v_add_nc_u32_e32 v5, 2, v4
	ds_bpermute_b32 v2, v2, v1
	v_cmp_gt_u32_e32 vcc_lo, s2, v5
	s_wait_dscnt 0x0
	s_wait_alu 0xfffd
	v_cndmask_b32_e32 v2, 0, v2, vcc_lo
	s_delay_alu instid0(VALU_DEP_1)
	v_add_nc_u32_e32 v1, v1, v2
	v_or_b32_e32 v2, 16, v3
	v_add_nc_u32_e32 v3, 4, v4
	ds_bpermute_b32 v2, v2, v1
	v_cmp_gt_u32_e32 vcc_lo, s2, v3
	s_wait_dscnt 0x0
	s_wait_alu 0xfffd
	v_cndmask_b32_e32 v2, 0, v2, vcc_lo
	s_delay_alu instid0(VALU_DEP_1)
	v_add_nc_u32_e32 v1, v1, v2
.LBB708_92:
	s_wait_alu 0xfffe
	s_or_b32 exec_lo, exec_lo, s3
	v_cmp_eq_u32_e64 s2, 0, v0
	s_and_b32 vcc_lo, exec_lo, s42
	s_wait_alu 0xfffe
	s_cbranch_vccnz .LBB708_15
.LBB708_93:
	s_branch .LBB708_142
.LBB708_94:
	s_mov_b32 s3, -1
                                        ; implicit-def: $vgpr1
.LBB708_95:
	s_wait_alu 0xfffe
	s_and_b32 vcc_lo, exec_lo, s3
	s_wait_alu 0xfffe
	s_cbranch_vccz .LBB708_133
; %bb.96:
	v_mov_b32_e32 v1, 0
	s_sub_co_i32 s18, s38, s2
	s_mov_b32 s2, exec_lo
	s_delay_alu instid0(VALU_DEP_1)
	v_dual_mov_b32 v2, v1 :: v_dual_mov_b32 v3, v1
	v_dual_mov_b32 v4, v1 :: v_dual_mov_b32 v5, v1
	v_dual_mov_b32 v6, v1 :: v_dual_mov_b32 v7, v1
	v_dual_mov_b32 v8, v1 :: v_dual_mov_b32 v9, v1
	v_dual_mov_b32 v10, v1 :: v_dual_mov_b32 v11, v1
	v_dual_mov_b32 v12, v1 :: v_dual_mov_b32 v13, v1
	v_dual_mov_b32 v14, v1 :: v_dual_mov_b32 v15, v1
	v_mov_b32_e32 v16, v1
	s_wait_alu 0xfffe
	v_cmpx_gt_u32_e64 s18, v0
	s_cbranch_execz .LBB708_98
; %bb.97:
	v_dual_mov_b32 v3, v1 :: v_dual_lshlrev_b32 v2, 2, v0
	v_dual_mov_b32 v16, v1 :: v_dual_mov_b32 v17, v1
	v_dual_mov_b32 v4, v1 :: v_dual_mov_b32 v5, v1
	global_load_b32 v2, v2, s[16:17]
	v_dual_mov_b32 v6, v1 :: v_dual_mov_b32 v7, v1
	v_dual_mov_b32 v8, v1 :: v_dual_mov_b32 v9, v1
	;; [unrolled: 1-line block ×5, first 2 shown]
	s_wait_loadcnt 0x0
	v_mov_b32_e32 v1, v2
	v_mov_b32_e32 v2, v3
	;; [unrolled: 1-line block ×16, first 2 shown]
.LBB708_98:
	s_or_b32 exec_lo, exec_lo, s2
	v_or_b32_e32 v17, 0x100, v0
	s_delay_alu instid0(VALU_DEP_1)
	v_cmp_gt_u32_e32 vcc_lo, s18, v17
	s_and_saveexec_b32 s2, vcc_lo
	s_cbranch_execz .LBB708_100
; %bb.99:
	v_lshlrev_b32_e32 v2, 2, v0
	global_load_b32 v2, v2, s[16:17] offset:1024
.LBB708_100:
	s_wait_alu 0xfffe
	s_or_b32 exec_lo, exec_lo, s2
	v_or_b32_e32 v17, 0x200, v0
	s_delay_alu instid0(VALU_DEP_1)
	v_cmp_gt_u32_e64 s2, s18, v17
	s_and_saveexec_b32 s3, s2
	s_cbranch_execz .LBB708_102
; %bb.101:
	v_lshlrev_b32_e32 v3, 2, v0
	global_load_b32 v3, v3, s[16:17] offset:2048
.LBB708_102:
	s_wait_alu 0xfffe
	s_or_b32 exec_lo, exec_lo, s3
	v_or_b32_e32 v17, 0x300, v0
	s_delay_alu instid0(VALU_DEP_1)
	v_cmp_gt_u32_e64 s3, s18, v17
	s_and_saveexec_b32 s4, s3
	;; [unrolled: 11-line block ×14, first 2 shown]
	s_cbranch_execz .LBB708_128
; %bb.127:
	v_lshlrev_b32_e32 v16, 2, v0
	global_load_b32 v16, v16, s[16:17] offset:15360
.LBB708_128:
	s_wait_alu 0xfffe
	s_or_b32 exec_lo, exec_lo, s19
	s_wait_loadcnt 0x0
	v_cndmask_b32_e32 v2, 0, v2, vcc_lo
	v_cndmask_b32_e64 v3, 0, v3, s2
	v_cndmask_b32_e64 v4, 0, v4, s3
	s_min_u32 s2, s18, 0x100
	s_mov_b32 s3, exec_lo
	v_add_nc_u32_e32 v1, v2, v1
	v_cndmask_b32_e64 v2, 0, v5, s4
	v_cndmask_b32_e64 v5, 0, v6, s5
	;; [unrolled: 1-line block ×3, first 2 shown]
	s_delay_alu instid0(VALU_DEP_4) | instskip(SKIP_3) | instid1(VALU_DEP_4)
	v_add3_u32 v1, v1, v3, v4
	v_cndmask_b32_e64 v3, 0, v7, s6
	v_cndmask_b32_e64 v4, 0, v8, s7
	;; [unrolled: 1-line block ×3, first 2 shown]
	v_add3_u32 v1, v1, v2, v5
	v_cndmask_b32_e64 v2, 0, v9, s8
	v_cndmask_b32_e64 v5, 0, v10, s9
	s_delay_alu instid0(VALU_DEP_3) | instskip(SKIP_2) | instid1(VALU_DEP_3)
	v_add3_u32 v1, v1, v3, v4
	v_cndmask_b32_e64 v3, 0, v11, s10
	v_cndmask_b32_e64 v4, 0, v12, s11
	v_add3_u32 v1, v1, v2, v5
	v_mbcnt_lo_u32_b32 v2, -1, 0
	v_cndmask_b32_e64 v5, 0, v13, s12
	s_delay_alu instid0(VALU_DEP_3) | instskip(NEXT) | instid1(VALU_DEP_3)
	v_add3_u32 v1, v1, v3, v4
	v_cmp_ne_u32_e32 vcc_lo, 31, v2
	v_cndmask_b32_e64 v3, 0, v16, s15
	s_delay_alu instid0(VALU_DEP_3)
	v_add3_u32 v1, v1, v5, v6
	s_wait_alu 0xfffd
	v_add_co_ci_u32_e64 v4, null, 0, v2, vcc_lo
	v_add_nc_u32_e32 v5, 1, v2
	v_cmp_gt_u32_e32 vcc_lo, 30, v2
	v_add3_u32 v1, v1, v7, v3
	s_delay_alu instid0(VALU_DEP_4)
	v_lshlrev_b32_e32 v4, 2, v4
	s_wait_alu 0xfffd
	v_cndmask_b32_e64 v6, 0, 2, vcc_lo
	ds_bpermute_b32 v3, v4, v1
	v_and_b32_e32 v4, 0xe0, v0
	s_wait_alu 0xfffe
	s_delay_alu instid0(VALU_DEP_1) | instskip(NEXT) | instid1(VALU_DEP_1)
	v_sub_nc_u32_e64 v4, s2, v4 clamp
	v_cmp_lt_u32_e32 vcc_lo, v5, v4
	v_add_lshl_u32 v5, v6, v2, 2
	s_wait_dscnt 0x0
	s_wait_alu 0xfffd
	v_cndmask_b32_e32 v3, 0, v3, vcc_lo
	v_cmp_gt_u32_e32 vcc_lo, 28, v2
	s_delay_alu instid0(VALU_DEP_2) | instskip(SKIP_4) | instid1(VALU_DEP_1)
	v_add_nc_u32_e32 v1, v1, v3
	s_wait_alu 0xfffd
	v_cndmask_b32_e64 v6, 0, 4, vcc_lo
	ds_bpermute_b32 v3, v5, v1
	v_add_nc_u32_e32 v5, 2, v2
	v_cmp_lt_u32_e32 vcc_lo, v5, v4
	v_add_lshl_u32 v5, v6, v2, 2
	s_wait_dscnt 0x0
	s_wait_alu 0xfffd
	v_cndmask_b32_e32 v3, 0, v3, vcc_lo
	v_cmp_gt_u32_e32 vcc_lo, 24, v2
	s_delay_alu instid0(VALU_DEP_2) | instskip(SKIP_4) | instid1(VALU_DEP_1)
	v_add_nc_u32_e32 v1, v1, v3
	s_wait_alu 0xfffd
	v_cndmask_b32_e64 v6, 0, 8, vcc_lo
	ds_bpermute_b32 v3, v5, v1
	v_add_nc_u32_e32 v5, 4, v2
	v_cmp_lt_u32_e32 vcc_lo, v5, v4
	v_add_lshl_u32 v5, v6, v2, 2
	s_wait_dscnt 0x0
	s_wait_alu 0xfffd
	v_cndmask_b32_e32 v3, 0, v3, vcc_lo
	s_delay_alu instid0(VALU_DEP_1) | instskip(SKIP_3) | instid1(VALU_DEP_1)
	v_add_nc_u32_e32 v1, v1, v3
	v_lshlrev_b32_e32 v3, 2, v2
	ds_bpermute_b32 v5, v5, v1
	v_add_nc_u32_e32 v6, 8, v2
	v_cmp_lt_u32_e32 vcc_lo, v6, v4
	v_or_b32_e32 v6, 64, v3
	s_wait_dscnt 0x0
	s_wait_alu 0xfffd
	v_cndmask_b32_e32 v5, 0, v5, vcc_lo
	s_delay_alu instid0(VALU_DEP_1) | instskip(SKIP_2) | instid1(VALU_DEP_1)
	v_add_nc_u32_e32 v1, v1, v5
	ds_bpermute_b32 v5, v6, v1
	v_add_nc_u32_e32 v6, 16, v2
	v_cmp_lt_u32_e32 vcc_lo, v6, v4
	s_wait_dscnt 0x0
	s_wait_alu 0xfffd
	v_cndmask_b32_e32 v4, 0, v5, vcc_lo
	s_delay_alu instid0(VALU_DEP_1)
	v_add_nc_u32_e32 v1, v1, v4
	v_cmpx_eq_u32_e32 0, v2
; %bb.129:
	v_lshrrev_b32_e32 v4, 3, v0
	s_delay_alu instid0(VALU_DEP_1)
	v_and_b32_e32 v4, 28, v4
	ds_store_b32 v4, v1 offset:192
; %bb.130:
	s_or_b32 exec_lo, exec_lo, s3
	s_delay_alu instid0(SALU_CYCLE_1)
	s_mov_b32 s3, exec_lo
	s_wait_dscnt 0x0
	s_barrier_signal -1
	s_barrier_wait -1
	global_inv scope:SCOPE_SE
	v_cmpx_gt_u32_e32 8, v0
	s_cbranch_execz .LBB708_132
; %bb.131:
	ds_load_b32 v1, v3 offset:192
	v_and_b32_e32 v4, 7, v2
	s_add_co_i32 s2, s2, 31
	s_wait_alu 0xfffe
	s_lshr_b32 s2, s2, 5
	s_delay_alu instid0(VALU_DEP_1) | instskip(SKIP_4) | instid1(VALU_DEP_2)
	v_cmp_ne_u32_e32 vcc_lo, 7, v4
	v_add_nc_u32_e32 v6, 1, v4
	s_wait_alu 0xfffd
	v_add_co_ci_u32_e64 v5, null, 0, v2, vcc_lo
	v_cmp_gt_u32_e32 vcc_lo, 6, v4
	v_lshlrev_b32_e32 v5, 2, v5
	s_wait_alu 0xfffd
	v_cndmask_b32_e64 v7, 0, 2, vcc_lo
	s_wait_alu 0xfffe
	v_cmp_gt_u32_e32 vcc_lo, s2, v6
	s_wait_dscnt 0x0
	ds_bpermute_b32 v5, v5, v1
	v_add_lshl_u32 v2, v7, v2, 2
	s_wait_dscnt 0x0
	s_wait_alu 0xfffd
	v_cndmask_b32_e32 v5, 0, v5, vcc_lo
	s_delay_alu instid0(VALU_DEP_1)
	v_add_nc_u32_e32 v1, v5, v1
	v_add_nc_u32_e32 v5, 2, v4
	ds_bpermute_b32 v2, v2, v1
	v_cmp_gt_u32_e32 vcc_lo, s2, v5
	s_wait_dscnt 0x0
	s_wait_alu 0xfffd
	v_cndmask_b32_e32 v2, 0, v2, vcc_lo
	s_delay_alu instid0(VALU_DEP_1)
	v_add_nc_u32_e32 v1, v1, v2
	v_or_b32_e32 v2, 16, v3
	v_add_nc_u32_e32 v3, 4, v4
	ds_bpermute_b32 v2, v2, v1
	v_cmp_gt_u32_e32 vcc_lo, s2, v3
	s_wait_dscnt 0x0
	s_wait_alu 0xfffd
	v_cndmask_b32_e32 v2, 0, v2, vcc_lo
	s_delay_alu instid0(VALU_DEP_1)
	v_add_nc_u32_e32 v1, v1, v2
.LBB708_132:
	s_wait_alu 0xfffe
	s_or_b32 exec_lo, exec_lo, s3
.LBB708_133:
	v_cmp_eq_u32_e64 s2, 0, v0
	s_branch .LBB708_142
.LBB708_134:
	s_cmp_eq_u32 s33, 8
	s_cbranch_scc0 .LBB708_141
; %bb.135:
	s_mov_b32 s35, 0
	s_lshl_b32 s2, s34, 11
	s_mov_b32 s3, s35
	s_lshr_b64 s[4:5], s[38:39], 11
	s_lshl_b64 s[6:7], s[2:3], 2
	s_cmp_lg_u64 s[4:5], s[34:35]
	s_add_nc_u64 s[8:9], s[36:37], s[6:7]
	s_cbranch_scc0 .LBB708_143
; %bb.136:
	v_lshlrev_b32_e32 v1, 2, v0
	s_mov_b32 s3, exec_lo
	s_clause 0x7
	global_load_b32 v2, v1, s[8:9]
	global_load_b32 v3, v1, s[8:9] offset:1024
	global_load_b32 v4, v1, s[8:9] offset:2048
	;; [unrolled: 1-line block ×7, first 2 shown]
	s_wait_loadcnt 0x6
	v_add_nc_u32_e32 v2, v3, v2
	s_wait_loadcnt 0x4
	s_delay_alu instid0(VALU_DEP_1) | instskip(SKIP_1) | instid1(VALU_DEP_1)
	v_add3_u32 v2, v2, v4, v5
	s_wait_loadcnt 0x2
	v_add3_u32 v2, v2, v6, v7
	s_wait_loadcnt 0x0
	s_delay_alu instid0(VALU_DEP_1) | instskip(NEXT) | instid1(VALU_DEP_1)
	v_add3_u32 v1, v2, v8, v1
	v_mov_b32_dpp v2, v1 quad_perm:[1,0,3,2] row_mask:0xf bank_mask:0xf
	s_delay_alu instid0(VALU_DEP_1) | instskip(NEXT) | instid1(VALU_DEP_1)
	v_add_nc_u32_e32 v1, v2, v1
	v_mov_b32_dpp v2, v1 quad_perm:[2,3,0,1] row_mask:0xf bank_mask:0xf
	s_delay_alu instid0(VALU_DEP_1) | instskip(NEXT) | instid1(VALU_DEP_1)
	v_add_nc_u32_e32 v1, v1, v2
	v_mov_b32_dpp v2, v1 row_ror:4 row_mask:0xf bank_mask:0xf
	s_delay_alu instid0(VALU_DEP_1) | instskip(NEXT) | instid1(VALU_DEP_1)
	v_add_nc_u32_e32 v1, v1, v2
	v_mov_b32_dpp v2, v1 row_ror:8 row_mask:0xf bank_mask:0xf
	s_delay_alu instid0(VALU_DEP_1)
	v_add_nc_u32_e32 v1, v1, v2
	ds_swizzle_b32 v2, v1 offset:swizzle(BROADCAST,32,15)
	s_wait_dscnt 0x0
	v_dual_mov_b32 v2, 0 :: v_dual_add_nc_u32 v1, v1, v2
	ds_bpermute_b32 v1, v2, v1 offset:124
	v_mbcnt_lo_u32_b32 v2, -1, 0
	s_delay_alu instid0(VALU_DEP_1)
	v_cmpx_eq_u32_e32 0, v2
	s_cbranch_execz .LBB708_138
; %bb.137:
	v_lshrrev_b32_e32 v3, 3, v0
	s_delay_alu instid0(VALU_DEP_1)
	v_and_b32_e32 v3, 28, v3
	s_wait_dscnt 0x0
	ds_store_b32 v3, v1 offset:160
.LBB708_138:
	s_or_b32 exec_lo, exec_lo, s3
	s_delay_alu instid0(SALU_CYCLE_1)
	s_mov_b32 s3, exec_lo
	s_wait_dscnt 0x0
	s_barrier_signal -1
	s_barrier_wait -1
	global_inv scope:SCOPE_SE
	v_cmpx_gt_u32_e32 32, v0
	s_cbranch_execz .LBB708_140
; %bb.139:
	v_and_b32_e32 v1, 7, v2
	s_delay_alu instid0(VALU_DEP_1) | instskip(SKIP_4) | instid1(VALU_DEP_2)
	v_lshlrev_b32_e32 v3, 2, v1
	v_cmp_ne_u32_e32 vcc_lo, 7, v1
	ds_load_b32 v3, v3 offset:160
	v_add_co_ci_u32_e64 v4, null, 0, v2, vcc_lo
	v_cmp_gt_u32_e32 vcc_lo, 6, v1
	v_lshlrev_b32_e32 v4, 2, v4
	s_wait_alu 0xfffd
	v_cndmask_b32_e64 v1, 0, 2, vcc_lo
	s_delay_alu instid0(VALU_DEP_1) | instskip(SKIP_1) | instid1(VALU_DEP_1)
	v_add_lshl_u32 v1, v1, v2, 2
	v_lshlrev_b32_e32 v2, 2, v2
	v_or_b32_e32 v2, 16, v2
	s_wait_dscnt 0x0
	ds_bpermute_b32 v4, v4, v3
	s_wait_dscnt 0x0
	v_add_nc_u32_e32 v3, v4, v3
	ds_bpermute_b32 v1, v1, v3
	s_wait_dscnt 0x0
	v_add_nc_u32_e32 v1, v1, v3
	;; [unrolled: 3-line block ×3, first 2 shown]
.LBB708_140:
	s_or_b32 exec_lo, exec_lo, s3
	s_branch .LBB708_165
.LBB708_141:
                                        ; implicit-def: $vgpr1
.LBB708_142:
	s_branch .LBB708_224
.LBB708_143:
                                        ; implicit-def: $vgpr1
	s_cbranch_execz .LBB708_165
; %bb.144:
	v_mov_b32_e32 v1, 0
	s_sub_co_i32 s10, s38, s2
	s_mov_b32 s2, exec_lo
	s_delay_alu instid0(VALU_DEP_1)
	v_dual_mov_b32 v2, v1 :: v_dual_mov_b32 v3, v1
	v_dual_mov_b32 v4, v1 :: v_dual_mov_b32 v5, v1
	v_dual_mov_b32 v6, v1 :: v_dual_mov_b32 v7, v1
	v_mov_b32_e32 v8, v1
	v_cmpx_gt_u32_e64 s10, v0
	s_cbranch_execz .LBB708_146
; %bb.145:
	v_dual_mov_b32 v3, v1 :: v_dual_lshlrev_b32 v2, 2, v0
	v_dual_mov_b32 v8, v1 :: v_dual_mov_b32 v9, v1
	v_dual_mov_b32 v4, v1 :: v_dual_mov_b32 v5, v1
	global_load_b32 v2, v2, s[8:9]
	v_dual_mov_b32 v6, v1 :: v_dual_mov_b32 v7, v1
	s_wait_loadcnt 0x0
	v_mov_b32_e32 v1, v2
	v_mov_b32_e32 v2, v3
	;; [unrolled: 1-line block ×8, first 2 shown]
.LBB708_146:
	s_or_b32 exec_lo, exec_lo, s2
	v_or_b32_e32 v9, 0x100, v0
	s_delay_alu instid0(VALU_DEP_1)
	v_cmp_gt_u32_e32 vcc_lo, s10, v9
	s_and_saveexec_b32 s2, vcc_lo
	s_cbranch_execz .LBB708_148
; %bb.147:
	v_lshlrev_b32_e32 v2, 2, v0
	global_load_b32 v2, v2, s[8:9] offset:1024
.LBB708_148:
	s_or_b32 exec_lo, exec_lo, s2
	v_or_b32_e32 v9, 0x200, v0
	s_delay_alu instid0(VALU_DEP_1)
	v_cmp_gt_u32_e64 s2, s10, v9
	s_and_saveexec_b32 s3, s2
	s_cbranch_execz .LBB708_150
; %bb.149:
	v_lshlrev_b32_e32 v3, 2, v0
	global_load_b32 v3, v3, s[8:9] offset:2048
.LBB708_150:
	s_or_b32 exec_lo, exec_lo, s3
	v_or_b32_e32 v9, 0x300, v0
	s_delay_alu instid0(VALU_DEP_1)
	v_cmp_gt_u32_e64 s3, s10, v9
	s_and_saveexec_b32 s4, s3
	;; [unrolled: 10-line block ×6, first 2 shown]
	s_cbranch_execz .LBB708_160
; %bb.159:
	v_lshlrev_b32_e32 v8, 2, v0
	global_load_b32 v8, v8, s[8:9] offset:7168
.LBB708_160:
	s_wait_alu 0xfffe
	s_or_b32 exec_lo, exec_lo, s11
	s_wait_loadcnt 0x0
	v_cndmask_b32_e32 v2, 0, v2, vcc_lo
	v_cndmask_b32_e64 v3, 0, v3, s2
	v_cndmask_b32_e64 v4, 0, v4, s3
	;; [unrolled: 1-line block ×4, first 2 shown]
	v_add_nc_u32_e32 v1, v2, v1
	v_mbcnt_lo_u32_b32 v2, -1, 0
	v_cndmask_b32_e64 v7, 0, v7, s6
	s_min_u32 s2, s10, 0x100
	s_mov_b32 s3, exec_lo
	v_add3_u32 v1, v1, v3, v4
	v_cmp_ne_u32_e32 vcc_lo, 31, v2
	v_cndmask_b32_e64 v3, 0, v8, s7
	s_delay_alu instid0(VALU_DEP_3)
	v_add3_u32 v1, v1, v5, v6
	s_wait_alu 0xfffd
	v_add_co_ci_u32_e64 v4, null, 0, v2, vcc_lo
	v_add_nc_u32_e32 v5, 1, v2
	v_cmp_gt_u32_e32 vcc_lo, 30, v2
	v_add3_u32 v1, v1, v7, v3
	s_delay_alu instid0(VALU_DEP_4)
	v_lshlrev_b32_e32 v4, 2, v4
	s_wait_alu 0xfffd
	v_cndmask_b32_e64 v6, 0, 2, vcc_lo
	ds_bpermute_b32 v3, v4, v1
	v_and_b32_e32 v4, 0xe0, v0
	s_wait_alu 0xfffe
	s_delay_alu instid0(VALU_DEP_1) | instskip(NEXT) | instid1(VALU_DEP_1)
	v_sub_nc_u32_e64 v4, s2, v4 clamp
	v_cmp_lt_u32_e32 vcc_lo, v5, v4
	v_add_lshl_u32 v5, v6, v2, 2
	s_wait_dscnt 0x0
	s_wait_alu 0xfffd
	v_cndmask_b32_e32 v3, 0, v3, vcc_lo
	v_cmp_gt_u32_e32 vcc_lo, 28, v2
	s_delay_alu instid0(VALU_DEP_2) | instskip(SKIP_4) | instid1(VALU_DEP_1)
	v_add_nc_u32_e32 v1, v1, v3
	s_wait_alu 0xfffd
	v_cndmask_b32_e64 v6, 0, 4, vcc_lo
	ds_bpermute_b32 v3, v5, v1
	v_add_nc_u32_e32 v5, 2, v2
	v_cmp_lt_u32_e32 vcc_lo, v5, v4
	v_add_lshl_u32 v5, v6, v2, 2
	s_wait_dscnt 0x0
	s_wait_alu 0xfffd
	v_cndmask_b32_e32 v3, 0, v3, vcc_lo
	v_cmp_gt_u32_e32 vcc_lo, 24, v2
	s_delay_alu instid0(VALU_DEP_2) | instskip(SKIP_4) | instid1(VALU_DEP_1)
	v_add_nc_u32_e32 v1, v1, v3
	s_wait_alu 0xfffd
	v_cndmask_b32_e64 v6, 0, 8, vcc_lo
	ds_bpermute_b32 v3, v5, v1
	v_add_nc_u32_e32 v5, 4, v2
	v_cmp_lt_u32_e32 vcc_lo, v5, v4
	v_add_lshl_u32 v5, v6, v2, 2
	s_wait_dscnt 0x0
	s_wait_alu 0xfffd
	v_cndmask_b32_e32 v3, 0, v3, vcc_lo
	s_delay_alu instid0(VALU_DEP_1) | instskip(SKIP_3) | instid1(VALU_DEP_1)
	v_add_nc_u32_e32 v1, v1, v3
	v_lshlrev_b32_e32 v3, 2, v2
	ds_bpermute_b32 v5, v5, v1
	v_add_nc_u32_e32 v6, 8, v2
	v_cmp_lt_u32_e32 vcc_lo, v6, v4
	v_or_b32_e32 v6, 64, v3
	s_wait_dscnt 0x0
	s_wait_alu 0xfffd
	v_cndmask_b32_e32 v5, 0, v5, vcc_lo
	s_delay_alu instid0(VALU_DEP_1) | instskip(SKIP_2) | instid1(VALU_DEP_1)
	v_add_nc_u32_e32 v1, v1, v5
	ds_bpermute_b32 v5, v6, v1
	v_add_nc_u32_e32 v6, 16, v2
	v_cmp_lt_u32_e32 vcc_lo, v6, v4
	s_wait_dscnt 0x0
	s_wait_alu 0xfffd
	v_cndmask_b32_e32 v4, 0, v5, vcc_lo
	s_delay_alu instid0(VALU_DEP_1)
	v_add_nc_u32_e32 v1, v1, v4
	v_cmpx_eq_u32_e32 0, v2
; %bb.161:
	v_lshrrev_b32_e32 v4, 3, v0
	s_delay_alu instid0(VALU_DEP_1)
	v_and_b32_e32 v4, 28, v4
	ds_store_b32 v4, v1 offset:192
; %bb.162:
	s_or_b32 exec_lo, exec_lo, s3
	s_delay_alu instid0(SALU_CYCLE_1)
	s_mov_b32 s3, exec_lo
	s_wait_dscnt 0x0
	s_barrier_signal -1
	s_barrier_wait -1
	global_inv scope:SCOPE_SE
	v_cmpx_gt_u32_e32 8, v0
	s_cbranch_execz .LBB708_164
; %bb.163:
	ds_load_b32 v1, v3 offset:192
	v_and_b32_e32 v4, 7, v2
	s_add_co_i32 s2, s2, 31
	s_wait_alu 0xfffe
	s_lshr_b32 s2, s2, 5
	s_delay_alu instid0(VALU_DEP_1) | instskip(SKIP_4) | instid1(VALU_DEP_2)
	v_cmp_ne_u32_e32 vcc_lo, 7, v4
	v_add_nc_u32_e32 v6, 1, v4
	s_wait_alu 0xfffd
	v_add_co_ci_u32_e64 v5, null, 0, v2, vcc_lo
	v_cmp_gt_u32_e32 vcc_lo, 6, v4
	v_lshlrev_b32_e32 v5, 2, v5
	s_wait_alu 0xfffd
	v_cndmask_b32_e64 v7, 0, 2, vcc_lo
	s_wait_alu 0xfffe
	v_cmp_gt_u32_e32 vcc_lo, s2, v6
	s_wait_dscnt 0x0
	ds_bpermute_b32 v5, v5, v1
	v_add_lshl_u32 v2, v7, v2, 2
	s_wait_dscnt 0x0
	s_wait_alu 0xfffd
	v_cndmask_b32_e32 v5, 0, v5, vcc_lo
	s_delay_alu instid0(VALU_DEP_1)
	v_add_nc_u32_e32 v1, v5, v1
	v_add_nc_u32_e32 v5, 2, v4
	ds_bpermute_b32 v2, v2, v1
	v_cmp_gt_u32_e32 vcc_lo, s2, v5
	s_wait_dscnt 0x0
	s_wait_alu 0xfffd
	v_cndmask_b32_e32 v2, 0, v2, vcc_lo
	s_delay_alu instid0(VALU_DEP_1)
	v_add_nc_u32_e32 v1, v1, v2
	v_or_b32_e32 v2, 16, v3
	v_add_nc_u32_e32 v3, 4, v4
	ds_bpermute_b32 v2, v2, v1
	v_cmp_gt_u32_e32 vcc_lo, s2, v3
	s_wait_dscnt 0x0
	s_wait_alu 0xfffd
	v_cndmask_b32_e32 v2, 0, v2, vcc_lo
	s_delay_alu instid0(VALU_DEP_1)
	v_add_nc_u32_e32 v1, v1, v2
.LBB708_164:
	s_wait_alu 0xfffe
	s_or_b32 exec_lo, exec_lo, s3
.LBB708_165:
	v_cmp_eq_u32_e64 s2, 0, v0
	s_branch .LBB708_224
.LBB708_166:
	s_cmp_gt_i32 s33, 1
	s_cbranch_scc0 .LBB708_175
; %bb.167:
	s_cmp_gt_i32 s33, 3
	s_cbranch_scc0 .LBB708_176
; %bb.168:
	s_cmp_eq_u32 s33, 4
	s_cbranch_scc0 .LBB708_177
; %bb.169:
	s_mov_b32 s35, 0
	s_lshl_b32 s2, s34, 10
	s_mov_b32 s3, s35
	s_lshr_b64 s[4:5], s[38:39], 10
	s_lshl_b64 s[6:7], s[2:3], 2
	s_cmp_lg_u64 s[4:5], s[34:35]
	s_add_nc_u64 s[4:5], s[36:37], s[6:7]
	s_cbranch_scc0 .LBB708_179
; %bb.170:
	v_lshlrev_b32_e32 v1, 2, v0
	s_mov_b32 s3, exec_lo
	s_clause 0x3
	global_load_b32 v2, v1, s[4:5]
	global_load_b32 v3, v1, s[4:5] offset:1024
	global_load_b32 v4, v1, s[4:5] offset:2048
	;; [unrolled: 1-line block ×3, first 2 shown]
	s_wait_loadcnt 0x2
	v_add_nc_u32_e32 v2, v3, v2
	s_wait_loadcnt 0x0
	s_delay_alu instid0(VALU_DEP_1) | instskip(NEXT) | instid1(VALU_DEP_1)
	v_add3_u32 v1, v2, v4, v1
	v_mov_b32_dpp v2, v1 quad_perm:[1,0,3,2] row_mask:0xf bank_mask:0xf
	s_delay_alu instid0(VALU_DEP_1) | instskip(NEXT) | instid1(VALU_DEP_1)
	v_add_nc_u32_e32 v1, v2, v1
	v_mov_b32_dpp v2, v1 quad_perm:[2,3,0,1] row_mask:0xf bank_mask:0xf
	s_delay_alu instid0(VALU_DEP_1) | instskip(NEXT) | instid1(VALU_DEP_1)
	v_add_nc_u32_e32 v1, v1, v2
	v_mov_b32_dpp v2, v1 row_ror:4 row_mask:0xf bank_mask:0xf
	s_delay_alu instid0(VALU_DEP_1) | instskip(NEXT) | instid1(VALU_DEP_1)
	v_add_nc_u32_e32 v1, v1, v2
	v_mov_b32_dpp v2, v1 row_ror:8 row_mask:0xf bank_mask:0xf
	s_delay_alu instid0(VALU_DEP_1)
	v_add_nc_u32_e32 v1, v1, v2
	ds_swizzle_b32 v2, v1 offset:swizzle(BROADCAST,32,15)
	s_wait_dscnt 0x0
	v_dual_mov_b32 v2, 0 :: v_dual_add_nc_u32 v1, v1, v2
	ds_bpermute_b32 v1, v2, v1 offset:124
	v_mbcnt_lo_u32_b32 v2, -1, 0
	s_delay_alu instid0(VALU_DEP_1)
	v_cmpx_eq_u32_e32 0, v2
	s_cbranch_execz .LBB708_172
; %bb.171:
	v_lshrrev_b32_e32 v3, 3, v0
	s_delay_alu instid0(VALU_DEP_1)
	v_and_b32_e32 v3, 28, v3
	s_wait_dscnt 0x0
	ds_store_b32 v3, v1 offset:128
.LBB708_172:
	s_or_b32 exec_lo, exec_lo, s3
	s_delay_alu instid0(SALU_CYCLE_1)
	s_mov_b32 s3, exec_lo
	s_wait_dscnt 0x0
	s_barrier_signal -1
	s_barrier_wait -1
	global_inv scope:SCOPE_SE
	v_cmpx_gt_u32_e32 32, v0
	s_cbranch_execz .LBB708_174
; %bb.173:
	v_and_b32_e32 v1, 7, v2
	s_delay_alu instid0(VALU_DEP_1) | instskip(SKIP_4) | instid1(VALU_DEP_2)
	v_lshlrev_b32_e32 v3, 2, v1
	v_cmp_ne_u32_e32 vcc_lo, 7, v1
	ds_load_b32 v3, v3 offset:128
	v_add_co_ci_u32_e64 v4, null, 0, v2, vcc_lo
	v_cmp_gt_u32_e32 vcc_lo, 6, v1
	v_lshlrev_b32_e32 v4, 2, v4
	s_wait_alu 0xfffd
	v_cndmask_b32_e64 v1, 0, 2, vcc_lo
	s_delay_alu instid0(VALU_DEP_1) | instskip(SKIP_1) | instid1(VALU_DEP_1)
	v_add_lshl_u32 v1, v1, v2, 2
	v_lshlrev_b32_e32 v2, 2, v2
	v_or_b32_e32 v2, 16, v2
	s_wait_dscnt 0x0
	ds_bpermute_b32 v4, v4, v3
	s_wait_dscnt 0x0
	v_add_nc_u32_e32 v3, v4, v3
	ds_bpermute_b32 v1, v1, v3
	s_wait_dscnt 0x0
	v_add_nc_u32_e32 v1, v1, v3
	;; [unrolled: 3-line block ×3, first 2 shown]
.LBB708_174:
	s_or_b32 exec_lo, exec_lo, s3
	s_mov_b32 s3, 0
	s_branch .LBB708_180
.LBB708_175:
                                        ; implicit-def: $vgpr1
	s_cbranch_execnz .LBB708_215
	s_branch .LBB708_224
.LBB708_176:
                                        ; implicit-def: $vgpr1
	s_cbranch_execz .LBB708_178
	s_branch .LBB708_195
.LBB708_177:
                                        ; implicit-def: $vgpr1
.LBB708_178:
	s_branch .LBB708_224
.LBB708_179:
	s_mov_b32 s3, -1
                                        ; implicit-def: $vgpr1
.LBB708_180:
	s_delay_alu instid0(SALU_CYCLE_1)
	s_and_b32 vcc_lo, exec_lo, s3
	s_wait_alu 0xfffe
	s_cbranch_vccz .LBB708_194
; %bb.181:
	v_mov_b32_e32 v1, 0
	s_sub_co_i32 s6, s38, s2
	s_mov_b32 s2, exec_lo
	s_delay_alu instid0(VALU_DEP_1)
	v_dual_mov_b32 v2, v1 :: v_dual_mov_b32 v3, v1
	v_mov_b32_e32 v4, v1
	v_cmpx_gt_u32_e64 s6, v0
	s_cbranch_execz .LBB708_183
; %bb.182:
	v_dual_mov_b32 v3, v1 :: v_dual_lshlrev_b32 v2, 2, v0
	v_dual_mov_b32 v4, v1 :: v_dual_mov_b32 v5, v1
	global_load_b32 v2, v2, s[4:5]
	s_wait_loadcnt 0x0
	v_mov_b32_e32 v1, v2
	v_mov_b32_e32 v2, v3
	;; [unrolled: 1-line block ×4, first 2 shown]
.LBB708_183:
	s_or_b32 exec_lo, exec_lo, s2
	v_or_b32_e32 v5, 0x100, v0
	s_delay_alu instid0(VALU_DEP_1)
	v_cmp_gt_u32_e32 vcc_lo, s6, v5
	s_and_saveexec_b32 s2, vcc_lo
	s_cbranch_execz .LBB708_185
; %bb.184:
	v_lshlrev_b32_e32 v2, 2, v0
	global_load_b32 v2, v2, s[4:5] offset:1024
.LBB708_185:
	s_or_b32 exec_lo, exec_lo, s2
	v_or_b32_e32 v5, 0x200, v0
	s_delay_alu instid0(VALU_DEP_1)
	v_cmp_gt_u32_e64 s2, s6, v5
	s_and_saveexec_b32 s3, s2
	s_cbranch_execz .LBB708_187
; %bb.186:
	v_lshlrev_b32_e32 v3, 2, v0
	global_load_b32 v3, v3, s[4:5] offset:2048
.LBB708_187:
	s_or_b32 exec_lo, exec_lo, s3
	v_or_b32_e32 v5, 0x300, v0
	s_delay_alu instid0(VALU_DEP_1)
	v_cmp_gt_u32_e64 s3, s6, v5
	s_and_saveexec_b32 s7, s3
	s_cbranch_execz .LBB708_189
; %bb.188:
	v_lshlrev_b32_e32 v4, 2, v0
	global_load_b32 v4, v4, s[4:5] offset:3072
.LBB708_189:
	s_wait_alu 0xfffe
	s_or_b32 exec_lo, exec_lo, s7
	s_wait_loadcnt 0x0
	v_cndmask_b32_e32 v5, 0, v2, vcc_lo
	v_mbcnt_lo_u32_b32 v2, -1, 0
	v_cndmask_b32_e64 v3, 0, v3, s2
	v_cndmask_b32_e64 v4, 0, v4, s3
	s_min_u32 s2, s6, 0x100
	v_add_nc_u32_e32 v1, v5, v1
	v_cmp_ne_u32_e32 vcc_lo, 31, v2
	s_mov_b32 s3, exec_lo
	s_delay_alu instid0(VALU_DEP_2) | instskip(SKIP_4) | instid1(VALU_DEP_3)
	v_add3_u32 v1, v1, v3, v4
	s_wait_alu 0xfffd
	v_add_co_ci_u32_e64 v5, null, 0, v2, vcc_lo
	v_and_b32_e32 v4, 0xe0, v0
	v_cmp_gt_u32_e32 vcc_lo, 30, v2
	v_lshlrev_b32_e32 v3, 2, v5
	v_add_nc_u32_e32 v5, 1, v2
	s_wait_alu 0xfffe
	v_sub_nc_u32_e64 v4, s2, v4 clamp
	s_wait_alu 0xfffd
	v_cndmask_b32_e64 v6, 0, 2, vcc_lo
	ds_bpermute_b32 v3, v3, v1
	v_cmp_lt_u32_e32 vcc_lo, v5, v4
	v_add_lshl_u32 v5, v6, v2, 2
	s_wait_dscnt 0x0
	s_wait_alu 0xfffd
	v_cndmask_b32_e32 v3, 0, v3, vcc_lo
	v_cmp_gt_u32_e32 vcc_lo, 28, v2
	s_delay_alu instid0(VALU_DEP_2) | instskip(SKIP_4) | instid1(VALU_DEP_1)
	v_add_nc_u32_e32 v1, v3, v1
	s_wait_alu 0xfffd
	v_cndmask_b32_e64 v6, 0, 4, vcc_lo
	ds_bpermute_b32 v3, v5, v1
	v_add_nc_u32_e32 v5, 2, v2
	v_cmp_lt_u32_e32 vcc_lo, v5, v4
	v_add_lshl_u32 v5, v6, v2, 2
	s_wait_dscnt 0x0
	s_wait_alu 0xfffd
	v_cndmask_b32_e32 v3, 0, v3, vcc_lo
	v_cmp_gt_u32_e32 vcc_lo, 24, v2
	s_delay_alu instid0(VALU_DEP_2) | instskip(SKIP_4) | instid1(VALU_DEP_1)
	v_add_nc_u32_e32 v1, v1, v3
	s_wait_alu 0xfffd
	v_cndmask_b32_e64 v6, 0, 8, vcc_lo
	ds_bpermute_b32 v3, v5, v1
	v_add_nc_u32_e32 v5, 4, v2
	v_cmp_lt_u32_e32 vcc_lo, v5, v4
	v_add_lshl_u32 v5, v6, v2, 2
	s_wait_dscnt 0x0
	s_wait_alu 0xfffd
	v_dual_cndmask_b32 v3, 0, v3 :: v_dual_add_nc_u32 v6, 8, v2
	s_delay_alu instid0(VALU_DEP_1) | instskip(NEXT) | instid1(VALU_DEP_2)
	v_cmp_lt_u32_e32 vcc_lo, v6, v4
	v_add_nc_u32_e32 v1, v1, v3
	v_lshlrev_b32_e32 v3, 2, v2
	ds_bpermute_b32 v5, v5, v1
	v_or_b32_e32 v6, 64, v3
	s_wait_dscnt 0x0
	s_wait_alu 0xfffd
	v_cndmask_b32_e32 v5, 0, v5, vcc_lo
	s_delay_alu instid0(VALU_DEP_1) | instskip(SKIP_2) | instid1(VALU_DEP_1)
	v_add_nc_u32_e32 v1, v1, v5
	ds_bpermute_b32 v5, v6, v1
	v_add_nc_u32_e32 v6, 16, v2
	v_cmp_lt_u32_e32 vcc_lo, v6, v4
	s_wait_dscnt 0x0
	s_wait_alu 0xfffd
	v_cndmask_b32_e32 v4, 0, v5, vcc_lo
	s_delay_alu instid0(VALU_DEP_1)
	v_add_nc_u32_e32 v1, v1, v4
	v_cmpx_eq_u32_e32 0, v2
; %bb.190:
	v_lshrrev_b32_e32 v4, 3, v0
	s_delay_alu instid0(VALU_DEP_1)
	v_and_b32_e32 v4, 28, v4
	ds_store_b32 v4, v1 offset:192
; %bb.191:
	s_or_b32 exec_lo, exec_lo, s3
	s_delay_alu instid0(SALU_CYCLE_1)
	s_mov_b32 s3, exec_lo
	s_wait_dscnt 0x0
	s_barrier_signal -1
	s_barrier_wait -1
	global_inv scope:SCOPE_SE
	v_cmpx_gt_u32_e32 8, v0
	s_cbranch_execz .LBB708_193
; %bb.192:
	ds_load_b32 v1, v3 offset:192
	v_and_b32_e32 v4, 7, v2
	s_add_co_i32 s2, s2, 31
	s_wait_alu 0xfffe
	s_lshr_b32 s2, s2, 5
	s_delay_alu instid0(VALU_DEP_1) | instskip(SKIP_4) | instid1(VALU_DEP_2)
	v_cmp_ne_u32_e32 vcc_lo, 7, v4
	v_add_nc_u32_e32 v6, 1, v4
	s_wait_alu 0xfffd
	v_add_co_ci_u32_e64 v5, null, 0, v2, vcc_lo
	v_cmp_gt_u32_e32 vcc_lo, 6, v4
	v_lshlrev_b32_e32 v5, 2, v5
	s_wait_alu 0xfffd
	v_cndmask_b32_e64 v7, 0, 2, vcc_lo
	s_wait_alu 0xfffe
	v_cmp_gt_u32_e32 vcc_lo, s2, v6
	s_wait_dscnt 0x0
	ds_bpermute_b32 v5, v5, v1
	v_add_lshl_u32 v2, v7, v2, 2
	s_wait_dscnt 0x0
	s_wait_alu 0xfffd
	v_cndmask_b32_e32 v5, 0, v5, vcc_lo
	s_delay_alu instid0(VALU_DEP_1)
	v_add_nc_u32_e32 v1, v5, v1
	v_add_nc_u32_e32 v5, 2, v4
	ds_bpermute_b32 v2, v2, v1
	v_cmp_gt_u32_e32 vcc_lo, s2, v5
	s_wait_dscnt 0x0
	s_wait_alu 0xfffd
	v_cndmask_b32_e32 v2, 0, v2, vcc_lo
	s_delay_alu instid0(VALU_DEP_1)
	v_add_nc_u32_e32 v1, v1, v2
	v_or_b32_e32 v2, 16, v3
	v_add_nc_u32_e32 v3, 4, v4
	ds_bpermute_b32 v2, v2, v1
	v_cmp_gt_u32_e32 vcc_lo, s2, v3
	s_wait_dscnt 0x0
	s_wait_alu 0xfffd
	v_cndmask_b32_e32 v2, 0, v2, vcc_lo
	s_delay_alu instid0(VALU_DEP_1)
	v_add_nc_u32_e32 v1, v1, v2
.LBB708_193:
	s_wait_alu 0xfffe
	s_or_b32 exec_lo, exec_lo, s3
.LBB708_194:
	v_cmp_eq_u32_e64 s2, 0, v0
	s_branch .LBB708_178
.LBB708_195:
	s_cmp_eq_u32 s33, 2
	s_cbranch_scc0 .LBB708_202
; %bb.196:
	s_mov_b32 s35, 0
	s_lshl_b32 s4, s34, 9
	s_mov_b32 s5, s35
	s_lshr_b64 s[2:3], s[38:39], 9
	s_lshl_b64 s[6:7], s[4:5], 2
	s_cmp_lg_u64 s[2:3], s[34:35]
	s_add_nc_u64 s[2:3], s[36:37], s[6:7]
	s_cbranch_scc0 .LBB708_203
; %bb.197:
	v_lshlrev_b32_e32 v1, 2, v0
	s_mov_b32 s5, exec_lo
	s_clause 0x1
	global_load_b32 v2, v1, s[2:3]
	global_load_b32 v1, v1, s[2:3] offset:1024
	s_wait_loadcnt 0x0
	v_add_nc_u32_e32 v1, v1, v2
	s_delay_alu instid0(VALU_DEP_1) | instskip(NEXT) | instid1(VALU_DEP_1)
	v_mov_b32_dpp v2, v1 quad_perm:[1,0,3,2] row_mask:0xf bank_mask:0xf
	v_add_nc_u32_e32 v1, v2, v1
	s_delay_alu instid0(VALU_DEP_1) | instskip(NEXT) | instid1(VALU_DEP_1)
	v_mov_b32_dpp v2, v1 quad_perm:[2,3,0,1] row_mask:0xf bank_mask:0xf
	v_add_nc_u32_e32 v1, v1, v2
	s_delay_alu instid0(VALU_DEP_1) | instskip(NEXT) | instid1(VALU_DEP_1)
	v_mov_b32_dpp v2, v1 row_ror:4 row_mask:0xf bank_mask:0xf
	v_add_nc_u32_e32 v1, v1, v2
	s_delay_alu instid0(VALU_DEP_1) | instskip(NEXT) | instid1(VALU_DEP_1)
	v_mov_b32_dpp v2, v1 row_ror:8 row_mask:0xf bank_mask:0xf
	v_add_nc_u32_e32 v1, v1, v2
	ds_swizzle_b32 v2, v1 offset:swizzle(BROADCAST,32,15)
	s_wait_dscnt 0x0
	v_dual_mov_b32 v2, 0 :: v_dual_add_nc_u32 v1, v1, v2
	ds_bpermute_b32 v1, v2, v1 offset:124
	v_mbcnt_lo_u32_b32 v2, -1, 0
	s_delay_alu instid0(VALU_DEP_1)
	v_cmpx_eq_u32_e32 0, v2
	s_cbranch_execz .LBB708_199
; %bb.198:
	v_lshrrev_b32_e32 v3, 3, v0
	s_delay_alu instid0(VALU_DEP_1)
	v_and_b32_e32 v3, 28, v3
	s_wait_dscnt 0x0
	ds_store_b32 v3, v1 offset:64
.LBB708_199:
	s_or_b32 exec_lo, exec_lo, s5
	s_delay_alu instid0(SALU_CYCLE_1)
	s_mov_b32 s5, exec_lo
	s_wait_dscnt 0x0
	s_barrier_signal -1
	s_barrier_wait -1
	global_inv scope:SCOPE_SE
	v_cmpx_gt_u32_e32 32, v0
	s_cbranch_execz .LBB708_201
; %bb.200:
	v_and_b32_e32 v1, 7, v2
	s_delay_alu instid0(VALU_DEP_1) | instskip(SKIP_4) | instid1(VALU_DEP_2)
	v_lshlrev_b32_e32 v3, 2, v1
	v_cmp_ne_u32_e32 vcc_lo, 7, v1
	ds_load_b32 v3, v3 offset:64
	v_add_co_ci_u32_e64 v4, null, 0, v2, vcc_lo
	v_cmp_gt_u32_e32 vcc_lo, 6, v1
	v_lshlrev_b32_e32 v4, 2, v4
	s_wait_alu 0xfffd
	v_cndmask_b32_e64 v1, 0, 2, vcc_lo
	s_delay_alu instid0(VALU_DEP_1) | instskip(SKIP_1) | instid1(VALU_DEP_1)
	v_add_lshl_u32 v1, v1, v2, 2
	v_lshlrev_b32_e32 v2, 2, v2
	v_or_b32_e32 v2, 16, v2
	s_wait_dscnt 0x0
	ds_bpermute_b32 v4, v4, v3
	s_wait_dscnt 0x0
	v_add_nc_u32_e32 v3, v4, v3
	ds_bpermute_b32 v1, v1, v3
	s_wait_dscnt 0x0
	v_add_nc_u32_e32 v1, v1, v3
	;; [unrolled: 3-line block ×3, first 2 shown]
.LBB708_201:
	s_or_b32 exec_lo, exec_lo, s5
	s_mov_b32 s5, 0
	s_branch .LBB708_204
.LBB708_202:
                                        ; implicit-def: $vgpr1
	s_branch .LBB708_224
.LBB708_203:
	s_mov_b32 s5, -1
                                        ; implicit-def: $vgpr1
.LBB708_204:
	s_delay_alu instid0(SALU_CYCLE_1)
	s_and_b32 vcc_lo, exec_lo, s5
	s_wait_alu 0xfffe
	s_cbranch_vccz .LBB708_214
; %bb.205:
	v_mov_b32_e32 v1, 0
	s_sub_co_i32 s4, s38, s4
	s_mov_b32 s5, exec_lo
	s_delay_alu instid0(VALU_DEP_1)
	v_mov_b32_e32 v2, v1
	v_cmpx_gt_u32_e64 s4, v0
	s_cbranch_execz .LBB708_207
; %bb.206:
	v_dual_mov_b32 v3, v1 :: v_dual_lshlrev_b32 v2, 2, v0
	global_load_b32 v2, v2, s[2:3]
	s_wait_loadcnt 0x0
	v_mov_b32_e32 v1, v2
	v_mov_b32_e32 v2, v3
.LBB708_207:
	s_or_b32 exec_lo, exec_lo, s5
	v_or_b32_e32 v3, 0x100, v0
	s_delay_alu instid0(VALU_DEP_1)
	v_cmp_gt_u32_e32 vcc_lo, s4, v3
	s_and_saveexec_b32 s5, vcc_lo
	s_cbranch_execz .LBB708_209
; %bb.208:
	v_lshlrev_b32_e32 v2, 2, v0
	global_load_b32 v2, v2, s[2:3] offset:1024
.LBB708_209:
	s_wait_alu 0xfffe
	s_or_b32 exec_lo, exec_lo, s5
	v_mbcnt_lo_u32_b32 v3, -1, 0
	s_wait_loadcnt 0x0
	v_cndmask_b32_e32 v2, 0, v2, vcc_lo
	s_min_u32 s2, s4, 0x100
	s_mov_b32 s3, exec_lo
	v_cmp_ne_u32_e32 vcc_lo, 31, v3
	v_add_nc_u32_e32 v5, 1, v3
	v_add_nc_u32_e32 v1, v2, v1
	s_wait_alu 0xfffd
	v_add_co_ci_u32_e64 v4, null, 0, v3, vcc_lo
	v_cmp_gt_u32_e32 vcc_lo, 30, v3
	s_delay_alu instid0(VALU_DEP_2)
	v_lshlrev_b32_e32 v2, 2, v4
	v_and_b32_e32 v4, 0xe0, v0
	s_wait_alu 0xfffd
	v_cndmask_b32_e64 v6, 0, 2, vcc_lo
	ds_bpermute_b32 v2, v2, v1
	v_sub_nc_u32_e64 v4, s2, v4 clamp
	s_delay_alu instid0(VALU_DEP_1)
	v_cmp_lt_u32_e32 vcc_lo, v5, v4
	v_add_lshl_u32 v5, v6, v3, 2
	s_wait_dscnt 0x0
	s_wait_alu 0xfffd
	v_cndmask_b32_e32 v2, 0, v2, vcc_lo
	v_cmp_gt_u32_e32 vcc_lo, 28, v3
	s_delay_alu instid0(VALU_DEP_2) | instskip(SKIP_4) | instid1(VALU_DEP_1)
	v_add_nc_u32_e32 v1, v2, v1
	s_wait_alu 0xfffd
	v_cndmask_b32_e64 v6, 0, 4, vcc_lo
	ds_bpermute_b32 v2, v5, v1
	v_add_nc_u32_e32 v5, 2, v3
	v_cmp_lt_u32_e32 vcc_lo, v5, v4
	v_add_lshl_u32 v5, v6, v3, 2
	s_wait_dscnt 0x0
	s_wait_alu 0xfffd
	v_cndmask_b32_e32 v2, 0, v2, vcc_lo
	v_cmp_gt_u32_e32 vcc_lo, 24, v3
	s_delay_alu instid0(VALU_DEP_2) | instskip(SKIP_4) | instid1(VALU_DEP_1)
	v_add_nc_u32_e32 v1, v1, v2
	s_wait_alu 0xfffd
	v_cndmask_b32_e64 v6, 0, 8, vcc_lo
	ds_bpermute_b32 v2, v5, v1
	v_add_nc_u32_e32 v5, 4, v3
	v_cmp_lt_u32_e32 vcc_lo, v5, v4
	v_add_lshl_u32 v5, v6, v3, 2
	v_add_nc_u32_e32 v6, 8, v3
	s_wait_dscnt 0x0
	s_wait_alu 0xfffd
	v_cndmask_b32_e32 v2, 0, v2, vcc_lo
	s_delay_alu instid0(VALU_DEP_2) | instskip(NEXT) | instid1(VALU_DEP_2)
	v_cmp_lt_u32_e32 vcc_lo, v6, v4
	v_add_nc_u32_e32 v1, v1, v2
	v_lshlrev_b32_e32 v2, 2, v3
	ds_bpermute_b32 v5, v5, v1
	v_or_b32_e32 v6, 64, v2
	s_wait_dscnt 0x0
	s_wait_alu 0xfffd
	v_cndmask_b32_e32 v5, 0, v5, vcc_lo
	s_delay_alu instid0(VALU_DEP_1) | instskip(SKIP_2) | instid1(VALU_DEP_1)
	v_add_nc_u32_e32 v1, v1, v5
	ds_bpermute_b32 v5, v6, v1
	v_add_nc_u32_e32 v6, 16, v3
	v_cmp_lt_u32_e32 vcc_lo, v6, v4
	s_wait_dscnt 0x0
	s_wait_alu 0xfffd
	v_cndmask_b32_e32 v4, 0, v5, vcc_lo
	s_delay_alu instid0(VALU_DEP_1)
	v_add_nc_u32_e32 v1, v1, v4
	v_cmpx_eq_u32_e32 0, v3
; %bb.210:
	v_lshrrev_b32_e32 v4, 3, v0
	s_delay_alu instid0(VALU_DEP_1)
	v_and_b32_e32 v4, 28, v4
	ds_store_b32 v4, v1 offset:192
; %bb.211:
	s_or_b32 exec_lo, exec_lo, s3
	s_delay_alu instid0(SALU_CYCLE_1)
	s_mov_b32 s3, exec_lo
	s_wait_dscnt 0x0
	s_barrier_signal -1
	s_barrier_wait -1
	global_inv scope:SCOPE_SE
	v_cmpx_gt_u32_e32 8, v0
	s_cbranch_execz .LBB708_213
; %bb.212:
	ds_load_b32 v1, v2 offset:192
	v_and_b32_e32 v4, 7, v3
	s_add_co_i32 s2, s2, 31
	v_or_b32_e32 v2, 16, v2
	s_wait_alu 0xfffe
	s_lshr_b32 s2, s2, 5
	v_cmp_ne_u32_e32 vcc_lo, 7, v4
	v_add_nc_u32_e32 v6, 1, v4
	s_wait_alu 0xfffd
	v_add_co_ci_u32_e64 v5, null, 0, v3, vcc_lo
	v_cmp_gt_u32_e32 vcc_lo, 6, v4
	s_delay_alu instid0(VALU_DEP_2)
	v_lshlrev_b32_e32 v5, 2, v5
	s_wait_alu 0xfffd
	v_cndmask_b32_e64 v7, 0, 2, vcc_lo
	s_wait_alu 0xfffe
	v_cmp_gt_u32_e32 vcc_lo, s2, v6
	s_wait_dscnt 0x0
	ds_bpermute_b32 v5, v5, v1
	v_add_lshl_u32 v3, v7, v3, 2
	s_wait_dscnt 0x0
	s_wait_alu 0xfffd
	v_cndmask_b32_e32 v5, 0, v5, vcc_lo
	s_delay_alu instid0(VALU_DEP_1)
	v_add_nc_u32_e32 v1, v5, v1
	v_add_nc_u32_e32 v5, 2, v4
	ds_bpermute_b32 v3, v3, v1
	v_cmp_gt_u32_e32 vcc_lo, s2, v5
	s_wait_dscnt 0x0
	s_wait_alu 0xfffd
	v_cndmask_b32_e32 v3, 0, v3, vcc_lo
	s_delay_alu instid0(VALU_DEP_1)
	v_add_nc_u32_e32 v1, v1, v3
	v_add_nc_u32_e32 v3, 4, v4
	ds_bpermute_b32 v2, v2, v1
	v_cmp_gt_u32_e32 vcc_lo, s2, v3
	s_wait_dscnt 0x0
	s_wait_alu 0xfffd
	v_cndmask_b32_e32 v2, 0, v2, vcc_lo
	s_delay_alu instid0(VALU_DEP_1)
	v_add_nc_u32_e32 v1, v1, v2
.LBB708_213:
	s_wait_alu 0xfffe
	s_or_b32 exec_lo, exec_lo, s3
.LBB708_214:
	v_cmp_eq_u32_e64 s2, 0, v0
	s_branch .LBB708_224
.LBB708_215:
	s_cmp_eq_u32 s33, 1
	s_cbranch_scc0 .LBB708_223
; %bb.216:
	s_mov_b32 s3, 0
	v_mbcnt_lo_u32_b32 v2, -1, 0
	s_lshr_b64 s[4:5], s[38:39], 8
	s_mov_b32 s35, s3
	s_lshl_b32 s2, s34, 8
	s_cmp_lg_u64 s[4:5], s[34:35]
	s_cbranch_scc0 .LBB708_227
; %bb.217:
	v_lshlrev_b32_e32 v1, 2, v0
	s_lshl_b64 s[4:5], s[2:3], 2
	s_delay_alu instid0(SALU_CYCLE_1) | instskip(SKIP_4) | instid1(VALU_DEP_1)
	s_add_nc_u64 s[4:5], s[36:37], s[4:5]
	global_load_b32 v1, v1, s[4:5]
	s_mov_b32 s4, exec_lo
	s_wait_loadcnt 0x0
	v_mov_b32_dpp v3, v1 quad_perm:[1,0,3,2] row_mask:0xf bank_mask:0xf
	v_add_nc_u32_e32 v1, v3, v1
	s_delay_alu instid0(VALU_DEP_1) | instskip(NEXT) | instid1(VALU_DEP_1)
	v_mov_b32_dpp v3, v1 quad_perm:[2,3,0,1] row_mask:0xf bank_mask:0xf
	v_add_nc_u32_e32 v1, v1, v3
	s_delay_alu instid0(VALU_DEP_1) | instskip(NEXT) | instid1(VALU_DEP_1)
	v_mov_b32_dpp v3, v1 row_ror:4 row_mask:0xf bank_mask:0xf
	v_add_nc_u32_e32 v1, v1, v3
	s_delay_alu instid0(VALU_DEP_1) | instskip(NEXT) | instid1(VALU_DEP_1)
	v_mov_b32_dpp v3, v1 row_ror:8 row_mask:0xf bank_mask:0xf
	v_add_nc_u32_e32 v1, v1, v3
	ds_swizzle_b32 v3, v1 offset:swizzle(BROADCAST,32,15)
	s_wait_dscnt 0x0
	v_add_nc_u32_e32 v1, v1, v3
	v_mov_b32_e32 v3, 0
	ds_bpermute_b32 v1, v3, v1 offset:124
	v_cmpx_eq_u32_e32 0, v2
	s_cbranch_execz .LBB708_219
; %bb.218:
	v_lshrrev_b32_e32 v3, 3, v0
	s_delay_alu instid0(VALU_DEP_1)
	v_and_b32_e32 v3, 28, v3
	s_wait_dscnt 0x0
	ds_store_b32 v3, v1 offset:32
.LBB708_219:
	s_or_b32 exec_lo, exec_lo, s4
	s_delay_alu instid0(SALU_CYCLE_1)
	s_mov_b32 s4, exec_lo
	s_wait_dscnt 0x0
	s_barrier_signal -1
	s_barrier_wait -1
	global_inv scope:SCOPE_SE
	v_cmpx_gt_u32_e32 32, v0
	s_cbranch_execz .LBB708_221
; %bb.220:
	v_and_b32_e32 v1, 7, v2
	s_delay_alu instid0(VALU_DEP_1) | instskip(SKIP_4) | instid1(VALU_DEP_2)
	v_lshlrev_b32_e32 v3, 2, v1
	v_cmp_ne_u32_e32 vcc_lo, 7, v1
	ds_load_b32 v3, v3 offset:32
	v_add_co_ci_u32_e64 v4, null, 0, v2, vcc_lo
	v_cmp_gt_u32_e32 vcc_lo, 6, v1
	v_lshlrev_b32_e32 v4, 2, v4
	s_wait_alu 0xfffd
	v_cndmask_b32_e64 v1, 0, 2, vcc_lo
	s_delay_alu instid0(VALU_DEP_1)
	v_add_lshl_u32 v1, v1, v2, 2
	s_wait_dscnt 0x0
	ds_bpermute_b32 v4, v4, v3
	s_wait_dscnt 0x0
	v_add_nc_u32_e32 v3, v4, v3
	v_lshlrev_b32_e32 v4, 2, v2
	ds_bpermute_b32 v1, v1, v3
	s_wait_dscnt 0x0
	v_add_nc_u32_e32 v1, v1, v3
	v_or_b32_e32 v3, 16, v4
	ds_bpermute_b32 v3, v3, v1
	s_wait_dscnt 0x0
	v_add_nc_u32_e32 v1, v3, v1
.LBB708_221:
	s_or_b32 exec_lo, exec_lo, s4
.LBB708_222:
	v_cmp_eq_u32_e64 s2, 0, v0
	s_and_saveexec_b32 s3, s2
	s_cbranch_execnz .LBB708_225
	s_branch .LBB708_226
.LBB708_223:
                                        ; implicit-def: $vgpr1
                                        ; implicit-def: $sgpr34_sgpr35
.LBB708_224:
	s_delay_alu instid0(VALU_DEP_1)
	s_and_saveexec_b32 s3, s2
	s_cbranch_execz .LBB708_226
.LBB708_225:
	s_load_b96 s[0:2], s[0:1], 0x18
	s_lshl_b64 s[4:5], s[34:35], 2
	s_cmp_lg_u64 s[38:39], 0
	s_cselect_b32 vcc_lo, -1, 0
	s_wait_alu 0xfffe
	v_dual_cndmask_b32 v0, 0, v1 :: v_dual_mov_b32 v1, 0
	s_wait_kmcnt 0x0
	s_delay_alu instid0(VALU_DEP_1)
	v_add_nc_u32_e32 v0, s2, v0
	s_add_nc_u64 s[0:1], s[0:1], s[4:5]
	global_store_b32 v1, v0, s[0:1]
.LBB708_226:
	s_endpgm
.LBB708_227:
                                        ; implicit-def: $vgpr1
	s_cbranch_execz .LBB708_222
; %bb.228:
	s_sub_co_i32 s4, s38, s2
	s_mov_b32 s5, exec_lo
                                        ; implicit-def: $vgpr1
	v_cmpx_gt_u32_e64 s4, v0
	s_cbranch_execz .LBB708_230
; %bb.229:
	v_lshlrev_b32_e32 v1, 2, v0
	s_lshl_b64 s[2:3], s[2:3], 2
	s_delay_alu instid0(SALU_CYCLE_1)
	s_add_nc_u64 s[2:3], s[36:37], s[2:3]
	global_load_b32 v1, v1, s[2:3]
.LBB708_230:
	s_or_b32 exec_lo, exec_lo, s5
	v_cmp_ne_u32_e32 vcc_lo, 31, v2
	s_min_u32 s2, s4, 0x100
	v_add_nc_u32_e32 v5, 1, v2
	s_mov_b32 s3, exec_lo
	v_add_co_ci_u32_e64 v3, null, 0, v2, vcc_lo
	v_cmp_gt_u32_e32 vcc_lo, 30, v2
	s_delay_alu instid0(VALU_DEP_2)
	v_lshlrev_b32_e32 v3, 2, v3
	s_wait_alu 0xfffd
	v_cndmask_b32_e64 v6, 0, 2, vcc_lo
	s_wait_loadcnt 0x0
	ds_bpermute_b32 v3, v3, v1
	v_and_b32_e32 v4, 0xe0, v0
	s_delay_alu instid0(VALU_DEP_1) | instskip(NEXT) | instid1(VALU_DEP_1)
	v_sub_nc_u32_e64 v4, s2, v4 clamp
	v_cmp_lt_u32_e32 vcc_lo, v5, v4
	v_add_lshl_u32 v5, v6, v2, 2
	s_wait_dscnt 0x0
	s_wait_alu 0xfffd
	v_cndmask_b32_e32 v3, 0, v3, vcc_lo
	v_cmp_gt_u32_e32 vcc_lo, 28, v2
	s_delay_alu instid0(VALU_DEP_2) | instskip(SKIP_4) | instid1(VALU_DEP_1)
	v_add_nc_u32_e32 v1, v3, v1
	s_wait_alu 0xfffd
	v_cndmask_b32_e64 v6, 0, 4, vcc_lo
	ds_bpermute_b32 v3, v5, v1
	v_add_nc_u32_e32 v5, 2, v2
	v_cmp_lt_u32_e32 vcc_lo, v5, v4
	v_add_lshl_u32 v5, v6, v2, 2
	s_wait_dscnt 0x0
	s_wait_alu 0xfffd
	v_cndmask_b32_e32 v3, 0, v3, vcc_lo
	v_cmp_gt_u32_e32 vcc_lo, 24, v2
	s_delay_alu instid0(VALU_DEP_2) | instskip(SKIP_4) | instid1(VALU_DEP_1)
	v_add_nc_u32_e32 v1, v1, v3
	s_wait_alu 0xfffd
	v_cndmask_b32_e64 v6, 0, 8, vcc_lo
	ds_bpermute_b32 v3, v5, v1
	v_add_nc_u32_e32 v5, 4, v2
	v_cmp_lt_u32_e32 vcc_lo, v5, v4
	v_add_lshl_u32 v5, v6, v2, 2
	s_wait_dscnt 0x0
	s_wait_alu 0xfffd
	v_dual_cndmask_b32 v3, 0, v3 :: v_dual_add_nc_u32 v6, 8, v2
	s_delay_alu instid0(VALU_DEP_1) | instskip(NEXT) | instid1(VALU_DEP_2)
	v_cmp_lt_u32_e32 vcc_lo, v6, v4
	v_add_nc_u32_e32 v1, v1, v3
	v_lshlrev_b32_e32 v3, 2, v2
	ds_bpermute_b32 v5, v5, v1
	v_or_b32_e32 v6, 64, v3
	s_wait_dscnt 0x0
	s_wait_alu 0xfffd
	v_cndmask_b32_e32 v5, 0, v5, vcc_lo
	s_delay_alu instid0(VALU_DEP_1) | instskip(SKIP_2) | instid1(VALU_DEP_1)
	v_add_nc_u32_e32 v1, v1, v5
	ds_bpermute_b32 v5, v6, v1
	v_add_nc_u32_e32 v6, 16, v2
	v_cmp_lt_u32_e32 vcc_lo, v6, v4
	s_wait_dscnt 0x0
	s_wait_alu 0xfffd
	v_cndmask_b32_e32 v4, 0, v5, vcc_lo
	s_delay_alu instid0(VALU_DEP_1)
	v_add_nc_u32_e32 v1, v1, v4
	v_cmpx_eq_u32_e32 0, v2
; %bb.231:
	v_lshrrev_b32_e32 v4, 3, v0
	s_delay_alu instid0(VALU_DEP_1)
	v_and_b32_e32 v4, 28, v4
	ds_store_b32 v4, v1 offset:192
; %bb.232:
	s_or_b32 exec_lo, exec_lo, s3
	s_delay_alu instid0(SALU_CYCLE_1)
	s_mov_b32 s3, exec_lo
	s_wait_dscnt 0x0
	s_barrier_signal -1
	s_barrier_wait -1
	global_inv scope:SCOPE_SE
	v_cmpx_gt_u32_e32 8, v0
	s_cbranch_execz .LBB708_234
; %bb.233:
	ds_load_b32 v1, v3 offset:192
	v_and_b32_e32 v4, 7, v2
	s_add_co_i32 s2, s2, 31
	s_wait_alu 0xfffe
	s_lshr_b32 s2, s2, 5
	s_delay_alu instid0(VALU_DEP_1) | instskip(SKIP_4) | instid1(VALU_DEP_2)
	v_cmp_ne_u32_e32 vcc_lo, 7, v4
	v_add_nc_u32_e32 v6, 1, v4
	s_wait_alu 0xfffd
	v_add_co_ci_u32_e64 v5, null, 0, v2, vcc_lo
	v_cmp_gt_u32_e32 vcc_lo, 6, v4
	v_lshlrev_b32_e32 v5, 2, v5
	s_wait_alu 0xfffd
	v_cndmask_b32_e64 v7, 0, 2, vcc_lo
	s_wait_alu 0xfffe
	v_cmp_gt_u32_e32 vcc_lo, s2, v6
	s_wait_dscnt 0x0
	ds_bpermute_b32 v5, v5, v1
	v_add_lshl_u32 v2, v7, v2, 2
	s_wait_dscnt 0x0
	s_wait_alu 0xfffd
	v_cndmask_b32_e32 v5, 0, v5, vcc_lo
	s_delay_alu instid0(VALU_DEP_1)
	v_add_nc_u32_e32 v1, v5, v1
	v_add_nc_u32_e32 v5, 2, v4
	ds_bpermute_b32 v2, v2, v1
	v_cmp_gt_u32_e32 vcc_lo, s2, v5
	s_wait_dscnt 0x0
	s_wait_alu 0xfffd
	v_cndmask_b32_e32 v2, 0, v2, vcc_lo
	s_delay_alu instid0(VALU_DEP_1)
	v_add_nc_u32_e32 v1, v1, v2
	v_or_b32_e32 v2, 16, v3
	v_add_nc_u32_e32 v3, 4, v4
	ds_bpermute_b32 v2, v2, v1
	v_cmp_gt_u32_e32 vcc_lo, s2, v3
	s_wait_dscnt 0x0
	s_wait_alu 0xfffd
	v_cndmask_b32_e32 v2, 0, v2, vcc_lo
	s_delay_alu instid0(VALU_DEP_1)
	v_add_nc_u32_e32 v1, v1, v2
.LBB708_234:
	s_wait_alu 0xfffe
	s_or_b32 exec_lo, exec_lo, s3
	v_cmp_eq_u32_e64 s2, 0, v0
	s_and_saveexec_b32 s3, s2
	s_cbranch_execnz .LBB708_225
	s_branch .LBB708_226
	.section	.rodata,"a",@progbits
	.p2align	6, 0x0
	.amdhsa_kernel _ZN7rocprim17ROCPRIM_400000_NS6detail17trampoline_kernelINS0_14default_configENS1_22reduce_config_selectorIiEEZNS1_11reduce_implILb1ES3_PiS7_iN6hipcub16HIPCUB_304000_NS6detail34convert_binary_result_type_wrapperINS9_3SumENS9_22TransformInputIteratorIbN2at6native12_GLOBAL__N_19NonZeroOpIbEEPKblEEiEEEE10hipError_tPvRmT1_T2_T3_mT4_P12ihipStream_tbEUlT_E1_NS1_11comp_targetILNS1_3genE10ELNS1_11target_archE1201ELNS1_3gpuE5ELNS1_3repE0EEENS1_30default_config_static_selectorELNS0_4arch9wavefront6targetE0EEEvSQ_
		.amdhsa_group_segment_fixed_size 224
		.amdhsa_private_segment_fixed_size 0
		.amdhsa_kernarg_size 40
		.amdhsa_user_sgpr_count 2
		.amdhsa_user_sgpr_dispatch_ptr 0
		.amdhsa_user_sgpr_queue_ptr 0
		.amdhsa_user_sgpr_kernarg_segment_ptr 1
		.amdhsa_user_sgpr_dispatch_id 0
		.amdhsa_user_sgpr_private_segment_size 0
		.amdhsa_wavefront_size32 1
		.amdhsa_uses_dynamic_stack 0
		.amdhsa_enable_private_segment 0
		.amdhsa_system_sgpr_workgroup_id_x 1
		.amdhsa_system_sgpr_workgroup_id_y 0
		.amdhsa_system_sgpr_workgroup_id_z 0
		.amdhsa_system_sgpr_workgroup_info 0
		.amdhsa_system_vgpr_workitem_id 0
		.amdhsa_next_free_vgpr 34
		.amdhsa_next_free_sgpr 45
		.amdhsa_reserve_vcc 1
		.amdhsa_float_round_mode_32 0
		.amdhsa_float_round_mode_16_64 0
		.amdhsa_float_denorm_mode_32 3
		.amdhsa_float_denorm_mode_16_64 3
		.amdhsa_fp16_overflow 0
		.amdhsa_workgroup_processor_mode 1
		.amdhsa_memory_ordered 1
		.amdhsa_forward_progress 1
		.amdhsa_inst_pref_size 93
		.amdhsa_round_robin_scheduling 0
		.amdhsa_exception_fp_ieee_invalid_op 0
		.amdhsa_exception_fp_denorm_src 0
		.amdhsa_exception_fp_ieee_div_zero 0
		.amdhsa_exception_fp_ieee_overflow 0
		.amdhsa_exception_fp_ieee_underflow 0
		.amdhsa_exception_fp_ieee_inexact 0
		.amdhsa_exception_int_div_zero 0
	.end_amdhsa_kernel
	.section	.text._ZN7rocprim17ROCPRIM_400000_NS6detail17trampoline_kernelINS0_14default_configENS1_22reduce_config_selectorIiEEZNS1_11reduce_implILb1ES3_PiS7_iN6hipcub16HIPCUB_304000_NS6detail34convert_binary_result_type_wrapperINS9_3SumENS9_22TransformInputIteratorIbN2at6native12_GLOBAL__N_19NonZeroOpIbEEPKblEEiEEEE10hipError_tPvRmT1_T2_T3_mT4_P12ihipStream_tbEUlT_E1_NS1_11comp_targetILNS1_3genE10ELNS1_11target_archE1201ELNS1_3gpuE5ELNS1_3repE0EEENS1_30default_config_static_selectorELNS0_4arch9wavefront6targetE0EEEvSQ_,"axG",@progbits,_ZN7rocprim17ROCPRIM_400000_NS6detail17trampoline_kernelINS0_14default_configENS1_22reduce_config_selectorIiEEZNS1_11reduce_implILb1ES3_PiS7_iN6hipcub16HIPCUB_304000_NS6detail34convert_binary_result_type_wrapperINS9_3SumENS9_22TransformInputIteratorIbN2at6native12_GLOBAL__N_19NonZeroOpIbEEPKblEEiEEEE10hipError_tPvRmT1_T2_T3_mT4_P12ihipStream_tbEUlT_E1_NS1_11comp_targetILNS1_3genE10ELNS1_11target_archE1201ELNS1_3gpuE5ELNS1_3repE0EEENS1_30default_config_static_selectorELNS0_4arch9wavefront6targetE0EEEvSQ_,comdat
.Lfunc_end708:
	.size	_ZN7rocprim17ROCPRIM_400000_NS6detail17trampoline_kernelINS0_14default_configENS1_22reduce_config_selectorIiEEZNS1_11reduce_implILb1ES3_PiS7_iN6hipcub16HIPCUB_304000_NS6detail34convert_binary_result_type_wrapperINS9_3SumENS9_22TransformInputIteratorIbN2at6native12_GLOBAL__N_19NonZeroOpIbEEPKblEEiEEEE10hipError_tPvRmT1_T2_T3_mT4_P12ihipStream_tbEUlT_E1_NS1_11comp_targetILNS1_3genE10ELNS1_11target_archE1201ELNS1_3gpuE5ELNS1_3repE0EEENS1_30default_config_static_selectorELNS0_4arch9wavefront6targetE0EEEvSQ_, .Lfunc_end708-_ZN7rocprim17ROCPRIM_400000_NS6detail17trampoline_kernelINS0_14default_configENS1_22reduce_config_selectorIiEEZNS1_11reduce_implILb1ES3_PiS7_iN6hipcub16HIPCUB_304000_NS6detail34convert_binary_result_type_wrapperINS9_3SumENS9_22TransformInputIteratorIbN2at6native12_GLOBAL__N_19NonZeroOpIbEEPKblEEiEEEE10hipError_tPvRmT1_T2_T3_mT4_P12ihipStream_tbEUlT_E1_NS1_11comp_targetILNS1_3genE10ELNS1_11target_archE1201ELNS1_3gpuE5ELNS1_3repE0EEENS1_30default_config_static_selectorELNS0_4arch9wavefront6targetE0EEEvSQ_
                                        ; -- End function
	.set _ZN7rocprim17ROCPRIM_400000_NS6detail17trampoline_kernelINS0_14default_configENS1_22reduce_config_selectorIiEEZNS1_11reduce_implILb1ES3_PiS7_iN6hipcub16HIPCUB_304000_NS6detail34convert_binary_result_type_wrapperINS9_3SumENS9_22TransformInputIteratorIbN2at6native12_GLOBAL__N_19NonZeroOpIbEEPKblEEiEEEE10hipError_tPvRmT1_T2_T3_mT4_P12ihipStream_tbEUlT_E1_NS1_11comp_targetILNS1_3genE10ELNS1_11target_archE1201ELNS1_3gpuE5ELNS1_3repE0EEENS1_30default_config_static_selectorELNS0_4arch9wavefront6targetE0EEEvSQ_.num_vgpr, 34
	.set _ZN7rocprim17ROCPRIM_400000_NS6detail17trampoline_kernelINS0_14default_configENS1_22reduce_config_selectorIiEEZNS1_11reduce_implILb1ES3_PiS7_iN6hipcub16HIPCUB_304000_NS6detail34convert_binary_result_type_wrapperINS9_3SumENS9_22TransformInputIteratorIbN2at6native12_GLOBAL__N_19NonZeroOpIbEEPKblEEiEEEE10hipError_tPvRmT1_T2_T3_mT4_P12ihipStream_tbEUlT_E1_NS1_11comp_targetILNS1_3genE10ELNS1_11target_archE1201ELNS1_3gpuE5ELNS1_3repE0EEENS1_30default_config_static_selectorELNS0_4arch9wavefront6targetE0EEEvSQ_.num_agpr, 0
	.set _ZN7rocprim17ROCPRIM_400000_NS6detail17trampoline_kernelINS0_14default_configENS1_22reduce_config_selectorIiEEZNS1_11reduce_implILb1ES3_PiS7_iN6hipcub16HIPCUB_304000_NS6detail34convert_binary_result_type_wrapperINS9_3SumENS9_22TransformInputIteratorIbN2at6native12_GLOBAL__N_19NonZeroOpIbEEPKblEEiEEEE10hipError_tPvRmT1_T2_T3_mT4_P12ihipStream_tbEUlT_E1_NS1_11comp_targetILNS1_3genE10ELNS1_11target_archE1201ELNS1_3gpuE5ELNS1_3repE0EEENS1_30default_config_static_selectorELNS0_4arch9wavefront6targetE0EEEvSQ_.numbered_sgpr, 45
	.set _ZN7rocprim17ROCPRIM_400000_NS6detail17trampoline_kernelINS0_14default_configENS1_22reduce_config_selectorIiEEZNS1_11reduce_implILb1ES3_PiS7_iN6hipcub16HIPCUB_304000_NS6detail34convert_binary_result_type_wrapperINS9_3SumENS9_22TransformInputIteratorIbN2at6native12_GLOBAL__N_19NonZeroOpIbEEPKblEEiEEEE10hipError_tPvRmT1_T2_T3_mT4_P12ihipStream_tbEUlT_E1_NS1_11comp_targetILNS1_3genE10ELNS1_11target_archE1201ELNS1_3gpuE5ELNS1_3repE0EEENS1_30default_config_static_selectorELNS0_4arch9wavefront6targetE0EEEvSQ_.num_named_barrier, 0
	.set _ZN7rocprim17ROCPRIM_400000_NS6detail17trampoline_kernelINS0_14default_configENS1_22reduce_config_selectorIiEEZNS1_11reduce_implILb1ES3_PiS7_iN6hipcub16HIPCUB_304000_NS6detail34convert_binary_result_type_wrapperINS9_3SumENS9_22TransformInputIteratorIbN2at6native12_GLOBAL__N_19NonZeroOpIbEEPKblEEiEEEE10hipError_tPvRmT1_T2_T3_mT4_P12ihipStream_tbEUlT_E1_NS1_11comp_targetILNS1_3genE10ELNS1_11target_archE1201ELNS1_3gpuE5ELNS1_3repE0EEENS1_30default_config_static_selectorELNS0_4arch9wavefront6targetE0EEEvSQ_.private_seg_size, 0
	.set _ZN7rocprim17ROCPRIM_400000_NS6detail17trampoline_kernelINS0_14default_configENS1_22reduce_config_selectorIiEEZNS1_11reduce_implILb1ES3_PiS7_iN6hipcub16HIPCUB_304000_NS6detail34convert_binary_result_type_wrapperINS9_3SumENS9_22TransformInputIteratorIbN2at6native12_GLOBAL__N_19NonZeroOpIbEEPKblEEiEEEE10hipError_tPvRmT1_T2_T3_mT4_P12ihipStream_tbEUlT_E1_NS1_11comp_targetILNS1_3genE10ELNS1_11target_archE1201ELNS1_3gpuE5ELNS1_3repE0EEENS1_30default_config_static_selectorELNS0_4arch9wavefront6targetE0EEEvSQ_.uses_vcc, 1
	.set _ZN7rocprim17ROCPRIM_400000_NS6detail17trampoline_kernelINS0_14default_configENS1_22reduce_config_selectorIiEEZNS1_11reduce_implILb1ES3_PiS7_iN6hipcub16HIPCUB_304000_NS6detail34convert_binary_result_type_wrapperINS9_3SumENS9_22TransformInputIteratorIbN2at6native12_GLOBAL__N_19NonZeroOpIbEEPKblEEiEEEE10hipError_tPvRmT1_T2_T3_mT4_P12ihipStream_tbEUlT_E1_NS1_11comp_targetILNS1_3genE10ELNS1_11target_archE1201ELNS1_3gpuE5ELNS1_3repE0EEENS1_30default_config_static_selectorELNS0_4arch9wavefront6targetE0EEEvSQ_.uses_flat_scratch, 0
	.set _ZN7rocprim17ROCPRIM_400000_NS6detail17trampoline_kernelINS0_14default_configENS1_22reduce_config_selectorIiEEZNS1_11reduce_implILb1ES3_PiS7_iN6hipcub16HIPCUB_304000_NS6detail34convert_binary_result_type_wrapperINS9_3SumENS9_22TransformInputIteratorIbN2at6native12_GLOBAL__N_19NonZeroOpIbEEPKblEEiEEEE10hipError_tPvRmT1_T2_T3_mT4_P12ihipStream_tbEUlT_E1_NS1_11comp_targetILNS1_3genE10ELNS1_11target_archE1201ELNS1_3gpuE5ELNS1_3repE0EEENS1_30default_config_static_selectorELNS0_4arch9wavefront6targetE0EEEvSQ_.has_dyn_sized_stack, 0
	.set _ZN7rocprim17ROCPRIM_400000_NS6detail17trampoline_kernelINS0_14default_configENS1_22reduce_config_selectorIiEEZNS1_11reduce_implILb1ES3_PiS7_iN6hipcub16HIPCUB_304000_NS6detail34convert_binary_result_type_wrapperINS9_3SumENS9_22TransformInputIteratorIbN2at6native12_GLOBAL__N_19NonZeroOpIbEEPKblEEiEEEE10hipError_tPvRmT1_T2_T3_mT4_P12ihipStream_tbEUlT_E1_NS1_11comp_targetILNS1_3genE10ELNS1_11target_archE1201ELNS1_3gpuE5ELNS1_3repE0EEENS1_30default_config_static_selectorELNS0_4arch9wavefront6targetE0EEEvSQ_.has_recursion, 0
	.set _ZN7rocprim17ROCPRIM_400000_NS6detail17trampoline_kernelINS0_14default_configENS1_22reduce_config_selectorIiEEZNS1_11reduce_implILb1ES3_PiS7_iN6hipcub16HIPCUB_304000_NS6detail34convert_binary_result_type_wrapperINS9_3SumENS9_22TransformInputIteratorIbN2at6native12_GLOBAL__N_19NonZeroOpIbEEPKblEEiEEEE10hipError_tPvRmT1_T2_T3_mT4_P12ihipStream_tbEUlT_E1_NS1_11comp_targetILNS1_3genE10ELNS1_11target_archE1201ELNS1_3gpuE5ELNS1_3repE0EEENS1_30default_config_static_selectorELNS0_4arch9wavefront6targetE0EEEvSQ_.has_indirect_call, 0
	.section	.AMDGPU.csdata,"",@progbits
; Kernel info:
; codeLenInByte = 11904
; TotalNumSgprs: 47
; NumVgprs: 34
; ScratchSize: 0
; MemoryBound: 0
; FloatMode: 240
; IeeeMode: 1
; LDSByteSize: 224 bytes/workgroup (compile time only)
; SGPRBlocks: 0
; VGPRBlocks: 4
; NumSGPRsForWavesPerEU: 47
; NumVGPRsForWavesPerEU: 34
; Occupancy: 16
; WaveLimiterHint : 1
; COMPUTE_PGM_RSRC2:SCRATCH_EN: 0
; COMPUTE_PGM_RSRC2:USER_SGPR: 2
; COMPUTE_PGM_RSRC2:TRAP_HANDLER: 0
; COMPUTE_PGM_RSRC2:TGID_X_EN: 1
; COMPUTE_PGM_RSRC2:TGID_Y_EN: 0
; COMPUTE_PGM_RSRC2:TGID_Z_EN: 0
; COMPUTE_PGM_RSRC2:TIDIG_COMP_CNT: 0
	.section	.text._ZN7rocprim17ROCPRIM_400000_NS6detail17trampoline_kernelINS0_14default_configENS1_22reduce_config_selectorIiEEZNS1_11reduce_implILb1ES3_PiS7_iN6hipcub16HIPCUB_304000_NS6detail34convert_binary_result_type_wrapperINS9_3SumENS9_22TransformInputIteratorIbN2at6native12_GLOBAL__N_19NonZeroOpIbEEPKblEEiEEEE10hipError_tPvRmT1_T2_T3_mT4_P12ihipStream_tbEUlT_E1_NS1_11comp_targetILNS1_3genE10ELNS1_11target_archE1200ELNS1_3gpuE4ELNS1_3repE0EEENS1_30default_config_static_selectorELNS0_4arch9wavefront6targetE0EEEvSQ_,"axG",@progbits,_ZN7rocprim17ROCPRIM_400000_NS6detail17trampoline_kernelINS0_14default_configENS1_22reduce_config_selectorIiEEZNS1_11reduce_implILb1ES3_PiS7_iN6hipcub16HIPCUB_304000_NS6detail34convert_binary_result_type_wrapperINS9_3SumENS9_22TransformInputIteratorIbN2at6native12_GLOBAL__N_19NonZeroOpIbEEPKblEEiEEEE10hipError_tPvRmT1_T2_T3_mT4_P12ihipStream_tbEUlT_E1_NS1_11comp_targetILNS1_3genE10ELNS1_11target_archE1200ELNS1_3gpuE4ELNS1_3repE0EEENS1_30default_config_static_selectorELNS0_4arch9wavefront6targetE0EEEvSQ_,comdat
	.globl	_ZN7rocprim17ROCPRIM_400000_NS6detail17trampoline_kernelINS0_14default_configENS1_22reduce_config_selectorIiEEZNS1_11reduce_implILb1ES3_PiS7_iN6hipcub16HIPCUB_304000_NS6detail34convert_binary_result_type_wrapperINS9_3SumENS9_22TransformInputIteratorIbN2at6native12_GLOBAL__N_19NonZeroOpIbEEPKblEEiEEEE10hipError_tPvRmT1_T2_T3_mT4_P12ihipStream_tbEUlT_E1_NS1_11comp_targetILNS1_3genE10ELNS1_11target_archE1200ELNS1_3gpuE4ELNS1_3repE0EEENS1_30default_config_static_selectorELNS0_4arch9wavefront6targetE0EEEvSQ_ ; -- Begin function _ZN7rocprim17ROCPRIM_400000_NS6detail17trampoline_kernelINS0_14default_configENS1_22reduce_config_selectorIiEEZNS1_11reduce_implILb1ES3_PiS7_iN6hipcub16HIPCUB_304000_NS6detail34convert_binary_result_type_wrapperINS9_3SumENS9_22TransformInputIteratorIbN2at6native12_GLOBAL__N_19NonZeroOpIbEEPKblEEiEEEE10hipError_tPvRmT1_T2_T3_mT4_P12ihipStream_tbEUlT_E1_NS1_11comp_targetILNS1_3genE10ELNS1_11target_archE1200ELNS1_3gpuE4ELNS1_3repE0EEENS1_30default_config_static_selectorELNS0_4arch9wavefront6targetE0EEEvSQ_
	.p2align	8
	.type	_ZN7rocprim17ROCPRIM_400000_NS6detail17trampoline_kernelINS0_14default_configENS1_22reduce_config_selectorIiEEZNS1_11reduce_implILb1ES3_PiS7_iN6hipcub16HIPCUB_304000_NS6detail34convert_binary_result_type_wrapperINS9_3SumENS9_22TransformInputIteratorIbN2at6native12_GLOBAL__N_19NonZeroOpIbEEPKblEEiEEEE10hipError_tPvRmT1_T2_T3_mT4_P12ihipStream_tbEUlT_E1_NS1_11comp_targetILNS1_3genE10ELNS1_11target_archE1200ELNS1_3gpuE4ELNS1_3repE0EEENS1_30default_config_static_selectorELNS0_4arch9wavefront6targetE0EEEvSQ_,@function
_ZN7rocprim17ROCPRIM_400000_NS6detail17trampoline_kernelINS0_14default_configENS1_22reduce_config_selectorIiEEZNS1_11reduce_implILb1ES3_PiS7_iN6hipcub16HIPCUB_304000_NS6detail34convert_binary_result_type_wrapperINS9_3SumENS9_22TransformInputIteratorIbN2at6native12_GLOBAL__N_19NonZeroOpIbEEPKblEEiEEEE10hipError_tPvRmT1_T2_T3_mT4_P12ihipStream_tbEUlT_E1_NS1_11comp_targetILNS1_3genE10ELNS1_11target_archE1200ELNS1_3gpuE4ELNS1_3repE0EEENS1_30default_config_static_selectorELNS0_4arch9wavefront6targetE0EEEvSQ_: ; @_ZN7rocprim17ROCPRIM_400000_NS6detail17trampoline_kernelINS0_14default_configENS1_22reduce_config_selectorIiEEZNS1_11reduce_implILb1ES3_PiS7_iN6hipcub16HIPCUB_304000_NS6detail34convert_binary_result_type_wrapperINS9_3SumENS9_22TransformInputIteratorIbN2at6native12_GLOBAL__N_19NonZeroOpIbEEPKblEEiEEEE10hipError_tPvRmT1_T2_T3_mT4_P12ihipStream_tbEUlT_E1_NS1_11comp_targetILNS1_3genE10ELNS1_11target_archE1200ELNS1_3gpuE4ELNS1_3repE0EEENS1_30default_config_static_selectorELNS0_4arch9wavefront6targetE0EEEvSQ_
; %bb.0:
	.section	.rodata,"a",@progbits
	.p2align	6, 0x0
	.amdhsa_kernel _ZN7rocprim17ROCPRIM_400000_NS6detail17trampoline_kernelINS0_14default_configENS1_22reduce_config_selectorIiEEZNS1_11reduce_implILb1ES3_PiS7_iN6hipcub16HIPCUB_304000_NS6detail34convert_binary_result_type_wrapperINS9_3SumENS9_22TransformInputIteratorIbN2at6native12_GLOBAL__N_19NonZeroOpIbEEPKblEEiEEEE10hipError_tPvRmT1_T2_T3_mT4_P12ihipStream_tbEUlT_E1_NS1_11comp_targetILNS1_3genE10ELNS1_11target_archE1200ELNS1_3gpuE4ELNS1_3repE0EEENS1_30default_config_static_selectorELNS0_4arch9wavefront6targetE0EEEvSQ_
		.amdhsa_group_segment_fixed_size 0
		.amdhsa_private_segment_fixed_size 0
		.amdhsa_kernarg_size 40
		.amdhsa_user_sgpr_count 2
		.amdhsa_user_sgpr_dispatch_ptr 0
		.amdhsa_user_sgpr_queue_ptr 0
		.amdhsa_user_sgpr_kernarg_segment_ptr 1
		.amdhsa_user_sgpr_dispatch_id 0
		.amdhsa_user_sgpr_private_segment_size 0
		.amdhsa_wavefront_size32 1
		.amdhsa_uses_dynamic_stack 0
		.amdhsa_enable_private_segment 0
		.amdhsa_system_sgpr_workgroup_id_x 1
		.amdhsa_system_sgpr_workgroup_id_y 0
		.amdhsa_system_sgpr_workgroup_id_z 0
		.amdhsa_system_sgpr_workgroup_info 0
		.amdhsa_system_vgpr_workitem_id 0
		.amdhsa_next_free_vgpr 1
		.amdhsa_next_free_sgpr 1
		.amdhsa_reserve_vcc 0
		.amdhsa_float_round_mode_32 0
		.amdhsa_float_round_mode_16_64 0
		.amdhsa_float_denorm_mode_32 3
		.amdhsa_float_denorm_mode_16_64 3
		.amdhsa_fp16_overflow 0
		.amdhsa_workgroup_processor_mode 1
		.amdhsa_memory_ordered 1
		.amdhsa_forward_progress 1
		.amdhsa_inst_pref_size 0
		.amdhsa_round_robin_scheduling 0
		.amdhsa_exception_fp_ieee_invalid_op 0
		.amdhsa_exception_fp_denorm_src 0
		.amdhsa_exception_fp_ieee_div_zero 0
		.amdhsa_exception_fp_ieee_overflow 0
		.amdhsa_exception_fp_ieee_underflow 0
		.amdhsa_exception_fp_ieee_inexact 0
		.amdhsa_exception_int_div_zero 0
	.end_amdhsa_kernel
	.section	.text._ZN7rocprim17ROCPRIM_400000_NS6detail17trampoline_kernelINS0_14default_configENS1_22reduce_config_selectorIiEEZNS1_11reduce_implILb1ES3_PiS7_iN6hipcub16HIPCUB_304000_NS6detail34convert_binary_result_type_wrapperINS9_3SumENS9_22TransformInputIteratorIbN2at6native12_GLOBAL__N_19NonZeroOpIbEEPKblEEiEEEE10hipError_tPvRmT1_T2_T3_mT4_P12ihipStream_tbEUlT_E1_NS1_11comp_targetILNS1_3genE10ELNS1_11target_archE1200ELNS1_3gpuE4ELNS1_3repE0EEENS1_30default_config_static_selectorELNS0_4arch9wavefront6targetE0EEEvSQ_,"axG",@progbits,_ZN7rocprim17ROCPRIM_400000_NS6detail17trampoline_kernelINS0_14default_configENS1_22reduce_config_selectorIiEEZNS1_11reduce_implILb1ES3_PiS7_iN6hipcub16HIPCUB_304000_NS6detail34convert_binary_result_type_wrapperINS9_3SumENS9_22TransformInputIteratorIbN2at6native12_GLOBAL__N_19NonZeroOpIbEEPKblEEiEEEE10hipError_tPvRmT1_T2_T3_mT4_P12ihipStream_tbEUlT_E1_NS1_11comp_targetILNS1_3genE10ELNS1_11target_archE1200ELNS1_3gpuE4ELNS1_3repE0EEENS1_30default_config_static_selectorELNS0_4arch9wavefront6targetE0EEEvSQ_,comdat
.Lfunc_end709:
	.size	_ZN7rocprim17ROCPRIM_400000_NS6detail17trampoline_kernelINS0_14default_configENS1_22reduce_config_selectorIiEEZNS1_11reduce_implILb1ES3_PiS7_iN6hipcub16HIPCUB_304000_NS6detail34convert_binary_result_type_wrapperINS9_3SumENS9_22TransformInputIteratorIbN2at6native12_GLOBAL__N_19NonZeroOpIbEEPKblEEiEEEE10hipError_tPvRmT1_T2_T3_mT4_P12ihipStream_tbEUlT_E1_NS1_11comp_targetILNS1_3genE10ELNS1_11target_archE1200ELNS1_3gpuE4ELNS1_3repE0EEENS1_30default_config_static_selectorELNS0_4arch9wavefront6targetE0EEEvSQ_, .Lfunc_end709-_ZN7rocprim17ROCPRIM_400000_NS6detail17trampoline_kernelINS0_14default_configENS1_22reduce_config_selectorIiEEZNS1_11reduce_implILb1ES3_PiS7_iN6hipcub16HIPCUB_304000_NS6detail34convert_binary_result_type_wrapperINS9_3SumENS9_22TransformInputIteratorIbN2at6native12_GLOBAL__N_19NonZeroOpIbEEPKblEEiEEEE10hipError_tPvRmT1_T2_T3_mT4_P12ihipStream_tbEUlT_E1_NS1_11comp_targetILNS1_3genE10ELNS1_11target_archE1200ELNS1_3gpuE4ELNS1_3repE0EEENS1_30default_config_static_selectorELNS0_4arch9wavefront6targetE0EEEvSQ_
                                        ; -- End function
	.set _ZN7rocprim17ROCPRIM_400000_NS6detail17trampoline_kernelINS0_14default_configENS1_22reduce_config_selectorIiEEZNS1_11reduce_implILb1ES3_PiS7_iN6hipcub16HIPCUB_304000_NS6detail34convert_binary_result_type_wrapperINS9_3SumENS9_22TransformInputIteratorIbN2at6native12_GLOBAL__N_19NonZeroOpIbEEPKblEEiEEEE10hipError_tPvRmT1_T2_T3_mT4_P12ihipStream_tbEUlT_E1_NS1_11comp_targetILNS1_3genE10ELNS1_11target_archE1200ELNS1_3gpuE4ELNS1_3repE0EEENS1_30default_config_static_selectorELNS0_4arch9wavefront6targetE0EEEvSQ_.num_vgpr, 0
	.set _ZN7rocprim17ROCPRIM_400000_NS6detail17trampoline_kernelINS0_14default_configENS1_22reduce_config_selectorIiEEZNS1_11reduce_implILb1ES3_PiS7_iN6hipcub16HIPCUB_304000_NS6detail34convert_binary_result_type_wrapperINS9_3SumENS9_22TransformInputIteratorIbN2at6native12_GLOBAL__N_19NonZeroOpIbEEPKblEEiEEEE10hipError_tPvRmT1_T2_T3_mT4_P12ihipStream_tbEUlT_E1_NS1_11comp_targetILNS1_3genE10ELNS1_11target_archE1200ELNS1_3gpuE4ELNS1_3repE0EEENS1_30default_config_static_selectorELNS0_4arch9wavefront6targetE0EEEvSQ_.num_agpr, 0
	.set _ZN7rocprim17ROCPRIM_400000_NS6detail17trampoline_kernelINS0_14default_configENS1_22reduce_config_selectorIiEEZNS1_11reduce_implILb1ES3_PiS7_iN6hipcub16HIPCUB_304000_NS6detail34convert_binary_result_type_wrapperINS9_3SumENS9_22TransformInputIteratorIbN2at6native12_GLOBAL__N_19NonZeroOpIbEEPKblEEiEEEE10hipError_tPvRmT1_T2_T3_mT4_P12ihipStream_tbEUlT_E1_NS1_11comp_targetILNS1_3genE10ELNS1_11target_archE1200ELNS1_3gpuE4ELNS1_3repE0EEENS1_30default_config_static_selectorELNS0_4arch9wavefront6targetE0EEEvSQ_.numbered_sgpr, 0
	.set _ZN7rocprim17ROCPRIM_400000_NS6detail17trampoline_kernelINS0_14default_configENS1_22reduce_config_selectorIiEEZNS1_11reduce_implILb1ES3_PiS7_iN6hipcub16HIPCUB_304000_NS6detail34convert_binary_result_type_wrapperINS9_3SumENS9_22TransformInputIteratorIbN2at6native12_GLOBAL__N_19NonZeroOpIbEEPKblEEiEEEE10hipError_tPvRmT1_T2_T3_mT4_P12ihipStream_tbEUlT_E1_NS1_11comp_targetILNS1_3genE10ELNS1_11target_archE1200ELNS1_3gpuE4ELNS1_3repE0EEENS1_30default_config_static_selectorELNS0_4arch9wavefront6targetE0EEEvSQ_.num_named_barrier, 0
	.set _ZN7rocprim17ROCPRIM_400000_NS6detail17trampoline_kernelINS0_14default_configENS1_22reduce_config_selectorIiEEZNS1_11reduce_implILb1ES3_PiS7_iN6hipcub16HIPCUB_304000_NS6detail34convert_binary_result_type_wrapperINS9_3SumENS9_22TransformInputIteratorIbN2at6native12_GLOBAL__N_19NonZeroOpIbEEPKblEEiEEEE10hipError_tPvRmT1_T2_T3_mT4_P12ihipStream_tbEUlT_E1_NS1_11comp_targetILNS1_3genE10ELNS1_11target_archE1200ELNS1_3gpuE4ELNS1_3repE0EEENS1_30default_config_static_selectorELNS0_4arch9wavefront6targetE0EEEvSQ_.private_seg_size, 0
	.set _ZN7rocprim17ROCPRIM_400000_NS6detail17trampoline_kernelINS0_14default_configENS1_22reduce_config_selectorIiEEZNS1_11reduce_implILb1ES3_PiS7_iN6hipcub16HIPCUB_304000_NS6detail34convert_binary_result_type_wrapperINS9_3SumENS9_22TransformInputIteratorIbN2at6native12_GLOBAL__N_19NonZeroOpIbEEPKblEEiEEEE10hipError_tPvRmT1_T2_T3_mT4_P12ihipStream_tbEUlT_E1_NS1_11comp_targetILNS1_3genE10ELNS1_11target_archE1200ELNS1_3gpuE4ELNS1_3repE0EEENS1_30default_config_static_selectorELNS0_4arch9wavefront6targetE0EEEvSQ_.uses_vcc, 0
	.set _ZN7rocprim17ROCPRIM_400000_NS6detail17trampoline_kernelINS0_14default_configENS1_22reduce_config_selectorIiEEZNS1_11reduce_implILb1ES3_PiS7_iN6hipcub16HIPCUB_304000_NS6detail34convert_binary_result_type_wrapperINS9_3SumENS9_22TransformInputIteratorIbN2at6native12_GLOBAL__N_19NonZeroOpIbEEPKblEEiEEEE10hipError_tPvRmT1_T2_T3_mT4_P12ihipStream_tbEUlT_E1_NS1_11comp_targetILNS1_3genE10ELNS1_11target_archE1200ELNS1_3gpuE4ELNS1_3repE0EEENS1_30default_config_static_selectorELNS0_4arch9wavefront6targetE0EEEvSQ_.uses_flat_scratch, 0
	.set _ZN7rocprim17ROCPRIM_400000_NS6detail17trampoline_kernelINS0_14default_configENS1_22reduce_config_selectorIiEEZNS1_11reduce_implILb1ES3_PiS7_iN6hipcub16HIPCUB_304000_NS6detail34convert_binary_result_type_wrapperINS9_3SumENS9_22TransformInputIteratorIbN2at6native12_GLOBAL__N_19NonZeroOpIbEEPKblEEiEEEE10hipError_tPvRmT1_T2_T3_mT4_P12ihipStream_tbEUlT_E1_NS1_11comp_targetILNS1_3genE10ELNS1_11target_archE1200ELNS1_3gpuE4ELNS1_3repE0EEENS1_30default_config_static_selectorELNS0_4arch9wavefront6targetE0EEEvSQ_.has_dyn_sized_stack, 0
	.set _ZN7rocprim17ROCPRIM_400000_NS6detail17trampoline_kernelINS0_14default_configENS1_22reduce_config_selectorIiEEZNS1_11reduce_implILb1ES3_PiS7_iN6hipcub16HIPCUB_304000_NS6detail34convert_binary_result_type_wrapperINS9_3SumENS9_22TransformInputIteratorIbN2at6native12_GLOBAL__N_19NonZeroOpIbEEPKblEEiEEEE10hipError_tPvRmT1_T2_T3_mT4_P12ihipStream_tbEUlT_E1_NS1_11comp_targetILNS1_3genE10ELNS1_11target_archE1200ELNS1_3gpuE4ELNS1_3repE0EEENS1_30default_config_static_selectorELNS0_4arch9wavefront6targetE0EEEvSQ_.has_recursion, 0
	.set _ZN7rocprim17ROCPRIM_400000_NS6detail17trampoline_kernelINS0_14default_configENS1_22reduce_config_selectorIiEEZNS1_11reduce_implILb1ES3_PiS7_iN6hipcub16HIPCUB_304000_NS6detail34convert_binary_result_type_wrapperINS9_3SumENS9_22TransformInputIteratorIbN2at6native12_GLOBAL__N_19NonZeroOpIbEEPKblEEiEEEE10hipError_tPvRmT1_T2_T3_mT4_P12ihipStream_tbEUlT_E1_NS1_11comp_targetILNS1_3genE10ELNS1_11target_archE1200ELNS1_3gpuE4ELNS1_3repE0EEENS1_30default_config_static_selectorELNS0_4arch9wavefront6targetE0EEEvSQ_.has_indirect_call, 0
	.section	.AMDGPU.csdata,"",@progbits
; Kernel info:
; codeLenInByte = 0
; TotalNumSgprs: 0
; NumVgprs: 0
; ScratchSize: 0
; MemoryBound: 0
; FloatMode: 240
; IeeeMode: 1
; LDSByteSize: 0 bytes/workgroup (compile time only)
; SGPRBlocks: 0
; VGPRBlocks: 0
; NumSGPRsForWavesPerEU: 1
; NumVGPRsForWavesPerEU: 1
; Occupancy: 16
; WaveLimiterHint : 0
; COMPUTE_PGM_RSRC2:SCRATCH_EN: 0
; COMPUTE_PGM_RSRC2:USER_SGPR: 2
; COMPUTE_PGM_RSRC2:TRAP_HANDLER: 0
; COMPUTE_PGM_RSRC2:TGID_X_EN: 1
; COMPUTE_PGM_RSRC2:TGID_Y_EN: 0
; COMPUTE_PGM_RSRC2:TGID_Z_EN: 0
; COMPUTE_PGM_RSRC2:TIDIG_COMP_CNT: 0
	.section	.text._ZN7rocprim17ROCPRIM_400000_NS6detail17trampoline_kernelINS0_14default_configENS1_22reduce_config_selectorIiEEZNS1_11reduce_implILb1ES3_PiS7_iN6hipcub16HIPCUB_304000_NS6detail34convert_binary_result_type_wrapperINS9_3SumENS9_22TransformInputIteratorIbN2at6native12_GLOBAL__N_19NonZeroOpIbEEPKblEEiEEEE10hipError_tPvRmT1_T2_T3_mT4_P12ihipStream_tbEUlT_E1_NS1_11comp_targetILNS1_3genE9ELNS1_11target_archE1100ELNS1_3gpuE3ELNS1_3repE0EEENS1_30default_config_static_selectorELNS0_4arch9wavefront6targetE0EEEvSQ_,"axG",@progbits,_ZN7rocprim17ROCPRIM_400000_NS6detail17trampoline_kernelINS0_14default_configENS1_22reduce_config_selectorIiEEZNS1_11reduce_implILb1ES3_PiS7_iN6hipcub16HIPCUB_304000_NS6detail34convert_binary_result_type_wrapperINS9_3SumENS9_22TransformInputIteratorIbN2at6native12_GLOBAL__N_19NonZeroOpIbEEPKblEEiEEEE10hipError_tPvRmT1_T2_T3_mT4_P12ihipStream_tbEUlT_E1_NS1_11comp_targetILNS1_3genE9ELNS1_11target_archE1100ELNS1_3gpuE3ELNS1_3repE0EEENS1_30default_config_static_selectorELNS0_4arch9wavefront6targetE0EEEvSQ_,comdat
	.globl	_ZN7rocprim17ROCPRIM_400000_NS6detail17trampoline_kernelINS0_14default_configENS1_22reduce_config_selectorIiEEZNS1_11reduce_implILb1ES3_PiS7_iN6hipcub16HIPCUB_304000_NS6detail34convert_binary_result_type_wrapperINS9_3SumENS9_22TransformInputIteratorIbN2at6native12_GLOBAL__N_19NonZeroOpIbEEPKblEEiEEEE10hipError_tPvRmT1_T2_T3_mT4_P12ihipStream_tbEUlT_E1_NS1_11comp_targetILNS1_3genE9ELNS1_11target_archE1100ELNS1_3gpuE3ELNS1_3repE0EEENS1_30default_config_static_selectorELNS0_4arch9wavefront6targetE0EEEvSQ_ ; -- Begin function _ZN7rocprim17ROCPRIM_400000_NS6detail17trampoline_kernelINS0_14default_configENS1_22reduce_config_selectorIiEEZNS1_11reduce_implILb1ES3_PiS7_iN6hipcub16HIPCUB_304000_NS6detail34convert_binary_result_type_wrapperINS9_3SumENS9_22TransformInputIteratorIbN2at6native12_GLOBAL__N_19NonZeroOpIbEEPKblEEiEEEE10hipError_tPvRmT1_T2_T3_mT4_P12ihipStream_tbEUlT_E1_NS1_11comp_targetILNS1_3genE9ELNS1_11target_archE1100ELNS1_3gpuE3ELNS1_3repE0EEENS1_30default_config_static_selectorELNS0_4arch9wavefront6targetE0EEEvSQ_
	.p2align	8
	.type	_ZN7rocprim17ROCPRIM_400000_NS6detail17trampoline_kernelINS0_14default_configENS1_22reduce_config_selectorIiEEZNS1_11reduce_implILb1ES3_PiS7_iN6hipcub16HIPCUB_304000_NS6detail34convert_binary_result_type_wrapperINS9_3SumENS9_22TransformInputIteratorIbN2at6native12_GLOBAL__N_19NonZeroOpIbEEPKblEEiEEEE10hipError_tPvRmT1_T2_T3_mT4_P12ihipStream_tbEUlT_E1_NS1_11comp_targetILNS1_3genE9ELNS1_11target_archE1100ELNS1_3gpuE3ELNS1_3repE0EEENS1_30default_config_static_selectorELNS0_4arch9wavefront6targetE0EEEvSQ_,@function
_ZN7rocprim17ROCPRIM_400000_NS6detail17trampoline_kernelINS0_14default_configENS1_22reduce_config_selectorIiEEZNS1_11reduce_implILb1ES3_PiS7_iN6hipcub16HIPCUB_304000_NS6detail34convert_binary_result_type_wrapperINS9_3SumENS9_22TransformInputIteratorIbN2at6native12_GLOBAL__N_19NonZeroOpIbEEPKblEEiEEEE10hipError_tPvRmT1_T2_T3_mT4_P12ihipStream_tbEUlT_E1_NS1_11comp_targetILNS1_3genE9ELNS1_11target_archE1100ELNS1_3gpuE3ELNS1_3repE0EEENS1_30default_config_static_selectorELNS0_4arch9wavefront6targetE0EEEvSQ_: ; @_ZN7rocprim17ROCPRIM_400000_NS6detail17trampoline_kernelINS0_14default_configENS1_22reduce_config_selectorIiEEZNS1_11reduce_implILb1ES3_PiS7_iN6hipcub16HIPCUB_304000_NS6detail34convert_binary_result_type_wrapperINS9_3SumENS9_22TransformInputIteratorIbN2at6native12_GLOBAL__N_19NonZeroOpIbEEPKblEEiEEEE10hipError_tPvRmT1_T2_T3_mT4_P12ihipStream_tbEUlT_E1_NS1_11comp_targetILNS1_3genE9ELNS1_11target_archE1100ELNS1_3gpuE3ELNS1_3repE0EEENS1_30default_config_static_selectorELNS0_4arch9wavefront6targetE0EEEvSQ_
; %bb.0:
	.section	.rodata,"a",@progbits
	.p2align	6, 0x0
	.amdhsa_kernel _ZN7rocprim17ROCPRIM_400000_NS6detail17trampoline_kernelINS0_14default_configENS1_22reduce_config_selectorIiEEZNS1_11reduce_implILb1ES3_PiS7_iN6hipcub16HIPCUB_304000_NS6detail34convert_binary_result_type_wrapperINS9_3SumENS9_22TransformInputIteratorIbN2at6native12_GLOBAL__N_19NonZeroOpIbEEPKblEEiEEEE10hipError_tPvRmT1_T2_T3_mT4_P12ihipStream_tbEUlT_E1_NS1_11comp_targetILNS1_3genE9ELNS1_11target_archE1100ELNS1_3gpuE3ELNS1_3repE0EEENS1_30default_config_static_selectorELNS0_4arch9wavefront6targetE0EEEvSQ_
		.amdhsa_group_segment_fixed_size 0
		.amdhsa_private_segment_fixed_size 0
		.amdhsa_kernarg_size 40
		.amdhsa_user_sgpr_count 2
		.amdhsa_user_sgpr_dispatch_ptr 0
		.amdhsa_user_sgpr_queue_ptr 0
		.amdhsa_user_sgpr_kernarg_segment_ptr 1
		.amdhsa_user_sgpr_dispatch_id 0
		.amdhsa_user_sgpr_private_segment_size 0
		.amdhsa_wavefront_size32 1
		.amdhsa_uses_dynamic_stack 0
		.amdhsa_enable_private_segment 0
		.amdhsa_system_sgpr_workgroup_id_x 1
		.amdhsa_system_sgpr_workgroup_id_y 0
		.amdhsa_system_sgpr_workgroup_id_z 0
		.amdhsa_system_sgpr_workgroup_info 0
		.amdhsa_system_vgpr_workitem_id 0
		.amdhsa_next_free_vgpr 1
		.amdhsa_next_free_sgpr 1
		.amdhsa_reserve_vcc 0
		.amdhsa_float_round_mode_32 0
		.amdhsa_float_round_mode_16_64 0
		.amdhsa_float_denorm_mode_32 3
		.amdhsa_float_denorm_mode_16_64 3
		.amdhsa_fp16_overflow 0
		.amdhsa_workgroup_processor_mode 1
		.amdhsa_memory_ordered 1
		.amdhsa_forward_progress 1
		.amdhsa_inst_pref_size 0
		.amdhsa_round_robin_scheduling 0
		.amdhsa_exception_fp_ieee_invalid_op 0
		.amdhsa_exception_fp_denorm_src 0
		.amdhsa_exception_fp_ieee_div_zero 0
		.amdhsa_exception_fp_ieee_overflow 0
		.amdhsa_exception_fp_ieee_underflow 0
		.amdhsa_exception_fp_ieee_inexact 0
		.amdhsa_exception_int_div_zero 0
	.end_amdhsa_kernel
	.section	.text._ZN7rocprim17ROCPRIM_400000_NS6detail17trampoline_kernelINS0_14default_configENS1_22reduce_config_selectorIiEEZNS1_11reduce_implILb1ES3_PiS7_iN6hipcub16HIPCUB_304000_NS6detail34convert_binary_result_type_wrapperINS9_3SumENS9_22TransformInputIteratorIbN2at6native12_GLOBAL__N_19NonZeroOpIbEEPKblEEiEEEE10hipError_tPvRmT1_T2_T3_mT4_P12ihipStream_tbEUlT_E1_NS1_11comp_targetILNS1_3genE9ELNS1_11target_archE1100ELNS1_3gpuE3ELNS1_3repE0EEENS1_30default_config_static_selectorELNS0_4arch9wavefront6targetE0EEEvSQ_,"axG",@progbits,_ZN7rocprim17ROCPRIM_400000_NS6detail17trampoline_kernelINS0_14default_configENS1_22reduce_config_selectorIiEEZNS1_11reduce_implILb1ES3_PiS7_iN6hipcub16HIPCUB_304000_NS6detail34convert_binary_result_type_wrapperINS9_3SumENS9_22TransformInputIteratorIbN2at6native12_GLOBAL__N_19NonZeroOpIbEEPKblEEiEEEE10hipError_tPvRmT1_T2_T3_mT4_P12ihipStream_tbEUlT_E1_NS1_11comp_targetILNS1_3genE9ELNS1_11target_archE1100ELNS1_3gpuE3ELNS1_3repE0EEENS1_30default_config_static_selectorELNS0_4arch9wavefront6targetE0EEEvSQ_,comdat
.Lfunc_end710:
	.size	_ZN7rocprim17ROCPRIM_400000_NS6detail17trampoline_kernelINS0_14default_configENS1_22reduce_config_selectorIiEEZNS1_11reduce_implILb1ES3_PiS7_iN6hipcub16HIPCUB_304000_NS6detail34convert_binary_result_type_wrapperINS9_3SumENS9_22TransformInputIteratorIbN2at6native12_GLOBAL__N_19NonZeroOpIbEEPKblEEiEEEE10hipError_tPvRmT1_T2_T3_mT4_P12ihipStream_tbEUlT_E1_NS1_11comp_targetILNS1_3genE9ELNS1_11target_archE1100ELNS1_3gpuE3ELNS1_3repE0EEENS1_30default_config_static_selectorELNS0_4arch9wavefront6targetE0EEEvSQ_, .Lfunc_end710-_ZN7rocprim17ROCPRIM_400000_NS6detail17trampoline_kernelINS0_14default_configENS1_22reduce_config_selectorIiEEZNS1_11reduce_implILb1ES3_PiS7_iN6hipcub16HIPCUB_304000_NS6detail34convert_binary_result_type_wrapperINS9_3SumENS9_22TransformInputIteratorIbN2at6native12_GLOBAL__N_19NonZeroOpIbEEPKblEEiEEEE10hipError_tPvRmT1_T2_T3_mT4_P12ihipStream_tbEUlT_E1_NS1_11comp_targetILNS1_3genE9ELNS1_11target_archE1100ELNS1_3gpuE3ELNS1_3repE0EEENS1_30default_config_static_selectorELNS0_4arch9wavefront6targetE0EEEvSQ_
                                        ; -- End function
	.set _ZN7rocprim17ROCPRIM_400000_NS6detail17trampoline_kernelINS0_14default_configENS1_22reduce_config_selectorIiEEZNS1_11reduce_implILb1ES3_PiS7_iN6hipcub16HIPCUB_304000_NS6detail34convert_binary_result_type_wrapperINS9_3SumENS9_22TransformInputIteratorIbN2at6native12_GLOBAL__N_19NonZeroOpIbEEPKblEEiEEEE10hipError_tPvRmT1_T2_T3_mT4_P12ihipStream_tbEUlT_E1_NS1_11comp_targetILNS1_3genE9ELNS1_11target_archE1100ELNS1_3gpuE3ELNS1_3repE0EEENS1_30default_config_static_selectorELNS0_4arch9wavefront6targetE0EEEvSQ_.num_vgpr, 0
	.set _ZN7rocprim17ROCPRIM_400000_NS6detail17trampoline_kernelINS0_14default_configENS1_22reduce_config_selectorIiEEZNS1_11reduce_implILb1ES3_PiS7_iN6hipcub16HIPCUB_304000_NS6detail34convert_binary_result_type_wrapperINS9_3SumENS9_22TransformInputIteratorIbN2at6native12_GLOBAL__N_19NonZeroOpIbEEPKblEEiEEEE10hipError_tPvRmT1_T2_T3_mT4_P12ihipStream_tbEUlT_E1_NS1_11comp_targetILNS1_3genE9ELNS1_11target_archE1100ELNS1_3gpuE3ELNS1_3repE0EEENS1_30default_config_static_selectorELNS0_4arch9wavefront6targetE0EEEvSQ_.num_agpr, 0
	.set _ZN7rocprim17ROCPRIM_400000_NS6detail17trampoline_kernelINS0_14default_configENS1_22reduce_config_selectorIiEEZNS1_11reduce_implILb1ES3_PiS7_iN6hipcub16HIPCUB_304000_NS6detail34convert_binary_result_type_wrapperINS9_3SumENS9_22TransformInputIteratorIbN2at6native12_GLOBAL__N_19NonZeroOpIbEEPKblEEiEEEE10hipError_tPvRmT1_T2_T3_mT4_P12ihipStream_tbEUlT_E1_NS1_11comp_targetILNS1_3genE9ELNS1_11target_archE1100ELNS1_3gpuE3ELNS1_3repE0EEENS1_30default_config_static_selectorELNS0_4arch9wavefront6targetE0EEEvSQ_.numbered_sgpr, 0
	.set _ZN7rocprim17ROCPRIM_400000_NS6detail17trampoline_kernelINS0_14default_configENS1_22reduce_config_selectorIiEEZNS1_11reduce_implILb1ES3_PiS7_iN6hipcub16HIPCUB_304000_NS6detail34convert_binary_result_type_wrapperINS9_3SumENS9_22TransformInputIteratorIbN2at6native12_GLOBAL__N_19NonZeroOpIbEEPKblEEiEEEE10hipError_tPvRmT1_T2_T3_mT4_P12ihipStream_tbEUlT_E1_NS1_11comp_targetILNS1_3genE9ELNS1_11target_archE1100ELNS1_3gpuE3ELNS1_3repE0EEENS1_30default_config_static_selectorELNS0_4arch9wavefront6targetE0EEEvSQ_.num_named_barrier, 0
	.set _ZN7rocprim17ROCPRIM_400000_NS6detail17trampoline_kernelINS0_14default_configENS1_22reduce_config_selectorIiEEZNS1_11reduce_implILb1ES3_PiS7_iN6hipcub16HIPCUB_304000_NS6detail34convert_binary_result_type_wrapperINS9_3SumENS9_22TransformInputIteratorIbN2at6native12_GLOBAL__N_19NonZeroOpIbEEPKblEEiEEEE10hipError_tPvRmT1_T2_T3_mT4_P12ihipStream_tbEUlT_E1_NS1_11comp_targetILNS1_3genE9ELNS1_11target_archE1100ELNS1_3gpuE3ELNS1_3repE0EEENS1_30default_config_static_selectorELNS0_4arch9wavefront6targetE0EEEvSQ_.private_seg_size, 0
	.set _ZN7rocprim17ROCPRIM_400000_NS6detail17trampoline_kernelINS0_14default_configENS1_22reduce_config_selectorIiEEZNS1_11reduce_implILb1ES3_PiS7_iN6hipcub16HIPCUB_304000_NS6detail34convert_binary_result_type_wrapperINS9_3SumENS9_22TransformInputIteratorIbN2at6native12_GLOBAL__N_19NonZeroOpIbEEPKblEEiEEEE10hipError_tPvRmT1_T2_T3_mT4_P12ihipStream_tbEUlT_E1_NS1_11comp_targetILNS1_3genE9ELNS1_11target_archE1100ELNS1_3gpuE3ELNS1_3repE0EEENS1_30default_config_static_selectorELNS0_4arch9wavefront6targetE0EEEvSQ_.uses_vcc, 0
	.set _ZN7rocprim17ROCPRIM_400000_NS6detail17trampoline_kernelINS0_14default_configENS1_22reduce_config_selectorIiEEZNS1_11reduce_implILb1ES3_PiS7_iN6hipcub16HIPCUB_304000_NS6detail34convert_binary_result_type_wrapperINS9_3SumENS9_22TransformInputIteratorIbN2at6native12_GLOBAL__N_19NonZeroOpIbEEPKblEEiEEEE10hipError_tPvRmT1_T2_T3_mT4_P12ihipStream_tbEUlT_E1_NS1_11comp_targetILNS1_3genE9ELNS1_11target_archE1100ELNS1_3gpuE3ELNS1_3repE0EEENS1_30default_config_static_selectorELNS0_4arch9wavefront6targetE0EEEvSQ_.uses_flat_scratch, 0
	.set _ZN7rocprim17ROCPRIM_400000_NS6detail17trampoline_kernelINS0_14default_configENS1_22reduce_config_selectorIiEEZNS1_11reduce_implILb1ES3_PiS7_iN6hipcub16HIPCUB_304000_NS6detail34convert_binary_result_type_wrapperINS9_3SumENS9_22TransformInputIteratorIbN2at6native12_GLOBAL__N_19NonZeroOpIbEEPKblEEiEEEE10hipError_tPvRmT1_T2_T3_mT4_P12ihipStream_tbEUlT_E1_NS1_11comp_targetILNS1_3genE9ELNS1_11target_archE1100ELNS1_3gpuE3ELNS1_3repE0EEENS1_30default_config_static_selectorELNS0_4arch9wavefront6targetE0EEEvSQ_.has_dyn_sized_stack, 0
	.set _ZN7rocprim17ROCPRIM_400000_NS6detail17trampoline_kernelINS0_14default_configENS1_22reduce_config_selectorIiEEZNS1_11reduce_implILb1ES3_PiS7_iN6hipcub16HIPCUB_304000_NS6detail34convert_binary_result_type_wrapperINS9_3SumENS9_22TransformInputIteratorIbN2at6native12_GLOBAL__N_19NonZeroOpIbEEPKblEEiEEEE10hipError_tPvRmT1_T2_T3_mT4_P12ihipStream_tbEUlT_E1_NS1_11comp_targetILNS1_3genE9ELNS1_11target_archE1100ELNS1_3gpuE3ELNS1_3repE0EEENS1_30default_config_static_selectorELNS0_4arch9wavefront6targetE0EEEvSQ_.has_recursion, 0
	.set _ZN7rocprim17ROCPRIM_400000_NS6detail17trampoline_kernelINS0_14default_configENS1_22reduce_config_selectorIiEEZNS1_11reduce_implILb1ES3_PiS7_iN6hipcub16HIPCUB_304000_NS6detail34convert_binary_result_type_wrapperINS9_3SumENS9_22TransformInputIteratorIbN2at6native12_GLOBAL__N_19NonZeroOpIbEEPKblEEiEEEE10hipError_tPvRmT1_T2_T3_mT4_P12ihipStream_tbEUlT_E1_NS1_11comp_targetILNS1_3genE9ELNS1_11target_archE1100ELNS1_3gpuE3ELNS1_3repE0EEENS1_30default_config_static_selectorELNS0_4arch9wavefront6targetE0EEEvSQ_.has_indirect_call, 0
	.section	.AMDGPU.csdata,"",@progbits
; Kernel info:
; codeLenInByte = 0
; TotalNumSgprs: 0
; NumVgprs: 0
; ScratchSize: 0
; MemoryBound: 0
; FloatMode: 240
; IeeeMode: 1
; LDSByteSize: 0 bytes/workgroup (compile time only)
; SGPRBlocks: 0
; VGPRBlocks: 0
; NumSGPRsForWavesPerEU: 1
; NumVGPRsForWavesPerEU: 1
; Occupancy: 16
; WaveLimiterHint : 0
; COMPUTE_PGM_RSRC2:SCRATCH_EN: 0
; COMPUTE_PGM_RSRC2:USER_SGPR: 2
; COMPUTE_PGM_RSRC2:TRAP_HANDLER: 0
; COMPUTE_PGM_RSRC2:TGID_X_EN: 1
; COMPUTE_PGM_RSRC2:TGID_Y_EN: 0
; COMPUTE_PGM_RSRC2:TGID_Z_EN: 0
; COMPUTE_PGM_RSRC2:TIDIG_COMP_CNT: 0
	.section	.text._ZN7rocprim17ROCPRIM_400000_NS6detail17trampoline_kernelINS0_14default_configENS1_22reduce_config_selectorIiEEZNS1_11reduce_implILb1ES3_PiS7_iN6hipcub16HIPCUB_304000_NS6detail34convert_binary_result_type_wrapperINS9_3SumENS9_22TransformInputIteratorIbN2at6native12_GLOBAL__N_19NonZeroOpIbEEPKblEEiEEEE10hipError_tPvRmT1_T2_T3_mT4_P12ihipStream_tbEUlT_E1_NS1_11comp_targetILNS1_3genE8ELNS1_11target_archE1030ELNS1_3gpuE2ELNS1_3repE0EEENS1_30default_config_static_selectorELNS0_4arch9wavefront6targetE0EEEvSQ_,"axG",@progbits,_ZN7rocprim17ROCPRIM_400000_NS6detail17trampoline_kernelINS0_14default_configENS1_22reduce_config_selectorIiEEZNS1_11reduce_implILb1ES3_PiS7_iN6hipcub16HIPCUB_304000_NS6detail34convert_binary_result_type_wrapperINS9_3SumENS9_22TransformInputIteratorIbN2at6native12_GLOBAL__N_19NonZeroOpIbEEPKblEEiEEEE10hipError_tPvRmT1_T2_T3_mT4_P12ihipStream_tbEUlT_E1_NS1_11comp_targetILNS1_3genE8ELNS1_11target_archE1030ELNS1_3gpuE2ELNS1_3repE0EEENS1_30default_config_static_selectorELNS0_4arch9wavefront6targetE0EEEvSQ_,comdat
	.globl	_ZN7rocprim17ROCPRIM_400000_NS6detail17trampoline_kernelINS0_14default_configENS1_22reduce_config_selectorIiEEZNS1_11reduce_implILb1ES3_PiS7_iN6hipcub16HIPCUB_304000_NS6detail34convert_binary_result_type_wrapperINS9_3SumENS9_22TransformInputIteratorIbN2at6native12_GLOBAL__N_19NonZeroOpIbEEPKblEEiEEEE10hipError_tPvRmT1_T2_T3_mT4_P12ihipStream_tbEUlT_E1_NS1_11comp_targetILNS1_3genE8ELNS1_11target_archE1030ELNS1_3gpuE2ELNS1_3repE0EEENS1_30default_config_static_selectorELNS0_4arch9wavefront6targetE0EEEvSQ_ ; -- Begin function _ZN7rocprim17ROCPRIM_400000_NS6detail17trampoline_kernelINS0_14default_configENS1_22reduce_config_selectorIiEEZNS1_11reduce_implILb1ES3_PiS7_iN6hipcub16HIPCUB_304000_NS6detail34convert_binary_result_type_wrapperINS9_3SumENS9_22TransformInputIteratorIbN2at6native12_GLOBAL__N_19NonZeroOpIbEEPKblEEiEEEE10hipError_tPvRmT1_T2_T3_mT4_P12ihipStream_tbEUlT_E1_NS1_11comp_targetILNS1_3genE8ELNS1_11target_archE1030ELNS1_3gpuE2ELNS1_3repE0EEENS1_30default_config_static_selectorELNS0_4arch9wavefront6targetE0EEEvSQ_
	.p2align	8
	.type	_ZN7rocprim17ROCPRIM_400000_NS6detail17trampoline_kernelINS0_14default_configENS1_22reduce_config_selectorIiEEZNS1_11reduce_implILb1ES3_PiS7_iN6hipcub16HIPCUB_304000_NS6detail34convert_binary_result_type_wrapperINS9_3SumENS9_22TransformInputIteratorIbN2at6native12_GLOBAL__N_19NonZeroOpIbEEPKblEEiEEEE10hipError_tPvRmT1_T2_T3_mT4_P12ihipStream_tbEUlT_E1_NS1_11comp_targetILNS1_3genE8ELNS1_11target_archE1030ELNS1_3gpuE2ELNS1_3repE0EEENS1_30default_config_static_selectorELNS0_4arch9wavefront6targetE0EEEvSQ_,@function
_ZN7rocprim17ROCPRIM_400000_NS6detail17trampoline_kernelINS0_14default_configENS1_22reduce_config_selectorIiEEZNS1_11reduce_implILb1ES3_PiS7_iN6hipcub16HIPCUB_304000_NS6detail34convert_binary_result_type_wrapperINS9_3SumENS9_22TransformInputIteratorIbN2at6native12_GLOBAL__N_19NonZeroOpIbEEPKblEEiEEEE10hipError_tPvRmT1_T2_T3_mT4_P12ihipStream_tbEUlT_E1_NS1_11comp_targetILNS1_3genE8ELNS1_11target_archE1030ELNS1_3gpuE2ELNS1_3repE0EEENS1_30default_config_static_selectorELNS0_4arch9wavefront6targetE0EEEvSQ_: ; @_ZN7rocprim17ROCPRIM_400000_NS6detail17trampoline_kernelINS0_14default_configENS1_22reduce_config_selectorIiEEZNS1_11reduce_implILb1ES3_PiS7_iN6hipcub16HIPCUB_304000_NS6detail34convert_binary_result_type_wrapperINS9_3SumENS9_22TransformInputIteratorIbN2at6native12_GLOBAL__N_19NonZeroOpIbEEPKblEEiEEEE10hipError_tPvRmT1_T2_T3_mT4_P12ihipStream_tbEUlT_E1_NS1_11comp_targetILNS1_3genE8ELNS1_11target_archE1030ELNS1_3gpuE2ELNS1_3repE0EEENS1_30default_config_static_selectorELNS0_4arch9wavefront6targetE0EEEvSQ_
; %bb.0:
	.section	.rodata,"a",@progbits
	.p2align	6, 0x0
	.amdhsa_kernel _ZN7rocprim17ROCPRIM_400000_NS6detail17trampoline_kernelINS0_14default_configENS1_22reduce_config_selectorIiEEZNS1_11reduce_implILb1ES3_PiS7_iN6hipcub16HIPCUB_304000_NS6detail34convert_binary_result_type_wrapperINS9_3SumENS9_22TransformInputIteratorIbN2at6native12_GLOBAL__N_19NonZeroOpIbEEPKblEEiEEEE10hipError_tPvRmT1_T2_T3_mT4_P12ihipStream_tbEUlT_E1_NS1_11comp_targetILNS1_3genE8ELNS1_11target_archE1030ELNS1_3gpuE2ELNS1_3repE0EEENS1_30default_config_static_selectorELNS0_4arch9wavefront6targetE0EEEvSQ_
		.amdhsa_group_segment_fixed_size 0
		.amdhsa_private_segment_fixed_size 0
		.amdhsa_kernarg_size 40
		.amdhsa_user_sgpr_count 2
		.amdhsa_user_sgpr_dispatch_ptr 0
		.amdhsa_user_sgpr_queue_ptr 0
		.amdhsa_user_sgpr_kernarg_segment_ptr 1
		.amdhsa_user_sgpr_dispatch_id 0
		.amdhsa_user_sgpr_private_segment_size 0
		.amdhsa_wavefront_size32 1
		.amdhsa_uses_dynamic_stack 0
		.amdhsa_enable_private_segment 0
		.amdhsa_system_sgpr_workgroup_id_x 1
		.amdhsa_system_sgpr_workgroup_id_y 0
		.amdhsa_system_sgpr_workgroup_id_z 0
		.amdhsa_system_sgpr_workgroup_info 0
		.amdhsa_system_vgpr_workitem_id 0
		.amdhsa_next_free_vgpr 1
		.amdhsa_next_free_sgpr 1
		.amdhsa_reserve_vcc 0
		.amdhsa_float_round_mode_32 0
		.amdhsa_float_round_mode_16_64 0
		.amdhsa_float_denorm_mode_32 3
		.amdhsa_float_denorm_mode_16_64 3
		.amdhsa_fp16_overflow 0
		.amdhsa_workgroup_processor_mode 1
		.amdhsa_memory_ordered 1
		.amdhsa_forward_progress 1
		.amdhsa_inst_pref_size 0
		.amdhsa_round_robin_scheduling 0
		.amdhsa_exception_fp_ieee_invalid_op 0
		.amdhsa_exception_fp_denorm_src 0
		.amdhsa_exception_fp_ieee_div_zero 0
		.amdhsa_exception_fp_ieee_overflow 0
		.amdhsa_exception_fp_ieee_underflow 0
		.amdhsa_exception_fp_ieee_inexact 0
		.amdhsa_exception_int_div_zero 0
	.end_amdhsa_kernel
	.section	.text._ZN7rocprim17ROCPRIM_400000_NS6detail17trampoline_kernelINS0_14default_configENS1_22reduce_config_selectorIiEEZNS1_11reduce_implILb1ES3_PiS7_iN6hipcub16HIPCUB_304000_NS6detail34convert_binary_result_type_wrapperINS9_3SumENS9_22TransformInputIteratorIbN2at6native12_GLOBAL__N_19NonZeroOpIbEEPKblEEiEEEE10hipError_tPvRmT1_T2_T3_mT4_P12ihipStream_tbEUlT_E1_NS1_11comp_targetILNS1_3genE8ELNS1_11target_archE1030ELNS1_3gpuE2ELNS1_3repE0EEENS1_30default_config_static_selectorELNS0_4arch9wavefront6targetE0EEEvSQ_,"axG",@progbits,_ZN7rocprim17ROCPRIM_400000_NS6detail17trampoline_kernelINS0_14default_configENS1_22reduce_config_selectorIiEEZNS1_11reduce_implILb1ES3_PiS7_iN6hipcub16HIPCUB_304000_NS6detail34convert_binary_result_type_wrapperINS9_3SumENS9_22TransformInputIteratorIbN2at6native12_GLOBAL__N_19NonZeroOpIbEEPKblEEiEEEE10hipError_tPvRmT1_T2_T3_mT4_P12ihipStream_tbEUlT_E1_NS1_11comp_targetILNS1_3genE8ELNS1_11target_archE1030ELNS1_3gpuE2ELNS1_3repE0EEENS1_30default_config_static_selectorELNS0_4arch9wavefront6targetE0EEEvSQ_,comdat
.Lfunc_end711:
	.size	_ZN7rocprim17ROCPRIM_400000_NS6detail17trampoline_kernelINS0_14default_configENS1_22reduce_config_selectorIiEEZNS1_11reduce_implILb1ES3_PiS7_iN6hipcub16HIPCUB_304000_NS6detail34convert_binary_result_type_wrapperINS9_3SumENS9_22TransformInputIteratorIbN2at6native12_GLOBAL__N_19NonZeroOpIbEEPKblEEiEEEE10hipError_tPvRmT1_T2_T3_mT4_P12ihipStream_tbEUlT_E1_NS1_11comp_targetILNS1_3genE8ELNS1_11target_archE1030ELNS1_3gpuE2ELNS1_3repE0EEENS1_30default_config_static_selectorELNS0_4arch9wavefront6targetE0EEEvSQ_, .Lfunc_end711-_ZN7rocprim17ROCPRIM_400000_NS6detail17trampoline_kernelINS0_14default_configENS1_22reduce_config_selectorIiEEZNS1_11reduce_implILb1ES3_PiS7_iN6hipcub16HIPCUB_304000_NS6detail34convert_binary_result_type_wrapperINS9_3SumENS9_22TransformInputIteratorIbN2at6native12_GLOBAL__N_19NonZeroOpIbEEPKblEEiEEEE10hipError_tPvRmT1_T2_T3_mT4_P12ihipStream_tbEUlT_E1_NS1_11comp_targetILNS1_3genE8ELNS1_11target_archE1030ELNS1_3gpuE2ELNS1_3repE0EEENS1_30default_config_static_selectorELNS0_4arch9wavefront6targetE0EEEvSQ_
                                        ; -- End function
	.set _ZN7rocprim17ROCPRIM_400000_NS6detail17trampoline_kernelINS0_14default_configENS1_22reduce_config_selectorIiEEZNS1_11reduce_implILb1ES3_PiS7_iN6hipcub16HIPCUB_304000_NS6detail34convert_binary_result_type_wrapperINS9_3SumENS9_22TransformInputIteratorIbN2at6native12_GLOBAL__N_19NonZeroOpIbEEPKblEEiEEEE10hipError_tPvRmT1_T2_T3_mT4_P12ihipStream_tbEUlT_E1_NS1_11comp_targetILNS1_3genE8ELNS1_11target_archE1030ELNS1_3gpuE2ELNS1_3repE0EEENS1_30default_config_static_selectorELNS0_4arch9wavefront6targetE0EEEvSQ_.num_vgpr, 0
	.set _ZN7rocprim17ROCPRIM_400000_NS6detail17trampoline_kernelINS0_14default_configENS1_22reduce_config_selectorIiEEZNS1_11reduce_implILb1ES3_PiS7_iN6hipcub16HIPCUB_304000_NS6detail34convert_binary_result_type_wrapperINS9_3SumENS9_22TransformInputIteratorIbN2at6native12_GLOBAL__N_19NonZeroOpIbEEPKblEEiEEEE10hipError_tPvRmT1_T2_T3_mT4_P12ihipStream_tbEUlT_E1_NS1_11comp_targetILNS1_3genE8ELNS1_11target_archE1030ELNS1_3gpuE2ELNS1_3repE0EEENS1_30default_config_static_selectorELNS0_4arch9wavefront6targetE0EEEvSQ_.num_agpr, 0
	.set _ZN7rocprim17ROCPRIM_400000_NS6detail17trampoline_kernelINS0_14default_configENS1_22reduce_config_selectorIiEEZNS1_11reduce_implILb1ES3_PiS7_iN6hipcub16HIPCUB_304000_NS6detail34convert_binary_result_type_wrapperINS9_3SumENS9_22TransformInputIteratorIbN2at6native12_GLOBAL__N_19NonZeroOpIbEEPKblEEiEEEE10hipError_tPvRmT1_T2_T3_mT4_P12ihipStream_tbEUlT_E1_NS1_11comp_targetILNS1_3genE8ELNS1_11target_archE1030ELNS1_3gpuE2ELNS1_3repE0EEENS1_30default_config_static_selectorELNS0_4arch9wavefront6targetE0EEEvSQ_.numbered_sgpr, 0
	.set _ZN7rocprim17ROCPRIM_400000_NS6detail17trampoline_kernelINS0_14default_configENS1_22reduce_config_selectorIiEEZNS1_11reduce_implILb1ES3_PiS7_iN6hipcub16HIPCUB_304000_NS6detail34convert_binary_result_type_wrapperINS9_3SumENS9_22TransformInputIteratorIbN2at6native12_GLOBAL__N_19NonZeroOpIbEEPKblEEiEEEE10hipError_tPvRmT1_T2_T3_mT4_P12ihipStream_tbEUlT_E1_NS1_11comp_targetILNS1_3genE8ELNS1_11target_archE1030ELNS1_3gpuE2ELNS1_3repE0EEENS1_30default_config_static_selectorELNS0_4arch9wavefront6targetE0EEEvSQ_.num_named_barrier, 0
	.set _ZN7rocprim17ROCPRIM_400000_NS6detail17trampoline_kernelINS0_14default_configENS1_22reduce_config_selectorIiEEZNS1_11reduce_implILb1ES3_PiS7_iN6hipcub16HIPCUB_304000_NS6detail34convert_binary_result_type_wrapperINS9_3SumENS9_22TransformInputIteratorIbN2at6native12_GLOBAL__N_19NonZeroOpIbEEPKblEEiEEEE10hipError_tPvRmT1_T2_T3_mT4_P12ihipStream_tbEUlT_E1_NS1_11comp_targetILNS1_3genE8ELNS1_11target_archE1030ELNS1_3gpuE2ELNS1_3repE0EEENS1_30default_config_static_selectorELNS0_4arch9wavefront6targetE0EEEvSQ_.private_seg_size, 0
	.set _ZN7rocprim17ROCPRIM_400000_NS6detail17trampoline_kernelINS0_14default_configENS1_22reduce_config_selectorIiEEZNS1_11reduce_implILb1ES3_PiS7_iN6hipcub16HIPCUB_304000_NS6detail34convert_binary_result_type_wrapperINS9_3SumENS9_22TransformInputIteratorIbN2at6native12_GLOBAL__N_19NonZeroOpIbEEPKblEEiEEEE10hipError_tPvRmT1_T2_T3_mT4_P12ihipStream_tbEUlT_E1_NS1_11comp_targetILNS1_3genE8ELNS1_11target_archE1030ELNS1_3gpuE2ELNS1_3repE0EEENS1_30default_config_static_selectorELNS0_4arch9wavefront6targetE0EEEvSQ_.uses_vcc, 0
	.set _ZN7rocprim17ROCPRIM_400000_NS6detail17trampoline_kernelINS0_14default_configENS1_22reduce_config_selectorIiEEZNS1_11reduce_implILb1ES3_PiS7_iN6hipcub16HIPCUB_304000_NS6detail34convert_binary_result_type_wrapperINS9_3SumENS9_22TransformInputIteratorIbN2at6native12_GLOBAL__N_19NonZeroOpIbEEPKblEEiEEEE10hipError_tPvRmT1_T2_T3_mT4_P12ihipStream_tbEUlT_E1_NS1_11comp_targetILNS1_3genE8ELNS1_11target_archE1030ELNS1_3gpuE2ELNS1_3repE0EEENS1_30default_config_static_selectorELNS0_4arch9wavefront6targetE0EEEvSQ_.uses_flat_scratch, 0
	.set _ZN7rocprim17ROCPRIM_400000_NS6detail17trampoline_kernelINS0_14default_configENS1_22reduce_config_selectorIiEEZNS1_11reduce_implILb1ES3_PiS7_iN6hipcub16HIPCUB_304000_NS6detail34convert_binary_result_type_wrapperINS9_3SumENS9_22TransformInputIteratorIbN2at6native12_GLOBAL__N_19NonZeroOpIbEEPKblEEiEEEE10hipError_tPvRmT1_T2_T3_mT4_P12ihipStream_tbEUlT_E1_NS1_11comp_targetILNS1_3genE8ELNS1_11target_archE1030ELNS1_3gpuE2ELNS1_3repE0EEENS1_30default_config_static_selectorELNS0_4arch9wavefront6targetE0EEEvSQ_.has_dyn_sized_stack, 0
	.set _ZN7rocprim17ROCPRIM_400000_NS6detail17trampoline_kernelINS0_14default_configENS1_22reduce_config_selectorIiEEZNS1_11reduce_implILb1ES3_PiS7_iN6hipcub16HIPCUB_304000_NS6detail34convert_binary_result_type_wrapperINS9_3SumENS9_22TransformInputIteratorIbN2at6native12_GLOBAL__N_19NonZeroOpIbEEPKblEEiEEEE10hipError_tPvRmT1_T2_T3_mT4_P12ihipStream_tbEUlT_E1_NS1_11comp_targetILNS1_3genE8ELNS1_11target_archE1030ELNS1_3gpuE2ELNS1_3repE0EEENS1_30default_config_static_selectorELNS0_4arch9wavefront6targetE0EEEvSQ_.has_recursion, 0
	.set _ZN7rocprim17ROCPRIM_400000_NS6detail17trampoline_kernelINS0_14default_configENS1_22reduce_config_selectorIiEEZNS1_11reduce_implILb1ES3_PiS7_iN6hipcub16HIPCUB_304000_NS6detail34convert_binary_result_type_wrapperINS9_3SumENS9_22TransformInputIteratorIbN2at6native12_GLOBAL__N_19NonZeroOpIbEEPKblEEiEEEE10hipError_tPvRmT1_T2_T3_mT4_P12ihipStream_tbEUlT_E1_NS1_11comp_targetILNS1_3genE8ELNS1_11target_archE1030ELNS1_3gpuE2ELNS1_3repE0EEENS1_30default_config_static_selectorELNS0_4arch9wavefront6targetE0EEEvSQ_.has_indirect_call, 0
	.section	.AMDGPU.csdata,"",@progbits
; Kernel info:
; codeLenInByte = 0
; TotalNumSgprs: 0
; NumVgprs: 0
; ScratchSize: 0
; MemoryBound: 0
; FloatMode: 240
; IeeeMode: 1
; LDSByteSize: 0 bytes/workgroup (compile time only)
; SGPRBlocks: 0
; VGPRBlocks: 0
; NumSGPRsForWavesPerEU: 1
; NumVGPRsForWavesPerEU: 1
; Occupancy: 16
; WaveLimiterHint : 0
; COMPUTE_PGM_RSRC2:SCRATCH_EN: 0
; COMPUTE_PGM_RSRC2:USER_SGPR: 2
; COMPUTE_PGM_RSRC2:TRAP_HANDLER: 0
; COMPUTE_PGM_RSRC2:TGID_X_EN: 1
; COMPUTE_PGM_RSRC2:TGID_Y_EN: 0
; COMPUTE_PGM_RSRC2:TGID_Z_EN: 0
; COMPUTE_PGM_RSRC2:TIDIG_COMP_CNT: 0
	.section	.text._ZN7rocprim17ROCPRIM_400000_NS6detail17trampoline_kernelINS0_14default_configENS1_22reduce_config_selectorIbEEZNS1_11reduce_implILb1ES3_N6hipcub16HIPCUB_304000_NS22TransformInputIteratorIbN2at6native12_GLOBAL__N_19NonZeroOpIbEEPKblEEPiiNS8_6detail34convert_binary_result_type_wrapperINS8_3SumESH_iEEEE10hipError_tPvRmT1_T2_T3_mT4_P12ihipStream_tbEUlT_E0_NS1_11comp_targetILNS1_3genE0ELNS1_11target_archE4294967295ELNS1_3gpuE0ELNS1_3repE0EEENS1_30default_config_static_selectorELNS0_4arch9wavefront6targetE0EEEvSQ_,"axG",@progbits,_ZN7rocprim17ROCPRIM_400000_NS6detail17trampoline_kernelINS0_14default_configENS1_22reduce_config_selectorIbEEZNS1_11reduce_implILb1ES3_N6hipcub16HIPCUB_304000_NS22TransformInputIteratorIbN2at6native12_GLOBAL__N_19NonZeroOpIbEEPKblEEPiiNS8_6detail34convert_binary_result_type_wrapperINS8_3SumESH_iEEEE10hipError_tPvRmT1_T2_T3_mT4_P12ihipStream_tbEUlT_E0_NS1_11comp_targetILNS1_3genE0ELNS1_11target_archE4294967295ELNS1_3gpuE0ELNS1_3repE0EEENS1_30default_config_static_selectorELNS0_4arch9wavefront6targetE0EEEvSQ_,comdat
	.globl	_ZN7rocprim17ROCPRIM_400000_NS6detail17trampoline_kernelINS0_14default_configENS1_22reduce_config_selectorIbEEZNS1_11reduce_implILb1ES3_N6hipcub16HIPCUB_304000_NS22TransformInputIteratorIbN2at6native12_GLOBAL__N_19NonZeroOpIbEEPKblEEPiiNS8_6detail34convert_binary_result_type_wrapperINS8_3SumESH_iEEEE10hipError_tPvRmT1_T2_T3_mT4_P12ihipStream_tbEUlT_E0_NS1_11comp_targetILNS1_3genE0ELNS1_11target_archE4294967295ELNS1_3gpuE0ELNS1_3repE0EEENS1_30default_config_static_selectorELNS0_4arch9wavefront6targetE0EEEvSQ_ ; -- Begin function _ZN7rocprim17ROCPRIM_400000_NS6detail17trampoline_kernelINS0_14default_configENS1_22reduce_config_selectorIbEEZNS1_11reduce_implILb1ES3_N6hipcub16HIPCUB_304000_NS22TransformInputIteratorIbN2at6native12_GLOBAL__N_19NonZeroOpIbEEPKblEEPiiNS8_6detail34convert_binary_result_type_wrapperINS8_3SumESH_iEEEE10hipError_tPvRmT1_T2_T3_mT4_P12ihipStream_tbEUlT_E0_NS1_11comp_targetILNS1_3genE0ELNS1_11target_archE4294967295ELNS1_3gpuE0ELNS1_3repE0EEENS1_30default_config_static_selectorELNS0_4arch9wavefront6targetE0EEEvSQ_
	.p2align	8
	.type	_ZN7rocprim17ROCPRIM_400000_NS6detail17trampoline_kernelINS0_14default_configENS1_22reduce_config_selectorIbEEZNS1_11reduce_implILb1ES3_N6hipcub16HIPCUB_304000_NS22TransformInputIteratorIbN2at6native12_GLOBAL__N_19NonZeroOpIbEEPKblEEPiiNS8_6detail34convert_binary_result_type_wrapperINS8_3SumESH_iEEEE10hipError_tPvRmT1_T2_T3_mT4_P12ihipStream_tbEUlT_E0_NS1_11comp_targetILNS1_3genE0ELNS1_11target_archE4294967295ELNS1_3gpuE0ELNS1_3repE0EEENS1_30default_config_static_selectorELNS0_4arch9wavefront6targetE0EEEvSQ_,@function
_ZN7rocprim17ROCPRIM_400000_NS6detail17trampoline_kernelINS0_14default_configENS1_22reduce_config_selectorIbEEZNS1_11reduce_implILb1ES3_N6hipcub16HIPCUB_304000_NS22TransformInputIteratorIbN2at6native12_GLOBAL__N_19NonZeroOpIbEEPKblEEPiiNS8_6detail34convert_binary_result_type_wrapperINS8_3SumESH_iEEEE10hipError_tPvRmT1_T2_T3_mT4_P12ihipStream_tbEUlT_E0_NS1_11comp_targetILNS1_3genE0ELNS1_11target_archE4294967295ELNS1_3gpuE0ELNS1_3repE0EEENS1_30default_config_static_selectorELNS0_4arch9wavefront6targetE0EEEvSQ_: ; @_ZN7rocprim17ROCPRIM_400000_NS6detail17trampoline_kernelINS0_14default_configENS1_22reduce_config_selectorIbEEZNS1_11reduce_implILb1ES3_N6hipcub16HIPCUB_304000_NS22TransformInputIteratorIbN2at6native12_GLOBAL__N_19NonZeroOpIbEEPKblEEPiiNS8_6detail34convert_binary_result_type_wrapperINS8_3SumESH_iEEEE10hipError_tPvRmT1_T2_T3_mT4_P12ihipStream_tbEUlT_E0_NS1_11comp_targetILNS1_3genE0ELNS1_11target_archE4294967295ELNS1_3gpuE0ELNS1_3repE0EEENS1_30default_config_static_selectorELNS0_4arch9wavefront6targetE0EEEvSQ_
; %bb.0:
	.section	.rodata,"a",@progbits
	.p2align	6, 0x0
	.amdhsa_kernel _ZN7rocprim17ROCPRIM_400000_NS6detail17trampoline_kernelINS0_14default_configENS1_22reduce_config_selectorIbEEZNS1_11reduce_implILb1ES3_N6hipcub16HIPCUB_304000_NS22TransformInputIteratorIbN2at6native12_GLOBAL__N_19NonZeroOpIbEEPKblEEPiiNS8_6detail34convert_binary_result_type_wrapperINS8_3SumESH_iEEEE10hipError_tPvRmT1_T2_T3_mT4_P12ihipStream_tbEUlT_E0_NS1_11comp_targetILNS1_3genE0ELNS1_11target_archE4294967295ELNS1_3gpuE0ELNS1_3repE0EEENS1_30default_config_static_selectorELNS0_4arch9wavefront6targetE0EEEvSQ_
		.amdhsa_group_segment_fixed_size 0
		.amdhsa_private_segment_fixed_size 0
		.amdhsa_kernarg_size 64
		.amdhsa_user_sgpr_count 2
		.amdhsa_user_sgpr_dispatch_ptr 0
		.amdhsa_user_sgpr_queue_ptr 0
		.amdhsa_user_sgpr_kernarg_segment_ptr 1
		.amdhsa_user_sgpr_dispatch_id 0
		.amdhsa_user_sgpr_private_segment_size 0
		.amdhsa_wavefront_size32 1
		.amdhsa_uses_dynamic_stack 0
		.amdhsa_enable_private_segment 0
		.amdhsa_system_sgpr_workgroup_id_x 1
		.amdhsa_system_sgpr_workgroup_id_y 0
		.amdhsa_system_sgpr_workgroup_id_z 0
		.amdhsa_system_sgpr_workgroup_info 0
		.amdhsa_system_vgpr_workitem_id 0
		.amdhsa_next_free_vgpr 1
		.amdhsa_next_free_sgpr 1
		.amdhsa_reserve_vcc 0
		.amdhsa_float_round_mode_32 0
		.amdhsa_float_round_mode_16_64 0
		.amdhsa_float_denorm_mode_32 3
		.amdhsa_float_denorm_mode_16_64 3
		.amdhsa_fp16_overflow 0
		.amdhsa_workgroup_processor_mode 1
		.amdhsa_memory_ordered 1
		.amdhsa_forward_progress 1
		.amdhsa_inst_pref_size 0
		.amdhsa_round_robin_scheduling 0
		.amdhsa_exception_fp_ieee_invalid_op 0
		.amdhsa_exception_fp_denorm_src 0
		.amdhsa_exception_fp_ieee_div_zero 0
		.amdhsa_exception_fp_ieee_overflow 0
		.amdhsa_exception_fp_ieee_underflow 0
		.amdhsa_exception_fp_ieee_inexact 0
		.amdhsa_exception_int_div_zero 0
	.end_amdhsa_kernel
	.section	.text._ZN7rocprim17ROCPRIM_400000_NS6detail17trampoline_kernelINS0_14default_configENS1_22reduce_config_selectorIbEEZNS1_11reduce_implILb1ES3_N6hipcub16HIPCUB_304000_NS22TransformInputIteratorIbN2at6native12_GLOBAL__N_19NonZeroOpIbEEPKblEEPiiNS8_6detail34convert_binary_result_type_wrapperINS8_3SumESH_iEEEE10hipError_tPvRmT1_T2_T3_mT4_P12ihipStream_tbEUlT_E0_NS1_11comp_targetILNS1_3genE0ELNS1_11target_archE4294967295ELNS1_3gpuE0ELNS1_3repE0EEENS1_30default_config_static_selectorELNS0_4arch9wavefront6targetE0EEEvSQ_,"axG",@progbits,_ZN7rocprim17ROCPRIM_400000_NS6detail17trampoline_kernelINS0_14default_configENS1_22reduce_config_selectorIbEEZNS1_11reduce_implILb1ES3_N6hipcub16HIPCUB_304000_NS22TransformInputIteratorIbN2at6native12_GLOBAL__N_19NonZeroOpIbEEPKblEEPiiNS8_6detail34convert_binary_result_type_wrapperINS8_3SumESH_iEEEE10hipError_tPvRmT1_T2_T3_mT4_P12ihipStream_tbEUlT_E0_NS1_11comp_targetILNS1_3genE0ELNS1_11target_archE4294967295ELNS1_3gpuE0ELNS1_3repE0EEENS1_30default_config_static_selectorELNS0_4arch9wavefront6targetE0EEEvSQ_,comdat
.Lfunc_end712:
	.size	_ZN7rocprim17ROCPRIM_400000_NS6detail17trampoline_kernelINS0_14default_configENS1_22reduce_config_selectorIbEEZNS1_11reduce_implILb1ES3_N6hipcub16HIPCUB_304000_NS22TransformInputIteratorIbN2at6native12_GLOBAL__N_19NonZeroOpIbEEPKblEEPiiNS8_6detail34convert_binary_result_type_wrapperINS8_3SumESH_iEEEE10hipError_tPvRmT1_T2_T3_mT4_P12ihipStream_tbEUlT_E0_NS1_11comp_targetILNS1_3genE0ELNS1_11target_archE4294967295ELNS1_3gpuE0ELNS1_3repE0EEENS1_30default_config_static_selectorELNS0_4arch9wavefront6targetE0EEEvSQ_, .Lfunc_end712-_ZN7rocprim17ROCPRIM_400000_NS6detail17trampoline_kernelINS0_14default_configENS1_22reduce_config_selectorIbEEZNS1_11reduce_implILb1ES3_N6hipcub16HIPCUB_304000_NS22TransformInputIteratorIbN2at6native12_GLOBAL__N_19NonZeroOpIbEEPKblEEPiiNS8_6detail34convert_binary_result_type_wrapperINS8_3SumESH_iEEEE10hipError_tPvRmT1_T2_T3_mT4_P12ihipStream_tbEUlT_E0_NS1_11comp_targetILNS1_3genE0ELNS1_11target_archE4294967295ELNS1_3gpuE0ELNS1_3repE0EEENS1_30default_config_static_selectorELNS0_4arch9wavefront6targetE0EEEvSQ_
                                        ; -- End function
	.set _ZN7rocprim17ROCPRIM_400000_NS6detail17trampoline_kernelINS0_14default_configENS1_22reduce_config_selectorIbEEZNS1_11reduce_implILb1ES3_N6hipcub16HIPCUB_304000_NS22TransformInputIteratorIbN2at6native12_GLOBAL__N_19NonZeroOpIbEEPKblEEPiiNS8_6detail34convert_binary_result_type_wrapperINS8_3SumESH_iEEEE10hipError_tPvRmT1_T2_T3_mT4_P12ihipStream_tbEUlT_E0_NS1_11comp_targetILNS1_3genE0ELNS1_11target_archE4294967295ELNS1_3gpuE0ELNS1_3repE0EEENS1_30default_config_static_selectorELNS0_4arch9wavefront6targetE0EEEvSQ_.num_vgpr, 0
	.set _ZN7rocprim17ROCPRIM_400000_NS6detail17trampoline_kernelINS0_14default_configENS1_22reduce_config_selectorIbEEZNS1_11reduce_implILb1ES3_N6hipcub16HIPCUB_304000_NS22TransformInputIteratorIbN2at6native12_GLOBAL__N_19NonZeroOpIbEEPKblEEPiiNS8_6detail34convert_binary_result_type_wrapperINS8_3SumESH_iEEEE10hipError_tPvRmT1_T2_T3_mT4_P12ihipStream_tbEUlT_E0_NS1_11comp_targetILNS1_3genE0ELNS1_11target_archE4294967295ELNS1_3gpuE0ELNS1_3repE0EEENS1_30default_config_static_selectorELNS0_4arch9wavefront6targetE0EEEvSQ_.num_agpr, 0
	.set _ZN7rocprim17ROCPRIM_400000_NS6detail17trampoline_kernelINS0_14default_configENS1_22reduce_config_selectorIbEEZNS1_11reduce_implILb1ES3_N6hipcub16HIPCUB_304000_NS22TransformInputIteratorIbN2at6native12_GLOBAL__N_19NonZeroOpIbEEPKblEEPiiNS8_6detail34convert_binary_result_type_wrapperINS8_3SumESH_iEEEE10hipError_tPvRmT1_T2_T3_mT4_P12ihipStream_tbEUlT_E0_NS1_11comp_targetILNS1_3genE0ELNS1_11target_archE4294967295ELNS1_3gpuE0ELNS1_3repE0EEENS1_30default_config_static_selectorELNS0_4arch9wavefront6targetE0EEEvSQ_.numbered_sgpr, 0
	.set _ZN7rocprim17ROCPRIM_400000_NS6detail17trampoline_kernelINS0_14default_configENS1_22reduce_config_selectorIbEEZNS1_11reduce_implILb1ES3_N6hipcub16HIPCUB_304000_NS22TransformInputIteratorIbN2at6native12_GLOBAL__N_19NonZeroOpIbEEPKblEEPiiNS8_6detail34convert_binary_result_type_wrapperINS8_3SumESH_iEEEE10hipError_tPvRmT1_T2_T3_mT4_P12ihipStream_tbEUlT_E0_NS1_11comp_targetILNS1_3genE0ELNS1_11target_archE4294967295ELNS1_3gpuE0ELNS1_3repE0EEENS1_30default_config_static_selectorELNS0_4arch9wavefront6targetE0EEEvSQ_.num_named_barrier, 0
	.set _ZN7rocprim17ROCPRIM_400000_NS6detail17trampoline_kernelINS0_14default_configENS1_22reduce_config_selectorIbEEZNS1_11reduce_implILb1ES3_N6hipcub16HIPCUB_304000_NS22TransformInputIteratorIbN2at6native12_GLOBAL__N_19NonZeroOpIbEEPKblEEPiiNS8_6detail34convert_binary_result_type_wrapperINS8_3SumESH_iEEEE10hipError_tPvRmT1_T2_T3_mT4_P12ihipStream_tbEUlT_E0_NS1_11comp_targetILNS1_3genE0ELNS1_11target_archE4294967295ELNS1_3gpuE0ELNS1_3repE0EEENS1_30default_config_static_selectorELNS0_4arch9wavefront6targetE0EEEvSQ_.private_seg_size, 0
	.set _ZN7rocprim17ROCPRIM_400000_NS6detail17trampoline_kernelINS0_14default_configENS1_22reduce_config_selectorIbEEZNS1_11reduce_implILb1ES3_N6hipcub16HIPCUB_304000_NS22TransformInputIteratorIbN2at6native12_GLOBAL__N_19NonZeroOpIbEEPKblEEPiiNS8_6detail34convert_binary_result_type_wrapperINS8_3SumESH_iEEEE10hipError_tPvRmT1_T2_T3_mT4_P12ihipStream_tbEUlT_E0_NS1_11comp_targetILNS1_3genE0ELNS1_11target_archE4294967295ELNS1_3gpuE0ELNS1_3repE0EEENS1_30default_config_static_selectorELNS0_4arch9wavefront6targetE0EEEvSQ_.uses_vcc, 0
	.set _ZN7rocprim17ROCPRIM_400000_NS6detail17trampoline_kernelINS0_14default_configENS1_22reduce_config_selectorIbEEZNS1_11reduce_implILb1ES3_N6hipcub16HIPCUB_304000_NS22TransformInputIteratorIbN2at6native12_GLOBAL__N_19NonZeroOpIbEEPKblEEPiiNS8_6detail34convert_binary_result_type_wrapperINS8_3SumESH_iEEEE10hipError_tPvRmT1_T2_T3_mT4_P12ihipStream_tbEUlT_E0_NS1_11comp_targetILNS1_3genE0ELNS1_11target_archE4294967295ELNS1_3gpuE0ELNS1_3repE0EEENS1_30default_config_static_selectorELNS0_4arch9wavefront6targetE0EEEvSQ_.uses_flat_scratch, 0
	.set _ZN7rocprim17ROCPRIM_400000_NS6detail17trampoline_kernelINS0_14default_configENS1_22reduce_config_selectorIbEEZNS1_11reduce_implILb1ES3_N6hipcub16HIPCUB_304000_NS22TransformInputIteratorIbN2at6native12_GLOBAL__N_19NonZeroOpIbEEPKblEEPiiNS8_6detail34convert_binary_result_type_wrapperINS8_3SumESH_iEEEE10hipError_tPvRmT1_T2_T3_mT4_P12ihipStream_tbEUlT_E0_NS1_11comp_targetILNS1_3genE0ELNS1_11target_archE4294967295ELNS1_3gpuE0ELNS1_3repE0EEENS1_30default_config_static_selectorELNS0_4arch9wavefront6targetE0EEEvSQ_.has_dyn_sized_stack, 0
	.set _ZN7rocprim17ROCPRIM_400000_NS6detail17trampoline_kernelINS0_14default_configENS1_22reduce_config_selectorIbEEZNS1_11reduce_implILb1ES3_N6hipcub16HIPCUB_304000_NS22TransformInputIteratorIbN2at6native12_GLOBAL__N_19NonZeroOpIbEEPKblEEPiiNS8_6detail34convert_binary_result_type_wrapperINS8_3SumESH_iEEEE10hipError_tPvRmT1_T2_T3_mT4_P12ihipStream_tbEUlT_E0_NS1_11comp_targetILNS1_3genE0ELNS1_11target_archE4294967295ELNS1_3gpuE0ELNS1_3repE0EEENS1_30default_config_static_selectorELNS0_4arch9wavefront6targetE0EEEvSQ_.has_recursion, 0
	.set _ZN7rocprim17ROCPRIM_400000_NS6detail17trampoline_kernelINS0_14default_configENS1_22reduce_config_selectorIbEEZNS1_11reduce_implILb1ES3_N6hipcub16HIPCUB_304000_NS22TransformInputIteratorIbN2at6native12_GLOBAL__N_19NonZeroOpIbEEPKblEEPiiNS8_6detail34convert_binary_result_type_wrapperINS8_3SumESH_iEEEE10hipError_tPvRmT1_T2_T3_mT4_P12ihipStream_tbEUlT_E0_NS1_11comp_targetILNS1_3genE0ELNS1_11target_archE4294967295ELNS1_3gpuE0ELNS1_3repE0EEENS1_30default_config_static_selectorELNS0_4arch9wavefront6targetE0EEEvSQ_.has_indirect_call, 0
	.section	.AMDGPU.csdata,"",@progbits
; Kernel info:
; codeLenInByte = 0
; TotalNumSgprs: 0
; NumVgprs: 0
; ScratchSize: 0
; MemoryBound: 0
; FloatMode: 240
; IeeeMode: 1
; LDSByteSize: 0 bytes/workgroup (compile time only)
; SGPRBlocks: 0
; VGPRBlocks: 0
; NumSGPRsForWavesPerEU: 1
; NumVGPRsForWavesPerEU: 1
; Occupancy: 16
; WaveLimiterHint : 0
; COMPUTE_PGM_RSRC2:SCRATCH_EN: 0
; COMPUTE_PGM_RSRC2:USER_SGPR: 2
; COMPUTE_PGM_RSRC2:TRAP_HANDLER: 0
; COMPUTE_PGM_RSRC2:TGID_X_EN: 1
; COMPUTE_PGM_RSRC2:TGID_Y_EN: 0
; COMPUTE_PGM_RSRC2:TGID_Z_EN: 0
; COMPUTE_PGM_RSRC2:TIDIG_COMP_CNT: 0
	.section	.text._ZN7rocprim17ROCPRIM_400000_NS6detail17trampoline_kernelINS0_14default_configENS1_22reduce_config_selectorIbEEZNS1_11reduce_implILb1ES3_N6hipcub16HIPCUB_304000_NS22TransformInputIteratorIbN2at6native12_GLOBAL__N_19NonZeroOpIbEEPKblEEPiiNS8_6detail34convert_binary_result_type_wrapperINS8_3SumESH_iEEEE10hipError_tPvRmT1_T2_T3_mT4_P12ihipStream_tbEUlT_E0_NS1_11comp_targetILNS1_3genE5ELNS1_11target_archE942ELNS1_3gpuE9ELNS1_3repE0EEENS1_30default_config_static_selectorELNS0_4arch9wavefront6targetE0EEEvSQ_,"axG",@progbits,_ZN7rocprim17ROCPRIM_400000_NS6detail17trampoline_kernelINS0_14default_configENS1_22reduce_config_selectorIbEEZNS1_11reduce_implILb1ES3_N6hipcub16HIPCUB_304000_NS22TransformInputIteratorIbN2at6native12_GLOBAL__N_19NonZeroOpIbEEPKblEEPiiNS8_6detail34convert_binary_result_type_wrapperINS8_3SumESH_iEEEE10hipError_tPvRmT1_T2_T3_mT4_P12ihipStream_tbEUlT_E0_NS1_11comp_targetILNS1_3genE5ELNS1_11target_archE942ELNS1_3gpuE9ELNS1_3repE0EEENS1_30default_config_static_selectorELNS0_4arch9wavefront6targetE0EEEvSQ_,comdat
	.globl	_ZN7rocprim17ROCPRIM_400000_NS6detail17trampoline_kernelINS0_14default_configENS1_22reduce_config_selectorIbEEZNS1_11reduce_implILb1ES3_N6hipcub16HIPCUB_304000_NS22TransformInputIteratorIbN2at6native12_GLOBAL__N_19NonZeroOpIbEEPKblEEPiiNS8_6detail34convert_binary_result_type_wrapperINS8_3SumESH_iEEEE10hipError_tPvRmT1_T2_T3_mT4_P12ihipStream_tbEUlT_E0_NS1_11comp_targetILNS1_3genE5ELNS1_11target_archE942ELNS1_3gpuE9ELNS1_3repE0EEENS1_30default_config_static_selectorELNS0_4arch9wavefront6targetE0EEEvSQ_ ; -- Begin function _ZN7rocprim17ROCPRIM_400000_NS6detail17trampoline_kernelINS0_14default_configENS1_22reduce_config_selectorIbEEZNS1_11reduce_implILb1ES3_N6hipcub16HIPCUB_304000_NS22TransformInputIteratorIbN2at6native12_GLOBAL__N_19NonZeroOpIbEEPKblEEPiiNS8_6detail34convert_binary_result_type_wrapperINS8_3SumESH_iEEEE10hipError_tPvRmT1_T2_T3_mT4_P12ihipStream_tbEUlT_E0_NS1_11comp_targetILNS1_3genE5ELNS1_11target_archE942ELNS1_3gpuE9ELNS1_3repE0EEENS1_30default_config_static_selectorELNS0_4arch9wavefront6targetE0EEEvSQ_
	.p2align	8
	.type	_ZN7rocprim17ROCPRIM_400000_NS6detail17trampoline_kernelINS0_14default_configENS1_22reduce_config_selectorIbEEZNS1_11reduce_implILb1ES3_N6hipcub16HIPCUB_304000_NS22TransformInputIteratorIbN2at6native12_GLOBAL__N_19NonZeroOpIbEEPKblEEPiiNS8_6detail34convert_binary_result_type_wrapperINS8_3SumESH_iEEEE10hipError_tPvRmT1_T2_T3_mT4_P12ihipStream_tbEUlT_E0_NS1_11comp_targetILNS1_3genE5ELNS1_11target_archE942ELNS1_3gpuE9ELNS1_3repE0EEENS1_30default_config_static_selectorELNS0_4arch9wavefront6targetE0EEEvSQ_,@function
_ZN7rocprim17ROCPRIM_400000_NS6detail17trampoline_kernelINS0_14default_configENS1_22reduce_config_selectorIbEEZNS1_11reduce_implILb1ES3_N6hipcub16HIPCUB_304000_NS22TransformInputIteratorIbN2at6native12_GLOBAL__N_19NonZeroOpIbEEPKblEEPiiNS8_6detail34convert_binary_result_type_wrapperINS8_3SumESH_iEEEE10hipError_tPvRmT1_T2_T3_mT4_P12ihipStream_tbEUlT_E0_NS1_11comp_targetILNS1_3genE5ELNS1_11target_archE942ELNS1_3gpuE9ELNS1_3repE0EEENS1_30default_config_static_selectorELNS0_4arch9wavefront6targetE0EEEvSQ_: ; @_ZN7rocprim17ROCPRIM_400000_NS6detail17trampoline_kernelINS0_14default_configENS1_22reduce_config_selectorIbEEZNS1_11reduce_implILb1ES3_N6hipcub16HIPCUB_304000_NS22TransformInputIteratorIbN2at6native12_GLOBAL__N_19NonZeroOpIbEEPKblEEPiiNS8_6detail34convert_binary_result_type_wrapperINS8_3SumESH_iEEEE10hipError_tPvRmT1_T2_T3_mT4_P12ihipStream_tbEUlT_E0_NS1_11comp_targetILNS1_3genE5ELNS1_11target_archE942ELNS1_3gpuE9ELNS1_3repE0EEENS1_30default_config_static_selectorELNS0_4arch9wavefront6targetE0EEEvSQ_
; %bb.0:
	.section	.rodata,"a",@progbits
	.p2align	6, 0x0
	.amdhsa_kernel _ZN7rocprim17ROCPRIM_400000_NS6detail17trampoline_kernelINS0_14default_configENS1_22reduce_config_selectorIbEEZNS1_11reduce_implILb1ES3_N6hipcub16HIPCUB_304000_NS22TransformInputIteratorIbN2at6native12_GLOBAL__N_19NonZeroOpIbEEPKblEEPiiNS8_6detail34convert_binary_result_type_wrapperINS8_3SumESH_iEEEE10hipError_tPvRmT1_T2_T3_mT4_P12ihipStream_tbEUlT_E0_NS1_11comp_targetILNS1_3genE5ELNS1_11target_archE942ELNS1_3gpuE9ELNS1_3repE0EEENS1_30default_config_static_selectorELNS0_4arch9wavefront6targetE0EEEvSQ_
		.amdhsa_group_segment_fixed_size 0
		.amdhsa_private_segment_fixed_size 0
		.amdhsa_kernarg_size 64
		.amdhsa_user_sgpr_count 2
		.amdhsa_user_sgpr_dispatch_ptr 0
		.amdhsa_user_sgpr_queue_ptr 0
		.amdhsa_user_sgpr_kernarg_segment_ptr 1
		.amdhsa_user_sgpr_dispatch_id 0
		.amdhsa_user_sgpr_private_segment_size 0
		.amdhsa_wavefront_size32 1
		.amdhsa_uses_dynamic_stack 0
		.amdhsa_enable_private_segment 0
		.amdhsa_system_sgpr_workgroup_id_x 1
		.amdhsa_system_sgpr_workgroup_id_y 0
		.amdhsa_system_sgpr_workgroup_id_z 0
		.amdhsa_system_sgpr_workgroup_info 0
		.amdhsa_system_vgpr_workitem_id 0
		.amdhsa_next_free_vgpr 1
		.amdhsa_next_free_sgpr 1
		.amdhsa_reserve_vcc 0
		.amdhsa_float_round_mode_32 0
		.amdhsa_float_round_mode_16_64 0
		.amdhsa_float_denorm_mode_32 3
		.amdhsa_float_denorm_mode_16_64 3
		.amdhsa_fp16_overflow 0
		.amdhsa_workgroup_processor_mode 1
		.amdhsa_memory_ordered 1
		.amdhsa_forward_progress 1
		.amdhsa_inst_pref_size 0
		.amdhsa_round_robin_scheduling 0
		.amdhsa_exception_fp_ieee_invalid_op 0
		.amdhsa_exception_fp_denorm_src 0
		.amdhsa_exception_fp_ieee_div_zero 0
		.amdhsa_exception_fp_ieee_overflow 0
		.amdhsa_exception_fp_ieee_underflow 0
		.amdhsa_exception_fp_ieee_inexact 0
		.amdhsa_exception_int_div_zero 0
	.end_amdhsa_kernel
	.section	.text._ZN7rocprim17ROCPRIM_400000_NS6detail17trampoline_kernelINS0_14default_configENS1_22reduce_config_selectorIbEEZNS1_11reduce_implILb1ES3_N6hipcub16HIPCUB_304000_NS22TransformInputIteratorIbN2at6native12_GLOBAL__N_19NonZeroOpIbEEPKblEEPiiNS8_6detail34convert_binary_result_type_wrapperINS8_3SumESH_iEEEE10hipError_tPvRmT1_T2_T3_mT4_P12ihipStream_tbEUlT_E0_NS1_11comp_targetILNS1_3genE5ELNS1_11target_archE942ELNS1_3gpuE9ELNS1_3repE0EEENS1_30default_config_static_selectorELNS0_4arch9wavefront6targetE0EEEvSQ_,"axG",@progbits,_ZN7rocprim17ROCPRIM_400000_NS6detail17trampoline_kernelINS0_14default_configENS1_22reduce_config_selectorIbEEZNS1_11reduce_implILb1ES3_N6hipcub16HIPCUB_304000_NS22TransformInputIteratorIbN2at6native12_GLOBAL__N_19NonZeroOpIbEEPKblEEPiiNS8_6detail34convert_binary_result_type_wrapperINS8_3SumESH_iEEEE10hipError_tPvRmT1_T2_T3_mT4_P12ihipStream_tbEUlT_E0_NS1_11comp_targetILNS1_3genE5ELNS1_11target_archE942ELNS1_3gpuE9ELNS1_3repE0EEENS1_30default_config_static_selectorELNS0_4arch9wavefront6targetE0EEEvSQ_,comdat
.Lfunc_end713:
	.size	_ZN7rocprim17ROCPRIM_400000_NS6detail17trampoline_kernelINS0_14default_configENS1_22reduce_config_selectorIbEEZNS1_11reduce_implILb1ES3_N6hipcub16HIPCUB_304000_NS22TransformInputIteratorIbN2at6native12_GLOBAL__N_19NonZeroOpIbEEPKblEEPiiNS8_6detail34convert_binary_result_type_wrapperINS8_3SumESH_iEEEE10hipError_tPvRmT1_T2_T3_mT4_P12ihipStream_tbEUlT_E0_NS1_11comp_targetILNS1_3genE5ELNS1_11target_archE942ELNS1_3gpuE9ELNS1_3repE0EEENS1_30default_config_static_selectorELNS0_4arch9wavefront6targetE0EEEvSQ_, .Lfunc_end713-_ZN7rocprim17ROCPRIM_400000_NS6detail17trampoline_kernelINS0_14default_configENS1_22reduce_config_selectorIbEEZNS1_11reduce_implILb1ES3_N6hipcub16HIPCUB_304000_NS22TransformInputIteratorIbN2at6native12_GLOBAL__N_19NonZeroOpIbEEPKblEEPiiNS8_6detail34convert_binary_result_type_wrapperINS8_3SumESH_iEEEE10hipError_tPvRmT1_T2_T3_mT4_P12ihipStream_tbEUlT_E0_NS1_11comp_targetILNS1_3genE5ELNS1_11target_archE942ELNS1_3gpuE9ELNS1_3repE0EEENS1_30default_config_static_selectorELNS0_4arch9wavefront6targetE0EEEvSQ_
                                        ; -- End function
	.set _ZN7rocprim17ROCPRIM_400000_NS6detail17trampoline_kernelINS0_14default_configENS1_22reduce_config_selectorIbEEZNS1_11reduce_implILb1ES3_N6hipcub16HIPCUB_304000_NS22TransformInputIteratorIbN2at6native12_GLOBAL__N_19NonZeroOpIbEEPKblEEPiiNS8_6detail34convert_binary_result_type_wrapperINS8_3SumESH_iEEEE10hipError_tPvRmT1_T2_T3_mT4_P12ihipStream_tbEUlT_E0_NS1_11comp_targetILNS1_3genE5ELNS1_11target_archE942ELNS1_3gpuE9ELNS1_3repE0EEENS1_30default_config_static_selectorELNS0_4arch9wavefront6targetE0EEEvSQ_.num_vgpr, 0
	.set _ZN7rocprim17ROCPRIM_400000_NS6detail17trampoline_kernelINS0_14default_configENS1_22reduce_config_selectorIbEEZNS1_11reduce_implILb1ES3_N6hipcub16HIPCUB_304000_NS22TransformInputIteratorIbN2at6native12_GLOBAL__N_19NonZeroOpIbEEPKblEEPiiNS8_6detail34convert_binary_result_type_wrapperINS8_3SumESH_iEEEE10hipError_tPvRmT1_T2_T3_mT4_P12ihipStream_tbEUlT_E0_NS1_11comp_targetILNS1_3genE5ELNS1_11target_archE942ELNS1_3gpuE9ELNS1_3repE0EEENS1_30default_config_static_selectorELNS0_4arch9wavefront6targetE0EEEvSQ_.num_agpr, 0
	.set _ZN7rocprim17ROCPRIM_400000_NS6detail17trampoline_kernelINS0_14default_configENS1_22reduce_config_selectorIbEEZNS1_11reduce_implILb1ES3_N6hipcub16HIPCUB_304000_NS22TransformInputIteratorIbN2at6native12_GLOBAL__N_19NonZeroOpIbEEPKblEEPiiNS8_6detail34convert_binary_result_type_wrapperINS8_3SumESH_iEEEE10hipError_tPvRmT1_T2_T3_mT4_P12ihipStream_tbEUlT_E0_NS1_11comp_targetILNS1_3genE5ELNS1_11target_archE942ELNS1_3gpuE9ELNS1_3repE0EEENS1_30default_config_static_selectorELNS0_4arch9wavefront6targetE0EEEvSQ_.numbered_sgpr, 0
	.set _ZN7rocprim17ROCPRIM_400000_NS6detail17trampoline_kernelINS0_14default_configENS1_22reduce_config_selectorIbEEZNS1_11reduce_implILb1ES3_N6hipcub16HIPCUB_304000_NS22TransformInputIteratorIbN2at6native12_GLOBAL__N_19NonZeroOpIbEEPKblEEPiiNS8_6detail34convert_binary_result_type_wrapperINS8_3SumESH_iEEEE10hipError_tPvRmT1_T2_T3_mT4_P12ihipStream_tbEUlT_E0_NS1_11comp_targetILNS1_3genE5ELNS1_11target_archE942ELNS1_3gpuE9ELNS1_3repE0EEENS1_30default_config_static_selectorELNS0_4arch9wavefront6targetE0EEEvSQ_.num_named_barrier, 0
	.set _ZN7rocprim17ROCPRIM_400000_NS6detail17trampoline_kernelINS0_14default_configENS1_22reduce_config_selectorIbEEZNS1_11reduce_implILb1ES3_N6hipcub16HIPCUB_304000_NS22TransformInputIteratorIbN2at6native12_GLOBAL__N_19NonZeroOpIbEEPKblEEPiiNS8_6detail34convert_binary_result_type_wrapperINS8_3SumESH_iEEEE10hipError_tPvRmT1_T2_T3_mT4_P12ihipStream_tbEUlT_E0_NS1_11comp_targetILNS1_3genE5ELNS1_11target_archE942ELNS1_3gpuE9ELNS1_3repE0EEENS1_30default_config_static_selectorELNS0_4arch9wavefront6targetE0EEEvSQ_.private_seg_size, 0
	.set _ZN7rocprim17ROCPRIM_400000_NS6detail17trampoline_kernelINS0_14default_configENS1_22reduce_config_selectorIbEEZNS1_11reduce_implILb1ES3_N6hipcub16HIPCUB_304000_NS22TransformInputIteratorIbN2at6native12_GLOBAL__N_19NonZeroOpIbEEPKblEEPiiNS8_6detail34convert_binary_result_type_wrapperINS8_3SumESH_iEEEE10hipError_tPvRmT1_T2_T3_mT4_P12ihipStream_tbEUlT_E0_NS1_11comp_targetILNS1_3genE5ELNS1_11target_archE942ELNS1_3gpuE9ELNS1_3repE0EEENS1_30default_config_static_selectorELNS0_4arch9wavefront6targetE0EEEvSQ_.uses_vcc, 0
	.set _ZN7rocprim17ROCPRIM_400000_NS6detail17trampoline_kernelINS0_14default_configENS1_22reduce_config_selectorIbEEZNS1_11reduce_implILb1ES3_N6hipcub16HIPCUB_304000_NS22TransformInputIteratorIbN2at6native12_GLOBAL__N_19NonZeroOpIbEEPKblEEPiiNS8_6detail34convert_binary_result_type_wrapperINS8_3SumESH_iEEEE10hipError_tPvRmT1_T2_T3_mT4_P12ihipStream_tbEUlT_E0_NS1_11comp_targetILNS1_3genE5ELNS1_11target_archE942ELNS1_3gpuE9ELNS1_3repE0EEENS1_30default_config_static_selectorELNS0_4arch9wavefront6targetE0EEEvSQ_.uses_flat_scratch, 0
	.set _ZN7rocprim17ROCPRIM_400000_NS6detail17trampoline_kernelINS0_14default_configENS1_22reduce_config_selectorIbEEZNS1_11reduce_implILb1ES3_N6hipcub16HIPCUB_304000_NS22TransformInputIteratorIbN2at6native12_GLOBAL__N_19NonZeroOpIbEEPKblEEPiiNS8_6detail34convert_binary_result_type_wrapperINS8_3SumESH_iEEEE10hipError_tPvRmT1_T2_T3_mT4_P12ihipStream_tbEUlT_E0_NS1_11comp_targetILNS1_3genE5ELNS1_11target_archE942ELNS1_3gpuE9ELNS1_3repE0EEENS1_30default_config_static_selectorELNS0_4arch9wavefront6targetE0EEEvSQ_.has_dyn_sized_stack, 0
	.set _ZN7rocprim17ROCPRIM_400000_NS6detail17trampoline_kernelINS0_14default_configENS1_22reduce_config_selectorIbEEZNS1_11reduce_implILb1ES3_N6hipcub16HIPCUB_304000_NS22TransformInputIteratorIbN2at6native12_GLOBAL__N_19NonZeroOpIbEEPKblEEPiiNS8_6detail34convert_binary_result_type_wrapperINS8_3SumESH_iEEEE10hipError_tPvRmT1_T2_T3_mT4_P12ihipStream_tbEUlT_E0_NS1_11comp_targetILNS1_3genE5ELNS1_11target_archE942ELNS1_3gpuE9ELNS1_3repE0EEENS1_30default_config_static_selectorELNS0_4arch9wavefront6targetE0EEEvSQ_.has_recursion, 0
	.set _ZN7rocprim17ROCPRIM_400000_NS6detail17trampoline_kernelINS0_14default_configENS1_22reduce_config_selectorIbEEZNS1_11reduce_implILb1ES3_N6hipcub16HIPCUB_304000_NS22TransformInputIteratorIbN2at6native12_GLOBAL__N_19NonZeroOpIbEEPKblEEPiiNS8_6detail34convert_binary_result_type_wrapperINS8_3SumESH_iEEEE10hipError_tPvRmT1_T2_T3_mT4_P12ihipStream_tbEUlT_E0_NS1_11comp_targetILNS1_3genE5ELNS1_11target_archE942ELNS1_3gpuE9ELNS1_3repE0EEENS1_30default_config_static_selectorELNS0_4arch9wavefront6targetE0EEEvSQ_.has_indirect_call, 0
	.section	.AMDGPU.csdata,"",@progbits
; Kernel info:
; codeLenInByte = 0
; TotalNumSgprs: 0
; NumVgprs: 0
; ScratchSize: 0
; MemoryBound: 0
; FloatMode: 240
; IeeeMode: 1
; LDSByteSize: 0 bytes/workgroup (compile time only)
; SGPRBlocks: 0
; VGPRBlocks: 0
; NumSGPRsForWavesPerEU: 1
; NumVGPRsForWavesPerEU: 1
; Occupancy: 16
; WaveLimiterHint : 0
; COMPUTE_PGM_RSRC2:SCRATCH_EN: 0
; COMPUTE_PGM_RSRC2:USER_SGPR: 2
; COMPUTE_PGM_RSRC2:TRAP_HANDLER: 0
; COMPUTE_PGM_RSRC2:TGID_X_EN: 1
; COMPUTE_PGM_RSRC2:TGID_Y_EN: 0
; COMPUTE_PGM_RSRC2:TGID_Z_EN: 0
; COMPUTE_PGM_RSRC2:TIDIG_COMP_CNT: 0
	.section	.text._ZN7rocprim17ROCPRIM_400000_NS6detail17trampoline_kernelINS0_14default_configENS1_22reduce_config_selectorIbEEZNS1_11reduce_implILb1ES3_N6hipcub16HIPCUB_304000_NS22TransformInputIteratorIbN2at6native12_GLOBAL__N_19NonZeroOpIbEEPKblEEPiiNS8_6detail34convert_binary_result_type_wrapperINS8_3SumESH_iEEEE10hipError_tPvRmT1_T2_T3_mT4_P12ihipStream_tbEUlT_E0_NS1_11comp_targetILNS1_3genE4ELNS1_11target_archE910ELNS1_3gpuE8ELNS1_3repE0EEENS1_30default_config_static_selectorELNS0_4arch9wavefront6targetE0EEEvSQ_,"axG",@progbits,_ZN7rocprim17ROCPRIM_400000_NS6detail17trampoline_kernelINS0_14default_configENS1_22reduce_config_selectorIbEEZNS1_11reduce_implILb1ES3_N6hipcub16HIPCUB_304000_NS22TransformInputIteratorIbN2at6native12_GLOBAL__N_19NonZeroOpIbEEPKblEEPiiNS8_6detail34convert_binary_result_type_wrapperINS8_3SumESH_iEEEE10hipError_tPvRmT1_T2_T3_mT4_P12ihipStream_tbEUlT_E0_NS1_11comp_targetILNS1_3genE4ELNS1_11target_archE910ELNS1_3gpuE8ELNS1_3repE0EEENS1_30default_config_static_selectorELNS0_4arch9wavefront6targetE0EEEvSQ_,comdat
	.globl	_ZN7rocprim17ROCPRIM_400000_NS6detail17trampoline_kernelINS0_14default_configENS1_22reduce_config_selectorIbEEZNS1_11reduce_implILb1ES3_N6hipcub16HIPCUB_304000_NS22TransformInputIteratorIbN2at6native12_GLOBAL__N_19NonZeroOpIbEEPKblEEPiiNS8_6detail34convert_binary_result_type_wrapperINS8_3SumESH_iEEEE10hipError_tPvRmT1_T2_T3_mT4_P12ihipStream_tbEUlT_E0_NS1_11comp_targetILNS1_3genE4ELNS1_11target_archE910ELNS1_3gpuE8ELNS1_3repE0EEENS1_30default_config_static_selectorELNS0_4arch9wavefront6targetE0EEEvSQ_ ; -- Begin function _ZN7rocprim17ROCPRIM_400000_NS6detail17trampoline_kernelINS0_14default_configENS1_22reduce_config_selectorIbEEZNS1_11reduce_implILb1ES3_N6hipcub16HIPCUB_304000_NS22TransformInputIteratorIbN2at6native12_GLOBAL__N_19NonZeroOpIbEEPKblEEPiiNS8_6detail34convert_binary_result_type_wrapperINS8_3SumESH_iEEEE10hipError_tPvRmT1_T2_T3_mT4_P12ihipStream_tbEUlT_E0_NS1_11comp_targetILNS1_3genE4ELNS1_11target_archE910ELNS1_3gpuE8ELNS1_3repE0EEENS1_30default_config_static_selectorELNS0_4arch9wavefront6targetE0EEEvSQ_
	.p2align	8
	.type	_ZN7rocprim17ROCPRIM_400000_NS6detail17trampoline_kernelINS0_14default_configENS1_22reduce_config_selectorIbEEZNS1_11reduce_implILb1ES3_N6hipcub16HIPCUB_304000_NS22TransformInputIteratorIbN2at6native12_GLOBAL__N_19NonZeroOpIbEEPKblEEPiiNS8_6detail34convert_binary_result_type_wrapperINS8_3SumESH_iEEEE10hipError_tPvRmT1_T2_T3_mT4_P12ihipStream_tbEUlT_E0_NS1_11comp_targetILNS1_3genE4ELNS1_11target_archE910ELNS1_3gpuE8ELNS1_3repE0EEENS1_30default_config_static_selectorELNS0_4arch9wavefront6targetE0EEEvSQ_,@function
_ZN7rocprim17ROCPRIM_400000_NS6detail17trampoline_kernelINS0_14default_configENS1_22reduce_config_selectorIbEEZNS1_11reduce_implILb1ES3_N6hipcub16HIPCUB_304000_NS22TransformInputIteratorIbN2at6native12_GLOBAL__N_19NonZeroOpIbEEPKblEEPiiNS8_6detail34convert_binary_result_type_wrapperINS8_3SumESH_iEEEE10hipError_tPvRmT1_T2_T3_mT4_P12ihipStream_tbEUlT_E0_NS1_11comp_targetILNS1_3genE4ELNS1_11target_archE910ELNS1_3gpuE8ELNS1_3repE0EEENS1_30default_config_static_selectorELNS0_4arch9wavefront6targetE0EEEvSQ_: ; @_ZN7rocprim17ROCPRIM_400000_NS6detail17trampoline_kernelINS0_14default_configENS1_22reduce_config_selectorIbEEZNS1_11reduce_implILb1ES3_N6hipcub16HIPCUB_304000_NS22TransformInputIteratorIbN2at6native12_GLOBAL__N_19NonZeroOpIbEEPKblEEPiiNS8_6detail34convert_binary_result_type_wrapperINS8_3SumESH_iEEEE10hipError_tPvRmT1_T2_T3_mT4_P12ihipStream_tbEUlT_E0_NS1_11comp_targetILNS1_3genE4ELNS1_11target_archE910ELNS1_3gpuE8ELNS1_3repE0EEENS1_30default_config_static_selectorELNS0_4arch9wavefront6targetE0EEEvSQ_
; %bb.0:
	.section	.rodata,"a",@progbits
	.p2align	6, 0x0
	.amdhsa_kernel _ZN7rocprim17ROCPRIM_400000_NS6detail17trampoline_kernelINS0_14default_configENS1_22reduce_config_selectorIbEEZNS1_11reduce_implILb1ES3_N6hipcub16HIPCUB_304000_NS22TransformInputIteratorIbN2at6native12_GLOBAL__N_19NonZeroOpIbEEPKblEEPiiNS8_6detail34convert_binary_result_type_wrapperINS8_3SumESH_iEEEE10hipError_tPvRmT1_T2_T3_mT4_P12ihipStream_tbEUlT_E0_NS1_11comp_targetILNS1_3genE4ELNS1_11target_archE910ELNS1_3gpuE8ELNS1_3repE0EEENS1_30default_config_static_selectorELNS0_4arch9wavefront6targetE0EEEvSQ_
		.amdhsa_group_segment_fixed_size 0
		.amdhsa_private_segment_fixed_size 0
		.amdhsa_kernarg_size 64
		.amdhsa_user_sgpr_count 2
		.amdhsa_user_sgpr_dispatch_ptr 0
		.amdhsa_user_sgpr_queue_ptr 0
		.amdhsa_user_sgpr_kernarg_segment_ptr 1
		.amdhsa_user_sgpr_dispatch_id 0
		.amdhsa_user_sgpr_private_segment_size 0
		.amdhsa_wavefront_size32 1
		.amdhsa_uses_dynamic_stack 0
		.amdhsa_enable_private_segment 0
		.amdhsa_system_sgpr_workgroup_id_x 1
		.amdhsa_system_sgpr_workgroup_id_y 0
		.amdhsa_system_sgpr_workgroup_id_z 0
		.amdhsa_system_sgpr_workgroup_info 0
		.amdhsa_system_vgpr_workitem_id 0
		.amdhsa_next_free_vgpr 1
		.amdhsa_next_free_sgpr 1
		.amdhsa_reserve_vcc 0
		.amdhsa_float_round_mode_32 0
		.amdhsa_float_round_mode_16_64 0
		.amdhsa_float_denorm_mode_32 3
		.amdhsa_float_denorm_mode_16_64 3
		.amdhsa_fp16_overflow 0
		.amdhsa_workgroup_processor_mode 1
		.amdhsa_memory_ordered 1
		.amdhsa_forward_progress 1
		.amdhsa_inst_pref_size 0
		.amdhsa_round_robin_scheduling 0
		.amdhsa_exception_fp_ieee_invalid_op 0
		.amdhsa_exception_fp_denorm_src 0
		.amdhsa_exception_fp_ieee_div_zero 0
		.amdhsa_exception_fp_ieee_overflow 0
		.amdhsa_exception_fp_ieee_underflow 0
		.amdhsa_exception_fp_ieee_inexact 0
		.amdhsa_exception_int_div_zero 0
	.end_amdhsa_kernel
	.section	.text._ZN7rocprim17ROCPRIM_400000_NS6detail17trampoline_kernelINS0_14default_configENS1_22reduce_config_selectorIbEEZNS1_11reduce_implILb1ES3_N6hipcub16HIPCUB_304000_NS22TransformInputIteratorIbN2at6native12_GLOBAL__N_19NonZeroOpIbEEPKblEEPiiNS8_6detail34convert_binary_result_type_wrapperINS8_3SumESH_iEEEE10hipError_tPvRmT1_T2_T3_mT4_P12ihipStream_tbEUlT_E0_NS1_11comp_targetILNS1_3genE4ELNS1_11target_archE910ELNS1_3gpuE8ELNS1_3repE0EEENS1_30default_config_static_selectorELNS0_4arch9wavefront6targetE0EEEvSQ_,"axG",@progbits,_ZN7rocprim17ROCPRIM_400000_NS6detail17trampoline_kernelINS0_14default_configENS1_22reduce_config_selectorIbEEZNS1_11reduce_implILb1ES3_N6hipcub16HIPCUB_304000_NS22TransformInputIteratorIbN2at6native12_GLOBAL__N_19NonZeroOpIbEEPKblEEPiiNS8_6detail34convert_binary_result_type_wrapperINS8_3SumESH_iEEEE10hipError_tPvRmT1_T2_T3_mT4_P12ihipStream_tbEUlT_E0_NS1_11comp_targetILNS1_3genE4ELNS1_11target_archE910ELNS1_3gpuE8ELNS1_3repE0EEENS1_30default_config_static_selectorELNS0_4arch9wavefront6targetE0EEEvSQ_,comdat
.Lfunc_end714:
	.size	_ZN7rocprim17ROCPRIM_400000_NS6detail17trampoline_kernelINS0_14default_configENS1_22reduce_config_selectorIbEEZNS1_11reduce_implILb1ES3_N6hipcub16HIPCUB_304000_NS22TransformInputIteratorIbN2at6native12_GLOBAL__N_19NonZeroOpIbEEPKblEEPiiNS8_6detail34convert_binary_result_type_wrapperINS8_3SumESH_iEEEE10hipError_tPvRmT1_T2_T3_mT4_P12ihipStream_tbEUlT_E0_NS1_11comp_targetILNS1_3genE4ELNS1_11target_archE910ELNS1_3gpuE8ELNS1_3repE0EEENS1_30default_config_static_selectorELNS0_4arch9wavefront6targetE0EEEvSQ_, .Lfunc_end714-_ZN7rocprim17ROCPRIM_400000_NS6detail17trampoline_kernelINS0_14default_configENS1_22reduce_config_selectorIbEEZNS1_11reduce_implILb1ES3_N6hipcub16HIPCUB_304000_NS22TransformInputIteratorIbN2at6native12_GLOBAL__N_19NonZeroOpIbEEPKblEEPiiNS8_6detail34convert_binary_result_type_wrapperINS8_3SumESH_iEEEE10hipError_tPvRmT1_T2_T3_mT4_P12ihipStream_tbEUlT_E0_NS1_11comp_targetILNS1_3genE4ELNS1_11target_archE910ELNS1_3gpuE8ELNS1_3repE0EEENS1_30default_config_static_selectorELNS0_4arch9wavefront6targetE0EEEvSQ_
                                        ; -- End function
	.set _ZN7rocprim17ROCPRIM_400000_NS6detail17trampoline_kernelINS0_14default_configENS1_22reduce_config_selectorIbEEZNS1_11reduce_implILb1ES3_N6hipcub16HIPCUB_304000_NS22TransformInputIteratorIbN2at6native12_GLOBAL__N_19NonZeroOpIbEEPKblEEPiiNS8_6detail34convert_binary_result_type_wrapperINS8_3SumESH_iEEEE10hipError_tPvRmT1_T2_T3_mT4_P12ihipStream_tbEUlT_E0_NS1_11comp_targetILNS1_3genE4ELNS1_11target_archE910ELNS1_3gpuE8ELNS1_3repE0EEENS1_30default_config_static_selectorELNS0_4arch9wavefront6targetE0EEEvSQ_.num_vgpr, 0
	.set _ZN7rocprim17ROCPRIM_400000_NS6detail17trampoline_kernelINS0_14default_configENS1_22reduce_config_selectorIbEEZNS1_11reduce_implILb1ES3_N6hipcub16HIPCUB_304000_NS22TransformInputIteratorIbN2at6native12_GLOBAL__N_19NonZeroOpIbEEPKblEEPiiNS8_6detail34convert_binary_result_type_wrapperINS8_3SumESH_iEEEE10hipError_tPvRmT1_T2_T3_mT4_P12ihipStream_tbEUlT_E0_NS1_11comp_targetILNS1_3genE4ELNS1_11target_archE910ELNS1_3gpuE8ELNS1_3repE0EEENS1_30default_config_static_selectorELNS0_4arch9wavefront6targetE0EEEvSQ_.num_agpr, 0
	.set _ZN7rocprim17ROCPRIM_400000_NS6detail17trampoline_kernelINS0_14default_configENS1_22reduce_config_selectorIbEEZNS1_11reduce_implILb1ES3_N6hipcub16HIPCUB_304000_NS22TransformInputIteratorIbN2at6native12_GLOBAL__N_19NonZeroOpIbEEPKblEEPiiNS8_6detail34convert_binary_result_type_wrapperINS8_3SumESH_iEEEE10hipError_tPvRmT1_T2_T3_mT4_P12ihipStream_tbEUlT_E0_NS1_11comp_targetILNS1_3genE4ELNS1_11target_archE910ELNS1_3gpuE8ELNS1_3repE0EEENS1_30default_config_static_selectorELNS0_4arch9wavefront6targetE0EEEvSQ_.numbered_sgpr, 0
	.set _ZN7rocprim17ROCPRIM_400000_NS6detail17trampoline_kernelINS0_14default_configENS1_22reduce_config_selectorIbEEZNS1_11reduce_implILb1ES3_N6hipcub16HIPCUB_304000_NS22TransformInputIteratorIbN2at6native12_GLOBAL__N_19NonZeroOpIbEEPKblEEPiiNS8_6detail34convert_binary_result_type_wrapperINS8_3SumESH_iEEEE10hipError_tPvRmT1_T2_T3_mT4_P12ihipStream_tbEUlT_E0_NS1_11comp_targetILNS1_3genE4ELNS1_11target_archE910ELNS1_3gpuE8ELNS1_3repE0EEENS1_30default_config_static_selectorELNS0_4arch9wavefront6targetE0EEEvSQ_.num_named_barrier, 0
	.set _ZN7rocprim17ROCPRIM_400000_NS6detail17trampoline_kernelINS0_14default_configENS1_22reduce_config_selectorIbEEZNS1_11reduce_implILb1ES3_N6hipcub16HIPCUB_304000_NS22TransformInputIteratorIbN2at6native12_GLOBAL__N_19NonZeroOpIbEEPKblEEPiiNS8_6detail34convert_binary_result_type_wrapperINS8_3SumESH_iEEEE10hipError_tPvRmT1_T2_T3_mT4_P12ihipStream_tbEUlT_E0_NS1_11comp_targetILNS1_3genE4ELNS1_11target_archE910ELNS1_3gpuE8ELNS1_3repE0EEENS1_30default_config_static_selectorELNS0_4arch9wavefront6targetE0EEEvSQ_.private_seg_size, 0
	.set _ZN7rocprim17ROCPRIM_400000_NS6detail17trampoline_kernelINS0_14default_configENS1_22reduce_config_selectorIbEEZNS1_11reduce_implILb1ES3_N6hipcub16HIPCUB_304000_NS22TransformInputIteratorIbN2at6native12_GLOBAL__N_19NonZeroOpIbEEPKblEEPiiNS8_6detail34convert_binary_result_type_wrapperINS8_3SumESH_iEEEE10hipError_tPvRmT1_T2_T3_mT4_P12ihipStream_tbEUlT_E0_NS1_11comp_targetILNS1_3genE4ELNS1_11target_archE910ELNS1_3gpuE8ELNS1_3repE0EEENS1_30default_config_static_selectorELNS0_4arch9wavefront6targetE0EEEvSQ_.uses_vcc, 0
	.set _ZN7rocprim17ROCPRIM_400000_NS6detail17trampoline_kernelINS0_14default_configENS1_22reduce_config_selectorIbEEZNS1_11reduce_implILb1ES3_N6hipcub16HIPCUB_304000_NS22TransformInputIteratorIbN2at6native12_GLOBAL__N_19NonZeroOpIbEEPKblEEPiiNS8_6detail34convert_binary_result_type_wrapperINS8_3SumESH_iEEEE10hipError_tPvRmT1_T2_T3_mT4_P12ihipStream_tbEUlT_E0_NS1_11comp_targetILNS1_3genE4ELNS1_11target_archE910ELNS1_3gpuE8ELNS1_3repE0EEENS1_30default_config_static_selectorELNS0_4arch9wavefront6targetE0EEEvSQ_.uses_flat_scratch, 0
	.set _ZN7rocprim17ROCPRIM_400000_NS6detail17trampoline_kernelINS0_14default_configENS1_22reduce_config_selectorIbEEZNS1_11reduce_implILb1ES3_N6hipcub16HIPCUB_304000_NS22TransformInputIteratorIbN2at6native12_GLOBAL__N_19NonZeroOpIbEEPKblEEPiiNS8_6detail34convert_binary_result_type_wrapperINS8_3SumESH_iEEEE10hipError_tPvRmT1_T2_T3_mT4_P12ihipStream_tbEUlT_E0_NS1_11comp_targetILNS1_3genE4ELNS1_11target_archE910ELNS1_3gpuE8ELNS1_3repE0EEENS1_30default_config_static_selectorELNS0_4arch9wavefront6targetE0EEEvSQ_.has_dyn_sized_stack, 0
	.set _ZN7rocprim17ROCPRIM_400000_NS6detail17trampoline_kernelINS0_14default_configENS1_22reduce_config_selectorIbEEZNS1_11reduce_implILb1ES3_N6hipcub16HIPCUB_304000_NS22TransformInputIteratorIbN2at6native12_GLOBAL__N_19NonZeroOpIbEEPKblEEPiiNS8_6detail34convert_binary_result_type_wrapperINS8_3SumESH_iEEEE10hipError_tPvRmT1_T2_T3_mT4_P12ihipStream_tbEUlT_E0_NS1_11comp_targetILNS1_3genE4ELNS1_11target_archE910ELNS1_3gpuE8ELNS1_3repE0EEENS1_30default_config_static_selectorELNS0_4arch9wavefront6targetE0EEEvSQ_.has_recursion, 0
	.set _ZN7rocprim17ROCPRIM_400000_NS6detail17trampoline_kernelINS0_14default_configENS1_22reduce_config_selectorIbEEZNS1_11reduce_implILb1ES3_N6hipcub16HIPCUB_304000_NS22TransformInputIteratorIbN2at6native12_GLOBAL__N_19NonZeroOpIbEEPKblEEPiiNS8_6detail34convert_binary_result_type_wrapperINS8_3SumESH_iEEEE10hipError_tPvRmT1_T2_T3_mT4_P12ihipStream_tbEUlT_E0_NS1_11comp_targetILNS1_3genE4ELNS1_11target_archE910ELNS1_3gpuE8ELNS1_3repE0EEENS1_30default_config_static_selectorELNS0_4arch9wavefront6targetE0EEEvSQ_.has_indirect_call, 0
	.section	.AMDGPU.csdata,"",@progbits
; Kernel info:
; codeLenInByte = 0
; TotalNumSgprs: 0
; NumVgprs: 0
; ScratchSize: 0
; MemoryBound: 0
; FloatMode: 240
; IeeeMode: 1
; LDSByteSize: 0 bytes/workgroup (compile time only)
; SGPRBlocks: 0
; VGPRBlocks: 0
; NumSGPRsForWavesPerEU: 1
; NumVGPRsForWavesPerEU: 1
; Occupancy: 16
; WaveLimiterHint : 0
; COMPUTE_PGM_RSRC2:SCRATCH_EN: 0
; COMPUTE_PGM_RSRC2:USER_SGPR: 2
; COMPUTE_PGM_RSRC2:TRAP_HANDLER: 0
; COMPUTE_PGM_RSRC2:TGID_X_EN: 1
; COMPUTE_PGM_RSRC2:TGID_Y_EN: 0
; COMPUTE_PGM_RSRC2:TGID_Z_EN: 0
; COMPUTE_PGM_RSRC2:TIDIG_COMP_CNT: 0
	.section	.text._ZN7rocprim17ROCPRIM_400000_NS6detail17trampoline_kernelINS0_14default_configENS1_22reduce_config_selectorIbEEZNS1_11reduce_implILb1ES3_N6hipcub16HIPCUB_304000_NS22TransformInputIteratorIbN2at6native12_GLOBAL__N_19NonZeroOpIbEEPKblEEPiiNS8_6detail34convert_binary_result_type_wrapperINS8_3SumESH_iEEEE10hipError_tPvRmT1_T2_T3_mT4_P12ihipStream_tbEUlT_E0_NS1_11comp_targetILNS1_3genE3ELNS1_11target_archE908ELNS1_3gpuE7ELNS1_3repE0EEENS1_30default_config_static_selectorELNS0_4arch9wavefront6targetE0EEEvSQ_,"axG",@progbits,_ZN7rocprim17ROCPRIM_400000_NS6detail17trampoline_kernelINS0_14default_configENS1_22reduce_config_selectorIbEEZNS1_11reduce_implILb1ES3_N6hipcub16HIPCUB_304000_NS22TransformInputIteratorIbN2at6native12_GLOBAL__N_19NonZeroOpIbEEPKblEEPiiNS8_6detail34convert_binary_result_type_wrapperINS8_3SumESH_iEEEE10hipError_tPvRmT1_T2_T3_mT4_P12ihipStream_tbEUlT_E0_NS1_11comp_targetILNS1_3genE3ELNS1_11target_archE908ELNS1_3gpuE7ELNS1_3repE0EEENS1_30default_config_static_selectorELNS0_4arch9wavefront6targetE0EEEvSQ_,comdat
	.globl	_ZN7rocprim17ROCPRIM_400000_NS6detail17trampoline_kernelINS0_14default_configENS1_22reduce_config_selectorIbEEZNS1_11reduce_implILb1ES3_N6hipcub16HIPCUB_304000_NS22TransformInputIteratorIbN2at6native12_GLOBAL__N_19NonZeroOpIbEEPKblEEPiiNS8_6detail34convert_binary_result_type_wrapperINS8_3SumESH_iEEEE10hipError_tPvRmT1_T2_T3_mT4_P12ihipStream_tbEUlT_E0_NS1_11comp_targetILNS1_3genE3ELNS1_11target_archE908ELNS1_3gpuE7ELNS1_3repE0EEENS1_30default_config_static_selectorELNS0_4arch9wavefront6targetE0EEEvSQ_ ; -- Begin function _ZN7rocprim17ROCPRIM_400000_NS6detail17trampoline_kernelINS0_14default_configENS1_22reduce_config_selectorIbEEZNS1_11reduce_implILb1ES3_N6hipcub16HIPCUB_304000_NS22TransformInputIteratorIbN2at6native12_GLOBAL__N_19NonZeroOpIbEEPKblEEPiiNS8_6detail34convert_binary_result_type_wrapperINS8_3SumESH_iEEEE10hipError_tPvRmT1_T2_T3_mT4_P12ihipStream_tbEUlT_E0_NS1_11comp_targetILNS1_3genE3ELNS1_11target_archE908ELNS1_3gpuE7ELNS1_3repE0EEENS1_30default_config_static_selectorELNS0_4arch9wavefront6targetE0EEEvSQ_
	.p2align	8
	.type	_ZN7rocprim17ROCPRIM_400000_NS6detail17trampoline_kernelINS0_14default_configENS1_22reduce_config_selectorIbEEZNS1_11reduce_implILb1ES3_N6hipcub16HIPCUB_304000_NS22TransformInputIteratorIbN2at6native12_GLOBAL__N_19NonZeroOpIbEEPKblEEPiiNS8_6detail34convert_binary_result_type_wrapperINS8_3SumESH_iEEEE10hipError_tPvRmT1_T2_T3_mT4_P12ihipStream_tbEUlT_E0_NS1_11comp_targetILNS1_3genE3ELNS1_11target_archE908ELNS1_3gpuE7ELNS1_3repE0EEENS1_30default_config_static_selectorELNS0_4arch9wavefront6targetE0EEEvSQ_,@function
_ZN7rocprim17ROCPRIM_400000_NS6detail17trampoline_kernelINS0_14default_configENS1_22reduce_config_selectorIbEEZNS1_11reduce_implILb1ES3_N6hipcub16HIPCUB_304000_NS22TransformInputIteratorIbN2at6native12_GLOBAL__N_19NonZeroOpIbEEPKblEEPiiNS8_6detail34convert_binary_result_type_wrapperINS8_3SumESH_iEEEE10hipError_tPvRmT1_T2_T3_mT4_P12ihipStream_tbEUlT_E0_NS1_11comp_targetILNS1_3genE3ELNS1_11target_archE908ELNS1_3gpuE7ELNS1_3repE0EEENS1_30default_config_static_selectorELNS0_4arch9wavefront6targetE0EEEvSQ_: ; @_ZN7rocprim17ROCPRIM_400000_NS6detail17trampoline_kernelINS0_14default_configENS1_22reduce_config_selectorIbEEZNS1_11reduce_implILb1ES3_N6hipcub16HIPCUB_304000_NS22TransformInputIteratorIbN2at6native12_GLOBAL__N_19NonZeroOpIbEEPKblEEPiiNS8_6detail34convert_binary_result_type_wrapperINS8_3SumESH_iEEEE10hipError_tPvRmT1_T2_T3_mT4_P12ihipStream_tbEUlT_E0_NS1_11comp_targetILNS1_3genE3ELNS1_11target_archE908ELNS1_3gpuE7ELNS1_3repE0EEENS1_30default_config_static_selectorELNS0_4arch9wavefront6targetE0EEEvSQ_
; %bb.0:
	.section	.rodata,"a",@progbits
	.p2align	6, 0x0
	.amdhsa_kernel _ZN7rocprim17ROCPRIM_400000_NS6detail17trampoline_kernelINS0_14default_configENS1_22reduce_config_selectorIbEEZNS1_11reduce_implILb1ES3_N6hipcub16HIPCUB_304000_NS22TransformInputIteratorIbN2at6native12_GLOBAL__N_19NonZeroOpIbEEPKblEEPiiNS8_6detail34convert_binary_result_type_wrapperINS8_3SumESH_iEEEE10hipError_tPvRmT1_T2_T3_mT4_P12ihipStream_tbEUlT_E0_NS1_11comp_targetILNS1_3genE3ELNS1_11target_archE908ELNS1_3gpuE7ELNS1_3repE0EEENS1_30default_config_static_selectorELNS0_4arch9wavefront6targetE0EEEvSQ_
		.amdhsa_group_segment_fixed_size 0
		.amdhsa_private_segment_fixed_size 0
		.amdhsa_kernarg_size 64
		.amdhsa_user_sgpr_count 2
		.amdhsa_user_sgpr_dispatch_ptr 0
		.amdhsa_user_sgpr_queue_ptr 0
		.amdhsa_user_sgpr_kernarg_segment_ptr 1
		.amdhsa_user_sgpr_dispatch_id 0
		.amdhsa_user_sgpr_private_segment_size 0
		.amdhsa_wavefront_size32 1
		.amdhsa_uses_dynamic_stack 0
		.amdhsa_enable_private_segment 0
		.amdhsa_system_sgpr_workgroup_id_x 1
		.amdhsa_system_sgpr_workgroup_id_y 0
		.amdhsa_system_sgpr_workgroup_id_z 0
		.amdhsa_system_sgpr_workgroup_info 0
		.amdhsa_system_vgpr_workitem_id 0
		.amdhsa_next_free_vgpr 1
		.amdhsa_next_free_sgpr 1
		.amdhsa_reserve_vcc 0
		.amdhsa_float_round_mode_32 0
		.amdhsa_float_round_mode_16_64 0
		.amdhsa_float_denorm_mode_32 3
		.amdhsa_float_denorm_mode_16_64 3
		.amdhsa_fp16_overflow 0
		.amdhsa_workgroup_processor_mode 1
		.amdhsa_memory_ordered 1
		.amdhsa_forward_progress 1
		.amdhsa_inst_pref_size 0
		.amdhsa_round_robin_scheduling 0
		.amdhsa_exception_fp_ieee_invalid_op 0
		.amdhsa_exception_fp_denorm_src 0
		.amdhsa_exception_fp_ieee_div_zero 0
		.amdhsa_exception_fp_ieee_overflow 0
		.amdhsa_exception_fp_ieee_underflow 0
		.amdhsa_exception_fp_ieee_inexact 0
		.amdhsa_exception_int_div_zero 0
	.end_amdhsa_kernel
	.section	.text._ZN7rocprim17ROCPRIM_400000_NS6detail17trampoline_kernelINS0_14default_configENS1_22reduce_config_selectorIbEEZNS1_11reduce_implILb1ES3_N6hipcub16HIPCUB_304000_NS22TransformInputIteratorIbN2at6native12_GLOBAL__N_19NonZeroOpIbEEPKblEEPiiNS8_6detail34convert_binary_result_type_wrapperINS8_3SumESH_iEEEE10hipError_tPvRmT1_T2_T3_mT4_P12ihipStream_tbEUlT_E0_NS1_11comp_targetILNS1_3genE3ELNS1_11target_archE908ELNS1_3gpuE7ELNS1_3repE0EEENS1_30default_config_static_selectorELNS0_4arch9wavefront6targetE0EEEvSQ_,"axG",@progbits,_ZN7rocprim17ROCPRIM_400000_NS6detail17trampoline_kernelINS0_14default_configENS1_22reduce_config_selectorIbEEZNS1_11reduce_implILb1ES3_N6hipcub16HIPCUB_304000_NS22TransformInputIteratorIbN2at6native12_GLOBAL__N_19NonZeroOpIbEEPKblEEPiiNS8_6detail34convert_binary_result_type_wrapperINS8_3SumESH_iEEEE10hipError_tPvRmT1_T2_T3_mT4_P12ihipStream_tbEUlT_E0_NS1_11comp_targetILNS1_3genE3ELNS1_11target_archE908ELNS1_3gpuE7ELNS1_3repE0EEENS1_30default_config_static_selectorELNS0_4arch9wavefront6targetE0EEEvSQ_,comdat
.Lfunc_end715:
	.size	_ZN7rocprim17ROCPRIM_400000_NS6detail17trampoline_kernelINS0_14default_configENS1_22reduce_config_selectorIbEEZNS1_11reduce_implILb1ES3_N6hipcub16HIPCUB_304000_NS22TransformInputIteratorIbN2at6native12_GLOBAL__N_19NonZeroOpIbEEPKblEEPiiNS8_6detail34convert_binary_result_type_wrapperINS8_3SumESH_iEEEE10hipError_tPvRmT1_T2_T3_mT4_P12ihipStream_tbEUlT_E0_NS1_11comp_targetILNS1_3genE3ELNS1_11target_archE908ELNS1_3gpuE7ELNS1_3repE0EEENS1_30default_config_static_selectorELNS0_4arch9wavefront6targetE0EEEvSQ_, .Lfunc_end715-_ZN7rocprim17ROCPRIM_400000_NS6detail17trampoline_kernelINS0_14default_configENS1_22reduce_config_selectorIbEEZNS1_11reduce_implILb1ES3_N6hipcub16HIPCUB_304000_NS22TransformInputIteratorIbN2at6native12_GLOBAL__N_19NonZeroOpIbEEPKblEEPiiNS8_6detail34convert_binary_result_type_wrapperINS8_3SumESH_iEEEE10hipError_tPvRmT1_T2_T3_mT4_P12ihipStream_tbEUlT_E0_NS1_11comp_targetILNS1_3genE3ELNS1_11target_archE908ELNS1_3gpuE7ELNS1_3repE0EEENS1_30default_config_static_selectorELNS0_4arch9wavefront6targetE0EEEvSQ_
                                        ; -- End function
	.set _ZN7rocprim17ROCPRIM_400000_NS6detail17trampoline_kernelINS0_14default_configENS1_22reduce_config_selectorIbEEZNS1_11reduce_implILb1ES3_N6hipcub16HIPCUB_304000_NS22TransformInputIteratorIbN2at6native12_GLOBAL__N_19NonZeroOpIbEEPKblEEPiiNS8_6detail34convert_binary_result_type_wrapperINS8_3SumESH_iEEEE10hipError_tPvRmT1_T2_T3_mT4_P12ihipStream_tbEUlT_E0_NS1_11comp_targetILNS1_3genE3ELNS1_11target_archE908ELNS1_3gpuE7ELNS1_3repE0EEENS1_30default_config_static_selectorELNS0_4arch9wavefront6targetE0EEEvSQ_.num_vgpr, 0
	.set _ZN7rocprim17ROCPRIM_400000_NS6detail17trampoline_kernelINS0_14default_configENS1_22reduce_config_selectorIbEEZNS1_11reduce_implILb1ES3_N6hipcub16HIPCUB_304000_NS22TransformInputIteratorIbN2at6native12_GLOBAL__N_19NonZeroOpIbEEPKblEEPiiNS8_6detail34convert_binary_result_type_wrapperINS8_3SumESH_iEEEE10hipError_tPvRmT1_T2_T3_mT4_P12ihipStream_tbEUlT_E0_NS1_11comp_targetILNS1_3genE3ELNS1_11target_archE908ELNS1_3gpuE7ELNS1_3repE0EEENS1_30default_config_static_selectorELNS0_4arch9wavefront6targetE0EEEvSQ_.num_agpr, 0
	.set _ZN7rocprim17ROCPRIM_400000_NS6detail17trampoline_kernelINS0_14default_configENS1_22reduce_config_selectorIbEEZNS1_11reduce_implILb1ES3_N6hipcub16HIPCUB_304000_NS22TransformInputIteratorIbN2at6native12_GLOBAL__N_19NonZeroOpIbEEPKblEEPiiNS8_6detail34convert_binary_result_type_wrapperINS8_3SumESH_iEEEE10hipError_tPvRmT1_T2_T3_mT4_P12ihipStream_tbEUlT_E0_NS1_11comp_targetILNS1_3genE3ELNS1_11target_archE908ELNS1_3gpuE7ELNS1_3repE0EEENS1_30default_config_static_selectorELNS0_4arch9wavefront6targetE0EEEvSQ_.numbered_sgpr, 0
	.set _ZN7rocprim17ROCPRIM_400000_NS6detail17trampoline_kernelINS0_14default_configENS1_22reduce_config_selectorIbEEZNS1_11reduce_implILb1ES3_N6hipcub16HIPCUB_304000_NS22TransformInputIteratorIbN2at6native12_GLOBAL__N_19NonZeroOpIbEEPKblEEPiiNS8_6detail34convert_binary_result_type_wrapperINS8_3SumESH_iEEEE10hipError_tPvRmT1_T2_T3_mT4_P12ihipStream_tbEUlT_E0_NS1_11comp_targetILNS1_3genE3ELNS1_11target_archE908ELNS1_3gpuE7ELNS1_3repE0EEENS1_30default_config_static_selectorELNS0_4arch9wavefront6targetE0EEEvSQ_.num_named_barrier, 0
	.set _ZN7rocprim17ROCPRIM_400000_NS6detail17trampoline_kernelINS0_14default_configENS1_22reduce_config_selectorIbEEZNS1_11reduce_implILb1ES3_N6hipcub16HIPCUB_304000_NS22TransformInputIteratorIbN2at6native12_GLOBAL__N_19NonZeroOpIbEEPKblEEPiiNS8_6detail34convert_binary_result_type_wrapperINS8_3SumESH_iEEEE10hipError_tPvRmT1_T2_T3_mT4_P12ihipStream_tbEUlT_E0_NS1_11comp_targetILNS1_3genE3ELNS1_11target_archE908ELNS1_3gpuE7ELNS1_3repE0EEENS1_30default_config_static_selectorELNS0_4arch9wavefront6targetE0EEEvSQ_.private_seg_size, 0
	.set _ZN7rocprim17ROCPRIM_400000_NS6detail17trampoline_kernelINS0_14default_configENS1_22reduce_config_selectorIbEEZNS1_11reduce_implILb1ES3_N6hipcub16HIPCUB_304000_NS22TransformInputIteratorIbN2at6native12_GLOBAL__N_19NonZeroOpIbEEPKblEEPiiNS8_6detail34convert_binary_result_type_wrapperINS8_3SumESH_iEEEE10hipError_tPvRmT1_T2_T3_mT4_P12ihipStream_tbEUlT_E0_NS1_11comp_targetILNS1_3genE3ELNS1_11target_archE908ELNS1_3gpuE7ELNS1_3repE0EEENS1_30default_config_static_selectorELNS0_4arch9wavefront6targetE0EEEvSQ_.uses_vcc, 0
	.set _ZN7rocprim17ROCPRIM_400000_NS6detail17trampoline_kernelINS0_14default_configENS1_22reduce_config_selectorIbEEZNS1_11reduce_implILb1ES3_N6hipcub16HIPCUB_304000_NS22TransformInputIteratorIbN2at6native12_GLOBAL__N_19NonZeroOpIbEEPKblEEPiiNS8_6detail34convert_binary_result_type_wrapperINS8_3SumESH_iEEEE10hipError_tPvRmT1_T2_T3_mT4_P12ihipStream_tbEUlT_E0_NS1_11comp_targetILNS1_3genE3ELNS1_11target_archE908ELNS1_3gpuE7ELNS1_3repE0EEENS1_30default_config_static_selectorELNS0_4arch9wavefront6targetE0EEEvSQ_.uses_flat_scratch, 0
	.set _ZN7rocprim17ROCPRIM_400000_NS6detail17trampoline_kernelINS0_14default_configENS1_22reduce_config_selectorIbEEZNS1_11reduce_implILb1ES3_N6hipcub16HIPCUB_304000_NS22TransformInputIteratorIbN2at6native12_GLOBAL__N_19NonZeroOpIbEEPKblEEPiiNS8_6detail34convert_binary_result_type_wrapperINS8_3SumESH_iEEEE10hipError_tPvRmT1_T2_T3_mT4_P12ihipStream_tbEUlT_E0_NS1_11comp_targetILNS1_3genE3ELNS1_11target_archE908ELNS1_3gpuE7ELNS1_3repE0EEENS1_30default_config_static_selectorELNS0_4arch9wavefront6targetE0EEEvSQ_.has_dyn_sized_stack, 0
	.set _ZN7rocprim17ROCPRIM_400000_NS6detail17trampoline_kernelINS0_14default_configENS1_22reduce_config_selectorIbEEZNS1_11reduce_implILb1ES3_N6hipcub16HIPCUB_304000_NS22TransformInputIteratorIbN2at6native12_GLOBAL__N_19NonZeroOpIbEEPKblEEPiiNS8_6detail34convert_binary_result_type_wrapperINS8_3SumESH_iEEEE10hipError_tPvRmT1_T2_T3_mT4_P12ihipStream_tbEUlT_E0_NS1_11comp_targetILNS1_3genE3ELNS1_11target_archE908ELNS1_3gpuE7ELNS1_3repE0EEENS1_30default_config_static_selectorELNS0_4arch9wavefront6targetE0EEEvSQ_.has_recursion, 0
	.set _ZN7rocprim17ROCPRIM_400000_NS6detail17trampoline_kernelINS0_14default_configENS1_22reduce_config_selectorIbEEZNS1_11reduce_implILb1ES3_N6hipcub16HIPCUB_304000_NS22TransformInputIteratorIbN2at6native12_GLOBAL__N_19NonZeroOpIbEEPKblEEPiiNS8_6detail34convert_binary_result_type_wrapperINS8_3SumESH_iEEEE10hipError_tPvRmT1_T2_T3_mT4_P12ihipStream_tbEUlT_E0_NS1_11comp_targetILNS1_3genE3ELNS1_11target_archE908ELNS1_3gpuE7ELNS1_3repE0EEENS1_30default_config_static_selectorELNS0_4arch9wavefront6targetE0EEEvSQ_.has_indirect_call, 0
	.section	.AMDGPU.csdata,"",@progbits
; Kernel info:
; codeLenInByte = 0
; TotalNumSgprs: 0
; NumVgprs: 0
; ScratchSize: 0
; MemoryBound: 0
; FloatMode: 240
; IeeeMode: 1
; LDSByteSize: 0 bytes/workgroup (compile time only)
; SGPRBlocks: 0
; VGPRBlocks: 0
; NumSGPRsForWavesPerEU: 1
; NumVGPRsForWavesPerEU: 1
; Occupancy: 16
; WaveLimiterHint : 0
; COMPUTE_PGM_RSRC2:SCRATCH_EN: 0
; COMPUTE_PGM_RSRC2:USER_SGPR: 2
; COMPUTE_PGM_RSRC2:TRAP_HANDLER: 0
; COMPUTE_PGM_RSRC2:TGID_X_EN: 1
; COMPUTE_PGM_RSRC2:TGID_Y_EN: 0
; COMPUTE_PGM_RSRC2:TGID_Z_EN: 0
; COMPUTE_PGM_RSRC2:TIDIG_COMP_CNT: 0
	.section	.text._ZN7rocprim17ROCPRIM_400000_NS6detail17trampoline_kernelINS0_14default_configENS1_22reduce_config_selectorIbEEZNS1_11reduce_implILb1ES3_N6hipcub16HIPCUB_304000_NS22TransformInputIteratorIbN2at6native12_GLOBAL__N_19NonZeroOpIbEEPKblEEPiiNS8_6detail34convert_binary_result_type_wrapperINS8_3SumESH_iEEEE10hipError_tPvRmT1_T2_T3_mT4_P12ihipStream_tbEUlT_E0_NS1_11comp_targetILNS1_3genE2ELNS1_11target_archE906ELNS1_3gpuE6ELNS1_3repE0EEENS1_30default_config_static_selectorELNS0_4arch9wavefront6targetE0EEEvSQ_,"axG",@progbits,_ZN7rocprim17ROCPRIM_400000_NS6detail17trampoline_kernelINS0_14default_configENS1_22reduce_config_selectorIbEEZNS1_11reduce_implILb1ES3_N6hipcub16HIPCUB_304000_NS22TransformInputIteratorIbN2at6native12_GLOBAL__N_19NonZeroOpIbEEPKblEEPiiNS8_6detail34convert_binary_result_type_wrapperINS8_3SumESH_iEEEE10hipError_tPvRmT1_T2_T3_mT4_P12ihipStream_tbEUlT_E0_NS1_11comp_targetILNS1_3genE2ELNS1_11target_archE906ELNS1_3gpuE6ELNS1_3repE0EEENS1_30default_config_static_selectorELNS0_4arch9wavefront6targetE0EEEvSQ_,comdat
	.globl	_ZN7rocprim17ROCPRIM_400000_NS6detail17trampoline_kernelINS0_14default_configENS1_22reduce_config_selectorIbEEZNS1_11reduce_implILb1ES3_N6hipcub16HIPCUB_304000_NS22TransformInputIteratorIbN2at6native12_GLOBAL__N_19NonZeroOpIbEEPKblEEPiiNS8_6detail34convert_binary_result_type_wrapperINS8_3SumESH_iEEEE10hipError_tPvRmT1_T2_T3_mT4_P12ihipStream_tbEUlT_E0_NS1_11comp_targetILNS1_3genE2ELNS1_11target_archE906ELNS1_3gpuE6ELNS1_3repE0EEENS1_30default_config_static_selectorELNS0_4arch9wavefront6targetE0EEEvSQ_ ; -- Begin function _ZN7rocprim17ROCPRIM_400000_NS6detail17trampoline_kernelINS0_14default_configENS1_22reduce_config_selectorIbEEZNS1_11reduce_implILb1ES3_N6hipcub16HIPCUB_304000_NS22TransformInputIteratorIbN2at6native12_GLOBAL__N_19NonZeroOpIbEEPKblEEPiiNS8_6detail34convert_binary_result_type_wrapperINS8_3SumESH_iEEEE10hipError_tPvRmT1_T2_T3_mT4_P12ihipStream_tbEUlT_E0_NS1_11comp_targetILNS1_3genE2ELNS1_11target_archE906ELNS1_3gpuE6ELNS1_3repE0EEENS1_30default_config_static_selectorELNS0_4arch9wavefront6targetE0EEEvSQ_
	.p2align	8
	.type	_ZN7rocprim17ROCPRIM_400000_NS6detail17trampoline_kernelINS0_14default_configENS1_22reduce_config_selectorIbEEZNS1_11reduce_implILb1ES3_N6hipcub16HIPCUB_304000_NS22TransformInputIteratorIbN2at6native12_GLOBAL__N_19NonZeroOpIbEEPKblEEPiiNS8_6detail34convert_binary_result_type_wrapperINS8_3SumESH_iEEEE10hipError_tPvRmT1_T2_T3_mT4_P12ihipStream_tbEUlT_E0_NS1_11comp_targetILNS1_3genE2ELNS1_11target_archE906ELNS1_3gpuE6ELNS1_3repE0EEENS1_30default_config_static_selectorELNS0_4arch9wavefront6targetE0EEEvSQ_,@function
_ZN7rocprim17ROCPRIM_400000_NS6detail17trampoline_kernelINS0_14default_configENS1_22reduce_config_selectorIbEEZNS1_11reduce_implILb1ES3_N6hipcub16HIPCUB_304000_NS22TransformInputIteratorIbN2at6native12_GLOBAL__N_19NonZeroOpIbEEPKblEEPiiNS8_6detail34convert_binary_result_type_wrapperINS8_3SumESH_iEEEE10hipError_tPvRmT1_T2_T3_mT4_P12ihipStream_tbEUlT_E0_NS1_11comp_targetILNS1_3genE2ELNS1_11target_archE906ELNS1_3gpuE6ELNS1_3repE0EEENS1_30default_config_static_selectorELNS0_4arch9wavefront6targetE0EEEvSQ_: ; @_ZN7rocprim17ROCPRIM_400000_NS6detail17trampoline_kernelINS0_14default_configENS1_22reduce_config_selectorIbEEZNS1_11reduce_implILb1ES3_N6hipcub16HIPCUB_304000_NS22TransformInputIteratorIbN2at6native12_GLOBAL__N_19NonZeroOpIbEEPKblEEPiiNS8_6detail34convert_binary_result_type_wrapperINS8_3SumESH_iEEEE10hipError_tPvRmT1_T2_T3_mT4_P12ihipStream_tbEUlT_E0_NS1_11comp_targetILNS1_3genE2ELNS1_11target_archE906ELNS1_3gpuE6ELNS1_3repE0EEENS1_30default_config_static_selectorELNS0_4arch9wavefront6targetE0EEEvSQ_
; %bb.0:
	.section	.rodata,"a",@progbits
	.p2align	6, 0x0
	.amdhsa_kernel _ZN7rocprim17ROCPRIM_400000_NS6detail17trampoline_kernelINS0_14default_configENS1_22reduce_config_selectorIbEEZNS1_11reduce_implILb1ES3_N6hipcub16HIPCUB_304000_NS22TransformInputIteratorIbN2at6native12_GLOBAL__N_19NonZeroOpIbEEPKblEEPiiNS8_6detail34convert_binary_result_type_wrapperINS8_3SumESH_iEEEE10hipError_tPvRmT1_T2_T3_mT4_P12ihipStream_tbEUlT_E0_NS1_11comp_targetILNS1_3genE2ELNS1_11target_archE906ELNS1_3gpuE6ELNS1_3repE0EEENS1_30default_config_static_selectorELNS0_4arch9wavefront6targetE0EEEvSQ_
		.amdhsa_group_segment_fixed_size 0
		.amdhsa_private_segment_fixed_size 0
		.amdhsa_kernarg_size 64
		.amdhsa_user_sgpr_count 2
		.amdhsa_user_sgpr_dispatch_ptr 0
		.amdhsa_user_sgpr_queue_ptr 0
		.amdhsa_user_sgpr_kernarg_segment_ptr 1
		.amdhsa_user_sgpr_dispatch_id 0
		.amdhsa_user_sgpr_private_segment_size 0
		.amdhsa_wavefront_size32 1
		.amdhsa_uses_dynamic_stack 0
		.amdhsa_enable_private_segment 0
		.amdhsa_system_sgpr_workgroup_id_x 1
		.amdhsa_system_sgpr_workgroup_id_y 0
		.amdhsa_system_sgpr_workgroup_id_z 0
		.amdhsa_system_sgpr_workgroup_info 0
		.amdhsa_system_vgpr_workitem_id 0
		.amdhsa_next_free_vgpr 1
		.amdhsa_next_free_sgpr 1
		.amdhsa_reserve_vcc 0
		.amdhsa_float_round_mode_32 0
		.amdhsa_float_round_mode_16_64 0
		.amdhsa_float_denorm_mode_32 3
		.amdhsa_float_denorm_mode_16_64 3
		.amdhsa_fp16_overflow 0
		.amdhsa_workgroup_processor_mode 1
		.amdhsa_memory_ordered 1
		.amdhsa_forward_progress 1
		.amdhsa_inst_pref_size 0
		.amdhsa_round_robin_scheduling 0
		.amdhsa_exception_fp_ieee_invalid_op 0
		.amdhsa_exception_fp_denorm_src 0
		.amdhsa_exception_fp_ieee_div_zero 0
		.amdhsa_exception_fp_ieee_overflow 0
		.amdhsa_exception_fp_ieee_underflow 0
		.amdhsa_exception_fp_ieee_inexact 0
		.amdhsa_exception_int_div_zero 0
	.end_amdhsa_kernel
	.section	.text._ZN7rocprim17ROCPRIM_400000_NS6detail17trampoline_kernelINS0_14default_configENS1_22reduce_config_selectorIbEEZNS1_11reduce_implILb1ES3_N6hipcub16HIPCUB_304000_NS22TransformInputIteratorIbN2at6native12_GLOBAL__N_19NonZeroOpIbEEPKblEEPiiNS8_6detail34convert_binary_result_type_wrapperINS8_3SumESH_iEEEE10hipError_tPvRmT1_T2_T3_mT4_P12ihipStream_tbEUlT_E0_NS1_11comp_targetILNS1_3genE2ELNS1_11target_archE906ELNS1_3gpuE6ELNS1_3repE0EEENS1_30default_config_static_selectorELNS0_4arch9wavefront6targetE0EEEvSQ_,"axG",@progbits,_ZN7rocprim17ROCPRIM_400000_NS6detail17trampoline_kernelINS0_14default_configENS1_22reduce_config_selectorIbEEZNS1_11reduce_implILb1ES3_N6hipcub16HIPCUB_304000_NS22TransformInputIteratorIbN2at6native12_GLOBAL__N_19NonZeroOpIbEEPKblEEPiiNS8_6detail34convert_binary_result_type_wrapperINS8_3SumESH_iEEEE10hipError_tPvRmT1_T2_T3_mT4_P12ihipStream_tbEUlT_E0_NS1_11comp_targetILNS1_3genE2ELNS1_11target_archE906ELNS1_3gpuE6ELNS1_3repE0EEENS1_30default_config_static_selectorELNS0_4arch9wavefront6targetE0EEEvSQ_,comdat
.Lfunc_end716:
	.size	_ZN7rocprim17ROCPRIM_400000_NS6detail17trampoline_kernelINS0_14default_configENS1_22reduce_config_selectorIbEEZNS1_11reduce_implILb1ES3_N6hipcub16HIPCUB_304000_NS22TransformInputIteratorIbN2at6native12_GLOBAL__N_19NonZeroOpIbEEPKblEEPiiNS8_6detail34convert_binary_result_type_wrapperINS8_3SumESH_iEEEE10hipError_tPvRmT1_T2_T3_mT4_P12ihipStream_tbEUlT_E0_NS1_11comp_targetILNS1_3genE2ELNS1_11target_archE906ELNS1_3gpuE6ELNS1_3repE0EEENS1_30default_config_static_selectorELNS0_4arch9wavefront6targetE0EEEvSQ_, .Lfunc_end716-_ZN7rocprim17ROCPRIM_400000_NS6detail17trampoline_kernelINS0_14default_configENS1_22reduce_config_selectorIbEEZNS1_11reduce_implILb1ES3_N6hipcub16HIPCUB_304000_NS22TransformInputIteratorIbN2at6native12_GLOBAL__N_19NonZeroOpIbEEPKblEEPiiNS8_6detail34convert_binary_result_type_wrapperINS8_3SumESH_iEEEE10hipError_tPvRmT1_T2_T3_mT4_P12ihipStream_tbEUlT_E0_NS1_11comp_targetILNS1_3genE2ELNS1_11target_archE906ELNS1_3gpuE6ELNS1_3repE0EEENS1_30default_config_static_selectorELNS0_4arch9wavefront6targetE0EEEvSQ_
                                        ; -- End function
	.set _ZN7rocprim17ROCPRIM_400000_NS6detail17trampoline_kernelINS0_14default_configENS1_22reduce_config_selectorIbEEZNS1_11reduce_implILb1ES3_N6hipcub16HIPCUB_304000_NS22TransformInputIteratorIbN2at6native12_GLOBAL__N_19NonZeroOpIbEEPKblEEPiiNS8_6detail34convert_binary_result_type_wrapperINS8_3SumESH_iEEEE10hipError_tPvRmT1_T2_T3_mT4_P12ihipStream_tbEUlT_E0_NS1_11comp_targetILNS1_3genE2ELNS1_11target_archE906ELNS1_3gpuE6ELNS1_3repE0EEENS1_30default_config_static_selectorELNS0_4arch9wavefront6targetE0EEEvSQ_.num_vgpr, 0
	.set _ZN7rocprim17ROCPRIM_400000_NS6detail17trampoline_kernelINS0_14default_configENS1_22reduce_config_selectorIbEEZNS1_11reduce_implILb1ES3_N6hipcub16HIPCUB_304000_NS22TransformInputIteratorIbN2at6native12_GLOBAL__N_19NonZeroOpIbEEPKblEEPiiNS8_6detail34convert_binary_result_type_wrapperINS8_3SumESH_iEEEE10hipError_tPvRmT1_T2_T3_mT4_P12ihipStream_tbEUlT_E0_NS1_11comp_targetILNS1_3genE2ELNS1_11target_archE906ELNS1_3gpuE6ELNS1_3repE0EEENS1_30default_config_static_selectorELNS0_4arch9wavefront6targetE0EEEvSQ_.num_agpr, 0
	.set _ZN7rocprim17ROCPRIM_400000_NS6detail17trampoline_kernelINS0_14default_configENS1_22reduce_config_selectorIbEEZNS1_11reduce_implILb1ES3_N6hipcub16HIPCUB_304000_NS22TransformInputIteratorIbN2at6native12_GLOBAL__N_19NonZeroOpIbEEPKblEEPiiNS8_6detail34convert_binary_result_type_wrapperINS8_3SumESH_iEEEE10hipError_tPvRmT1_T2_T3_mT4_P12ihipStream_tbEUlT_E0_NS1_11comp_targetILNS1_3genE2ELNS1_11target_archE906ELNS1_3gpuE6ELNS1_3repE0EEENS1_30default_config_static_selectorELNS0_4arch9wavefront6targetE0EEEvSQ_.numbered_sgpr, 0
	.set _ZN7rocprim17ROCPRIM_400000_NS6detail17trampoline_kernelINS0_14default_configENS1_22reduce_config_selectorIbEEZNS1_11reduce_implILb1ES3_N6hipcub16HIPCUB_304000_NS22TransformInputIteratorIbN2at6native12_GLOBAL__N_19NonZeroOpIbEEPKblEEPiiNS8_6detail34convert_binary_result_type_wrapperINS8_3SumESH_iEEEE10hipError_tPvRmT1_T2_T3_mT4_P12ihipStream_tbEUlT_E0_NS1_11comp_targetILNS1_3genE2ELNS1_11target_archE906ELNS1_3gpuE6ELNS1_3repE0EEENS1_30default_config_static_selectorELNS0_4arch9wavefront6targetE0EEEvSQ_.num_named_barrier, 0
	.set _ZN7rocprim17ROCPRIM_400000_NS6detail17trampoline_kernelINS0_14default_configENS1_22reduce_config_selectorIbEEZNS1_11reduce_implILb1ES3_N6hipcub16HIPCUB_304000_NS22TransformInputIteratorIbN2at6native12_GLOBAL__N_19NonZeroOpIbEEPKblEEPiiNS8_6detail34convert_binary_result_type_wrapperINS8_3SumESH_iEEEE10hipError_tPvRmT1_T2_T3_mT4_P12ihipStream_tbEUlT_E0_NS1_11comp_targetILNS1_3genE2ELNS1_11target_archE906ELNS1_3gpuE6ELNS1_3repE0EEENS1_30default_config_static_selectorELNS0_4arch9wavefront6targetE0EEEvSQ_.private_seg_size, 0
	.set _ZN7rocprim17ROCPRIM_400000_NS6detail17trampoline_kernelINS0_14default_configENS1_22reduce_config_selectorIbEEZNS1_11reduce_implILb1ES3_N6hipcub16HIPCUB_304000_NS22TransformInputIteratorIbN2at6native12_GLOBAL__N_19NonZeroOpIbEEPKblEEPiiNS8_6detail34convert_binary_result_type_wrapperINS8_3SumESH_iEEEE10hipError_tPvRmT1_T2_T3_mT4_P12ihipStream_tbEUlT_E0_NS1_11comp_targetILNS1_3genE2ELNS1_11target_archE906ELNS1_3gpuE6ELNS1_3repE0EEENS1_30default_config_static_selectorELNS0_4arch9wavefront6targetE0EEEvSQ_.uses_vcc, 0
	.set _ZN7rocprim17ROCPRIM_400000_NS6detail17trampoline_kernelINS0_14default_configENS1_22reduce_config_selectorIbEEZNS1_11reduce_implILb1ES3_N6hipcub16HIPCUB_304000_NS22TransformInputIteratorIbN2at6native12_GLOBAL__N_19NonZeroOpIbEEPKblEEPiiNS8_6detail34convert_binary_result_type_wrapperINS8_3SumESH_iEEEE10hipError_tPvRmT1_T2_T3_mT4_P12ihipStream_tbEUlT_E0_NS1_11comp_targetILNS1_3genE2ELNS1_11target_archE906ELNS1_3gpuE6ELNS1_3repE0EEENS1_30default_config_static_selectorELNS0_4arch9wavefront6targetE0EEEvSQ_.uses_flat_scratch, 0
	.set _ZN7rocprim17ROCPRIM_400000_NS6detail17trampoline_kernelINS0_14default_configENS1_22reduce_config_selectorIbEEZNS1_11reduce_implILb1ES3_N6hipcub16HIPCUB_304000_NS22TransformInputIteratorIbN2at6native12_GLOBAL__N_19NonZeroOpIbEEPKblEEPiiNS8_6detail34convert_binary_result_type_wrapperINS8_3SumESH_iEEEE10hipError_tPvRmT1_T2_T3_mT4_P12ihipStream_tbEUlT_E0_NS1_11comp_targetILNS1_3genE2ELNS1_11target_archE906ELNS1_3gpuE6ELNS1_3repE0EEENS1_30default_config_static_selectorELNS0_4arch9wavefront6targetE0EEEvSQ_.has_dyn_sized_stack, 0
	.set _ZN7rocprim17ROCPRIM_400000_NS6detail17trampoline_kernelINS0_14default_configENS1_22reduce_config_selectorIbEEZNS1_11reduce_implILb1ES3_N6hipcub16HIPCUB_304000_NS22TransformInputIteratorIbN2at6native12_GLOBAL__N_19NonZeroOpIbEEPKblEEPiiNS8_6detail34convert_binary_result_type_wrapperINS8_3SumESH_iEEEE10hipError_tPvRmT1_T2_T3_mT4_P12ihipStream_tbEUlT_E0_NS1_11comp_targetILNS1_3genE2ELNS1_11target_archE906ELNS1_3gpuE6ELNS1_3repE0EEENS1_30default_config_static_selectorELNS0_4arch9wavefront6targetE0EEEvSQ_.has_recursion, 0
	.set _ZN7rocprim17ROCPRIM_400000_NS6detail17trampoline_kernelINS0_14default_configENS1_22reduce_config_selectorIbEEZNS1_11reduce_implILb1ES3_N6hipcub16HIPCUB_304000_NS22TransformInputIteratorIbN2at6native12_GLOBAL__N_19NonZeroOpIbEEPKblEEPiiNS8_6detail34convert_binary_result_type_wrapperINS8_3SumESH_iEEEE10hipError_tPvRmT1_T2_T3_mT4_P12ihipStream_tbEUlT_E0_NS1_11comp_targetILNS1_3genE2ELNS1_11target_archE906ELNS1_3gpuE6ELNS1_3repE0EEENS1_30default_config_static_selectorELNS0_4arch9wavefront6targetE0EEEvSQ_.has_indirect_call, 0
	.section	.AMDGPU.csdata,"",@progbits
; Kernel info:
; codeLenInByte = 0
; TotalNumSgprs: 0
; NumVgprs: 0
; ScratchSize: 0
; MemoryBound: 0
; FloatMode: 240
; IeeeMode: 1
; LDSByteSize: 0 bytes/workgroup (compile time only)
; SGPRBlocks: 0
; VGPRBlocks: 0
; NumSGPRsForWavesPerEU: 1
; NumVGPRsForWavesPerEU: 1
; Occupancy: 16
; WaveLimiterHint : 0
; COMPUTE_PGM_RSRC2:SCRATCH_EN: 0
; COMPUTE_PGM_RSRC2:USER_SGPR: 2
; COMPUTE_PGM_RSRC2:TRAP_HANDLER: 0
; COMPUTE_PGM_RSRC2:TGID_X_EN: 1
; COMPUTE_PGM_RSRC2:TGID_Y_EN: 0
; COMPUTE_PGM_RSRC2:TGID_Z_EN: 0
; COMPUTE_PGM_RSRC2:TIDIG_COMP_CNT: 0
	.section	.text._ZN7rocprim17ROCPRIM_400000_NS6detail17trampoline_kernelINS0_14default_configENS1_22reduce_config_selectorIbEEZNS1_11reduce_implILb1ES3_N6hipcub16HIPCUB_304000_NS22TransformInputIteratorIbN2at6native12_GLOBAL__N_19NonZeroOpIbEEPKblEEPiiNS8_6detail34convert_binary_result_type_wrapperINS8_3SumESH_iEEEE10hipError_tPvRmT1_T2_T3_mT4_P12ihipStream_tbEUlT_E0_NS1_11comp_targetILNS1_3genE10ELNS1_11target_archE1201ELNS1_3gpuE5ELNS1_3repE0EEENS1_30default_config_static_selectorELNS0_4arch9wavefront6targetE0EEEvSQ_,"axG",@progbits,_ZN7rocprim17ROCPRIM_400000_NS6detail17trampoline_kernelINS0_14default_configENS1_22reduce_config_selectorIbEEZNS1_11reduce_implILb1ES3_N6hipcub16HIPCUB_304000_NS22TransformInputIteratorIbN2at6native12_GLOBAL__N_19NonZeroOpIbEEPKblEEPiiNS8_6detail34convert_binary_result_type_wrapperINS8_3SumESH_iEEEE10hipError_tPvRmT1_T2_T3_mT4_P12ihipStream_tbEUlT_E0_NS1_11comp_targetILNS1_3genE10ELNS1_11target_archE1201ELNS1_3gpuE5ELNS1_3repE0EEENS1_30default_config_static_selectorELNS0_4arch9wavefront6targetE0EEEvSQ_,comdat
	.globl	_ZN7rocprim17ROCPRIM_400000_NS6detail17trampoline_kernelINS0_14default_configENS1_22reduce_config_selectorIbEEZNS1_11reduce_implILb1ES3_N6hipcub16HIPCUB_304000_NS22TransformInputIteratorIbN2at6native12_GLOBAL__N_19NonZeroOpIbEEPKblEEPiiNS8_6detail34convert_binary_result_type_wrapperINS8_3SumESH_iEEEE10hipError_tPvRmT1_T2_T3_mT4_P12ihipStream_tbEUlT_E0_NS1_11comp_targetILNS1_3genE10ELNS1_11target_archE1201ELNS1_3gpuE5ELNS1_3repE0EEENS1_30default_config_static_selectorELNS0_4arch9wavefront6targetE0EEEvSQ_ ; -- Begin function _ZN7rocprim17ROCPRIM_400000_NS6detail17trampoline_kernelINS0_14default_configENS1_22reduce_config_selectorIbEEZNS1_11reduce_implILb1ES3_N6hipcub16HIPCUB_304000_NS22TransformInputIteratorIbN2at6native12_GLOBAL__N_19NonZeroOpIbEEPKblEEPiiNS8_6detail34convert_binary_result_type_wrapperINS8_3SumESH_iEEEE10hipError_tPvRmT1_T2_T3_mT4_P12ihipStream_tbEUlT_E0_NS1_11comp_targetILNS1_3genE10ELNS1_11target_archE1201ELNS1_3gpuE5ELNS1_3repE0EEENS1_30default_config_static_selectorELNS0_4arch9wavefront6targetE0EEEvSQ_
	.p2align	8
	.type	_ZN7rocprim17ROCPRIM_400000_NS6detail17trampoline_kernelINS0_14default_configENS1_22reduce_config_selectorIbEEZNS1_11reduce_implILb1ES3_N6hipcub16HIPCUB_304000_NS22TransformInputIteratorIbN2at6native12_GLOBAL__N_19NonZeroOpIbEEPKblEEPiiNS8_6detail34convert_binary_result_type_wrapperINS8_3SumESH_iEEEE10hipError_tPvRmT1_T2_T3_mT4_P12ihipStream_tbEUlT_E0_NS1_11comp_targetILNS1_3genE10ELNS1_11target_archE1201ELNS1_3gpuE5ELNS1_3repE0EEENS1_30default_config_static_selectorELNS0_4arch9wavefront6targetE0EEEvSQ_,@function
_ZN7rocprim17ROCPRIM_400000_NS6detail17trampoline_kernelINS0_14default_configENS1_22reduce_config_selectorIbEEZNS1_11reduce_implILb1ES3_N6hipcub16HIPCUB_304000_NS22TransformInputIteratorIbN2at6native12_GLOBAL__N_19NonZeroOpIbEEPKblEEPiiNS8_6detail34convert_binary_result_type_wrapperINS8_3SumESH_iEEEE10hipError_tPvRmT1_T2_T3_mT4_P12ihipStream_tbEUlT_E0_NS1_11comp_targetILNS1_3genE10ELNS1_11target_archE1201ELNS1_3gpuE5ELNS1_3repE0EEENS1_30default_config_static_selectorELNS0_4arch9wavefront6targetE0EEEvSQ_: ; @_ZN7rocprim17ROCPRIM_400000_NS6detail17trampoline_kernelINS0_14default_configENS1_22reduce_config_selectorIbEEZNS1_11reduce_implILb1ES3_N6hipcub16HIPCUB_304000_NS22TransformInputIteratorIbN2at6native12_GLOBAL__N_19NonZeroOpIbEEPKblEEPiiNS8_6detail34convert_binary_result_type_wrapperINS8_3SumESH_iEEEE10hipError_tPvRmT1_T2_T3_mT4_P12ihipStream_tbEUlT_E0_NS1_11comp_targetILNS1_3genE10ELNS1_11target_archE1201ELNS1_3gpuE5ELNS1_3repE0EEENS1_30default_config_static_selectorELNS0_4arch9wavefront6targetE0EEEvSQ_
; %bb.0:
	s_clause 0x2
	s_load_b256 s[16:23], s[0:1], 0x10
	s_load_b64 s[4:5], s[0:1], 0x0
	s_load_b64 s[26:27], s[0:1], 0x30
	s_mov_b32 s3, 0
	v_mbcnt_lo_u32_b32 v18, -1, 0
	s_mov_b32 s24, ttmp9
	s_mov_b32 s25, s3
	s_lshl_b32 s2, ttmp9, 12
	s_wait_kmcnt 0x0
	s_lshr_b64 s[6:7], s[18:19], 12
	s_add_nc_u64 s[4:5], s[4:5], s[16:17]
	s_cmp_lg_u64 s[6:7], s[24:25]
	s_add_nc_u64 s[16:17], s[4:5], s[2:3]
	s_cbranch_scc0 .LBB717_6
; %bb.1:
	s_clause 0xf
	global_load_u8 v1, v0, s[16:17]
	global_load_u8 v2, v0, s[16:17] offset:256
	global_load_u8 v3, v0, s[16:17] offset:512
	;; [unrolled: 1-line block ×15, first 2 shown]
	s_mov_b32 s3, exec_lo
	s_wait_loadcnt 0xe
	v_add_nc_u16 v1, v2, v1
	s_wait_loadcnt 0xd
	s_delay_alu instid0(VALU_DEP_1) | instskip(SKIP_1) | instid1(VALU_DEP_1)
	v_add_nc_u16 v1, v1, v3
	s_wait_loadcnt 0xc
	v_add_nc_u16 v1, v1, v4
	s_wait_loadcnt 0xb
	s_delay_alu instid0(VALU_DEP_1) | instskip(SKIP_1) | instid1(VALU_DEP_1)
	v_add_nc_u16 v1, v1, v5
	s_wait_loadcnt 0xa
	v_add_nc_u16 v1, v1, v6
	s_wait_loadcnt 0x9
	s_delay_alu instid0(VALU_DEP_1) | instskip(NEXT) | instid1(VALU_DEP_1)
	v_add_nc_u16 v1, v1, v7
	v_and_b32_e32 v1, 0xff, v1
	s_wait_loadcnt 0x8
	s_delay_alu instid0(VALU_DEP_1) | instskip(SKIP_1) | instid1(VALU_DEP_1)
	v_add_nc_u32_e32 v1, v1, v8
	s_wait_loadcnt 0x6
	v_add3_u32 v1, v1, v9, v10
	s_wait_loadcnt 0x4
	s_delay_alu instid0(VALU_DEP_1) | instskip(SKIP_1) | instid1(VALU_DEP_1)
	v_add3_u32 v1, v1, v11, v12
	s_wait_loadcnt 0x2
	v_add3_u32 v1, v1, v13, v14
	s_wait_loadcnt 0x0
	s_delay_alu instid0(VALU_DEP_1) | instskip(NEXT) | instid1(VALU_DEP_1)
	v_add3_u32 v1, v1, v15, v16
	v_mov_b32_dpp v2, v1 quad_perm:[1,0,3,2] row_mask:0xf bank_mask:0xf
	s_delay_alu instid0(VALU_DEP_1) | instskip(NEXT) | instid1(VALU_DEP_1)
	v_add_nc_u32_e32 v1, v2, v1
	v_mov_b32_dpp v2, v1 quad_perm:[2,3,0,1] row_mask:0xf bank_mask:0xf
	s_delay_alu instid0(VALU_DEP_1) | instskip(NEXT) | instid1(VALU_DEP_1)
	v_add_nc_u32_e32 v1, v1, v2
	v_mov_b32_dpp v2, v1 row_ror:4 row_mask:0xf bank_mask:0xf
	s_delay_alu instid0(VALU_DEP_1) | instskip(NEXT) | instid1(VALU_DEP_1)
	v_add_nc_u32_e32 v1, v1, v2
	v_mov_b32_dpp v2, v1 row_ror:8 row_mask:0xf bank_mask:0xf
	s_delay_alu instid0(VALU_DEP_1)
	v_add_nc_u32_e32 v1, v1, v2
	ds_swizzle_b32 v2, v1 offset:swizzle(BROADCAST,32,15)
	s_wait_dscnt 0x0
	v_dual_mov_b32 v2, 0 :: v_dual_add_nc_u32 v1, v1, v2
	ds_bpermute_b32 v1, v2, v1 offset:124
	v_cmpx_eq_u32_e32 0, v18
	s_cbranch_execz .LBB717_3
; %bb.2:
	v_lshrrev_b32_e32 v2, 3, v0
	s_delay_alu instid0(VALU_DEP_1)
	v_and_b32_e32 v2, 28, v2
	s_wait_dscnt 0x0
	ds_store_b32 v2, v1
.LBB717_3:
	s_or_b32 exec_lo, exec_lo, s3
	s_delay_alu instid0(SALU_CYCLE_1)
	s_mov_b32 s3, exec_lo
	s_wait_dscnt 0x0
	s_barrier_signal -1
	s_barrier_wait -1
	global_inv scope:SCOPE_SE
	v_cmpx_gt_u32_e32 32, v0
	s_cbranch_execz .LBB717_5
; %bb.4:
	v_and_b32_e32 v1, 7, v18
	s_delay_alu instid0(VALU_DEP_1) | instskip(SKIP_4) | instid1(VALU_DEP_2)
	v_lshlrev_b32_e32 v2, 2, v1
	v_cmp_ne_u32_e32 vcc_lo, 7, v1
	ds_load_b32 v2, v2
	v_add_co_ci_u32_e64 v3, null, 0, v18, vcc_lo
	v_cmp_gt_u32_e32 vcc_lo, 6, v1
	v_lshlrev_b32_e32 v3, 2, v3
	s_wait_alu 0xfffd
	v_cndmask_b32_e64 v1, 0, 2, vcc_lo
	s_delay_alu instid0(VALU_DEP_1)
	v_add_lshl_u32 v1, v1, v18, 2
	s_wait_dscnt 0x0
	ds_bpermute_b32 v3, v3, v2
	s_wait_dscnt 0x0
	v_add_nc_u32_e32 v2, v3, v2
	v_lshlrev_b32_e32 v3, 2, v18
	ds_bpermute_b32 v1, v1, v2
	s_wait_dscnt 0x0
	v_add_nc_u32_e32 v1, v1, v2
	v_or_b32_e32 v2, 16, v3
	ds_bpermute_b32 v2, v2, v1
	s_wait_dscnt 0x0
	v_add_nc_u32_e32 v1, v2, v1
.LBB717_5:
	s_or_b32 exec_lo, exec_lo, s3
	s_branch .LBB717_44
.LBB717_6:
                                        ; implicit-def: $vgpr1
	s_cbranch_execz .LBB717_44
; %bb.7:
	v_mov_b32_e32 v1, 0
	s_sub_co_i32 s28, s18, s2
	s_mov_b32 s2, exec_lo
	s_delay_alu instid0(VALU_DEP_1)
	v_dual_mov_b32 v2, v1 :: v_dual_mov_b32 v3, v1
	v_dual_mov_b32 v4, v1 :: v_dual_mov_b32 v5, v1
	;; [unrolled: 1-line block ×7, first 2 shown]
	v_mov_b32_e32 v16, v1
	v_cmpx_gt_u32_e64 s28, v0
	s_cbranch_execz .LBB717_9
; %bb.8:
	v_dual_mov_b32 v2, v1 :: v_dual_mov_b32 v3, v1
	v_dual_mov_b32 v16, v1 :: v_dual_mov_b32 v17, v1
	;; [unrolled: 1-line block ×3, first 2 shown]
	global_load_d16_u8 v2, v0, s[16:17]
	v_dual_mov_b32 v6, v1 :: v_dual_mov_b32 v7, v1
	v_dual_mov_b32 v8, v1 :: v_dual_mov_b32 v9, v1
	;; [unrolled: 1-line block ×5, first 2 shown]
	s_wait_loadcnt 0x0
	v_mov_b32_e32 v1, v2
	v_mov_b32_e32 v2, v3
	;; [unrolled: 1-line block ×16, first 2 shown]
.LBB717_9:
	s_or_b32 exec_lo, exec_lo, s2
	v_or_b32_e32 v17, 0x100, v0
	s_delay_alu instid0(VALU_DEP_1)
	v_cmp_gt_u32_e32 vcc_lo, s28, v17
	s_and_saveexec_b32 s2, vcc_lo
	s_cbranch_execz .LBB717_11
; %bb.10:
	global_load_u8 v2, v0, s[16:17] offset:256
.LBB717_11:
	s_or_b32 exec_lo, exec_lo, s2
	v_or_b32_e32 v17, 0x200, v0
	s_delay_alu instid0(VALU_DEP_1)
	v_cmp_gt_u32_e64 s2, s28, v17
	s_and_saveexec_b32 s3, s2
	s_cbranch_execz .LBB717_13
; %bb.12:
	global_load_u8 v3, v0, s[16:17] offset:512
.LBB717_13:
	s_or_b32 exec_lo, exec_lo, s3
	v_or_b32_e32 v17, 0x300, v0
	s_delay_alu instid0(VALU_DEP_1)
	v_cmp_gt_u32_e64 s3, s28, v17
	s_and_saveexec_b32 s4, s3
	;; [unrolled: 9-line block ×14, first 2 shown]
	s_cbranch_execz .LBB717_39
; %bb.38:
	global_load_u8 v16, v0, s[16:17] offset:3840
.LBB717_39:
	s_wait_alu 0xfffe
	s_or_b32 exec_lo, exec_lo, s29
	s_wait_loadcnt 0x0
	v_cndmask_b32_e32 v2, 0, v2, vcc_lo
	v_cndmask_b32_e64 v3, 0, v3, s2
	v_cndmask_b32_e64 v4, 0, v4, s3
	v_cmp_ne_u32_e32 vcc_lo, 31, v18
	s_min_u32 s2, s28, 0x100
	v_add_nc_u32_e32 v1, v2, v1
	v_cndmask_b32_e64 v2, 0, v5, s4
	v_cndmask_b32_e64 v5, 0, v6, s5
	;; [unrolled: 1-line block ×3, first 2 shown]
	s_mov_b32 s3, exec_lo
	v_add3_u32 v1, v1, v3, v4
	v_cndmask_b32_e64 v3, 0, v7, s6
	v_cndmask_b32_e64 v4, 0, v8, s7
	s_delay_alu instid0(VALU_DEP_3) | instskip(SKIP_2) | instid1(VALU_DEP_3)
	v_add3_u32 v1, v1, v2, v5
	v_cndmask_b32_e64 v2, 0, v9, s8
	v_cndmask_b32_e64 v5, 0, v10, s9
	v_add3_u32 v1, v1, v3, v4
	v_cndmask_b32_e64 v3, 0, v11, s10
	v_cndmask_b32_e64 v4, 0, v12, s11
	s_delay_alu instid0(VALU_DEP_3) | instskip(SKIP_2) | instid1(VALU_DEP_3)
	v_add3_u32 v1, v1, v2, v5
	v_cndmask_b32_e64 v2, 0, v13, s12
	v_cndmask_b32_e64 v5, 0, v14, s13
	v_add3_u32 v1, v1, v3, v4
	v_cndmask_b32_e64 v3, 0, v16, s15
	s_wait_alu 0xfffd
	v_add_co_ci_u32_e64 v4, null, 0, v18, vcc_lo
	v_cmp_gt_u32_e32 vcc_lo, 30, v18
	v_add3_u32 v1, v1, v2, v5
	s_delay_alu instid0(VALU_DEP_3)
	v_lshlrev_b32_e32 v2, 2, v4
	v_add_nc_u32_e32 v4, 1, v18
	s_wait_alu 0xfffd
	v_cndmask_b32_e64 v5, 0, 2, vcc_lo
	v_add3_u32 v1, v1, v6, v3
	v_and_b32_e32 v3, 0xe0, v0
	ds_bpermute_b32 v2, v2, v1
	s_wait_alu 0xfffe
	v_sub_nc_u32_e64 v3, s2, v3 clamp
	s_delay_alu instid0(VALU_DEP_1)
	v_cmp_lt_u32_e32 vcc_lo, v4, v3
	v_add_lshl_u32 v4, v5, v18, 2
	s_wait_dscnt 0x0
	s_wait_alu 0xfffd
	v_cndmask_b32_e32 v2, 0, v2, vcc_lo
	v_cmp_gt_u32_e32 vcc_lo, 28, v18
	s_delay_alu instid0(VALU_DEP_2) | instskip(SKIP_4) | instid1(VALU_DEP_1)
	v_add_nc_u32_e32 v1, v1, v2
	s_wait_alu 0xfffd
	v_cndmask_b32_e64 v5, 0, 4, vcc_lo
	ds_bpermute_b32 v2, v4, v1
	v_add_nc_u32_e32 v4, 2, v18
	v_cmp_lt_u32_e32 vcc_lo, v4, v3
	v_add_lshl_u32 v4, v5, v18, 2
	s_wait_dscnt 0x0
	s_wait_alu 0xfffd
	v_cndmask_b32_e32 v2, 0, v2, vcc_lo
	v_cmp_gt_u32_e32 vcc_lo, 24, v18
	s_delay_alu instid0(VALU_DEP_2) | instskip(SKIP_4) | instid1(VALU_DEP_1)
	v_add_nc_u32_e32 v1, v1, v2
	s_wait_alu 0xfffd
	v_cndmask_b32_e64 v5, 0, 8, vcc_lo
	ds_bpermute_b32 v2, v4, v1
	v_add_nc_u32_e32 v4, 4, v18
	v_cmp_lt_u32_e32 vcc_lo, v4, v3
	v_add_lshl_u32 v4, v5, v18, 2
	v_add_nc_u32_e32 v5, 8, v18
	s_wait_dscnt 0x0
	s_wait_alu 0xfffd
	v_cndmask_b32_e32 v2, 0, v2, vcc_lo
	s_delay_alu instid0(VALU_DEP_2) | instskip(NEXT) | instid1(VALU_DEP_2)
	v_cmp_lt_u32_e32 vcc_lo, v5, v3
	v_add_nc_u32_e32 v1, v1, v2
	v_lshlrev_b32_e32 v2, 2, v18
	ds_bpermute_b32 v4, v4, v1
	v_or_b32_e32 v5, 64, v2
	s_wait_dscnt 0x0
	s_wait_alu 0xfffd
	v_cndmask_b32_e32 v4, 0, v4, vcc_lo
	s_delay_alu instid0(VALU_DEP_1) | instskip(SKIP_2) | instid1(VALU_DEP_1)
	v_add_nc_u32_e32 v1, v1, v4
	ds_bpermute_b32 v4, v5, v1
	v_add_nc_u32_e32 v5, 16, v18
	v_cmp_lt_u32_e32 vcc_lo, v5, v3
	s_wait_dscnt 0x0
	s_wait_alu 0xfffd
	v_cndmask_b32_e32 v3, 0, v4, vcc_lo
	s_delay_alu instid0(VALU_DEP_1)
	v_add_nc_u32_e32 v1, v1, v3
	v_cmpx_eq_u32_e32 0, v18
; %bb.40:
	v_lshrrev_b32_e32 v3, 3, v0
	s_delay_alu instid0(VALU_DEP_1)
	v_and_b32_e32 v3, 28, v3
	ds_store_b32 v3, v1 offset:32
; %bb.41:
	s_or_b32 exec_lo, exec_lo, s3
	s_delay_alu instid0(SALU_CYCLE_1)
	s_mov_b32 s3, exec_lo
	s_wait_dscnt 0x0
	s_barrier_signal -1
	s_barrier_wait -1
	global_inv scope:SCOPE_SE
	v_cmpx_gt_u32_e32 8, v0
	s_cbranch_execz .LBB717_43
; %bb.42:
	ds_load_b32 v1, v2 offset:32
	v_and_b32_e32 v3, 7, v18
	s_add_co_i32 s2, s2, 31
	v_or_b32_e32 v2, 16, v2
	s_wait_alu 0xfffe
	s_lshr_b32 s2, s2, 5
	v_cmp_ne_u32_e32 vcc_lo, 7, v3
	v_add_nc_u32_e32 v5, 1, v3
	s_wait_alu 0xfffd
	v_add_co_ci_u32_e64 v4, null, 0, v18, vcc_lo
	v_cmp_gt_u32_e32 vcc_lo, 6, v3
	s_delay_alu instid0(VALU_DEP_2)
	v_lshlrev_b32_e32 v4, 2, v4
	s_wait_alu 0xfffd
	v_cndmask_b32_e64 v6, 0, 2, vcc_lo
	s_wait_alu 0xfffe
	v_cmp_gt_u32_e32 vcc_lo, s2, v5
	s_wait_dscnt 0x0
	ds_bpermute_b32 v4, v4, v1
	v_add_lshl_u32 v5, v6, v18, 2
	s_wait_dscnt 0x0
	s_wait_alu 0xfffd
	v_cndmask_b32_e32 v4, 0, v4, vcc_lo
	s_delay_alu instid0(VALU_DEP_1) | instskip(SKIP_3) | instid1(VALU_DEP_2)
	v_add_nc_u32_e32 v1, v4, v1
	ds_bpermute_b32 v4, v5, v1
	v_add_nc_u32_e32 v5, 2, v3
	v_add_nc_u32_e32 v3, 4, v3
	v_cmp_gt_u32_e32 vcc_lo, s2, v5
	s_wait_dscnt 0x0
	s_wait_alu 0xfffd
	v_cndmask_b32_e32 v4, 0, v4, vcc_lo
	v_cmp_gt_u32_e32 vcc_lo, s2, v3
	s_delay_alu instid0(VALU_DEP_2) | instskip(SKIP_4) | instid1(VALU_DEP_1)
	v_add_nc_u32_e32 v1, v1, v4
	ds_bpermute_b32 v2, v2, v1
	s_wait_dscnt 0x0
	s_wait_alu 0xfffd
	v_cndmask_b32_e32 v2, 0, v2, vcc_lo
	v_add_nc_u32_e32 v1, v1, v2
.LBB717_43:
	s_wait_alu 0xfffe
	s_or_b32 exec_lo, exec_lo, s3
.LBB717_44:
	s_load_b32 s0, s[0:1], 0x38
	s_mov_b32 s1, exec_lo
	v_cmpx_eq_u32_e32 0, v0
	s_cbranch_execz .LBB717_46
; %bb.45:
	s_mul_u64 s[2:3], s[26:27], s[22:23]
	s_wait_alu 0xfffe
	s_lshl_b64 s[2:3], s[2:3], 2
	s_cmp_eq_u64 s[18:19], 0
	s_wait_alu 0xfffe
	s_add_nc_u64 s[2:3], s[20:21], s[2:3]
	s_cselect_b32 s1, -1, 0
	s_wait_kmcnt 0x0
	v_cndmask_b32_e64 v0, v1, s0, s1
	v_mov_b32_e32 v1, 0
	s_lshl_b64 s[0:1], s[24:25], 2
	s_wait_alu 0xfffe
	s_add_nc_u64 s[0:1], s[2:3], s[0:1]
	global_store_b32 v1, v0, s[0:1]
.LBB717_46:
	s_endpgm
	.section	.rodata,"a",@progbits
	.p2align	6, 0x0
	.amdhsa_kernel _ZN7rocprim17ROCPRIM_400000_NS6detail17trampoline_kernelINS0_14default_configENS1_22reduce_config_selectorIbEEZNS1_11reduce_implILb1ES3_N6hipcub16HIPCUB_304000_NS22TransformInputIteratorIbN2at6native12_GLOBAL__N_19NonZeroOpIbEEPKblEEPiiNS8_6detail34convert_binary_result_type_wrapperINS8_3SumESH_iEEEE10hipError_tPvRmT1_T2_T3_mT4_P12ihipStream_tbEUlT_E0_NS1_11comp_targetILNS1_3genE10ELNS1_11target_archE1201ELNS1_3gpuE5ELNS1_3repE0EEENS1_30default_config_static_selectorELNS0_4arch9wavefront6targetE0EEEvSQ_
		.amdhsa_group_segment_fixed_size 64
		.amdhsa_private_segment_fixed_size 0
		.amdhsa_kernarg_size 64
		.amdhsa_user_sgpr_count 2
		.amdhsa_user_sgpr_dispatch_ptr 0
		.amdhsa_user_sgpr_queue_ptr 0
		.amdhsa_user_sgpr_kernarg_segment_ptr 1
		.amdhsa_user_sgpr_dispatch_id 0
		.amdhsa_user_sgpr_private_segment_size 0
		.amdhsa_wavefront_size32 1
		.amdhsa_uses_dynamic_stack 0
		.amdhsa_enable_private_segment 0
		.amdhsa_system_sgpr_workgroup_id_x 1
		.amdhsa_system_sgpr_workgroup_id_y 0
		.amdhsa_system_sgpr_workgroup_id_z 0
		.amdhsa_system_sgpr_workgroup_info 0
		.amdhsa_system_vgpr_workitem_id 0
		.amdhsa_next_free_vgpr 19
		.amdhsa_next_free_sgpr 30
		.amdhsa_reserve_vcc 1
		.amdhsa_float_round_mode_32 0
		.amdhsa_float_round_mode_16_64 0
		.amdhsa_float_denorm_mode_32 3
		.amdhsa_float_denorm_mode_16_64 3
		.amdhsa_fp16_overflow 0
		.amdhsa_workgroup_processor_mode 1
		.amdhsa_memory_ordered 1
		.amdhsa_forward_progress 1
		.amdhsa_inst_pref_size 20
		.amdhsa_round_robin_scheduling 0
		.amdhsa_exception_fp_ieee_invalid_op 0
		.amdhsa_exception_fp_denorm_src 0
		.amdhsa_exception_fp_ieee_div_zero 0
		.amdhsa_exception_fp_ieee_overflow 0
		.amdhsa_exception_fp_ieee_underflow 0
		.amdhsa_exception_fp_ieee_inexact 0
		.amdhsa_exception_int_div_zero 0
	.end_amdhsa_kernel
	.section	.text._ZN7rocprim17ROCPRIM_400000_NS6detail17trampoline_kernelINS0_14default_configENS1_22reduce_config_selectorIbEEZNS1_11reduce_implILb1ES3_N6hipcub16HIPCUB_304000_NS22TransformInputIteratorIbN2at6native12_GLOBAL__N_19NonZeroOpIbEEPKblEEPiiNS8_6detail34convert_binary_result_type_wrapperINS8_3SumESH_iEEEE10hipError_tPvRmT1_T2_T3_mT4_P12ihipStream_tbEUlT_E0_NS1_11comp_targetILNS1_3genE10ELNS1_11target_archE1201ELNS1_3gpuE5ELNS1_3repE0EEENS1_30default_config_static_selectorELNS0_4arch9wavefront6targetE0EEEvSQ_,"axG",@progbits,_ZN7rocprim17ROCPRIM_400000_NS6detail17trampoline_kernelINS0_14default_configENS1_22reduce_config_selectorIbEEZNS1_11reduce_implILb1ES3_N6hipcub16HIPCUB_304000_NS22TransformInputIteratorIbN2at6native12_GLOBAL__N_19NonZeroOpIbEEPKblEEPiiNS8_6detail34convert_binary_result_type_wrapperINS8_3SumESH_iEEEE10hipError_tPvRmT1_T2_T3_mT4_P12ihipStream_tbEUlT_E0_NS1_11comp_targetILNS1_3genE10ELNS1_11target_archE1201ELNS1_3gpuE5ELNS1_3repE0EEENS1_30default_config_static_selectorELNS0_4arch9wavefront6targetE0EEEvSQ_,comdat
.Lfunc_end717:
	.size	_ZN7rocprim17ROCPRIM_400000_NS6detail17trampoline_kernelINS0_14default_configENS1_22reduce_config_selectorIbEEZNS1_11reduce_implILb1ES3_N6hipcub16HIPCUB_304000_NS22TransformInputIteratorIbN2at6native12_GLOBAL__N_19NonZeroOpIbEEPKblEEPiiNS8_6detail34convert_binary_result_type_wrapperINS8_3SumESH_iEEEE10hipError_tPvRmT1_T2_T3_mT4_P12ihipStream_tbEUlT_E0_NS1_11comp_targetILNS1_3genE10ELNS1_11target_archE1201ELNS1_3gpuE5ELNS1_3repE0EEENS1_30default_config_static_selectorELNS0_4arch9wavefront6targetE0EEEvSQ_, .Lfunc_end717-_ZN7rocprim17ROCPRIM_400000_NS6detail17trampoline_kernelINS0_14default_configENS1_22reduce_config_selectorIbEEZNS1_11reduce_implILb1ES3_N6hipcub16HIPCUB_304000_NS22TransformInputIteratorIbN2at6native12_GLOBAL__N_19NonZeroOpIbEEPKblEEPiiNS8_6detail34convert_binary_result_type_wrapperINS8_3SumESH_iEEEE10hipError_tPvRmT1_T2_T3_mT4_P12ihipStream_tbEUlT_E0_NS1_11comp_targetILNS1_3genE10ELNS1_11target_archE1201ELNS1_3gpuE5ELNS1_3repE0EEENS1_30default_config_static_selectorELNS0_4arch9wavefront6targetE0EEEvSQ_
                                        ; -- End function
	.set _ZN7rocprim17ROCPRIM_400000_NS6detail17trampoline_kernelINS0_14default_configENS1_22reduce_config_selectorIbEEZNS1_11reduce_implILb1ES3_N6hipcub16HIPCUB_304000_NS22TransformInputIteratorIbN2at6native12_GLOBAL__N_19NonZeroOpIbEEPKblEEPiiNS8_6detail34convert_binary_result_type_wrapperINS8_3SumESH_iEEEE10hipError_tPvRmT1_T2_T3_mT4_P12ihipStream_tbEUlT_E0_NS1_11comp_targetILNS1_3genE10ELNS1_11target_archE1201ELNS1_3gpuE5ELNS1_3repE0EEENS1_30default_config_static_selectorELNS0_4arch9wavefront6targetE0EEEvSQ_.num_vgpr, 19
	.set _ZN7rocprim17ROCPRIM_400000_NS6detail17trampoline_kernelINS0_14default_configENS1_22reduce_config_selectorIbEEZNS1_11reduce_implILb1ES3_N6hipcub16HIPCUB_304000_NS22TransformInputIteratorIbN2at6native12_GLOBAL__N_19NonZeroOpIbEEPKblEEPiiNS8_6detail34convert_binary_result_type_wrapperINS8_3SumESH_iEEEE10hipError_tPvRmT1_T2_T3_mT4_P12ihipStream_tbEUlT_E0_NS1_11comp_targetILNS1_3genE10ELNS1_11target_archE1201ELNS1_3gpuE5ELNS1_3repE0EEENS1_30default_config_static_selectorELNS0_4arch9wavefront6targetE0EEEvSQ_.num_agpr, 0
	.set _ZN7rocprim17ROCPRIM_400000_NS6detail17trampoline_kernelINS0_14default_configENS1_22reduce_config_selectorIbEEZNS1_11reduce_implILb1ES3_N6hipcub16HIPCUB_304000_NS22TransformInputIteratorIbN2at6native12_GLOBAL__N_19NonZeroOpIbEEPKblEEPiiNS8_6detail34convert_binary_result_type_wrapperINS8_3SumESH_iEEEE10hipError_tPvRmT1_T2_T3_mT4_P12ihipStream_tbEUlT_E0_NS1_11comp_targetILNS1_3genE10ELNS1_11target_archE1201ELNS1_3gpuE5ELNS1_3repE0EEENS1_30default_config_static_selectorELNS0_4arch9wavefront6targetE0EEEvSQ_.numbered_sgpr, 30
	.set _ZN7rocprim17ROCPRIM_400000_NS6detail17trampoline_kernelINS0_14default_configENS1_22reduce_config_selectorIbEEZNS1_11reduce_implILb1ES3_N6hipcub16HIPCUB_304000_NS22TransformInputIteratorIbN2at6native12_GLOBAL__N_19NonZeroOpIbEEPKblEEPiiNS8_6detail34convert_binary_result_type_wrapperINS8_3SumESH_iEEEE10hipError_tPvRmT1_T2_T3_mT4_P12ihipStream_tbEUlT_E0_NS1_11comp_targetILNS1_3genE10ELNS1_11target_archE1201ELNS1_3gpuE5ELNS1_3repE0EEENS1_30default_config_static_selectorELNS0_4arch9wavefront6targetE0EEEvSQ_.num_named_barrier, 0
	.set _ZN7rocprim17ROCPRIM_400000_NS6detail17trampoline_kernelINS0_14default_configENS1_22reduce_config_selectorIbEEZNS1_11reduce_implILb1ES3_N6hipcub16HIPCUB_304000_NS22TransformInputIteratorIbN2at6native12_GLOBAL__N_19NonZeroOpIbEEPKblEEPiiNS8_6detail34convert_binary_result_type_wrapperINS8_3SumESH_iEEEE10hipError_tPvRmT1_T2_T3_mT4_P12ihipStream_tbEUlT_E0_NS1_11comp_targetILNS1_3genE10ELNS1_11target_archE1201ELNS1_3gpuE5ELNS1_3repE0EEENS1_30default_config_static_selectorELNS0_4arch9wavefront6targetE0EEEvSQ_.private_seg_size, 0
	.set _ZN7rocprim17ROCPRIM_400000_NS6detail17trampoline_kernelINS0_14default_configENS1_22reduce_config_selectorIbEEZNS1_11reduce_implILb1ES3_N6hipcub16HIPCUB_304000_NS22TransformInputIteratorIbN2at6native12_GLOBAL__N_19NonZeroOpIbEEPKblEEPiiNS8_6detail34convert_binary_result_type_wrapperINS8_3SumESH_iEEEE10hipError_tPvRmT1_T2_T3_mT4_P12ihipStream_tbEUlT_E0_NS1_11comp_targetILNS1_3genE10ELNS1_11target_archE1201ELNS1_3gpuE5ELNS1_3repE0EEENS1_30default_config_static_selectorELNS0_4arch9wavefront6targetE0EEEvSQ_.uses_vcc, 1
	.set _ZN7rocprim17ROCPRIM_400000_NS6detail17trampoline_kernelINS0_14default_configENS1_22reduce_config_selectorIbEEZNS1_11reduce_implILb1ES3_N6hipcub16HIPCUB_304000_NS22TransformInputIteratorIbN2at6native12_GLOBAL__N_19NonZeroOpIbEEPKblEEPiiNS8_6detail34convert_binary_result_type_wrapperINS8_3SumESH_iEEEE10hipError_tPvRmT1_T2_T3_mT4_P12ihipStream_tbEUlT_E0_NS1_11comp_targetILNS1_3genE10ELNS1_11target_archE1201ELNS1_3gpuE5ELNS1_3repE0EEENS1_30default_config_static_selectorELNS0_4arch9wavefront6targetE0EEEvSQ_.uses_flat_scratch, 0
	.set _ZN7rocprim17ROCPRIM_400000_NS6detail17trampoline_kernelINS0_14default_configENS1_22reduce_config_selectorIbEEZNS1_11reduce_implILb1ES3_N6hipcub16HIPCUB_304000_NS22TransformInputIteratorIbN2at6native12_GLOBAL__N_19NonZeroOpIbEEPKblEEPiiNS8_6detail34convert_binary_result_type_wrapperINS8_3SumESH_iEEEE10hipError_tPvRmT1_T2_T3_mT4_P12ihipStream_tbEUlT_E0_NS1_11comp_targetILNS1_3genE10ELNS1_11target_archE1201ELNS1_3gpuE5ELNS1_3repE0EEENS1_30default_config_static_selectorELNS0_4arch9wavefront6targetE0EEEvSQ_.has_dyn_sized_stack, 0
	.set _ZN7rocprim17ROCPRIM_400000_NS6detail17trampoline_kernelINS0_14default_configENS1_22reduce_config_selectorIbEEZNS1_11reduce_implILb1ES3_N6hipcub16HIPCUB_304000_NS22TransformInputIteratorIbN2at6native12_GLOBAL__N_19NonZeroOpIbEEPKblEEPiiNS8_6detail34convert_binary_result_type_wrapperINS8_3SumESH_iEEEE10hipError_tPvRmT1_T2_T3_mT4_P12ihipStream_tbEUlT_E0_NS1_11comp_targetILNS1_3genE10ELNS1_11target_archE1201ELNS1_3gpuE5ELNS1_3repE0EEENS1_30default_config_static_selectorELNS0_4arch9wavefront6targetE0EEEvSQ_.has_recursion, 0
	.set _ZN7rocprim17ROCPRIM_400000_NS6detail17trampoline_kernelINS0_14default_configENS1_22reduce_config_selectorIbEEZNS1_11reduce_implILb1ES3_N6hipcub16HIPCUB_304000_NS22TransformInputIteratorIbN2at6native12_GLOBAL__N_19NonZeroOpIbEEPKblEEPiiNS8_6detail34convert_binary_result_type_wrapperINS8_3SumESH_iEEEE10hipError_tPvRmT1_T2_T3_mT4_P12ihipStream_tbEUlT_E0_NS1_11comp_targetILNS1_3genE10ELNS1_11target_archE1201ELNS1_3gpuE5ELNS1_3repE0EEENS1_30default_config_static_selectorELNS0_4arch9wavefront6targetE0EEEvSQ_.has_indirect_call, 0
	.section	.AMDGPU.csdata,"",@progbits
; Kernel info:
; codeLenInByte = 2500
; TotalNumSgprs: 32
; NumVgprs: 19
; ScratchSize: 0
; MemoryBound: 0
; FloatMode: 240
; IeeeMode: 1
; LDSByteSize: 64 bytes/workgroup (compile time only)
; SGPRBlocks: 0
; VGPRBlocks: 2
; NumSGPRsForWavesPerEU: 32
; NumVGPRsForWavesPerEU: 19
; Occupancy: 16
; WaveLimiterHint : 1
; COMPUTE_PGM_RSRC2:SCRATCH_EN: 0
; COMPUTE_PGM_RSRC2:USER_SGPR: 2
; COMPUTE_PGM_RSRC2:TRAP_HANDLER: 0
; COMPUTE_PGM_RSRC2:TGID_X_EN: 1
; COMPUTE_PGM_RSRC2:TGID_Y_EN: 0
; COMPUTE_PGM_RSRC2:TGID_Z_EN: 0
; COMPUTE_PGM_RSRC2:TIDIG_COMP_CNT: 0
	.section	.text._ZN7rocprim17ROCPRIM_400000_NS6detail17trampoline_kernelINS0_14default_configENS1_22reduce_config_selectorIbEEZNS1_11reduce_implILb1ES3_N6hipcub16HIPCUB_304000_NS22TransformInputIteratorIbN2at6native12_GLOBAL__N_19NonZeroOpIbEEPKblEEPiiNS8_6detail34convert_binary_result_type_wrapperINS8_3SumESH_iEEEE10hipError_tPvRmT1_T2_T3_mT4_P12ihipStream_tbEUlT_E0_NS1_11comp_targetILNS1_3genE10ELNS1_11target_archE1200ELNS1_3gpuE4ELNS1_3repE0EEENS1_30default_config_static_selectorELNS0_4arch9wavefront6targetE0EEEvSQ_,"axG",@progbits,_ZN7rocprim17ROCPRIM_400000_NS6detail17trampoline_kernelINS0_14default_configENS1_22reduce_config_selectorIbEEZNS1_11reduce_implILb1ES3_N6hipcub16HIPCUB_304000_NS22TransformInputIteratorIbN2at6native12_GLOBAL__N_19NonZeroOpIbEEPKblEEPiiNS8_6detail34convert_binary_result_type_wrapperINS8_3SumESH_iEEEE10hipError_tPvRmT1_T2_T3_mT4_P12ihipStream_tbEUlT_E0_NS1_11comp_targetILNS1_3genE10ELNS1_11target_archE1200ELNS1_3gpuE4ELNS1_3repE0EEENS1_30default_config_static_selectorELNS0_4arch9wavefront6targetE0EEEvSQ_,comdat
	.globl	_ZN7rocprim17ROCPRIM_400000_NS6detail17trampoline_kernelINS0_14default_configENS1_22reduce_config_selectorIbEEZNS1_11reduce_implILb1ES3_N6hipcub16HIPCUB_304000_NS22TransformInputIteratorIbN2at6native12_GLOBAL__N_19NonZeroOpIbEEPKblEEPiiNS8_6detail34convert_binary_result_type_wrapperINS8_3SumESH_iEEEE10hipError_tPvRmT1_T2_T3_mT4_P12ihipStream_tbEUlT_E0_NS1_11comp_targetILNS1_3genE10ELNS1_11target_archE1200ELNS1_3gpuE4ELNS1_3repE0EEENS1_30default_config_static_selectorELNS0_4arch9wavefront6targetE0EEEvSQ_ ; -- Begin function _ZN7rocprim17ROCPRIM_400000_NS6detail17trampoline_kernelINS0_14default_configENS1_22reduce_config_selectorIbEEZNS1_11reduce_implILb1ES3_N6hipcub16HIPCUB_304000_NS22TransformInputIteratorIbN2at6native12_GLOBAL__N_19NonZeroOpIbEEPKblEEPiiNS8_6detail34convert_binary_result_type_wrapperINS8_3SumESH_iEEEE10hipError_tPvRmT1_T2_T3_mT4_P12ihipStream_tbEUlT_E0_NS1_11comp_targetILNS1_3genE10ELNS1_11target_archE1200ELNS1_3gpuE4ELNS1_3repE0EEENS1_30default_config_static_selectorELNS0_4arch9wavefront6targetE0EEEvSQ_
	.p2align	8
	.type	_ZN7rocprim17ROCPRIM_400000_NS6detail17trampoline_kernelINS0_14default_configENS1_22reduce_config_selectorIbEEZNS1_11reduce_implILb1ES3_N6hipcub16HIPCUB_304000_NS22TransformInputIteratorIbN2at6native12_GLOBAL__N_19NonZeroOpIbEEPKblEEPiiNS8_6detail34convert_binary_result_type_wrapperINS8_3SumESH_iEEEE10hipError_tPvRmT1_T2_T3_mT4_P12ihipStream_tbEUlT_E0_NS1_11comp_targetILNS1_3genE10ELNS1_11target_archE1200ELNS1_3gpuE4ELNS1_3repE0EEENS1_30default_config_static_selectorELNS0_4arch9wavefront6targetE0EEEvSQ_,@function
_ZN7rocprim17ROCPRIM_400000_NS6detail17trampoline_kernelINS0_14default_configENS1_22reduce_config_selectorIbEEZNS1_11reduce_implILb1ES3_N6hipcub16HIPCUB_304000_NS22TransformInputIteratorIbN2at6native12_GLOBAL__N_19NonZeroOpIbEEPKblEEPiiNS8_6detail34convert_binary_result_type_wrapperINS8_3SumESH_iEEEE10hipError_tPvRmT1_T2_T3_mT4_P12ihipStream_tbEUlT_E0_NS1_11comp_targetILNS1_3genE10ELNS1_11target_archE1200ELNS1_3gpuE4ELNS1_3repE0EEENS1_30default_config_static_selectorELNS0_4arch9wavefront6targetE0EEEvSQ_: ; @_ZN7rocprim17ROCPRIM_400000_NS6detail17trampoline_kernelINS0_14default_configENS1_22reduce_config_selectorIbEEZNS1_11reduce_implILb1ES3_N6hipcub16HIPCUB_304000_NS22TransformInputIteratorIbN2at6native12_GLOBAL__N_19NonZeroOpIbEEPKblEEPiiNS8_6detail34convert_binary_result_type_wrapperINS8_3SumESH_iEEEE10hipError_tPvRmT1_T2_T3_mT4_P12ihipStream_tbEUlT_E0_NS1_11comp_targetILNS1_3genE10ELNS1_11target_archE1200ELNS1_3gpuE4ELNS1_3repE0EEENS1_30default_config_static_selectorELNS0_4arch9wavefront6targetE0EEEvSQ_
; %bb.0:
	.section	.rodata,"a",@progbits
	.p2align	6, 0x0
	.amdhsa_kernel _ZN7rocprim17ROCPRIM_400000_NS6detail17trampoline_kernelINS0_14default_configENS1_22reduce_config_selectorIbEEZNS1_11reduce_implILb1ES3_N6hipcub16HIPCUB_304000_NS22TransformInputIteratorIbN2at6native12_GLOBAL__N_19NonZeroOpIbEEPKblEEPiiNS8_6detail34convert_binary_result_type_wrapperINS8_3SumESH_iEEEE10hipError_tPvRmT1_T2_T3_mT4_P12ihipStream_tbEUlT_E0_NS1_11comp_targetILNS1_3genE10ELNS1_11target_archE1200ELNS1_3gpuE4ELNS1_3repE0EEENS1_30default_config_static_selectorELNS0_4arch9wavefront6targetE0EEEvSQ_
		.amdhsa_group_segment_fixed_size 0
		.amdhsa_private_segment_fixed_size 0
		.amdhsa_kernarg_size 64
		.amdhsa_user_sgpr_count 2
		.amdhsa_user_sgpr_dispatch_ptr 0
		.amdhsa_user_sgpr_queue_ptr 0
		.amdhsa_user_sgpr_kernarg_segment_ptr 1
		.amdhsa_user_sgpr_dispatch_id 0
		.amdhsa_user_sgpr_private_segment_size 0
		.amdhsa_wavefront_size32 1
		.amdhsa_uses_dynamic_stack 0
		.amdhsa_enable_private_segment 0
		.amdhsa_system_sgpr_workgroup_id_x 1
		.amdhsa_system_sgpr_workgroup_id_y 0
		.amdhsa_system_sgpr_workgroup_id_z 0
		.amdhsa_system_sgpr_workgroup_info 0
		.amdhsa_system_vgpr_workitem_id 0
		.amdhsa_next_free_vgpr 1
		.amdhsa_next_free_sgpr 1
		.amdhsa_reserve_vcc 0
		.amdhsa_float_round_mode_32 0
		.amdhsa_float_round_mode_16_64 0
		.amdhsa_float_denorm_mode_32 3
		.amdhsa_float_denorm_mode_16_64 3
		.amdhsa_fp16_overflow 0
		.amdhsa_workgroup_processor_mode 1
		.amdhsa_memory_ordered 1
		.amdhsa_forward_progress 1
		.amdhsa_inst_pref_size 0
		.amdhsa_round_robin_scheduling 0
		.amdhsa_exception_fp_ieee_invalid_op 0
		.amdhsa_exception_fp_denorm_src 0
		.amdhsa_exception_fp_ieee_div_zero 0
		.amdhsa_exception_fp_ieee_overflow 0
		.amdhsa_exception_fp_ieee_underflow 0
		.amdhsa_exception_fp_ieee_inexact 0
		.amdhsa_exception_int_div_zero 0
	.end_amdhsa_kernel
	.section	.text._ZN7rocprim17ROCPRIM_400000_NS6detail17trampoline_kernelINS0_14default_configENS1_22reduce_config_selectorIbEEZNS1_11reduce_implILb1ES3_N6hipcub16HIPCUB_304000_NS22TransformInputIteratorIbN2at6native12_GLOBAL__N_19NonZeroOpIbEEPKblEEPiiNS8_6detail34convert_binary_result_type_wrapperINS8_3SumESH_iEEEE10hipError_tPvRmT1_T2_T3_mT4_P12ihipStream_tbEUlT_E0_NS1_11comp_targetILNS1_3genE10ELNS1_11target_archE1200ELNS1_3gpuE4ELNS1_3repE0EEENS1_30default_config_static_selectorELNS0_4arch9wavefront6targetE0EEEvSQ_,"axG",@progbits,_ZN7rocprim17ROCPRIM_400000_NS6detail17trampoline_kernelINS0_14default_configENS1_22reduce_config_selectorIbEEZNS1_11reduce_implILb1ES3_N6hipcub16HIPCUB_304000_NS22TransformInputIteratorIbN2at6native12_GLOBAL__N_19NonZeroOpIbEEPKblEEPiiNS8_6detail34convert_binary_result_type_wrapperINS8_3SumESH_iEEEE10hipError_tPvRmT1_T2_T3_mT4_P12ihipStream_tbEUlT_E0_NS1_11comp_targetILNS1_3genE10ELNS1_11target_archE1200ELNS1_3gpuE4ELNS1_3repE0EEENS1_30default_config_static_selectorELNS0_4arch9wavefront6targetE0EEEvSQ_,comdat
.Lfunc_end718:
	.size	_ZN7rocprim17ROCPRIM_400000_NS6detail17trampoline_kernelINS0_14default_configENS1_22reduce_config_selectorIbEEZNS1_11reduce_implILb1ES3_N6hipcub16HIPCUB_304000_NS22TransformInputIteratorIbN2at6native12_GLOBAL__N_19NonZeroOpIbEEPKblEEPiiNS8_6detail34convert_binary_result_type_wrapperINS8_3SumESH_iEEEE10hipError_tPvRmT1_T2_T3_mT4_P12ihipStream_tbEUlT_E0_NS1_11comp_targetILNS1_3genE10ELNS1_11target_archE1200ELNS1_3gpuE4ELNS1_3repE0EEENS1_30default_config_static_selectorELNS0_4arch9wavefront6targetE0EEEvSQ_, .Lfunc_end718-_ZN7rocprim17ROCPRIM_400000_NS6detail17trampoline_kernelINS0_14default_configENS1_22reduce_config_selectorIbEEZNS1_11reduce_implILb1ES3_N6hipcub16HIPCUB_304000_NS22TransformInputIteratorIbN2at6native12_GLOBAL__N_19NonZeroOpIbEEPKblEEPiiNS8_6detail34convert_binary_result_type_wrapperINS8_3SumESH_iEEEE10hipError_tPvRmT1_T2_T3_mT4_P12ihipStream_tbEUlT_E0_NS1_11comp_targetILNS1_3genE10ELNS1_11target_archE1200ELNS1_3gpuE4ELNS1_3repE0EEENS1_30default_config_static_selectorELNS0_4arch9wavefront6targetE0EEEvSQ_
                                        ; -- End function
	.set _ZN7rocprim17ROCPRIM_400000_NS6detail17trampoline_kernelINS0_14default_configENS1_22reduce_config_selectorIbEEZNS1_11reduce_implILb1ES3_N6hipcub16HIPCUB_304000_NS22TransformInputIteratorIbN2at6native12_GLOBAL__N_19NonZeroOpIbEEPKblEEPiiNS8_6detail34convert_binary_result_type_wrapperINS8_3SumESH_iEEEE10hipError_tPvRmT1_T2_T3_mT4_P12ihipStream_tbEUlT_E0_NS1_11comp_targetILNS1_3genE10ELNS1_11target_archE1200ELNS1_3gpuE4ELNS1_3repE0EEENS1_30default_config_static_selectorELNS0_4arch9wavefront6targetE0EEEvSQ_.num_vgpr, 0
	.set _ZN7rocprim17ROCPRIM_400000_NS6detail17trampoline_kernelINS0_14default_configENS1_22reduce_config_selectorIbEEZNS1_11reduce_implILb1ES3_N6hipcub16HIPCUB_304000_NS22TransformInputIteratorIbN2at6native12_GLOBAL__N_19NonZeroOpIbEEPKblEEPiiNS8_6detail34convert_binary_result_type_wrapperINS8_3SumESH_iEEEE10hipError_tPvRmT1_T2_T3_mT4_P12ihipStream_tbEUlT_E0_NS1_11comp_targetILNS1_3genE10ELNS1_11target_archE1200ELNS1_3gpuE4ELNS1_3repE0EEENS1_30default_config_static_selectorELNS0_4arch9wavefront6targetE0EEEvSQ_.num_agpr, 0
	.set _ZN7rocprim17ROCPRIM_400000_NS6detail17trampoline_kernelINS0_14default_configENS1_22reduce_config_selectorIbEEZNS1_11reduce_implILb1ES3_N6hipcub16HIPCUB_304000_NS22TransformInputIteratorIbN2at6native12_GLOBAL__N_19NonZeroOpIbEEPKblEEPiiNS8_6detail34convert_binary_result_type_wrapperINS8_3SumESH_iEEEE10hipError_tPvRmT1_T2_T3_mT4_P12ihipStream_tbEUlT_E0_NS1_11comp_targetILNS1_3genE10ELNS1_11target_archE1200ELNS1_3gpuE4ELNS1_3repE0EEENS1_30default_config_static_selectorELNS0_4arch9wavefront6targetE0EEEvSQ_.numbered_sgpr, 0
	.set _ZN7rocprim17ROCPRIM_400000_NS6detail17trampoline_kernelINS0_14default_configENS1_22reduce_config_selectorIbEEZNS1_11reduce_implILb1ES3_N6hipcub16HIPCUB_304000_NS22TransformInputIteratorIbN2at6native12_GLOBAL__N_19NonZeroOpIbEEPKblEEPiiNS8_6detail34convert_binary_result_type_wrapperINS8_3SumESH_iEEEE10hipError_tPvRmT1_T2_T3_mT4_P12ihipStream_tbEUlT_E0_NS1_11comp_targetILNS1_3genE10ELNS1_11target_archE1200ELNS1_3gpuE4ELNS1_3repE0EEENS1_30default_config_static_selectorELNS0_4arch9wavefront6targetE0EEEvSQ_.num_named_barrier, 0
	.set _ZN7rocprim17ROCPRIM_400000_NS6detail17trampoline_kernelINS0_14default_configENS1_22reduce_config_selectorIbEEZNS1_11reduce_implILb1ES3_N6hipcub16HIPCUB_304000_NS22TransformInputIteratorIbN2at6native12_GLOBAL__N_19NonZeroOpIbEEPKblEEPiiNS8_6detail34convert_binary_result_type_wrapperINS8_3SumESH_iEEEE10hipError_tPvRmT1_T2_T3_mT4_P12ihipStream_tbEUlT_E0_NS1_11comp_targetILNS1_3genE10ELNS1_11target_archE1200ELNS1_3gpuE4ELNS1_3repE0EEENS1_30default_config_static_selectorELNS0_4arch9wavefront6targetE0EEEvSQ_.private_seg_size, 0
	.set _ZN7rocprim17ROCPRIM_400000_NS6detail17trampoline_kernelINS0_14default_configENS1_22reduce_config_selectorIbEEZNS1_11reduce_implILb1ES3_N6hipcub16HIPCUB_304000_NS22TransformInputIteratorIbN2at6native12_GLOBAL__N_19NonZeroOpIbEEPKblEEPiiNS8_6detail34convert_binary_result_type_wrapperINS8_3SumESH_iEEEE10hipError_tPvRmT1_T2_T3_mT4_P12ihipStream_tbEUlT_E0_NS1_11comp_targetILNS1_3genE10ELNS1_11target_archE1200ELNS1_3gpuE4ELNS1_3repE0EEENS1_30default_config_static_selectorELNS0_4arch9wavefront6targetE0EEEvSQ_.uses_vcc, 0
	.set _ZN7rocprim17ROCPRIM_400000_NS6detail17trampoline_kernelINS0_14default_configENS1_22reduce_config_selectorIbEEZNS1_11reduce_implILb1ES3_N6hipcub16HIPCUB_304000_NS22TransformInputIteratorIbN2at6native12_GLOBAL__N_19NonZeroOpIbEEPKblEEPiiNS8_6detail34convert_binary_result_type_wrapperINS8_3SumESH_iEEEE10hipError_tPvRmT1_T2_T3_mT4_P12ihipStream_tbEUlT_E0_NS1_11comp_targetILNS1_3genE10ELNS1_11target_archE1200ELNS1_3gpuE4ELNS1_3repE0EEENS1_30default_config_static_selectorELNS0_4arch9wavefront6targetE0EEEvSQ_.uses_flat_scratch, 0
	.set _ZN7rocprim17ROCPRIM_400000_NS6detail17trampoline_kernelINS0_14default_configENS1_22reduce_config_selectorIbEEZNS1_11reduce_implILb1ES3_N6hipcub16HIPCUB_304000_NS22TransformInputIteratorIbN2at6native12_GLOBAL__N_19NonZeroOpIbEEPKblEEPiiNS8_6detail34convert_binary_result_type_wrapperINS8_3SumESH_iEEEE10hipError_tPvRmT1_T2_T3_mT4_P12ihipStream_tbEUlT_E0_NS1_11comp_targetILNS1_3genE10ELNS1_11target_archE1200ELNS1_3gpuE4ELNS1_3repE0EEENS1_30default_config_static_selectorELNS0_4arch9wavefront6targetE0EEEvSQ_.has_dyn_sized_stack, 0
	.set _ZN7rocprim17ROCPRIM_400000_NS6detail17trampoline_kernelINS0_14default_configENS1_22reduce_config_selectorIbEEZNS1_11reduce_implILb1ES3_N6hipcub16HIPCUB_304000_NS22TransformInputIteratorIbN2at6native12_GLOBAL__N_19NonZeroOpIbEEPKblEEPiiNS8_6detail34convert_binary_result_type_wrapperINS8_3SumESH_iEEEE10hipError_tPvRmT1_T2_T3_mT4_P12ihipStream_tbEUlT_E0_NS1_11comp_targetILNS1_3genE10ELNS1_11target_archE1200ELNS1_3gpuE4ELNS1_3repE0EEENS1_30default_config_static_selectorELNS0_4arch9wavefront6targetE0EEEvSQ_.has_recursion, 0
	.set _ZN7rocprim17ROCPRIM_400000_NS6detail17trampoline_kernelINS0_14default_configENS1_22reduce_config_selectorIbEEZNS1_11reduce_implILb1ES3_N6hipcub16HIPCUB_304000_NS22TransformInputIteratorIbN2at6native12_GLOBAL__N_19NonZeroOpIbEEPKblEEPiiNS8_6detail34convert_binary_result_type_wrapperINS8_3SumESH_iEEEE10hipError_tPvRmT1_T2_T3_mT4_P12ihipStream_tbEUlT_E0_NS1_11comp_targetILNS1_3genE10ELNS1_11target_archE1200ELNS1_3gpuE4ELNS1_3repE0EEENS1_30default_config_static_selectorELNS0_4arch9wavefront6targetE0EEEvSQ_.has_indirect_call, 0
	.section	.AMDGPU.csdata,"",@progbits
; Kernel info:
; codeLenInByte = 0
; TotalNumSgprs: 0
; NumVgprs: 0
; ScratchSize: 0
; MemoryBound: 0
; FloatMode: 240
; IeeeMode: 1
; LDSByteSize: 0 bytes/workgroup (compile time only)
; SGPRBlocks: 0
; VGPRBlocks: 0
; NumSGPRsForWavesPerEU: 1
; NumVGPRsForWavesPerEU: 1
; Occupancy: 16
; WaveLimiterHint : 0
; COMPUTE_PGM_RSRC2:SCRATCH_EN: 0
; COMPUTE_PGM_RSRC2:USER_SGPR: 2
; COMPUTE_PGM_RSRC2:TRAP_HANDLER: 0
; COMPUTE_PGM_RSRC2:TGID_X_EN: 1
; COMPUTE_PGM_RSRC2:TGID_Y_EN: 0
; COMPUTE_PGM_RSRC2:TGID_Z_EN: 0
; COMPUTE_PGM_RSRC2:TIDIG_COMP_CNT: 0
	.section	.text._ZN7rocprim17ROCPRIM_400000_NS6detail17trampoline_kernelINS0_14default_configENS1_22reduce_config_selectorIbEEZNS1_11reduce_implILb1ES3_N6hipcub16HIPCUB_304000_NS22TransformInputIteratorIbN2at6native12_GLOBAL__N_19NonZeroOpIbEEPKblEEPiiNS8_6detail34convert_binary_result_type_wrapperINS8_3SumESH_iEEEE10hipError_tPvRmT1_T2_T3_mT4_P12ihipStream_tbEUlT_E0_NS1_11comp_targetILNS1_3genE9ELNS1_11target_archE1100ELNS1_3gpuE3ELNS1_3repE0EEENS1_30default_config_static_selectorELNS0_4arch9wavefront6targetE0EEEvSQ_,"axG",@progbits,_ZN7rocprim17ROCPRIM_400000_NS6detail17trampoline_kernelINS0_14default_configENS1_22reduce_config_selectorIbEEZNS1_11reduce_implILb1ES3_N6hipcub16HIPCUB_304000_NS22TransformInputIteratorIbN2at6native12_GLOBAL__N_19NonZeroOpIbEEPKblEEPiiNS8_6detail34convert_binary_result_type_wrapperINS8_3SumESH_iEEEE10hipError_tPvRmT1_T2_T3_mT4_P12ihipStream_tbEUlT_E0_NS1_11comp_targetILNS1_3genE9ELNS1_11target_archE1100ELNS1_3gpuE3ELNS1_3repE0EEENS1_30default_config_static_selectorELNS0_4arch9wavefront6targetE0EEEvSQ_,comdat
	.globl	_ZN7rocprim17ROCPRIM_400000_NS6detail17trampoline_kernelINS0_14default_configENS1_22reduce_config_selectorIbEEZNS1_11reduce_implILb1ES3_N6hipcub16HIPCUB_304000_NS22TransformInputIteratorIbN2at6native12_GLOBAL__N_19NonZeroOpIbEEPKblEEPiiNS8_6detail34convert_binary_result_type_wrapperINS8_3SumESH_iEEEE10hipError_tPvRmT1_T2_T3_mT4_P12ihipStream_tbEUlT_E0_NS1_11comp_targetILNS1_3genE9ELNS1_11target_archE1100ELNS1_3gpuE3ELNS1_3repE0EEENS1_30default_config_static_selectorELNS0_4arch9wavefront6targetE0EEEvSQ_ ; -- Begin function _ZN7rocprim17ROCPRIM_400000_NS6detail17trampoline_kernelINS0_14default_configENS1_22reduce_config_selectorIbEEZNS1_11reduce_implILb1ES3_N6hipcub16HIPCUB_304000_NS22TransformInputIteratorIbN2at6native12_GLOBAL__N_19NonZeroOpIbEEPKblEEPiiNS8_6detail34convert_binary_result_type_wrapperINS8_3SumESH_iEEEE10hipError_tPvRmT1_T2_T3_mT4_P12ihipStream_tbEUlT_E0_NS1_11comp_targetILNS1_3genE9ELNS1_11target_archE1100ELNS1_3gpuE3ELNS1_3repE0EEENS1_30default_config_static_selectorELNS0_4arch9wavefront6targetE0EEEvSQ_
	.p2align	8
	.type	_ZN7rocprim17ROCPRIM_400000_NS6detail17trampoline_kernelINS0_14default_configENS1_22reduce_config_selectorIbEEZNS1_11reduce_implILb1ES3_N6hipcub16HIPCUB_304000_NS22TransformInputIteratorIbN2at6native12_GLOBAL__N_19NonZeroOpIbEEPKblEEPiiNS8_6detail34convert_binary_result_type_wrapperINS8_3SumESH_iEEEE10hipError_tPvRmT1_T2_T3_mT4_P12ihipStream_tbEUlT_E0_NS1_11comp_targetILNS1_3genE9ELNS1_11target_archE1100ELNS1_3gpuE3ELNS1_3repE0EEENS1_30default_config_static_selectorELNS0_4arch9wavefront6targetE0EEEvSQ_,@function
_ZN7rocprim17ROCPRIM_400000_NS6detail17trampoline_kernelINS0_14default_configENS1_22reduce_config_selectorIbEEZNS1_11reduce_implILb1ES3_N6hipcub16HIPCUB_304000_NS22TransformInputIteratorIbN2at6native12_GLOBAL__N_19NonZeroOpIbEEPKblEEPiiNS8_6detail34convert_binary_result_type_wrapperINS8_3SumESH_iEEEE10hipError_tPvRmT1_T2_T3_mT4_P12ihipStream_tbEUlT_E0_NS1_11comp_targetILNS1_3genE9ELNS1_11target_archE1100ELNS1_3gpuE3ELNS1_3repE0EEENS1_30default_config_static_selectorELNS0_4arch9wavefront6targetE0EEEvSQ_: ; @_ZN7rocprim17ROCPRIM_400000_NS6detail17trampoline_kernelINS0_14default_configENS1_22reduce_config_selectorIbEEZNS1_11reduce_implILb1ES3_N6hipcub16HIPCUB_304000_NS22TransformInputIteratorIbN2at6native12_GLOBAL__N_19NonZeroOpIbEEPKblEEPiiNS8_6detail34convert_binary_result_type_wrapperINS8_3SumESH_iEEEE10hipError_tPvRmT1_T2_T3_mT4_P12ihipStream_tbEUlT_E0_NS1_11comp_targetILNS1_3genE9ELNS1_11target_archE1100ELNS1_3gpuE3ELNS1_3repE0EEENS1_30default_config_static_selectorELNS0_4arch9wavefront6targetE0EEEvSQ_
; %bb.0:
	.section	.rodata,"a",@progbits
	.p2align	6, 0x0
	.amdhsa_kernel _ZN7rocprim17ROCPRIM_400000_NS6detail17trampoline_kernelINS0_14default_configENS1_22reduce_config_selectorIbEEZNS1_11reduce_implILb1ES3_N6hipcub16HIPCUB_304000_NS22TransformInputIteratorIbN2at6native12_GLOBAL__N_19NonZeroOpIbEEPKblEEPiiNS8_6detail34convert_binary_result_type_wrapperINS8_3SumESH_iEEEE10hipError_tPvRmT1_T2_T3_mT4_P12ihipStream_tbEUlT_E0_NS1_11comp_targetILNS1_3genE9ELNS1_11target_archE1100ELNS1_3gpuE3ELNS1_3repE0EEENS1_30default_config_static_selectorELNS0_4arch9wavefront6targetE0EEEvSQ_
		.amdhsa_group_segment_fixed_size 0
		.amdhsa_private_segment_fixed_size 0
		.amdhsa_kernarg_size 64
		.amdhsa_user_sgpr_count 2
		.amdhsa_user_sgpr_dispatch_ptr 0
		.amdhsa_user_sgpr_queue_ptr 0
		.amdhsa_user_sgpr_kernarg_segment_ptr 1
		.amdhsa_user_sgpr_dispatch_id 0
		.amdhsa_user_sgpr_private_segment_size 0
		.amdhsa_wavefront_size32 1
		.amdhsa_uses_dynamic_stack 0
		.amdhsa_enable_private_segment 0
		.amdhsa_system_sgpr_workgroup_id_x 1
		.amdhsa_system_sgpr_workgroup_id_y 0
		.amdhsa_system_sgpr_workgroup_id_z 0
		.amdhsa_system_sgpr_workgroup_info 0
		.amdhsa_system_vgpr_workitem_id 0
		.amdhsa_next_free_vgpr 1
		.amdhsa_next_free_sgpr 1
		.amdhsa_reserve_vcc 0
		.amdhsa_float_round_mode_32 0
		.amdhsa_float_round_mode_16_64 0
		.amdhsa_float_denorm_mode_32 3
		.amdhsa_float_denorm_mode_16_64 3
		.amdhsa_fp16_overflow 0
		.amdhsa_workgroup_processor_mode 1
		.amdhsa_memory_ordered 1
		.amdhsa_forward_progress 1
		.amdhsa_inst_pref_size 0
		.amdhsa_round_robin_scheduling 0
		.amdhsa_exception_fp_ieee_invalid_op 0
		.amdhsa_exception_fp_denorm_src 0
		.amdhsa_exception_fp_ieee_div_zero 0
		.amdhsa_exception_fp_ieee_overflow 0
		.amdhsa_exception_fp_ieee_underflow 0
		.amdhsa_exception_fp_ieee_inexact 0
		.amdhsa_exception_int_div_zero 0
	.end_amdhsa_kernel
	.section	.text._ZN7rocprim17ROCPRIM_400000_NS6detail17trampoline_kernelINS0_14default_configENS1_22reduce_config_selectorIbEEZNS1_11reduce_implILb1ES3_N6hipcub16HIPCUB_304000_NS22TransformInputIteratorIbN2at6native12_GLOBAL__N_19NonZeroOpIbEEPKblEEPiiNS8_6detail34convert_binary_result_type_wrapperINS8_3SumESH_iEEEE10hipError_tPvRmT1_T2_T3_mT4_P12ihipStream_tbEUlT_E0_NS1_11comp_targetILNS1_3genE9ELNS1_11target_archE1100ELNS1_3gpuE3ELNS1_3repE0EEENS1_30default_config_static_selectorELNS0_4arch9wavefront6targetE0EEEvSQ_,"axG",@progbits,_ZN7rocprim17ROCPRIM_400000_NS6detail17trampoline_kernelINS0_14default_configENS1_22reduce_config_selectorIbEEZNS1_11reduce_implILb1ES3_N6hipcub16HIPCUB_304000_NS22TransformInputIteratorIbN2at6native12_GLOBAL__N_19NonZeroOpIbEEPKblEEPiiNS8_6detail34convert_binary_result_type_wrapperINS8_3SumESH_iEEEE10hipError_tPvRmT1_T2_T3_mT4_P12ihipStream_tbEUlT_E0_NS1_11comp_targetILNS1_3genE9ELNS1_11target_archE1100ELNS1_3gpuE3ELNS1_3repE0EEENS1_30default_config_static_selectorELNS0_4arch9wavefront6targetE0EEEvSQ_,comdat
.Lfunc_end719:
	.size	_ZN7rocprim17ROCPRIM_400000_NS6detail17trampoline_kernelINS0_14default_configENS1_22reduce_config_selectorIbEEZNS1_11reduce_implILb1ES3_N6hipcub16HIPCUB_304000_NS22TransformInputIteratorIbN2at6native12_GLOBAL__N_19NonZeroOpIbEEPKblEEPiiNS8_6detail34convert_binary_result_type_wrapperINS8_3SumESH_iEEEE10hipError_tPvRmT1_T2_T3_mT4_P12ihipStream_tbEUlT_E0_NS1_11comp_targetILNS1_3genE9ELNS1_11target_archE1100ELNS1_3gpuE3ELNS1_3repE0EEENS1_30default_config_static_selectorELNS0_4arch9wavefront6targetE0EEEvSQ_, .Lfunc_end719-_ZN7rocprim17ROCPRIM_400000_NS6detail17trampoline_kernelINS0_14default_configENS1_22reduce_config_selectorIbEEZNS1_11reduce_implILb1ES3_N6hipcub16HIPCUB_304000_NS22TransformInputIteratorIbN2at6native12_GLOBAL__N_19NonZeroOpIbEEPKblEEPiiNS8_6detail34convert_binary_result_type_wrapperINS8_3SumESH_iEEEE10hipError_tPvRmT1_T2_T3_mT4_P12ihipStream_tbEUlT_E0_NS1_11comp_targetILNS1_3genE9ELNS1_11target_archE1100ELNS1_3gpuE3ELNS1_3repE0EEENS1_30default_config_static_selectorELNS0_4arch9wavefront6targetE0EEEvSQ_
                                        ; -- End function
	.set _ZN7rocprim17ROCPRIM_400000_NS6detail17trampoline_kernelINS0_14default_configENS1_22reduce_config_selectorIbEEZNS1_11reduce_implILb1ES3_N6hipcub16HIPCUB_304000_NS22TransformInputIteratorIbN2at6native12_GLOBAL__N_19NonZeroOpIbEEPKblEEPiiNS8_6detail34convert_binary_result_type_wrapperINS8_3SumESH_iEEEE10hipError_tPvRmT1_T2_T3_mT4_P12ihipStream_tbEUlT_E0_NS1_11comp_targetILNS1_3genE9ELNS1_11target_archE1100ELNS1_3gpuE3ELNS1_3repE0EEENS1_30default_config_static_selectorELNS0_4arch9wavefront6targetE0EEEvSQ_.num_vgpr, 0
	.set _ZN7rocprim17ROCPRIM_400000_NS6detail17trampoline_kernelINS0_14default_configENS1_22reduce_config_selectorIbEEZNS1_11reduce_implILb1ES3_N6hipcub16HIPCUB_304000_NS22TransformInputIteratorIbN2at6native12_GLOBAL__N_19NonZeroOpIbEEPKblEEPiiNS8_6detail34convert_binary_result_type_wrapperINS8_3SumESH_iEEEE10hipError_tPvRmT1_T2_T3_mT4_P12ihipStream_tbEUlT_E0_NS1_11comp_targetILNS1_3genE9ELNS1_11target_archE1100ELNS1_3gpuE3ELNS1_3repE0EEENS1_30default_config_static_selectorELNS0_4arch9wavefront6targetE0EEEvSQ_.num_agpr, 0
	.set _ZN7rocprim17ROCPRIM_400000_NS6detail17trampoline_kernelINS0_14default_configENS1_22reduce_config_selectorIbEEZNS1_11reduce_implILb1ES3_N6hipcub16HIPCUB_304000_NS22TransformInputIteratorIbN2at6native12_GLOBAL__N_19NonZeroOpIbEEPKblEEPiiNS8_6detail34convert_binary_result_type_wrapperINS8_3SumESH_iEEEE10hipError_tPvRmT1_T2_T3_mT4_P12ihipStream_tbEUlT_E0_NS1_11comp_targetILNS1_3genE9ELNS1_11target_archE1100ELNS1_3gpuE3ELNS1_3repE0EEENS1_30default_config_static_selectorELNS0_4arch9wavefront6targetE0EEEvSQ_.numbered_sgpr, 0
	.set _ZN7rocprim17ROCPRIM_400000_NS6detail17trampoline_kernelINS0_14default_configENS1_22reduce_config_selectorIbEEZNS1_11reduce_implILb1ES3_N6hipcub16HIPCUB_304000_NS22TransformInputIteratorIbN2at6native12_GLOBAL__N_19NonZeroOpIbEEPKblEEPiiNS8_6detail34convert_binary_result_type_wrapperINS8_3SumESH_iEEEE10hipError_tPvRmT1_T2_T3_mT4_P12ihipStream_tbEUlT_E0_NS1_11comp_targetILNS1_3genE9ELNS1_11target_archE1100ELNS1_3gpuE3ELNS1_3repE0EEENS1_30default_config_static_selectorELNS0_4arch9wavefront6targetE0EEEvSQ_.num_named_barrier, 0
	.set _ZN7rocprim17ROCPRIM_400000_NS6detail17trampoline_kernelINS0_14default_configENS1_22reduce_config_selectorIbEEZNS1_11reduce_implILb1ES3_N6hipcub16HIPCUB_304000_NS22TransformInputIteratorIbN2at6native12_GLOBAL__N_19NonZeroOpIbEEPKblEEPiiNS8_6detail34convert_binary_result_type_wrapperINS8_3SumESH_iEEEE10hipError_tPvRmT1_T2_T3_mT4_P12ihipStream_tbEUlT_E0_NS1_11comp_targetILNS1_3genE9ELNS1_11target_archE1100ELNS1_3gpuE3ELNS1_3repE0EEENS1_30default_config_static_selectorELNS0_4arch9wavefront6targetE0EEEvSQ_.private_seg_size, 0
	.set _ZN7rocprim17ROCPRIM_400000_NS6detail17trampoline_kernelINS0_14default_configENS1_22reduce_config_selectorIbEEZNS1_11reduce_implILb1ES3_N6hipcub16HIPCUB_304000_NS22TransformInputIteratorIbN2at6native12_GLOBAL__N_19NonZeroOpIbEEPKblEEPiiNS8_6detail34convert_binary_result_type_wrapperINS8_3SumESH_iEEEE10hipError_tPvRmT1_T2_T3_mT4_P12ihipStream_tbEUlT_E0_NS1_11comp_targetILNS1_3genE9ELNS1_11target_archE1100ELNS1_3gpuE3ELNS1_3repE0EEENS1_30default_config_static_selectorELNS0_4arch9wavefront6targetE0EEEvSQ_.uses_vcc, 0
	.set _ZN7rocprim17ROCPRIM_400000_NS6detail17trampoline_kernelINS0_14default_configENS1_22reduce_config_selectorIbEEZNS1_11reduce_implILb1ES3_N6hipcub16HIPCUB_304000_NS22TransformInputIteratorIbN2at6native12_GLOBAL__N_19NonZeroOpIbEEPKblEEPiiNS8_6detail34convert_binary_result_type_wrapperINS8_3SumESH_iEEEE10hipError_tPvRmT1_T2_T3_mT4_P12ihipStream_tbEUlT_E0_NS1_11comp_targetILNS1_3genE9ELNS1_11target_archE1100ELNS1_3gpuE3ELNS1_3repE0EEENS1_30default_config_static_selectorELNS0_4arch9wavefront6targetE0EEEvSQ_.uses_flat_scratch, 0
	.set _ZN7rocprim17ROCPRIM_400000_NS6detail17trampoline_kernelINS0_14default_configENS1_22reduce_config_selectorIbEEZNS1_11reduce_implILb1ES3_N6hipcub16HIPCUB_304000_NS22TransformInputIteratorIbN2at6native12_GLOBAL__N_19NonZeroOpIbEEPKblEEPiiNS8_6detail34convert_binary_result_type_wrapperINS8_3SumESH_iEEEE10hipError_tPvRmT1_T2_T3_mT4_P12ihipStream_tbEUlT_E0_NS1_11comp_targetILNS1_3genE9ELNS1_11target_archE1100ELNS1_3gpuE3ELNS1_3repE0EEENS1_30default_config_static_selectorELNS0_4arch9wavefront6targetE0EEEvSQ_.has_dyn_sized_stack, 0
	.set _ZN7rocprim17ROCPRIM_400000_NS6detail17trampoline_kernelINS0_14default_configENS1_22reduce_config_selectorIbEEZNS1_11reduce_implILb1ES3_N6hipcub16HIPCUB_304000_NS22TransformInputIteratorIbN2at6native12_GLOBAL__N_19NonZeroOpIbEEPKblEEPiiNS8_6detail34convert_binary_result_type_wrapperINS8_3SumESH_iEEEE10hipError_tPvRmT1_T2_T3_mT4_P12ihipStream_tbEUlT_E0_NS1_11comp_targetILNS1_3genE9ELNS1_11target_archE1100ELNS1_3gpuE3ELNS1_3repE0EEENS1_30default_config_static_selectorELNS0_4arch9wavefront6targetE0EEEvSQ_.has_recursion, 0
	.set _ZN7rocprim17ROCPRIM_400000_NS6detail17trampoline_kernelINS0_14default_configENS1_22reduce_config_selectorIbEEZNS1_11reduce_implILb1ES3_N6hipcub16HIPCUB_304000_NS22TransformInputIteratorIbN2at6native12_GLOBAL__N_19NonZeroOpIbEEPKblEEPiiNS8_6detail34convert_binary_result_type_wrapperINS8_3SumESH_iEEEE10hipError_tPvRmT1_T2_T3_mT4_P12ihipStream_tbEUlT_E0_NS1_11comp_targetILNS1_3genE9ELNS1_11target_archE1100ELNS1_3gpuE3ELNS1_3repE0EEENS1_30default_config_static_selectorELNS0_4arch9wavefront6targetE0EEEvSQ_.has_indirect_call, 0
	.section	.AMDGPU.csdata,"",@progbits
; Kernel info:
; codeLenInByte = 0
; TotalNumSgprs: 0
; NumVgprs: 0
; ScratchSize: 0
; MemoryBound: 0
; FloatMode: 240
; IeeeMode: 1
; LDSByteSize: 0 bytes/workgroup (compile time only)
; SGPRBlocks: 0
; VGPRBlocks: 0
; NumSGPRsForWavesPerEU: 1
; NumVGPRsForWavesPerEU: 1
; Occupancy: 16
; WaveLimiterHint : 0
; COMPUTE_PGM_RSRC2:SCRATCH_EN: 0
; COMPUTE_PGM_RSRC2:USER_SGPR: 2
; COMPUTE_PGM_RSRC2:TRAP_HANDLER: 0
; COMPUTE_PGM_RSRC2:TGID_X_EN: 1
; COMPUTE_PGM_RSRC2:TGID_Y_EN: 0
; COMPUTE_PGM_RSRC2:TGID_Z_EN: 0
; COMPUTE_PGM_RSRC2:TIDIG_COMP_CNT: 0
	.section	.text._ZN7rocprim17ROCPRIM_400000_NS6detail17trampoline_kernelINS0_14default_configENS1_22reduce_config_selectorIbEEZNS1_11reduce_implILb1ES3_N6hipcub16HIPCUB_304000_NS22TransformInputIteratorIbN2at6native12_GLOBAL__N_19NonZeroOpIbEEPKblEEPiiNS8_6detail34convert_binary_result_type_wrapperINS8_3SumESH_iEEEE10hipError_tPvRmT1_T2_T3_mT4_P12ihipStream_tbEUlT_E0_NS1_11comp_targetILNS1_3genE8ELNS1_11target_archE1030ELNS1_3gpuE2ELNS1_3repE0EEENS1_30default_config_static_selectorELNS0_4arch9wavefront6targetE0EEEvSQ_,"axG",@progbits,_ZN7rocprim17ROCPRIM_400000_NS6detail17trampoline_kernelINS0_14default_configENS1_22reduce_config_selectorIbEEZNS1_11reduce_implILb1ES3_N6hipcub16HIPCUB_304000_NS22TransformInputIteratorIbN2at6native12_GLOBAL__N_19NonZeroOpIbEEPKblEEPiiNS8_6detail34convert_binary_result_type_wrapperINS8_3SumESH_iEEEE10hipError_tPvRmT1_T2_T3_mT4_P12ihipStream_tbEUlT_E0_NS1_11comp_targetILNS1_3genE8ELNS1_11target_archE1030ELNS1_3gpuE2ELNS1_3repE0EEENS1_30default_config_static_selectorELNS0_4arch9wavefront6targetE0EEEvSQ_,comdat
	.globl	_ZN7rocprim17ROCPRIM_400000_NS6detail17trampoline_kernelINS0_14default_configENS1_22reduce_config_selectorIbEEZNS1_11reduce_implILb1ES3_N6hipcub16HIPCUB_304000_NS22TransformInputIteratorIbN2at6native12_GLOBAL__N_19NonZeroOpIbEEPKblEEPiiNS8_6detail34convert_binary_result_type_wrapperINS8_3SumESH_iEEEE10hipError_tPvRmT1_T2_T3_mT4_P12ihipStream_tbEUlT_E0_NS1_11comp_targetILNS1_3genE8ELNS1_11target_archE1030ELNS1_3gpuE2ELNS1_3repE0EEENS1_30default_config_static_selectorELNS0_4arch9wavefront6targetE0EEEvSQ_ ; -- Begin function _ZN7rocprim17ROCPRIM_400000_NS6detail17trampoline_kernelINS0_14default_configENS1_22reduce_config_selectorIbEEZNS1_11reduce_implILb1ES3_N6hipcub16HIPCUB_304000_NS22TransformInputIteratorIbN2at6native12_GLOBAL__N_19NonZeroOpIbEEPKblEEPiiNS8_6detail34convert_binary_result_type_wrapperINS8_3SumESH_iEEEE10hipError_tPvRmT1_T2_T3_mT4_P12ihipStream_tbEUlT_E0_NS1_11comp_targetILNS1_3genE8ELNS1_11target_archE1030ELNS1_3gpuE2ELNS1_3repE0EEENS1_30default_config_static_selectorELNS0_4arch9wavefront6targetE0EEEvSQ_
	.p2align	8
	.type	_ZN7rocprim17ROCPRIM_400000_NS6detail17trampoline_kernelINS0_14default_configENS1_22reduce_config_selectorIbEEZNS1_11reduce_implILb1ES3_N6hipcub16HIPCUB_304000_NS22TransformInputIteratorIbN2at6native12_GLOBAL__N_19NonZeroOpIbEEPKblEEPiiNS8_6detail34convert_binary_result_type_wrapperINS8_3SumESH_iEEEE10hipError_tPvRmT1_T2_T3_mT4_P12ihipStream_tbEUlT_E0_NS1_11comp_targetILNS1_3genE8ELNS1_11target_archE1030ELNS1_3gpuE2ELNS1_3repE0EEENS1_30default_config_static_selectorELNS0_4arch9wavefront6targetE0EEEvSQ_,@function
_ZN7rocprim17ROCPRIM_400000_NS6detail17trampoline_kernelINS0_14default_configENS1_22reduce_config_selectorIbEEZNS1_11reduce_implILb1ES3_N6hipcub16HIPCUB_304000_NS22TransformInputIteratorIbN2at6native12_GLOBAL__N_19NonZeroOpIbEEPKblEEPiiNS8_6detail34convert_binary_result_type_wrapperINS8_3SumESH_iEEEE10hipError_tPvRmT1_T2_T3_mT4_P12ihipStream_tbEUlT_E0_NS1_11comp_targetILNS1_3genE8ELNS1_11target_archE1030ELNS1_3gpuE2ELNS1_3repE0EEENS1_30default_config_static_selectorELNS0_4arch9wavefront6targetE0EEEvSQ_: ; @_ZN7rocprim17ROCPRIM_400000_NS6detail17trampoline_kernelINS0_14default_configENS1_22reduce_config_selectorIbEEZNS1_11reduce_implILb1ES3_N6hipcub16HIPCUB_304000_NS22TransformInputIteratorIbN2at6native12_GLOBAL__N_19NonZeroOpIbEEPKblEEPiiNS8_6detail34convert_binary_result_type_wrapperINS8_3SumESH_iEEEE10hipError_tPvRmT1_T2_T3_mT4_P12ihipStream_tbEUlT_E0_NS1_11comp_targetILNS1_3genE8ELNS1_11target_archE1030ELNS1_3gpuE2ELNS1_3repE0EEENS1_30default_config_static_selectorELNS0_4arch9wavefront6targetE0EEEvSQ_
; %bb.0:
	.section	.rodata,"a",@progbits
	.p2align	6, 0x0
	.amdhsa_kernel _ZN7rocprim17ROCPRIM_400000_NS6detail17trampoline_kernelINS0_14default_configENS1_22reduce_config_selectorIbEEZNS1_11reduce_implILb1ES3_N6hipcub16HIPCUB_304000_NS22TransformInputIteratorIbN2at6native12_GLOBAL__N_19NonZeroOpIbEEPKblEEPiiNS8_6detail34convert_binary_result_type_wrapperINS8_3SumESH_iEEEE10hipError_tPvRmT1_T2_T3_mT4_P12ihipStream_tbEUlT_E0_NS1_11comp_targetILNS1_3genE8ELNS1_11target_archE1030ELNS1_3gpuE2ELNS1_3repE0EEENS1_30default_config_static_selectorELNS0_4arch9wavefront6targetE0EEEvSQ_
		.amdhsa_group_segment_fixed_size 0
		.amdhsa_private_segment_fixed_size 0
		.amdhsa_kernarg_size 64
		.amdhsa_user_sgpr_count 2
		.amdhsa_user_sgpr_dispatch_ptr 0
		.amdhsa_user_sgpr_queue_ptr 0
		.amdhsa_user_sgpr_kernarg_segment_ptr 1
		.amdhsa_user_sgpr_dispatch_id 0
		.amdhsa_user_sgpr_private_segment_size 0
		.amdhsa_wavefront_size32 1
		.amdhsa_uses_dynamic_stack 0
		.amdhsa_enable_private_segment 0
		.amdhsa_system_sgpr_workgroup_id_x 1
		.amdhsa_system_sgpr_workgroup_id_y 0
		.amdhsa_system_sgpr_workgroup_id_z 0
		.amdhsa_system_sgpr_workgroup_info 0
		.amdhsa_system_vgpr_workitem_id 0
		.amdhsa_next_free_vgpr 1
		.amdhsa_next_free_sgpr 1
		.amdhsa_reserve_vcc 0
		.amdhsa_float_round_mode_32 0
		.amdhsa_float_round_mode_16_64 0
		.amdhsa_float_denorm_mode_32 3
		.amdhsa_float_denorm_mode_16_64 3
		.amdhsa_fp16_overflow 0
		.amdhsa_workgroup_processor_mode 1
		.amdhsa_memory_ordered 1
		.amdhsa_forward_progress 1
		.amdhsa_inst_pref_size 0
		.amdhsa_round_robin_scheduling 0
		.amdhsa_exception_fp_ieee_invalid_op 0
		.amdhsa_exception_fp_denorm_src 0
		.amdhsa_exception_fp_ieee_div_zero 0
		.amdhsa_exception_fp_ieee_overflow 0
		.amdhsa_exception_fp_ieee_underflow 0
		.amdhsa_exception_fp_ieee_inexact 0
		.amdhsa_exception_int_div_zero 0
	.end_amdhsa_kernel
	.section	.text._ZN7rocprim17ROCPRIM_400000_NS6detail17trampoline_kernelINS0_14default_configENS1_22reduce_config_selectorIbEEZNS1_11reduce_implILb1ES3_N6hipcub16HIPCUB_304000_NS22TransformInputIteratorIbN2at6native12_GLOBAL__N_19NonZeroOpIbEEPKblEEPiiNS8_6detail34convert_binary_result_type_wrapperINS8_3SumESH_iEEEE10hipError_tPvRmT1_T2_T3_mT4_P12ihipStream_tbEUlT_E0_NS1_11comp_targetILNS1_3genE8ELNS1_11target_archE1030ELNS1_3gpuE2ELNS1_3repE0EEENS1_30default_config_static_selectorELNS0_4arch9wavefront6targetE0EEEvSQ_,"axG",@progbits,_ZN7rocprim17ROCPRIM_400000_NS6detail17trampoline_kernelINS0_14default_configENS1_22reduce_config_selectorIbEEZNS1_11reduce_implILb1ES3_N6hipcub16HIPCUB_304000_NS22TransformInputIteratorIbN2at6native12_GLOBAL__N_19NonZeroOpIbEEPKblEEPiiNS8_6detail34convert_binary_result_type_wrapperINS8_3SumESH_iEEEE10hipError_tPvRmT1_T2_T3_mT4_P12ihipStream_tbEUlT_E0_NS1_11comp_targetILNS1_3genE8ELNS1_11target_archE1030ELNS1_3gpuE2ELNS1_3repE0EEENS1_30default_config_static_selectorELNS0_4arch9wavefront6targetE0EEEvSQ_,comdat
.Lfunc_end720:
	.size	_ZN7rocprim17ROCPRIM_400000_NS6detail17trampoline_kernelINS0_14default_configENS1_22reduce_config_selectorIbEEZNS1_11reduce_implILb1ES3_N6hipcub16HIPCUB_304000_NS22TransformInputIteratorIbN2at6native12_GLOBAL__N_19NonZeroOpIbEEPKblEEPiiNS8_6detail34convert_binary_result_type_wrapperINS8_3SumESH_iEEEE10hipError_tPvRmT1_T2_T3_mT4_P12ihipStream_tbEUlT_E0_NS1_11comp_targetILNS1_3genE8ELNS1_11target_archE1030ELNS1_3gpuE2ELNS1_3repE0EEENS1_30default_config_static_selectorELNS0_4arch9wavefront6targetE0EEEvSQ_, .Lfunc_end720-_ZN7rocprim17ROCPRIM_400000_NS6detail17trampoline_kernelINS0_14default_configENS1_22reduce_config_selectorIbEEZNS1_11reduce_implILb1ES3_N6hipcub16HIPCUB_304000_NS22TransformInputIteratorIbN2at6native12_GLOBAL__N_19NonZeroOpIbEEPKblEEPiiNS8_6detail34convert_binary_result_type_wrapperINS8_3SumESH_iEEEE10hipError_tPvRmT1_T2_T3_mT4_P12ihipStream_tbEUlT_E0_NS1_11comp_targetILNS1_3genE8ELNS1_11target_archE1030ELNS1_3gpuE2ELNS1_3repE0EEENS1_30default_config_static_selectorELNS0_4arch9wavefront6targetE0EEEvSQ_
                                        ; -- End function
	.set _ZN7rocprim17ROCPRIM_400000_NS6detail17trampoline_kernelINS0_14default_configENS1_22reduce_config_selectorIbEEZNS1_11reduce_implILb1ES3_N6hipcub16HIPCUB_304000_NS22TransformInputIteratorIbN2at6native12_GLOBAL__N_19NonZeroOpIbEEPKblEEPiiNS8_6detail34convert_binary_result_type_wrapperINS8_3SumESH_iEEEE10hipError_tPvRmT1_T2_T3_mT4_P12ihipStream_tbEUlT_E0_NS1_11comp_targetILNS1_3genE8ELNS1_11target_archE1030ELNS1_3gpuE2ELNS1_3repE0EEENS1_30default_config_static_selectorELNS0_4arch9wavefront6targetE0EEEvSQ_.num_vgpr, 0
	.set _ZN7rocprim17ROCPRIM_400000_NS6detail17trampoline_kernelINS0_14default_configENS1_22reduce_config_selectorIbEEZNS1_11reduce_implILb1ES3_N6hipcub16HIPCUB_304000_NS22TransformInputIteratorIbN2at6native12_GLOBAL__N_19NonZeroOpIbEEPKblEEPiiNS8_6detail34convert_binary_result_type_wrapperINS8_3SumESH_iEEEE10hipError_tPvRmT1_T2_T3_mT4_P12ihipStream_tbEUlT_E0_NS1_11comp_targetILNS1_3genE8ELNS1_11target_archE1030ELNS1_3gpuE2ELNS1_3repE0EEENS1_30default_config_static_selectorELNS0_4arch9wavefront6targetE0EEEvSQ_.num_agpr, 0
	.set _ZN7rocprim17ROCPRIM_400000_NS6detail17trampoline_kernelINS0_14default_configENS1_22reduce_config_selectorIbEEZNS1_11reduce_implILb1ES3_N6hipcub16HIPCUB_304000_NS22TransformInputIteratorIbN2at6native12_GLOBAL__N_19NonZeroOpIbEEPKblEEPiiNS8_6detail34convert_binary_result_type_wrapperINS8_3SumESH_iEEEE10hipError_tPvRmT1_T2_T3_mT4_P12ihipStream_tbEUlT_E0_NS1_11comp_targetILNS1_3genE8ELNS1_11target_archE1030ELNS1_3gpuE2ELNS1_3repE0EEENS1_30default_config_static_selectorELNS0_4arch9wavefront6targetE0EEEvSQ_.numbered_sgpr, 0
	.set _ZN7rocprim17ROCPRIM_400000_NS6detail17trampoline_kernelINS0_14default_configENS1_22reduce_config_selectorIbEEZNS1_11reduce_implILb1ES3_N6hipcub16HIPCUB_304000_NS22TransformInputIteratorIbN2at6native12_GLOBAL__N_19NonZeroOpIbEEPKblEEPiiNS8_6detail34convert_binary_result_type_wrapperINS8_3SumESH_iEEEE10hipError_tPvRmT1_T2_T3_mT4_P12ihipStream_tbEUlT_E0_NS1_11comp_targetILNS1_3genE8ELNS1_11target_archE1030ELNS1_3gpuE2ELNS1_3repE0EEENS1_30default_config_static_selectorELNS0_4arch9wavefront6targetE0EEEvSQ_.num_named_barrier, 0
	.set _ZN7rocprim17ROCPRIM_400000_NS6detail17trampoline_kernelINS0_14default_configENS1_22reduce_config_selectorIbEEZNS1_11reduce_implILb1ES3_N6hipcub16HIPCUB_304000_NS22TransformInputIteratorIbN2at6native12_GLOBAL__N_19NonZeroOpIbEEPKblEEPiiNS8_6detail34convert_binary_result_type_wrapperINS8_3SumESH_iEEEE10hipError_tPvRmT1_T2_T3_mT4_P12ihipStream_tbEUlT_E0_NS1_11comp_targetILNS1_3genE8ELNS1_11target_archE1030ELNS1_3gpuE2ELNS1_3repE0EEENS1_30default_config_static_selectorELNS0_4arch9wavefront6targetE0EEEvSQ_.private_seg_size, 0
	.set _ZN7rocprim17ROCPRIM_400000_NS6detail17trampoline_kernelINS0_14default_configENS1_22reduce_config_selectorIbEEZNS1_11reduce_implILb1ES3_N6hipcub16HIPCUB_304000_NS22TransformInputIteratorIbN2at6native12_GLOBAL__N_19NonZeroOpIbEEPKblEEPiiNS8_6detail34convert_binary_result_type_wrapperINS8_3SumESH_iEEEE10hipError_tPvRmT1_T2_T3_mT4_P12ihipStream_tbEUlT_E0_NS1_11comp_targetILNS1_3genE8ELNS1_11target_archE1030ELNS1_3gpuE2ELNS1_3repE0EEENS1_30default_config_static_selectorELNS0_4arch9wavefront6targetE0EEEvSQ_.uses_vcc, 0
	.set _ZN7rocprim17ROCPRIM_400000_NS6detail17trampoline_kernelINS0_14default_configENS1_22reduce_config_selectorIbEEZNS1_11reduce_implILb1ES3_N6hipcub16HIPCUB_304000_NS22TransformInputIteratorIbN2at6native12_GLOBAL__N_19NonZeroOpIbEEPKblEEPiiNS8_6detail34convert_binary_result_type_wrapperINS8_3SumESH_iEEEE10hipError_tPvRmT1_T2_T3_mT4_P12ihipStream_tbEUlT_E0_NS1_11comp_targetILNS1_3genE8ELNS1_11target_archE1030ELNS1_3gpuE2ELNS1_3repE0EEENS1_30default_config_static_selectorELNS0_4arch9wavefront6targetE0EEEvSQ_.uses_flat_scratch, 0
	.set _ZN7rocprim17ROCPRIM_400000_NS6detail17trampoline_kernelINS0_14default_configENS1_22reduce_config_selectorIbEEZNS1_11reduce_implILb1ES3_N6hipcub16HIPCUB_304000_NS22TransformInputIteratorIbN2at6native12_GLOBAL__N_19NonZeroOpIbEEPKblEEPiiNS8_6detail34convert_binary_result_type_wrapperINS8_3SumESH_iEEEE10hipError_tPvRmT1_T2_T3_mT4_P12ihipStream_tbEUlT_E0_NS1_11comp_targetILNS1_3genE8ELNS1_11target_archE1030ELNS1_3gpuE2ELNS1_3repE0EEENS1_30default_config_static_selectorELNS0_4arch9wavefront6targetE0EEEvSQ_.has_dyn_sized_stack, 0
	.set _ZN7rocprim17ROCPRIM_400000_NS6detail17trampoline_kernelINS0_14default_configENS1_22reduce_config_selectorIbEEZNS1_11reduce_implILb1ES3_N6hipcub16HIPCUB_304000_NS22TransformInputIteratorIbN2at6native12_GLOBAL__N_19NonZeroOpIbEEPKblEEPiiNS8_6detail34convert_binary_result_type_wrapperINS8_3SumESH_iEEEE10hipError_tPvRmT1_T2_T3_mT4_P12ihipStream_tbEUlT_E0_NS1_11comp_targetILNS1_3genE8ELNS1_11target_archE1030ELNS1_3gpuE2ELNS1_3repE0EEENS1_30default_config_static_selectorELNS0_4arch9wavefront6targetE0EEEvSQ_.has_recursion, 0
	.set _ZN7rocprim17ROCPRIM_400000_NS6detail17trampoline_kernelINS0_14default_configENS1_22reduce_config_selectorIbEEZNS1_11reduce_implILb1ES3_N6hipcub16HIPCUB_304000_NS22TransformInputIteratorIbN2at6native12_GLOBAL__N_19NonZeroOpIbEEPKblEEPiiNS8_6detail34convert_binary_result_type_wrapperINS8_3SumESH_iEEEE10hipError_tPvRmT1_T2_T3_mT4_P12ihipStream_tbEUlT_E0_NS1_11comp_targetILNS1_3genE8ELNS1_11target_archE1030ELNS1_3gpuE2ELNS1_3repE0EEENS1_30default_config_static_selectorELNS0_4arch9wavefront6targetE0EEEvSQ_.has_indirect_call, 0
	.section	.AMDGPU.csdata,"",@progbits
; Kernel info:
; codeLenInByte = 0
; TotalNumSgprs: 0
; NumVgprs: 0
; ScratchSize: 0
; MemoryBound: 0
; FloatMode: 240
; IeeeMode: 1
; LDSByteSize: 0 bytes/workgroup (compile time only)
; SGPRBlocks: 0
; VGPRBlocks: 0
; NumSGPRsForWavesPerEU: 1
; NumVGPRsForWavesPerEU: 1
; Occupancy: 16
; WaveLimiterHint : 0
; COMPUTE_PGM_RSRC2:SCRATCH_EN: 0
; COMPUTE_PGM_RSRC2:USER_SGPR: 2
; COMPUTE_PGM_RSRC2:TRAP_HANDLER: 0
; COMPUTE_PGM_RSRC2:TGID_X_EN: 1
; COMPUTE_PGM_RSRC2:TGID_Y_EN: 0
; COMPUTE_PGM_RSRC2:TGID_Z_EN: 0
; COMPUTE_PGM_RSRC2:TIDIG_COMP_CNT: 0
	.section	.text._ZN7rocprim17ROCPRIM_400000_NS6detail17trampoline_kernelINS0_14default_configENS1_22reduce_config_selectorIbEEZNS1_11reduce_implILb1ES3_N6hipcub16HIPCUB_304000_NS22TransformInputIteratorIbN2at6native12_GLOBAL__N_19NonZeroOpIbEEPKblEEPiiNS8_6detail34convert_binary_result_type_wrapperINS8_3SumESH_iEEEE10hipError_tPvRmT1_T2_T3_mT4_P12ihipStream_tbEUlT_E1_NS1_11comp_targetILNS1_3genE0ELNS1_11target_archE4294967295ELNS1_3gpuE0ELNS1_3repE0EEENS1_30default_config_static_selectorELNS0_4arch9wavefront6targetE0EEEvSQ_,"axG",@progbits,_ZN7rocprim17ROCPRIM_400000_NS6detail17trampoline_kernelINS0_14default_configENS1_22reduce_config_selectorIbEEZNS1_11reduce_implILb1ES3_N6hipcub16HIPCUB_304000_NS22TransformInputIteratorIbN2at6native12_GLOBAL__N_19NonZeroOpIbEEPKblEEPiiNS8_6detail34convert_binary_result_type_wrapperINS8_3SumESH_iEEEE10hipError_tPvRmT1_T2_T3_mT4_P12ihipStream_tbEUlT_E1_NS1_11comp_targetILNS1_3genE0ELNS1_11target_archE4294967295ELNS1_3gpuE0ELNS1_3repE0EEENS1_30default_config_static_selectorELNS0_4arch9wavefront6targetE0EEEvSQ_,comdat
	.globl	_ZN7rocprim17ROCPRIM_400000_NS6detail17trampoline_kernelINS0_14default_configENS1_22reduce_config_selectorIbEEZNS1_11reduce_implILb1ES3_N6hipcub16HIPCUB_304000_NS22TransformInputIteratorIbN2at6native12_GLOBAL__N_19NonZeroOpIbEEPKblEEPiiNS8_6detail34convert_binary_result_type_wrapperINS8_3SumESH_iEEEE10hipError_tPvRmT1_T2_T3_mT4_P12ihipStream_tbEUlT_E1_NS1_11comp_targetILNS1_3genE0ELNS1_11target_archE4294967295ELNS1_3gpuE0ELNS1_3repE0EEENS1_30default_config_static_selectorELNS0_4arch9wavefront6targetE0EEEvSQ_ ; -- Begin function _ZN7rocprim17ROCPRIM_400000_NS6detail17trampoline_kernelINS0_14default_configENS1_22reduce_config_selectorIbEEZNS1_11reduce_implILb1ES3_N6hipcub16HIPCUB_304000_NS22TransformInputIteratorIbN2at6native12_GLOBAL__N_19NonZeroOpIbEEPKblEEPiiNS8_6detail34convert_binary_result_type_wrapperINS8_3SumESH_iEEEE10hipError_tPvRmT1_T2_T3_mT4_P12ihipStream_tbEUlT_E1_NS1_11comp_targetILNS1_3genE0ELNS1_11target_archE4294967295ELNS1_3gpuE0ELNS1_3repE0EEENS1_30default_config_static_selectorELNS0_4arch9wavefront6targetE0EEEvSQ_
	.p2align	8
	.type	_ZN7rocprim17ROCPRIM_400000_NS6detail17trampoline_kernelINS0_14default_configENS1_22reduce_config_selectorIbEEZNS1_11reduce_implILb1ES3_N6hipcub16HIPCUB_304000_NS22TransformInputIteratorIbN2at6native12_GLOBAL__N_19NonZeroOpIbEEPKblEEPiiNS8_6detail34convert_binary_result_type_wrapperINS8_3SumESH_iEEEE10hipError_tPvRmT1_T2_T3_mT4_P12ihipStream_tbEUlT_E1_NS1_11comp_targetILNS1_3genE0ELNS1_11target_archE4294967295ELNS1_3gpuE0ELNS1_3repE0EEENS1_30default_config_static_selectorELNS0_4arch9wavefront6targetE0EEEvSQ_,@function
_ZN7rocprim17ROCPRIM_400000_NS6detail17trampoline_kernelINS0_14default_configENS1_22reduce_config_selectorIbEEZNS1_11reduce_implILb1ES3_N6hipcub16HIPCUB_304000_NS22TransformInputIteratorIbN2at6native12_GLOBAL__N_19NonZeroOpIbEEPKblEEPiiNS8_6detail34convert_binary_result_type_wrapperINS8_3SumESH_iEEEE10hipError_tPvRmT1_T2_T3_mT4_P12ihipStream_tbEUlT_E1_NS1_11comp_targetILNS1_3genE0ELNS1_11target_archE4294967295ELNS1_3gpuE0ELNS1_3repE0EEENS1_30default_config_static_selectorELNS0_4arch9wavefront6targetE0EEEvSQ_: ; @_ZN7rocprim17ROCPRIM_400000_NS6detail17trampoline_kernelINS0_14default_configENS1_22reduce_config_selectorIbEEZNS1_11reduce_implILb1ES3_N6hipcub16HIPCUB_304000_NS22TransformInputIteratorIbN2at6native12_GLOBAL__N_19NonZeroOpIbEEPKblEEPiiNS8_6detail34convert_binary_result_type_wrapperINS8_3SumESH_iEEEE10hipError_tPvRmT1_T2_T3_mT4_P12ihipStream_tbEUlT_E1_NS1_11comp_targetILNS1_3genE0ELNS1_11target_archE4294967295ELNS1_3gpuE0ELNS1_3repE0EEENS1_30default_config_static_selectorELNS0_4arch9wavefront6targetE0EEEvSQ_
; %bb.0:
	.section	.rodata,"a",@progbits
	.p2align	6, 0x0
	.amdhsa_kernel _ZN7rocprim17ROCPRIM_400000_NS6detail17trampoline_kernelINS0_14default_configENS1_22reduce_config_selectorIbEEZNS1_11reduce_implILb1ES3_N6hipcub16HIPCUB_304000_NS22TransformInputIteratorIbN2at6native12_GLOBAL__N_19NonZeroOpIbEEPKblEEPiiNS8_6detail34convert_binary_result_type_wrapperINS8_3SumESH_iEEEE10hipError_tPvRmT1_T2_T3_mT4_P12ihipStream_tbEUlT_E1_NS1_11comp_targetILNS1_3genE0ELNS1_11target_archE4294967295ELNS1_3gpuE0ELNS1_3repE0EEENS1_30default_config_static_selectorELNS0_4arch9wavefront6targetE0EEEvSQ_
		.amdhsa_group_segment_fixed_size 0
		.amdhsa_private_segment_fixed_size 0
		.amdhsa_kernarg_size 48
		.amdhsa_user_sgpr_count 2
		.amdhsa_user_sgpr_dispatch_ptr 0
		.amdhsa_user_sgpr_queue_ptr 0
		.amdhsa_user_sgpr_kernarg_segment_ptr 1
		.amdhsa_user_sgpr_dispatch_id 0
		.amdhsa_user_sgpr_private_segment_size 0
		.amdhsa_wavefront_size32 1
		.amdhsa_uses_dynamic_stack 0
		.amdhsa_enable_private_segment 0
		.amdhsa_system_sgpr_workgroup_id_x 1
		.amdhsa_system_sgpr_workgroup_id_y 0
		.amdhsa_system_sgpr_workgroup_id_z 0
		.amdhsa_system_sgpr_workgroup_info 0
		.amdhsa_system_vgpr_workitem_id 0
		.amdhsa_next_free_vgpr 1
		.amdhsa_next_free_sgpr 1
		.amdhsa_reserve_vcc 0
		.amdhsa_float_round_mode_32 0
		.amdhsa_float_round_mode_16_64 0
		.amdhsa_float_denorm_mode_32 3
		.amdhsa_float_denorm_mode_16_64 3
		.amdhsa_fp16_overflow 0
		.amdhsa_workgroup_processor_mode 1
		.amdhsa_memory_ordered 1
		.amdhsa_forward_progress 1
		.amdhsa_inst_pref_size 0
		.amdhsa_round_robin_scheduling 0
		.amdhsa_exception_fp_ieee_invalid_op 0
		.amdhsa_exception_fp_denorm_src 0
		.amdhsa_exception_fp_ieee_div_zero 0
		.amdhsa_exception_fp_ieee_overflow 0
		.amdhsa_exception_fp_ieee_underflow 0
		.amdhsa_exception_fp_ieee_inexact 0
		.amdhsa_exception_int_div_zero 0
	.end_amdhsa_kernel
	.section	.text._ZN7rocprim17ROCPRIM_400000_NS6detail17trampoline_kernelINS0_14default_configENS1_22reduce_config_selectorIbEEZNS1_11reduce_implILb1ES3_N6hipcub16HIPCUB_304000_NS22TransformInputIteratorIbN2at6native12_GLOBAL__N_19NonZeroOpIbEEPKblEEPiiNS8_6detail34convert_binary_result_type_wrapperINS8_3SumESH_iEEEE10hipError_tPvRmT1_T2_T3_mT4_P12ihipStream_tbEUlT_E1_NS1_11comp_targetILNS1_3genE0ELNS1_11target_archE4294967295ELNS1_3gpuE0ELNS1_3repE0EEENS1_30default_config_static_selectorELNS0_4arch9wavefront6targetE0EEEvSQ_,"axG",@progbits,_ZN7rocprim17ROCPRIM_400000_NS6detail17trampoline_kernelINS0_14default_configENS1_22reduce_config_selectorIbEEZNS1_11reduce_implILb1ES3_N6hipcub16HIPCUB_304000_NS22TransformInputIteratorIbN2at6native12_GLOBAL__N_19NonZeroOpIbEEPKblEEPiiNS8_6detail34convert_binary_result_type_wrapperINS8_3SumESH_iEEEE10hipError_tPvRmT1_T2_T3_mT4_P12ihipStream_tbEUlT_E1_NS1_11comp_targetILNS1_3genE0ELNS1_11target_archE4294967295ELNS1_3gpuE0ELNS1_3repE0EEENS1_30default_config_static_selectorELNS0_4arch9wavefront6targetE0EEEvSQ_,comdat
.Lfunc_end721:
	.size	_ZN7rocprim17ROCPRIM_400000_NS6detail17trampoline_kernelINS0_14default_configENS1_22reduce_config_selectorIbEEZNS1_11reduce_implILb1ES3_N6hipcub16HIPCUB_304000_NS22TransformInputIteratorIbN2at6native12_GLOBAL__N_19NonZeroOpIbEEPKblEEPiiNS8_6detail34convert_binary_result_type_wrapperINS8_3SumESH_iEEEE10hipError_tPvRmT1_T2_T3_mT4_P12ihipStream_tbEUlT_E1_NS1_11comp_targetILNS1_3genE0ELNS1_11target_archE4294967295ELNS1_3gpuE0ELNS1_3repE0EEENS1_30default_config_static_selectorELNS0_4arch9wavefront6targetE0EEEvSQ_, .Lfunc_end721-_ZN7rocprim17ROCPRIM_400000_NS6detail17trampoline_kernelINS0_14default_configENS1_22reduce_config_selectorIbEEZNS1_11reduce_implILb1ES3_N6hipcub16HIPCUB_304000_NS22TransformInputIteratorIbN2at6native12_GLOBAL__N_19NonZeroOpIbEEPKblEEPiiNS8_6detail34convert_binary_result_type_wrapperINS8_3SumESH_iEEEE10hipError_tPvRmT1_T2_T3_mT4_P12ihipStream_tbEUlT_E1_NS1_11comp_targetILNS1_3genE0ELNS1_11target_archE4294967295ELNS1_3gpuE0ELNS1_3repE0EEENS1_30default_config_static_selectorELNS0_4arch9wavefront6targetE0EEEvSQ_
                                        ; -- End function
	.set _ZN7rocprim17ROCPRIM_400000_NS6detail17trampoline_kernelINS0_14default_configENS1_22reduce_config_selectorIbEEZNS1_11reduce_implILb1ES3_N6hipcub16HIPCUB_304000_NS22TransformInputIteratorIbN2at6native12_GLOBAL__N_19NonZeroOpIbEEPKblEEPiiNS8_6detail34convert_binary_result_type_wrapperINS8_3SumESH_iEEEE10hipError_tPvRmT1_T2_T3_mT4_P12ihipStream_tbEUlT_E1_NS1_11comp_targetILNS1_3genE0ELNS1_11target_archE4294967295ELNS1_3gpuE0ELNS1_3repE0EEENS1_30default_config_static_selectorELNS0_4arch9wavefront6targetE0EEEvSQ_.num_vgpr, 0
	.set _ZN7rocprim17ROCPRIM_400000_NS6detail17trampoline_kernelINS0_14default_configENS1_22reduce_config_selectorIbEEZNS1_11reduce_implILb1ES3_N6hipcub16HIPCUB_304000_NS22TransformInputIteratorIbN2at6native12_GLOBAL__N_19NonZeroOpIbEEPKblEEPiiNS8_6detail34convert_binary_result_type_wrapperINS8_3SumESH_iEEEE10hipError_tPvRmT1_T2_T3_mT4_P12ihipStream_tbEUlT_E1_NS1_11comp_targetILNS1_3genE0ELNS1_11target_archE4294967295ELNS1_3gpuE0ELNS1_3repE0EEENS1_30default_config_static_selectorELNS0_4arch9wavefront6targetE0EEEvSQ_.num_agpr, 0
	.set _ZN7rocprim17ROCPRIM_400000_NS6detail17trampoline_kernelINS0_14default_configENS1_22reduce_config_selectorIbEEZNS1_11reduce_implILb1ES3_N6hipcub16HIPCUB_304000_NS22TransformInputIteratorIbN2at6native12_GLOBAL__N_19NonZeroOpIbEEPKblEEPiiNS8_6detail34convert_binary_result_type_wrapperINS8_3SumESH_iEEEE10hipError_tPvRmT1_T2_T3_mT4_P12ihipStream_tbEUlT_E1_NS1_11comp_targetILNS1_3genE0ELNS1_11target_archE4294967295ELNS1_3gpuE0ELNS1_3repE0EEENS1_30default_config_static_selectorELNS0_4arch9wavefront6targetE0EEEvSQ_.numbered_sgpr, 0
	.set _ZN7rocprim17ROCPRIM_400000_NS6detail17trampoline_kernelINS0_14default_configENS1_22reduce_config_selectorIbEEZNS1_11reduce_implILb1ES3_N6hipcub16HIPCUB_304000_NS22TransformInputIteratorIbN2at6native12_GLOBAL__N_19NonZeroOpIbEEPKblEEPiiNS8_6detail34convert_binary_result_type_wrapperINS8_3SumESH_iEEEE10hipError_tPvRmT1_T2_T3_mT4_P12ihipStream_tbEUlT_E1_NS1_11comp_targetILNS1_3genE0ELNS1_11target_archE4294967295ELNS1_3gpuE0ELNS1_3repE0EEENS1_30default_config_static_selectorELNS0_4arch9wavefront6targetE0EEEvSQ_.num_named_barrier, 0
	.set _ZN7rocprim17ROCPRIM_400000_NS6detail17trampoline_kernelINS0_14default_configENS1_22reduce_config_selectorIbEEZNS1_11reduce_implILb1ES3_N6hipcub16HIPCUB_304000_NS22TransformInputIteratorIbN2at6native12_GLOBAL__N_19NonZeroOpIbEEPKblEEPiiNS8_6detail34convert_binary_result_type_wrapperINS8_3SumESH_iEEEE10hipError_tPvRmT1_T2_T3_mT4_P12ihipStream_tbEUlT_E1_NS1_11comp_targetILNS1_3genE0ELNS1_11target_archE4294967295ELNS1_3gpuE0ELNS1_3repE0EEENS1_30default_config_static_selectorELNS0_4arch9wavefront6targetE0EEEvSQ_.private_seg_size, 0
	.set _ZN7rocprim17ROCPRIM_400000_NS6detail17trampoline_kernelINS0_14default_configENS1_22reduce_config_selectorIbEEZNS1_11reduce_implILb1ES3_N6hipcub16HIPCUB_304000_NS22TransformInputIteratorIbN2at6native12_GLOBAL__N_19NonZeroOpIbEEPKblEEPiiNS8_6detail34convert_binary_result_type_wrapperINS8_3SumESH_iEEEE10hipError_tPvRmT1_T2_T3_mT4_P12ihipStream_tbEUlT_E1_NS1_11comp_targetILNS1_3genE0ELNS1_11target_archE4294967295ELNS1_3gpuE0ELNS1_3repE0EEENS1_30default_config_static_selectorELNS0_4arch9wavefront6targetE0EEEvSQ_.uses_vcc, 0
	.set _ZN7rocprim17ROCPRIM_400000_NS6detail17trampoline_kernelINS0_14default_configENS1_22reduce_config_selectorIbEEZNS1_11reduce_implILb1ES3_N6hipcub16HIPCUB_304000_NS22TransformInputIteratorIbN2at6native12_GLOBAL__N_19NonZeroOpIbEEPKblEEPiiNS8_6detail34convert_binary_result_type_wrapperINS8_3SumESH_iEEEE10hipError_tPvRmT1_T2_T3_mT4_P12ihipStream_tbEUlT_E1_NS1_11comp_targetILNS1_3genE0ELNS1_11target_archE4294967295ELNS1_3gpuE0ELNS1_3repE0EEENS1_30default_config_static_selectorELNS0_4arch9wavefront6targetE0EEEvSQ_.uses_flat_scratch, 0
	.set _ZN7rocprim17ROCPRIM_400000_NS6detail17trampoline_kernelINS0_14default_configENS1_22reduce_config_selectorIbEEZNS1_11reduce_implILb1ES3_N6hipcub16HIPCUB_304000_NS22TransformInputIteratorIbN2at6native12_GLOBAL__N_19NonZeroOpIbEEPKblEEPiiNS8_6detail34convert_binary_result_type_wrapperINS8_3SumESH_iEEEE10hipError_tPvRmT1_T2_T3_mT4_P12ihipStream_tbEUlT_E1_NS1_11comp_targetILNS1_3genE0ELNS1_11target_archE4294967295ELNS1_3gpuE0ELNS1_3repE0EEENS1_30default_config_static_selectorELNS0_4arch9wavefront6targetE0EEEvSQ_.has_dyn_sized_stack, 0
	.set _ZN7rocprim17ROCPRIM_400000_NS6detail17trampoline_kernelINS0_14default_configENS1_22reduce_config_selectorIbEEZNS1_11reduce_implILb1ES3_N6hipcub16HIPCUB_304000_NS22TransformInputIteratorIbN2at6native12_GLOBAL__N_19NonZeroOpIbEEPKblEEPiiNS8_6detail34convert_binary_result_type_wrapperINS8_3SumESH_iEEEE10hipError_tPvRmT1_T2_T3_mT4_P12ihipStream_tbEUlT_E1_NS1_11comp_targetILNS1_3genE0ELNS1_11target_archE4294967295ELNS1_3gpuE0ELNS1_3repE0EEENS1_30default_config_static_selectorELNS0_4arch9wavefront6targetE0EEEvSQ_.has_recursion, 0
	.set _ZN7rocprim17ROCPRIM_400000_NS6detail17trampoline_kernelINS0_14default_configENS1_22reduce_config_selectorIbEEZNS1_11reduce_implILb1ES3_N6hipcub16HIPCUB_304000_NS22TransformInputIteratorIbN2at6native12_GLOBAL__N_19NonZeroOpIbEEPKblEEPiiNS8_6detail34convert_binary_result_type_wrapperINS8_3SumESH_iEEEE10hipError_tPvRmT1_T2_T3_mT4_P12ihipStream_tbEUlT_E1_NS1_11comp_targetILNS1_3genE0ELNS1_11target_archE4294967295ELNS1_3gpuE0ELNS1_3repE0EEENS1_30default_config_static_selectorELNS0_4arch9wavefront6targetE0EEEvSQ_.has_indirect_call, 0
	.section	.AMDGPU.csdata,"",@progbits
; Kernel info:
; codeLenInByte = 0
; TotalNumSgprs: 0
; NumVgprs: 0
; ScratchSize: 0
; MemoryBound: 0
; FloatMode: 240
; IeeeMode: 1
; LDSByteSize: 0 bytes/workgroup (compile time only)
; SGPRBlocks: 0
; VGPRBlocks: 0
; NumSGPRsForWavesPerEU: 1
; NumVGPRsForWavesPerEU: 1
; Occupancy: 16
; WaveLimiterHint : 0
; COMPUTE_PGM_RSRC2:SCRATCH_EN: 0
; COMPUTE_PGM_RSRC2:USER_SGPR: 2
; COMPUTE_PGM_RSRC2:TRAP_HANDLER: 0
; COMPUTE_PGM_RSRC2:TGID_X_EN: 1
; COMPUTE_PGM_RSRC2:TGID_Y_EN: 0
; COMPUTE_PGM_RSRC2:TGID_Z_EN: 0
; COMPUTE_PGM_RSRC2:TIDIG_COMP_CNT: 0
	.section	.text._ZN7rocprim17ROCPRIM_400000_NS6detail17trampoline_kernelINS0_14default_configENS1_22reduce_config_selectorIbEEZNS1_11reduce_implILb1ES3_N6hipcub16HIPCUB_304000_NS22TransformInputIteratorIbN2at6native12_GLOBAL__N_19NonZeroOpIbEEPKblEEPiiNS8_6detail34convert_binary_result_type_wrapperINS8_3SumESH_iEEEE10hipError_tPvRmT1_T2_T3_mT4_P12ihipStream_tbEUlT_E1_NS1_11comp_targetILNS1_3genE5ELNS1_11target_archE942ELNS1_3gpuE9ELNS1_3repE0EEENS1_30default_config_static_selectorELNS0_4arch9wavefront6targetE0EEEvSQ_,"axG",@progbits,_ZN7rocprim17ROCPRIM_400000_NS6detail17trampoline_kernelINS0_14default_configENS1_22reduce_config_selectorIbEEZNS1_11reduce_implILb1ES3_N6hipcub16HIPCUB_304000_NS22TransformInputIteratorIbN2at6native12_GLOBAL__N_19NonZeroOpIbEEPKblEEPiiNS8_6detail34convert_binary_result_type_wrapperINS8_3SumESH_iEEEE10hipError_tPvRmT1_T2_T3_mT4_P12ihipStream_tbEUlT_E1_NS1_11comp_targetILNS1_3genE5ELNS1_11target_archE942ELNS1_3gpuE9ELNS1_3repE0EEENS1_30default_config_static_selectorELNS0_4arch9wavefront6targetE0EEEvSQ_,comdat
	.globl	_ZN7rocprim17ROCPRIM_400000_NS6detail17trampoline_kernelINS0_14default_configENS1_22reduce_config_selectorIbEEZNS1_11reduce_implILb1ES3_N6hipcub16HIPCUB_304000_NS22TransformInputIteratorIbN2at6native12_GLOBAL__N_19NonZeroOpIbEEPKblEEPiiNS8_6detail34convert_binary_result_type_wrapperINS8_3SumESH_iEEEE10hipError_tPvRmT1_T2_T3_mT4_P12ihipStream_tbEUlT_E1_NS1_11comp_targetILNS1_3genE5ELNS1_11target_archE942ELNS1_3gpuE9ELNS1_3repE0EEENS1_30default_config_static_selectorELNS0_4arch9wavefront6targetE0EEEvSQ_ ; -- Begin function _ZN7rocprim17ROCPRIM_400000_NS6detail17trampoline_kernelINS0_14default_configENS1_22reduce_config_selectorIbEEZNS1_11reduce_implILb1ES3_N6hipcub16HIPCUB_304000_NS22TransformInputIteratorIbN2at6native12_GLOBAL__N_19NonZeroOpIbEEPKblEEPiiNS8_6detail34convert_binary_result_type_wrapperINS8_3SumESH_iEEEE10hipError_tPvRmT1_T2_T3_mT4_P12ihipStream_tbEUlT_E1_NS1_11comp_targetILNS1_3genE5ELNS1_11target_archE942ELNS1_3gpuE9ELNS1_3repE0EEENS1_30default_config_static_selectorELNS0_4arch9wavefront6targetE0EEEvSQ_
	.p2align	8
	.type	_ZN7rocprim17ROCPRIM_400000_NS6detail17trampoline_kernelINS0_14default_configENS1_22reduce_config_selectorIbEEZNS1_11reduce_implILb1ES3_N6hipcub16HIPCUB_304000_NS22TransformInputIteratorIbN2at6native12_GLOBAL__N_19NonZeroOpIbEEPKblEEPiiNS8_6detail34convert_binary_result_type_wrapperINS8_3SumESH_iEEEE10hipError_tPvRmT1_T2_T3_mT4_P12ihipStream_tbEUlT_E1_NS1_11comp_targetILNS1_3genE5ELNS1_11target_archE942ELNS1_3gpuE9ELNS1_3repE0EEENS1_30default_config_static_selectorELNS0_4arch9wavefront6targetE0EEEvSQ_,@function
_ZN7rocprim17ROCPRIM_400000_NS6detail17trampoline_kernelINS0_14default_configENS1_22reduce_config_selectorIbEEZNS1_11reduce_implILb1ES3_N6hipcub16HIPCUB_304000_NS22TransformInputIteratorIbN2at6native12_GLOBAL__N_19NonZeroOpIbEEPKblEEPiiNS8_6detail34convert_binary_result_type_wrapperINS8_3SumESH_iEEEE10hipError_tPvRmT1_T2_T3_mT4_P12ihipStream_tbEUlT_E1_NS1_11comp_targetILNS1_3genE5ELNS1_11target_archE942ELNS1_3gpuE9ELNS1_3repE0EEENS1_30default_config_static_selectorELNS0_4arch9wavefront6targetE0EEEvSQ_: ; @_ZN7rocprim17ROCPRIM_400000_NS6detail17trampoline_kernelINS0_14default_configENS1_22reduce_config_selectorIbEEZNS1_11reduce_implILb1ES3_N6hipcub16HIPCUB_304000_NS22TransformInputIteratorIbN2at6native12_GLOBAL__N_19NonZeroOpIbEEPKblEEPiiNS8_6detail34convert_binary_result_type_wrapperINS8_3SumESH_iEEEE10hipError_tPvRmT1_T2_T3_mT4_P12ihipStream_tbEUlT_E1_NS1_11comp_targetILNS1_3genE5ELNS1_11target_archE942ELNS1_3gpuE9ELNS1_3repE0EEENS1_30default_config_static_selectorELNS0_4arch9wavefront6targetE0EEEvSQ_
; %bb.0:
	.section	.rodata,"a",@progbits
	.p2align	6, 0x0
	.amdhsa_kernel _ZN7rocprim17ROCPRIM_400000_NS6detail17trampoline_kernelINS0_14default_configENS1_22reduce_config_selectorIbEEZNS1_11reduce_implILb1ES3_N6hipcub16HIPCUB_304000_NS22TransformInputIteratorIbN2at6native12_GLOBAL__N_19NonZeroOpIbEEPKblEEPiiNS8_6detail34convert_binary_result_type_wrapperINS8_3SumESH_iEEEE10hipError_tPvRmT1_T2_T3_mT4_P12ihipStream_tbEUlT_E1_NS1_11comp_targetILNS1_3genE5ELNS1_11target_archE942ELNS1_3gpuE9ELNS1_3repE0EEENS1_30default_config_static_selectorELNS0_4arch9wavefront6targetE0EEEvSQ_
		.amdhsa_group_segment_fixed_size 0
		.amdhsa_private_segment_fixed_size 0
		.amdhsa_kernarg_size 48
		.amdhsa_user_sgpr_count 2
		.amdhsa_user_sgpr_dispatch_ptr 0
		.amdhsa_user_sgpr_queue_ptr 0
		.amdhsa_user_sgpr_kernarg_segment_ptr 1
		.amdhsa_user_sgpr_dispatch_id 0
		.amdhsa_user_sgpr_private_segment_size 0
		.amdhsa_wavefront_size32 1
		.amdhsa_uses_dynamic_stack 0
		.amdhsa_enable_private_segment 0
		.amdhsa_system_sgpr_workgroup_id_x 1
		.amdhsa_system_sgpr_workgroup_id_y 0
		.amdhsa_system_sgpr_workgroup_id_z 0
		.amdhsa_system_sgpr_workgroup_info 0
		.amdhsa_system_vgpr_workitem_id 0
		.amdhsa_next_free_vgpr 1
		.amdhsa_next_free_sgpr 1
		.amdhsa_reserve_vcc 0
		.amdhsa_float_round_mode_32 0
		.amdhsa_float_round_mode_16_64 0
		.amdhsa_float_denorm_mode_32 3
		.amdhsa_float_denorm_mode_16_64 3
		.amdhsa_fp16_overflow 0
		.amdhsa_workgroup_processor_mode 1
		.amdhsa_memory_ordered 1
		.amdhsa_forward_progress 1
		.amdhsa_inst_pref_size 0
		.amdhsa_round_robin_scheduling 0
		.amdhsa_exception_fp_ieee_invalid_op 0
		.amdhsa_exception_fp_denorm_src 0
		.amdhsa_exception_fp_ieee_div_zero 0
		.amdhsa_exception_fp_ieee_overflow 0
		.amdhsa_exception_fp_ieee_underflow 0
		.amdhsa_exception_fp_ieee_inexact 0
		.amdhsa_exception_int_div_zero 0
	.end_amdhsa_kernel
	.section	.text._ZN7rocprim17ROCPRIM_400000_NS6detail17trampoline_kernelINS0_14default_configENS1_22reduce_config_selectorIbEEZNS1_11reduce_implILb1ES3_N6hipcub16HIPCUB_304000_NS22TransformInputIteratorIbN2at6native12_GLOBAL__N_19NonZeroOpIbEEPKblEEPiiNS8_6detail34convert_binary_result_type_wrapperINS8_3SumESH_iEEEE10hipError_tPvRmT1_T2_T3_mT4_P12ihipStream_tbEUlT_E1_NS1_11comp_targetILNS1_3genE5ELNS1_11target_archE942ELNS1_3gpuE9ELNS1_3repE0EEENS1_30default_config_static_selectorELNS0_4arch9wavefront6targetE0EEEvSQ_,"axG",@progbits,_ZN7rocprim17ROCPRIM_400000_NS6detail17trampoline_kernelINS0_14default_configENS1_22reduce_config_selectorIbEEZNS1_11reduce_implILb1ES3_N6hipcub16HIPCUB_304000_NS22TransformInputIteratorIbN2at6native12_GLOBAL__N_19NonZeroOpIbEEPKblEEPiiNS8_6detail34convert_binary_result_type_wrapperINS8_3SumESH_iEEEE10hipError_tPvRmT1_T2_T3_mT4_P12ihipStream_tbEUlT_E1_NS1_11comp_targetILNS1_3genE5ELNS1_11target_archE942ELNS1_3gpuE9ELNS1_3repE0EEENS1_30default_config_static_selectorELNS0_4arch9wavefront6targetE0EEEvSQ_,comdat
.Lfunc_end722:
	.size	_ZN7rocprim17ROCPRIM_400000_NS6detail17trampoline_kernelINS0_14default_configENS1_22reduce_config_selectorIbEEZNS1_11reduce_implILb1ES3_N6hipcub16HIPCUB_304000_NS22TransformInputIteratorIbN2at6native12_GLOBAL__N_19NonZeroOpIbEEPKblEEPiiNS8_6detail34convert_binary_result_type_wrapperINS8_3SumESH_iEEEE10hipError_tPvRmT1_T2_T3_mT4_P12ihipStream_tbEUlT_E1_NS1_11comp_targetILNS1_3genE5ELNS1_11target_archE942ELNS1_3gpuE9ELNS1_3repE0EEENS1_30default_config_static_selectorELNS0_4arch9wavefront6targetE0EEEvSQ_, .Lfunc_end722-_ZN7rocprim17ROCPRIM_400000_NS6detail17trampoline_kernelINS0_14default_configENS1_22reduce_config_selectorIbEEZNS1_11reduce_implILb1ES3_N6hipcub16HIPCUB_304000_NS22TransformInputIteratorIbN2at6native12_GLOBAL__N_19NonZeroOpIbEEPKblEEPiiNS8_6detail34convert_binary_result_type_wrapperINS8_3SumESH_iEEEE10hipError_tPvRmT1_T2_T3_mT4_P12ihipStream_tbEUlT_E1_NS1_11comp_targetILNS1_3genE5ELNS1_11target_archE942ELNS1_3gpuE9ELNS1_3repE0EEENS1_30default_config_static_selectorELNS0_4arch9wavefront6targetE0EEEvSQ_
                                        ; -- End function
	.set _ZN7rocprim17ROCPRIM_400000_NS6detail17trampoline_kernelINS0_14default_configENS1_22reduce_config_selectorIbEEZNS1_11reduce_implILb1ES3_N6hipcub16HIPCUB_304000_NS22TransformInputIteratorIbN2at6native12_GLOBAL__N_19NonZeroOpIbEEPKblEEPiiNS8_6detail34convert_binary_result_type_wrapperINS8_3SumESH_iEEEE10hipError_tPvRmT1_T2_T3_mT4_P12ihipStream_tbEUlT_E1_NS1_11comp_targetILNS1_3genE5ELNS1_11target_archE942ELNS1_3gpuE9ELNS1_3repE0EEENS1_30default_config_static_selectorELNS0_4arch9wavefront6targetE0EEEvSQ_.num_vgpr, 0
	.set _ZN7rocprim17ROCPRIM_400000_NS6detail17trampoline_kernelINS0_14default_configENS1_22reduce_config_selectorIbEEZNS1_11reduce_implILb1ES3_N6hipcub16HIPCUB_304000_NS22TransformInputIteratorIbN2at6native12_GLOBAL__N_19NonZeroOpIbEEPKblEEPiiNS8_6detail34convert_binary_result_type_wrapperINS8_3SumESH_iEEEE10hipError_tPvRmT1_T2_T3_mT4_P12ihipStream_tbEUlT_E1_NS1_11comp_targetILNS1_3genE5ELNS1_11target_archE942ELNS1_3gpuE9ELNS1_3repE0EEENS1_30default_config_static_selectorELNS0_4arch9wavefront6targetE0EEEvSQ_.num_agpr, 0
	.set _ZN7rocprim17ROCPRIM_400000_NS6detail17trampoline_kernelINS0_14default_configENS1_22reduce_config_selectorIbEEZNS1_11reduce_implILb1ES3_N6hipcub16HIPCUB_304000_NS22TransformInputIteratorIbN2at6native12_GLOBAL__N_19NonZeroOpIbEEPKblEEPiiNS8_6detail34convert_binary_result_type_wrapperINS8_3SumESH_iEEEE10hipError_tPvRmT1_T2_T3_mT4_P12ihipStream_tbEUlT_E1_NS1_11comp_targetILNS1_3genE5ELNS1_11target_archE942ELNS1_3gpuE9ELNS1_3repE0EEENS1_30default_config_static_selectorELNS0_4arch9wavefront6targetE0EEEvSQ_.numbered_sgpr, 0
	.set _ZN7rocprim17ROCPRIM_400000_NS6detail17trampoline_kernelINS0_14default_configENS1_22reduce_config_selectorIbEEZNS1_11reduce_implILb1ES3_N6hipcub16HIPCUB_304000_NS22TransformInputIteratorIbN2at6native12_GLOBAL__N_19NonZeroOpIbEEPKblEEPiiNS8_6detail34convert_binary_result_type_wrapperINS8_3SumESH_iEEEE10hipError_tPvRmT1_T2_T3_mT4_P12ihipStream_tbEUlT_E1_NS1_11comp_targetILNS1_3genE5ELNS1_11target_archE942ELNS1_3gpuE9ELNS1_3repE0EEENS1_30default_config_static_selectorELNS0_4arch9wavefront6targetE0EEEvSQ_.num_named_barrier, 0
	.set _ZN7rocprim17ROCPRIM_400000_NS6detail17trampoline_kernelINS0_14default_configENS1_22reduce_config_selectorIbEEZNS1_11reduce_implILb1ES3_N6hipcub16HIPCUB_304000_NS22TransformInputIteratorIbN2at6native12_GLOBAL__N_19NonZeroOpIbEEPKblEEPiiNS8_6detail34convert_binary_result_type_wrapperINS8_3SumESH_iEEEE10hipError_tPvRmT1_T2_T3_mT4_P12ihipStream_tbEUlT_E1_NS1_11comp_targetILNS1_3genE5ELNS1_11target_archE942ELNS1_3gpuE9ELNS1_3repE0EEENS1_30default_config_static_selectorELNS0_4arch9wavefront6targetE0EEEvSQ_.private_seg_size, 0
	.set _ZN7rocprim17ROCPRIM_400000_NS6detail17trampoline_kernelINS0_14default_configENS1_22reduce_config_selectorIbEEZNS1_11reduce_implILb1ES3_N6hipcub16HIPCUB_304000_NS22TransformInputIteratorIbN2at6native12_GLOBAL__N_19NonZeroOpIbEEPKblEEPiiNS8_6detail34convert_binary_result_type_wrapperINS8_3SumESH_iEEEE10hipError_tPvRmT1_T2_T3_mT4_P12ihipStream_tbEUlT_E1_NS1_11comp_targetILNS1_3genE5ELNS1_11target_archE942ELNS1_3gpuE9ELNS1_3repE0EEENS1_30default_config_static_selectorELNS0_4arch9wavefront6targetE0EEEvSQ_.uses_vcc, 0
	.set _ZN7rocprim17ROCPRIM_400000_NS6detail17trampoline_kernelINS0_14default_configENS1_22reduce_config_selectorIbEEZNS1_11reduce_implILb1ES3_N6hipcub16HIPCUB_304000_NS22TransformInputIteratorIbN2at6native12_GLOBAL__N_19NonZeroOpIbEEPKblEEPiiNS8_6detail34convert_binary_result_type_wrapperINS8_3SumESH_iEEEE10hipError_tPvRmT1_T2_T3_mT4_P12ihipStream_tbEUlT_E1_NS1_11comp_targetILNS1_3genE5ELNS1_11target_archE942ELNS1_3gpuE9ELNS1_3repE0EEENS1_30default_config_static_selectorELNS0_4arch9wavefront6targetE0EEEvSQ_.uses_flat_scratch, 0
	.set _ZN7rocprim17ROCPRIM_400000_NS6detail17trampoline_kernelINS0_14default_configENS1_22reduce_config_selectorIbEEZNS1_11reduce_implILb1ES3_N6hipcub16HIPCUB_304000_NS22TransformInputIteratorIbN2at6native12_GLOBAL__N_19NonZeroOpIbEEPKblEEPiiNS8_6detail34convert_binary_result_type_wrapperINS8_3SumESH_iEEEE10hipError_tPvRmT1_T2_T3_mT4_P12ihipStream_tbEUlT_E1_NS1_11comp_targetILNS1_3genE5ELNS1_11target_archE942ELNS1_3gpuE9ELNS1_3repE0EEENS1_30default_config_static_selectorELNS0_4arch9wavefront6targetE0EEEvSQ_.has_dyn_sized_stack, 0
	.set _ZN7rocprim17ROCPRIM_400000_NS6detail17trampoline_kernelINS0_14default_configENS1_22reduce_config_selectorIbEEZNS1_11reduce_implILb1ES3_N6hipcub16HIPCUB_304000_NS22TransformInputIteratorIbN2at6native12_GLOBAL__N_19NonZeroOpIbEEPKblEEPiiNS8_6detail34convert_binary_result_type_wrapperINS8_3SumESH_iEEEE10hipError_tPvRmT1_T2_T3_mT4_P12ihipStream_tbEUlT_E1_NS1_11comp_targetILNS1_3genE5ELNS1_11target_archE942ELNS1_3gpuE9ELNS1_3repE0EEENS1_30default_config_static_selectorELNS0_4arch9wavefront6targetE0EEEvSQ_.has_recursion, 0
	.set _ZN7rocprim17ROCPRIM_400000_NS6detail17trampoline_kernelINS0_14default_configENS1_22reduce_config_selectorIbEEZNS1_11reduce_implILb1ES3_N6hipcub16HIPCUB_304000_NS22TransformInputIteratorIbN2at6native12_GLOBAL__N_19NonZeroOpIbEEPKblEEPiiNS8_6detail34convert_binary_result_type_wrapperINS8_3SumESH_iEEEE10hipError_tPvRmT1_T2_T3_mT4_P12ihipStream_tbEUlT_E1_NS1_11comp_targetILNS1_3genE5ELNS1_11target_archE942ELNS1_3gpuE9ELNS1_3repE0EEENS1_30default_config_static_selectorELNS0_4arch9wavefront6targetE0EEEvSQ_.has_indirect_call, 0
	.section	.AMDGPU.csdata,"",@progbits
; Kernel info:
; codeLenInByte = 0
; TotalNumSgprs: 0
; NumVgprs: 0
; ScratchSize: 0
; MemoryBound: 0
; FloatMode: 240
; IeeeMode: 1
; LDSByteSize: 0 bytes/workgroup (compile time only)
; SGPRBlocks: 0
; VGPRBlocks: 0
; NumSGPRsForWavesPerEU: 1
; NumVGPRsForWavesPerEU: 1
; Occupancy: 16
; WaveLimiterHint : 0
; COMPUTE_PGM_RSRC2:SCRATCH_EN: 0
; COMPUTE_PGM_RSRC2:USER_SGPR: 2
; COMPUTE_PGM_RSRC2:TRAP_HANDLER: 0
; COMPUTE_PGM_RSRC2:TGID_X_EN: 1
; COMPUTE_PGM_RSRC2:TGID_Y_EN: 0
; COMPUTE_PGM_RSRC2:TGID_Z_EN: 0
; COMPUTE_PGM_RSRC2:TIDIG_COMP_CNT: 0
	.section	.text._ZN7rocprim17ROCPRIM_400000_NS6detail17trampoline_kernelINS0_14default_configENS1_22reduce_config_selectorIbEEZNS1_11reduce_implILb1ES3_N6hipcub16HIPCUB_304000_NS22TransformInputIteratorIbN2at6native12_GLOBAL__N_19NonZeroOpIbEEPKblEEPiiNS8_6detail34convert_binary_result_type_wrapperINS8_3SumESH_iEEEE10hipError_tPvRmT1_T2_T3_mT4_P12ihipStream_tbEUlT_E1_NS1_11comp_targetILNS1_3genE4ELNS1_11target_archE910ELNS1_3gpuE8ELNS1_3repE0EEENS1_30default_config_static_selectorELNS0_4arch9wavefront6targetE0EEEvSQ_,"axG",@progbits,_ZN7rocprim17ROCPRIM_400000_NS6detail17trampoline_kernelINS0_14default_configENS1_22reduce_config_selectorIbEEZNS1_11reduce_implILb1ES3_N6hipcub16HIPCUB_304000_NS22TransformInputIteratorIbN2at6native12_GLOBAL__N_19NonZeroOpIbEEPKblEEPiiNS8_6detail34convert_binary_result_type_wrapperINS8_3SumESH_iEEEE10hipError_tPvRmT1_T2_T3_mT4_P12ihipStream_tbEUlT_E1_NS1_11comp_targetILNS1_3genE4ELNS1_11target_archE910ELNS1_3gpuE8ELNS1_3repE0EEENS1_30default_config_static_selectorELNS0_4arch9wavefront6targetE0EEEvSQ_,comdat
	.globl	_ZN7rocprim17ROCPRIM_400000_NS6detail17trampoline_kernelINS0_14default_configENS1_22reduce_config_selectorIbEEZNS1_11reduce_implILb1ES3_N6hipcub16HIPCUB_304000_NS22TransformInputIteratorIbN2at6native12_GLOBAL__N_19NonZeroOpIbEEPKblEEPiiNS8_6detail34convert_binary_result_type_wrapperINS8_3SumESH_iEEEE10hipError_tPvRmT1_T2_T3_mT4_P12ihipStream_tbEUlT_E1_NS1_11comp_targetILNS1_3genE4ELNS1_11target_archE910ELNS1_3gpuE8ELNS1_3repE0EEENS1_30default_config_static_selectorELNS0_4arch9wavefront6targetE0EEEvSQ_ ; -- Begin function _ZN7rocprim17ROCPRIM_400000_NS6detail17trampoline_kernelINS0_14default_configENS1_22reduce_config_selectorIbEEZNS1_11reduce_implILb1ES3_N6hipcub16HIPCUB_304000_NS22TransformInputIteratorIbN2at6native12_GLOBAL__N_19NonZeroOpIbEEPKblEEPiiNS8_6detail34convert_binary_result_type_wrapperINS8_3SumESH_iEEEE10hipError_tPvRmT1_T2_T3_mT4_P12ihipStream_tbEUlT_E1_NS1_11comp_targetILNS1_3genE4ELNS1_11target_archE910ELNS1_3gpuE8ELNS1_3repE0EEENS1_30default_config_static_selectorELNS0_4arch9wavefront6targetE0EEEvSQ_
	.p2align	8
	.type	_ZN7rocprim17ROCPRIM_400000_NS6detail17trampoline_kernelINS0_14default_configENS1_22reduce_config_selectorIbEEZNS1_11reduce_implILb1ES3_N6hipcub16HIPCUB_304000_NS22TransformInputIteratorIbN2at6native12_GLOBAL__N_19NonZeroOpIbEEPKblEEPiiNS8_6detail34convert_binary_result_type_wrapperINS8_3SumESH_iEEEE10hipError_tPvRmT1_T2_T3_mT4_P12ihipStream_tbEUlT_E1_NS1_11comp_targetILNS1_3genE4ELNS1_11target_archE910ELNS1_3gpuE8ELNS1_3repE0EEENS1_30default_config_static_selectorELNS0_4arch9wavefront6targetE0EEEvSQ_,@function
_ZN7rocprim17ROCPRIM_400000_NS6detail17trampoline_kernelINS0_14default_configENS1_22reduce_config_selectorIbEEZNS1_11reduce_implILb1ES3_N6hipcub16HIPCUB_304000_NS22TransformInputIteratorIbN2at6native12_GLOBAL__N_19NonZeroOpIbEEPKblEEPiiNS8_6detail34convert_binary_result_type_wrapperINS8_3SumESH_iEEEE10hipError_tPvRmT1_T2_T3_mT4_P12ihipStream_tbEUlT_E1_NS1_11comp_targetILNS1_3genE4ELNS1_11target_archE910ELNS1_3gpuE8ELNS1_3repE0EEENS1_30default_config_static_selectorELNS0_4arch9wavefront6targetE0EEEvSQ_: ; @_ZN7rocprim17ROCPRIM_400000_NS6detail17trampoline_kernelINS0_14default_configENS1_22reduce_config_selectorIbEEZNS1_11reduce_implILb1ES3_N6hipcub16HIPCUB_304000_NS22TransformInputIteratorIbN2at6native12_GLOBAL__N_19NonZeroOpIbEEPKblEEPiiNS8_6detail34convert_binary_result_type_wrapperINS8_3SumESH_iEEEE10hipError_tPvRmT1_T2_T3_mT4_P12ihipStream_tbEUlT_E1_NS1_11comp_targetILNS1_3genE4ELNS1_11target_archE910ELNS1_3gpuE8ELNS1_3repE0EEENS1_30default_config_static_selectorELNS0_4arch9wavefront6targetE0EEEvSQ_
; %bb.0:
	.section	.rodata,"a",@progbits
	.p2align	6, 0x0
	.amdhsa_kernel _ZN7rocprim17ROCPRIM_400000_NS6detail17trampoline_kernelINS0_14default_configENS1_22reduce_config_selectorIbEEZNS1_11reduce_implILb1ES3_N6hipcub16HIPCUB_304000_NS22TransformInputIteratorIbN2at6native12_GLOBAL__N_19NonZeroOpIbEEPKblEEPiiNS8_6detail34convert_binary_result_type_wrapperINS8_3SumESH_iEEEE10hipError_tPvRmT1_T2_T3_mT4_P12ihipStream_tbEUlT_E1_NS1_11comp_targetILNS1_3genE4ELNS1_11target_archE910ELNS1_3gpuE8ELNS1_3repE0EEENS1_30default_config_static_selectorELNS0_4arch9wavefront6targetE0EEEvSQ_
		.amdhsa_group_segment_fixed_size 0
		.amdhsa_private_segment_fixed_size 0
		.amdhsa_kernarg_size 48
		.amdhsa_user_sgpr_count 2
		.amdhsa_user_sgpr_dispatch_ptr 0
		.amdhsa_user_sgpr_queue_ptr 0
		.amdhsa_user_sgpr_kernarg_segment_ptr 1
		.amdhsa_user_sgpr_dispatch_id 0
		.amdhsa_user_sgpr_private_segment_size 0
		.amdhsa_wavefront_size32 1
		.amdhsa_uses_dynamic_stack 0
		.amdhsa_enable_private_segment 0
		.amdhsa_system_sgpr_workgroup_id_x 1
		.amdhsa_system_sgpr_workgroup_id_y 0
		.amdhsa_system_sgpr_workgroup_id_z 0
		.amdhsa_system_sgpr_workgroup_info 0
		.amdhsa_system_vgpr_workitem_id 0
		.amdhsa_next_free_vgpr 1
		.amdhsa_next_free_sgpr 1
		.amdhsa_reserve_vcc 0
		.amdhsa_float_round_mode_32 0
		.amdhsa_float_round_mode_16_64 0
		.amdhsa_float_denorm_mode_32 3
		.amdhsa_float_denorm_mode_16_64 3
		.amdhsa_fp16_overflow 0
		.amdhsa_workgroup_processor_mode 1
		.amdhsa_memory_ordered 1
		.amdhsa_forward_progress 1
		.amdhsa_inst_pref_size 0
		.amdhsa_round_robin_scheduling 0
		.amdhsa_exception_fp_ieee_invalid_op 0
		.amdhsa_exception_fp_denorm_src 0
		.amdhsa_exception_fp_ieee_div_zero 0
		.amdhsa_exception_fp_ieee_overflow 0
		.amdhsa_exception_fp_ieee_underflow 0
		.amdhsa_exception_fp_ieee_inexact 0
		.amdhsa_exception_int_div_zero 0
	.end_amdhsa_kernel
	.section	.text._ZN7rocprim17ROCPRIM_400000_NS6detail17trampoline_kernelINS0_14default_configENS1_22reduce_config_selectorIbEEZNS1_11reduce_implILb1ES3_N6hipcub16HIPCUB_304000_NS22TransformInputIteratorIbN2at6native12_GLOBAL__N_19NonZeroOpIbEEPKblEEPiiNS8_6detail34convert_binary_result_type_wrapperINS8_3SumESH_iEEEE10hipError_tPvRmT1_T2_T3_mT4_P12ihipStream_tbEUlT_E1_NS1_11comp_targetILNS1_3genE4ELNS1_11target_archE910ELNS1_3gpuE8ELNS1_3repE0EEENS1_30default_config_static_selectorELNS0_4arch9wavefront6targetE0EEEvSQ_,"axG",@progbits,_ZN7rocprim17ROCPRIM_400000_NS6detail17trampoline_kernelINS0_14default_configENS1_22reduce_config_selectorIbEEZNS1_11reduce_implILb1ES3_N6hipcub16HIPCUB_304000_NS22TransformInputIteratorIbN2at6native12_GLOBAL__N_19NonZeroOpIbEEPKblEEPiiNS8_6detail34convert_binary_result_type_wrapperINS8_3SumESH_iEEEE10hipError_tPvRmT1_T2_T3_mT4_P12ihipStream_tbEUlT_E1_NS1_11comp_targetILNS1_3genE4ELNS1_11target_archE910ELNS1_3gpuE8ELNS1_3repE0EEENS1_30default_config_static_selectorELNS0_4arch9wavefront6targetE0EEEvSQ_,comdat
.Lfunc_end723:
	.size	_ZN7rocprim17ROCPRIM_400000_NS6detail17trampoline_kernelINS0_14default_configENS1_22reduce_config_selectorIbEEZNS1_11reduce_implILb1ES3_N6hipcub16HIPCUB_304000_NS22TransformInputIteratorIbN2at6native12_GLOBAL__N_19NonZeroOpIbEEPKblEEPiiNS8_6detail34convert_binary_result_type_wrapperINS8_3SumESH_iEEEE10hipError_tPvRmT1_T2_T3_mT4_P12ihipStream_tbEUlT_E1_NS1_11comp_targetILNS1_3genE4ELNS1_11target_archE910ELNS1_3gpuE8ELNS1_3repE0EEENS1_30default_config_static_selectorELNS0_4arch9wavefront6targetE0EEEvSQ_, .Lfunc_end723-_ZN7rocprim17ROCPRIM_400000_NS6detail17trampoline_kernelINS0_14default_configENS1_22reduce_config_selectorIbEEZNS1_11reduce_implILb1ES3_N6hipcub16HIPCUB_304000_NS22TransformInputIteratorIbN2at6native12_GLOBAL__N_19NonZeroOpIbEEPKblEEPiiNS8_6detail34convert_binary_result_type_wrapperINS8_3SumESH_iEEEE10hipError_tPvRmT1_T2_T3_mT4_P12ihipStream_tbEUlT_E1_NS1_11comp_targetILNS1_3genE4ELNS1_11target_archE910ELNS1_3gpuE8ELNS1_3repE0EEENS1_30default_config_static_selectorELNS0_4arch9wavefront6targetE0EEEvSQ_
                                        ; -- End function
	.set _ZN7rocprim17ROCPRIM_400000_NS6detail17trampoline_kernelINS0_14default_configENS1_22reduce_config_selectorIbEEZNS1_11reduce_implILb1ES3_N6hipcub16HIPCUB_304000_NS22TransformInputIteratorIbN2at6native12_GLOBAL__N_19NonZeroOpIbEEPKblEEPiiNS8_6detail34convert_binary_result_type_wrapperINS8_3SumESH_iEEEE10hipError_tPvRmT1_T2_T3_mT4_P12ihipStream_tbEUlT_E1_NS1_11comp_targetILNS1_3genE4ELNS1_11target_archE910ELNS1_3gpuE8ELNS1_3repE0EEENS1_30default_config_static_selectorELNS0_4arch9wavefront6targetE0EEEvSQ_.num_vgpr, 0
	.set _ZN7rocprim17ROCPRIM_400000_NS6detail17trampoline_kernelINS0_14default_configENS1_22reduce_config_selectorIbEEZNS1_11reduce_implILb1ES3_N6hipcub16HIPCUB_304000_NS22TransformInputIteratorIbN2at6native12_GLOBAL__N_19NonZeroOpIbEEPKblEEPiiNS8_6detail34convert_binary_result_type_wrapperINS8_3SumESH_iEEEE10hipError_tPvRmT1_T2_T3_mT4_P12ihipStream_tbEUlT_E1_NS1_11comp_targetILNS1_3genE4ELNS1_11target_archE910ELNS1_3gpuE8ELNS1_3repE0EEENS1_30default_config_static_selectorELNS0_4arch9wavefront6targetE0EEEvSQ_.num_agpr, 0
	.set _ZN7rocprim17ROCPRIM_400000_NS6detail17trampoline_kernelINS0_14default_configENS1_22reduce_config_selectorIbEEZNS1_11reduce_implILb1ES3_N6hipcub16HIPCUB_304000_NS22TransformInputIteratorIbN2at6native12_GLOBAL__N_19NonZeroOpIbEEPKblEEPiiNS8_6detail34convert_binary_result_type_wrapperINS8_3SumESH_iEEEE10hipError_tPvRmT1_T2_T3_mT4_P12ihipStream_tbEUlT_E1_NS1_11comp_targetILNS1_3genE4ELNS1_11target_archE910ELNS1_3gpuE8ELNS1_3repE0EEENS1_30default_config_static_selectorELNS0_4arch9wavefront6targetE0EEEvSQ_.numbered_sgpr, 0
	.set _ZN7rocprim17ROCPRIM_400000_NS6detail17trampoline_kernelINS0_14default_configENS1_22reduce_config_selectorIbEEZNS1_11reduce_implILb1ES3_N6hipcub16HIPCUB_304000_NS22TransformInputIteratorIbN2at6native12_GLOBAL__N_19NonZeroOpIbEEPKblEEPiiNS8_6detail34convert_binary_result_type_wrapperINS8_3SumESH_iEEEE10hipError_tPvRmT1_T2_T3_mT4_P12ihipStream_tbEUlT_E1_NS1_11comp_targetILNS1_3genE4ELNS1_11target_archE910ELNS1_3gpuE8ELNS1_3repE0EEENS1_30default_config_static_selectorELNS0_4arch9wavefront6targetE0EEEvSQ_.num_named_barrier, 0
	.set _ZN7rocprim17ROCPRIM_400000_NS6detail17trampoline_kernelINS0_14default_configENS1_22reduce_config_selectorIbEEZNS1_11reduce_implILb1ES3_N6hipcub16HIPCUB_304000_NS22TransformInputIteratorIbN2at6native12_GLOBAL__N_19NonZeroOpIbEEPKblEEPiiNS8_6detail34convert_binary_result_type_wrapperINS8_3SumESH_iEEEE10hipError_tPvRmT1_T2_T3_mT4_P12ihipStream_tbEUlT_E1_NS1_11comp_targetILNS1_3genE4ELNS1_11target_archE910ELNS1_3gpuE8ELNS1_3repE0EEENS1_30default_config_static_selectorELNS0_4arch9wavefront6targetE0EEEvSQ_.private_seg_size, 0
	.set _ZN7rocprim17ROCPRIM_400000_NS6detail17trampoline_kernelINS0_14default_configENS1_22reduce_config_selectorIbEEZNS1_11reduce_implILb1ES3_N6hipcub16HIPCUB_304000_NS22TransformInputIteratorIbN2at6native12_GLOBAL__N_19NonZeroOpIbEEPKblEEPiiNS8_6detail34convert_binary_result_type_wrapperINS8_3SumESH_iEEEE10hipError_tPvRmT1_T2_T3_mT4_P12ihipStream_tbEUlT_E1_NS1_11comp_targetILNS1_3genE4ELNS1_11target_archE910ELNS1_3gpuE8ELNS1_3repE0EEENS1_30default_config_static_selectorELNS0_4arch9wavefront6targetE0EEEvSQ_.uses_vcc, 0
	.set _ZN7rocprim17ROCPRIM_400000_NS6detail17trampoline_kernelINS0_14default_configENS1_22reduce_config_selectorIbEEZNS1_11reduce_implILb1ES3_N6hipcub16HIPCUB_304000_NS22TransformInputIteratorIbN2at6native12_GLOBAL__N_19NonZeroOpIbEEPKblEEPiiNS8_6detail34convert_binary_result_type_wrapperINS8_3SumESH_iEEEE10hipError_tPvRmT1_T2_T3_mT4_P12ihipStream_tbEUlT_E1_NS1_11comp_targetILNS1_3genE4ELNS1_11target_archE910ELNS1_3gpuE8ELNS1_3repE0EEENS1_30default_config_static_selectorELNS0_4arch9wavefront6targetE0EEEvSQ_.uses_flat_scratch, 0
	.set _ZN7rocprim17ROCPRIM_400000_NS6detail17trampoline_kernelINS0_14default_configENS1_22reduce_config_selectorIbEEZNS1_11reduce_implILb1ES3_N6hipcub16HIPCUB_304000_NS22TransformInputIteratorIbN2at6native12_GLOBAL__N_19NonZeroOpIbEEPKblEEPiiNS8_6detail34convert_binary_result_type_wrapperINS8_3SumESH_iEEEE10hipError_tPvRmT1_T2_T3_mT4_P12ihipStream_tbEUlT_E1_NS1_11comp_targetILNS1_3genE4ELNS1_11target_archE910ELNS1_3gpuE8ELNS1_3repE0EEENS1_30default_config_static_selectorELNS0_4arch9wavefront6targetE0EEEvSQ_.has_dyn_sized_stack, 0
	.set _ZN7rocprim17ROCPRIM_400000_NS6detail17trampoline_kernelINS0_14default_configENS1_22reduce_config_selectorIbEEZNS1_11reduce_implILb1ES3_N6hipcub16HIPCUB_304000_NS22TransformInputIteratorIbN2at6native12_GLOBAL__N_19NonZeroOpIbEEPKblEEPiiNS8_6detail34convert_binary_result_type_wrapperINS8_3SumESH_iEEEE10hipError_tPvRmT1_T2_T3_mT4_P12ihipStream_tbEUlT_E1_NS1_11comp_targetILNS1_3genE4ELNS1_11target_archE910ELNS1_3gpuE8ELNS1_3repE0EEENS1_30default_config_static_selectorELNS0_4arch9wavefront6targetE0EEEvSQ_.has_recursion, 0
	.set _ZN7rocprim17ROCPRIM_400000_NS6detail17trampoline_kernelINS0_14default_configENS1_22reduce_config_selectorIbEEZNS1_11reduce_implILb1ES3_N6hipcub16HIPCUB_304000_NS22TransformInputIteratorIbN2at6native12_GLOBAL__N_19NonZeroOpIbEEPKblEEPiiNS8_6detail34convert_binary_result_type_wrapperINS8_3SumESH_iEEEE10hipError_tPvRmT1_T2_T3_mT4_P12ihipStream_tbEUlT_E1_NS1_11comp_targetILNS1_3genE4ELNS1_11target_archE910ELNS1_3gpuE8ELNS1_3repE0EEENS1_30default_config_static_selectorELNS0_4arch9wavefront6targetE0EEEvSQ_.has_indirect_call, 0
	.section	.AMDGPU.csdata,"",@progbits
; Kernel info:
; codeLenInByte = 0
; TotalNumSgprs: 0
; NumVgprs: 0
; ScratchSize: 0
; MemoryBound: 0
; FloatMode: 240
; IeeeMode: 1
; LDSByteSize: 0 bytes/workgroup (compile time only)
; SGPRBlocks: 0
; VGPRBlocks: 0
; NumSGPRsForWavesPerEU: 1
; NumVGPRsForWavesPerEU: 1
; Occupancy: 16
; WaveLimiterHint : 0
; COMPUTE_PGM_RSRC2:SCRATCH_EN: 0
; COMPUTE_PGM_RSRC2:USER_SGPR: 2
; COMPUTE_PGM_RSRC2:TRAP_HANDLER: 0
; COMPUTE_PGM_RSRC2:TGID_X_EN: 1
; COMPUTE_PGM_RSRC2:TGID_Y_EN: 0
; COMPUTE_PGM_RSRC2:TGID_Z_EN: 0
; COMPUTE_PGM_RSRC2:TIDIG_COMP_CNT: 0
	.section	.text._ZN7rocprim17ROCPRIM_400000_NS6detail17trampoline_kernelINS0_14default_configENS1_22reduce_config_selectorIbEEZNS1_11reduce_implILb1ES3_N6hipcub16HIPCUB_304000_NS22TransformInputIteratorIbN2at6native12_GLOBAL__N_19NonZeroOpIbEEPKblEEPiiNS8_6detail34convert_binary_result_type_wrapperINS8_3SumESH_iEEEE10hipError_tPvRmT1_T2_T3_mT4_P12ihipStream_tbEUlT_E1_NS1_11comp_targetILNS1_3genE3ELNS1_11target_archE908ELNS1_3gpuE7ELNS1_3repE0EEENS1_30default_config_static_selectorELNS0_4arch9wavefront6targetE0EEEvSQ_,"axG",@progbits,_ZN7rocprim17ROCPRIM_400000_NS6detail17trampoline_kernelINS0_14default_configENS1_22reduce_config_selectorIbEEZNS1_11reduce_implILb1ES3_N6hipcub16HIPCUB_304000_NS22TransformInputIteratorIbN2at6native12_GLOBAL__N_19NonZeroOpIbEEPKblEEPiiNS8_6detail34convert_binary_result_type_wrapperINS8_3SumESH_iEEEE10hipError_tPvRmT1_T2_T3_mT4_P12ihipStream_tbEUlT_E1_NS1_11comp_targetILNS1_3genE3ELNS1_11target_archE908ELNS1_3gpuE7ELNS1_3repE0EEENS1_30default_config_static_selectorELNS0_4arch9wavefront6targetE0EEEvSQ_,comdat
	.globl	_ZN7rocprim17ROCPRIM_400000_NS6detail17trampoline_kernelINS0_14default_configENS1_22reduce_config_selectorIbEEZNS1_11reduce_implILb1ES3_N6hipcub16HIPCUB_304000_NS22TransformInputIteratorIbN2at6native12_GLOBAL__N_19NonZeroOpIbEEPKblEEPiiNS8_6detail34convert_binary_result_type_wrapperINS8_3SumESH_iEEEE10hipError_tPvRmT1_T2_T3_mT4_P12ihipStream_tbEUlT_E1_NS1_11comp_targetILNS1_3genE3ELNS1_11target_archE908ELNS1_3gpuE7ELNS1_3repE0EEENS1_30default_config_static_selectorELNS0_4arch9wavefront6targetE0EEEvSQ_ ; -- Begin function _ZN7rocprim17ROCPRIM_400000_NS6detail17trampoline_kernelINS0_14default_configENS1_22reduce_config_selectorIbEEZNS1_11reduce_implILb1ES3_N6hipcub16HIPCUB_304000_NS22TransformInputIteratorIbN2at6native12_GLOBAL__N_19NonZeroOpIbEEPKblEEPiiNS8_6detail34convert_binary_result_type_wrapperINS8_3SumESH_iEEEE10hipError_tPvRmT1_T2_T3_mT4_P12ihipStream_tbEUlT_E1_NS1_11comp_targetILNS1_3genE3ELNS1_11target_archE908ELNS1_3gpuE7ELNS1_3repE0EEENS1_30default_config_static_selectorELNS0_4arch9wavefront6targetE0EEEvSQ_
	.p2align	8
	.type	_ZN7rocprim17ROCPRIM_400000_NS6detail17trampoline_kernelINS0_14default_configENS1_22reduce_config_selectorIbEEZNS1_11reduce_implILb1ES3_N6hipcub16HIPCUB_304000_NS22TransformInputIteratorIbN2at6native12_GLOBAL__N_19NonZeroOpIbEEPKblEEPiiNS8_6detail34convert_binary_result_type_wrapperINS8_3SumESH_iEEEE10hipError_tPvRmT1_T2_T3_mT4_P12ihipStream_tbEUlT_E1_NS1_11comp_targetILNS1_3genE3ELNS1_11target_archE908ELNS1_3gpuE7ELNS1_3repE0EEENS1_30default_config_static_selectorELNS0_4arch9wavefront6targetE0EEEvSQ_,@function
_ZN7rocprim17ROCPRIM_400000_NS6detail17trampoline_kernelINS0_14default_configENS1_22reduce_config_selectorIbEEZNS1_11reduce_implILb1ES3_N6hipcub16HIPCUB_304000_NS22TransformInputIteratorIbN2at6native12_GLOBAL__N_19NonZeroOpIbEEPKblEEPiiNS8_6detail34convert_binary_result_type_wrapperINS8_3SumESH_iEEEE10hipError_tPvRmT1_T2_T3_mT4_P12ihipStream_tbEUlT_E1_NS1_11comp_targetILNS1_3genE3ELNS1_11target_archE908ELNS1_3gpuE7ELNS1_3repE0EEENS1_30default_config_static_selectorELNS0_4arch9wavefront6targetE0EEEvSQ_: ; @_ZN7rocprim17ROCPRIM_400000_NS6detail17trampoline_kernelINS0_14default_configENS1_22reduce_config_selectorIbEEZNS1_11reduce_implILb1ES3_N6hipcub16HIPCUB_304000_NS22TransformInputIteratorIbN2at6native12_GLOBAL__N_19NonZeroOpIbEEPKblEEPiiNS8_6detail34convert_binary_result_type_wrapperINS8_3SumESH_iEEEE10hipError_tPvRmT1_T2_T3_mT4_P12ihipStream_tbEUlT_E1_NS1_11comp_targetILNS1_3genE3ELNS1_11target_archE908ELNS1_3gpuE7ELNS1_3repE0EEENS1_30default_config_static_selectorELNS0_4arch9wavefront6targetE0EEEvSQ_
; %bb.0:
	.section	.rodata,"a",@progbits
	.p2align	6, 0x0
	.amdhsa_kernel _ZN7rocprim17ROCPRIM_400000_NS6detail17trampoline_kernelINS0_14default_configENS1_22reduce_config_selectorIbEEZNS1_11reduce_implILb1ES3_N6hipcub16HIPCUB_304000_NS22TransformInputIteratorIbN2at6native12_GLOBAL__N_19NonZeroOpIbEEPKblEEPiiNS8_6detail34convert_binary_result_type_wrapperINS8_3SumESH_iEEEE10hipError_tPvRmT1_T2_T3_mT4_P12ihipStream_tbEUlT_E1_NS1_11comp_targetILNS1_3genE3ELNS1_11target_archE908ELNS1_3gpuE7ELNS1_3repE0EEENS1_30default_config_static_selectorELNS0_4arch9wavefront6targetE0EEEvSQ_
		.amdhsa_group_segment_fixed_size 0
		.amdhsa_private_segment_fixed_size 0
		.amdhsa_kernarg_size 48
		.amdhsa_user_sgpr_count 2
		.amdhsa_user_sgpr_dispatch_ptr 0
		.amdhsa_user_sgpr_queue_ptr 0
		.amdhsa_user_sgpr_kernarg_segment_ptr 1
		.amdhsa_user_sgpr_dispatch_id 0
		.amdhsa_user_sgpr_private_segment_size 0
		.amdhsa_wavefront_size32 1
		.amdhsa_uses_dynamic_stack 0
		.amdhsa_enable_private_segment 0
		.amdhsa_system_sgpr_workgroup_id_x 1
		.amdhsa_system_sgpr_workgroup_id_y 0
		.amdhsa_system_sgpr_workgroup_id_z 0
		.amdhsa_system_sgpr_workgroup_info 0
		.amdhsa_system_vgpr_workitem_id 0
		.amdhsa_next_free_vgpr 1
		.amdhsa_next_free_sgpr 1
		.amdhsa_reserve_vcc 0
		.amdhsa_float_round_mode_32 0
		.amdhsa_float_round_mode_16_64 0
		.amdhsa_float_denorm_mode_32 3
		.amdhsa_float_denorm_mode_16_64 3
		.amdhsa_fp16_overflow 0
		.amdhsa_workgroup_processor_mode 1
		.amdhsa_memory_ordered 1
		.amdhsa_forward_progress 1
		.amdhsa_inst_pref_size 0
		.amdhsa_round_robin_scheduling 0
		.amdhsa_exception_fp_ieee_invalid_op 0
		.amdhsa_exception_fp_denorm_src 0
		.amdhsa_exception_fp_ieee_div_zero 0
		.amdhsa_exception_fp_ieee_overflow 0
		.amdhsa_exception_fp_ieee_underflow 0
		.amdhsa_exception_fp_ieee_inexact 0
		.amdhsa_exception_int_div_zero 0
	.end_amdhsa_kernel
	.section	.text._ZN7rocprim17ROCPRIM_400000_NS6detail17trampoline_kernelINS0_14default_configENS1_22reduce_config_selectorIbEEZNS1_11reduce_implILb1ES3_N6hipcub16HIPCUB_304000_NS22TransformInputIteratorIbN2at6native12_GLOBAL__N_19NonZeroOpIbEEPKblEEPiiNS8_6detail34convert_binary_result_type_wrapperINS8_3SumESH_iEEEE10hipError_tPvRmT1_T2_T3_mT4_P12ihipStream_tbEUlT_E1_NS1_11comp_targetILNS1_3genE3ELNS1_11target_archE908ELNS1_3gpuE7ELNS1_3repE0EEENS1_30default_config_static_selectorELNS0_4arch9wavefront6targetE0EEEvSQ_,"axG",@progbits,_ZN7rocprim17ROCPRIM_400000_NS6detail17trampoline_kernelINS0_14default_configENS1_22reduce_config_selectorIbEEZNS1_11reduce_implILb1ES3_N6hipcub16HIPCUB_304000_NS22TransformInputIteratorIbN2at6native12_GLOBAL__N_19NonZeroOpIbEEPKblEEPiiNS8_6detail34convert_binary_result_type_wrapperINS8_3SumESH_iEEEE10hipError_tPvRmT1_T2_T3_mT4_P12ihipStream_tbEUlT_E1_NS1_11comp_targetILNS1_3genE3ELNS1_11target_archE908ELNS1_3gpuE7ELNS1_3repE0EEENS1_30default_config_static_selectorELNS0_4arch9wavefront6targetE0EEEvSQ_,comdat
.Lfunc_end724:
	.size	_ZN7rocprim17ROCPRIM_400000_NS6detail17trampoline_kernelINS0_14default_configENS1_22reduce_config_selectorIbEEZNS1_11reduce_implILb1ES3_N6hipcub16HIPCUB_304000_NS22TransformInputIteratorIbN2at6native12_GLOBAL__N_19NonZeroOpIbEEPKblEEPiiNS8_6detail34convert_binary_result_type_wrapperINS8_3SumESH_iEEEE10hipError_tPvRmT1_T2_T3_mT4_P12ihipStream_tbEUlT_E1_NS1_11comp_targetILNS1_3genE3ELNS1_11target_archE908ELNS1_3gpuE7ELNS1_3repE0EEENS1_30default_config_static_selectorELNS0_4arch9wavefront6targetE0EEEvSQ_, .Lfunc_end724-_ZN7rocprim17ROCPRIM_400000_NS6detail17trampoline_kernelINS0_14default_configENS1_22reduce_config_selectorIbEEZNS1_11reduce_implILb1ES3_N6hipcub16HIPCUB_304000_NS22TransformInputIteratorIbN2at6native12_GLOBAL__N_19NonZeroOpIbEEPKblEEPiiNS8_6detail34convert_binary_result_type_wrapperINS8_3SumESH_iEEEE10hipError_tPvRmT1_T2_T3_mT4_P12ihipStream_tbEUlT_E1_NS1_11comp_targetILNS1_3genE3ELNS1_11target_archE908ELNS1_3gpuE7ELNS1_3repE0EEENS1_30default_config_static_selectorELNS0_4arch9wavefront6targetE0EEEvSQ_
                                        ; -- End function
	.set _ZN7rocprim17ROCPRIM_400000_NS6detail17trampoline_kernelINS0_14default_configENS1_22reduce_config_selectorIbEEZNS1_11reduce_implILb1ES3_N6hipcub16HIPCUB_304000_NS22TransformInputIteratorIbN2at6native12_GLOBAL__N_19NonZeroOpIbEEPKblEEPiiNS8_6detail34convert_binary_result_type_wrapperINS8_3SumESH_iEEEE10hipError_tPvRmT1_T2_T3_mT4_P12ihipStream_tbEUlT_E1_NS1_11comp_targetILNS1_3genE3ELNS1_11target_archE908ELNS1_3gpuE7ELNS1_3repE0EEENS1_30default_config_static_selectorELNS0_4arch9wavefront6targetE0EEEvSQ_.num_vgpr, 0
	.set _ZN7rocprim17ROCPRIM_400000_NS6detail17trampoline_kernelINS0_14default_configENS1_22reduce_config_selectorIbEEZNS1_11reduce_implILb1ES3_N6hipcub16HIPCUB_304000_NS22TransformInputIteratorIbN2at6native12_GLOBAL__N_19NonZeroOpIbEEPKblEEPiiNS8_6detail34convert_binary_result_type_wrapperINS8_3SumESH_iEEEE10hipError_tPvRmT1_T2_T3_mT4_P12ihipStream_tbEUlT_E1_NS1_11comp_targetILNS1_3genE3ELNS1_11target_archE908ELNS1_3gpuE7ELNS1_3repE0EEENS1_30default_config_static_selectorELNS0_4arch9wavefront6targetE0EEEvSQ_.num_agpr, 0
	.set _ZN7rocprim17ROCPRIM_400000_NS6detail17trampoline_kernelINS0_14default_configENS1_22reduce_config_selectorIbEEZNS1_11reduce_implILb1ES3_N6hipcub16HIPCUB_304000_NS22TransformInputIteratorIbN2at6native12_GLOBAL__N_19NonZeroOpIbEEPKblEEPiiNS8_6detail34convert_binary_result_type_wrapperINS8_3SumESH_iEEEE10hipError_tPvRmT1_T2_T3_mT4_P12ihipStream_tbEUlT_E1_NS1_11comp_targetILNS1_3genE3ELNS1_11target_archE908ELNS1_3gpuE7ELNS1_3repE0EEENS1_30default_config_static_selectorELNS0_4arch9wavefront6targetE0EEEvSQ_.numbered_sgpr, 0
	.set _ZN7rocprim17ROCPRIM_400000_NS6detail17trampoline_kernelINS0_14default_configENS1_22reduce_config_selectorIbEEZNS1_11reduce_implILb1ES3_N6hipcub16HIPCUB_304000_NS22TransformInputIteratorIbN2at6native12_GLOBAL__N_19NonZeroOpIbEEPKblEEPiiNS8_6detail34convert_binary_result_type_wrapperINS8_3SumESH_iEEEE10hipError_tPvRmT1_T2_T3_mT4_P12ihipStream_tbEUlT_E1_NS1_11comp_targetILNS1_3genE3ELNS1_11target_archE908ELNS1_3gpuE7ELNS1_3repE0EEENS1_30default_config_static_selectorELNS0_4arch9wavefront6targetE0EEEvSQ_.num_named_barrier, 0
	.set _ZN7rocprim17ROCPRIM_400000_NS6detail17trampoline_kernelINS0_14default_configENS1_22reduce_config_selectorIbEEZNS1_11reduce_implILb1ES3_N6hipcub16HIPCUB_304000_NS22TransformInputIteratorIbN2at6native12_GLOBAL__N_19NonZeroOpIbEEPKblEEPiiNS8_6detail34convert_binary_result_type_wrapperINS8_3SumESH_iEEEE10hipError_tPvRmT1_T2_T3_mT4_P12ihipStream_tbEUlT_E1_NS1_11comp_targetILNS1_3genE3ELNS1_11target_archE908ELNS1_3gpuE7ELNS1_3repE0EEENS1_30default_config_static_selectorELNS0_4arch9wavefront6targetE0EEEvSQ_.private_seg_size, 0
	.set _ZN7rocprim17ROCPRIM_400000_NS6detail17trampoline_kernelINS0_14default_configENS1_22reduce_config_selectorIbEEZNS1_11reduce_implILb1ES3_N6hipcub16HIPCUB_304000_NS22TransformInputIteratorIbN2at6native12_GLOBAL__N_19NonZeroOpIbEEPKblEEPiiNS8_6detail34convert_binary_result_type_wrapperINS8_3SumESH_iEEEE10hipError_tPvRmT1_T2_T3_mT4_P12ihipStream_tbEUlT_E1_NS1_11comp_targetILNS1_3genE3ELNS1_11target_archE908ELNS1_3gpuE7ELNS1_3repE0EEENS1_30default_config_static_selectorELNS0_4arch9wavefront6targetE0EEEvSQ_.uses_vcc, 0
	.set _ZN7rocprim17ROCPRIM_400000_NS6detail17trampoline_kernelINS0_14default_configENS1_22reduce_config_selectorIbEEZNS1_11reduce_implILb1ES3_N6hipcub16HIPCUB_304000_NS22TransformInputIteratorIbN2at6native12_GLOBAL__N_19NonZeroOpIbEEPKblEEPiiNS8_6detail34convert_binary_result_type_wrapperINS8_3SumESH_iEEEE10hipError_tPvRmT1_T2_T3_mT4_P12ihipStream_tbEUlT_E1_NS1_11comp_targetILNS1_3genE3ELNS1_11target_archE908ELNS1_3gpuE7ELNS1_3repE0EEENS1_30default_config_static_selectorELNS0_4arch9wavefront6targetE0EEEvSQ_.uses_flat_scratch, 0
	.set _ZN7rocprim17ROCPRIM_400000_NS6detail17trampoline_kernelINS0_14default_configENS1_22reduce_config_selectorIbEEZNS1_11reduce_implILb1ES3_N6hipcub16HIPCUB_304000_NS22TransformInputIteratorIbN2at6native12_GLOBAL__N_19NonZeroOpIbEEPKblEEPiiNS8_6detail34convert_binary_result_type_wrapperINS8_3SumESH_iEEEE10hipError_tPvRmT1_T2_T3_mT4_P12ihipStream_tbEUlT_E1_NS1_11comp_targetILNS1_3genE3ELNS1_11target_archE908ELNS1_3gpuE7ELNS1_3repE0EEENS1_30default_config_static_selectorELNS0_4arch9wavefront6targetE0EEEvSQ_.has_dyn_sized_stack, 0
	.set _ZN7rocprim17ROCPRIM_400000_NS6detail17trampoline_kernelINS0_14default_configENS1_22reduce_config_selectorIbEEZNS1_11reduce_implILb1ES3_N6hipcub16HIPCUB_304000_NS22TransformInputIteratorIbN2at6native12_GLOBAL__N_19NonZeroOpIbEEPKblEEPiiNS8_6detail34convert_binary_result_type_wrapperINS8_3SumESH_iEEEE10hipError_tPvRmT1_T2_T3_mT4_P12ihipStream_tbEUlT_E1_NS1_11comp_targetILNS1_3genE3ELNS1_11target_archE908ELNS1_3gpuE7ELNS1_3repE0EEENS1_30default_config_static_selectorELNS0_4arch9wavefront6targetE0EEEvSQ_.has_recursion, 0
	.set _ZN7rocprim17ROCPRIM_400000_NS6detail17trampoline_kernelINS0_14default_configENS1_22reduce_config_selectorIbEEZNS1_11reduce_implILb1ES3_N6hipcub16HIPCUB_304000_NS22TransformInputIteratorIbN2at6native12_GLOBAL__N_19NonZeroOpIbEEPKblEEPiiNS8_6detail34convert_binary_result_type_wrapperINS8_3SumESH_iEEEE10hipError_tPvRmT1_T2_T3_mT4_P12ihipStream_tbEUlT_E1_NS1_11comp_targetILNS1_3genE3ELNS1_11target_archE908ELNS1_3gpuE7ELNS1_3repE0EEENS1_30default_config_static_selectorELNS0_4arch9wavefront6targetE0EEEvSQ_.has_indirect_call, 0
	.section	.AMDGPU.csdata,"",@progbits
; Kernel info:
; codeLenInByte = 0
; TotalNumSgprs: 0
; NumVgprs: 0
; ScratchSize: 0
; MemoryBound: 0
; FloatMode: 240
; IeeeMode: 1
; LDSByteSize: 0 bytes/workgroup (compile time only)
; SGPRBlocks: 0
; VGPRBlocks: 0
; NumSGPRsForWavesPerEU: 1
; NumVGPRsForWavesPerEU: 1
; Occupancy: 16
; WaveLimiterHint : 0
; COMPUTE_PGM_RSRC2:SCRATCH_EN: 0
; COMPUTE_PGM_RSRC2:USER_SGPR: 2
; COMPUTE_PGM_RSRC2:TRAP_HANDLER: 0
; COMPUTE_PGM_RSRC2:TGID_X_EN: 1
; COMPUTE_PGM_RSRC2:TGID_Y_EN: 0
; COMPUTE_PGM_RSRC2:TGID_Z_EN: 0
; COMPUTE_PGM_RSRC2:TIDIG_COMP_CNT: 0
	.section	.text._ZN7rocprim17ROCPRIM_400000_NS6detail17trampoline_kernelINS0_14default_configENS1_22reduce_config_selectorIbEEZNS1_11reduce_implILb1ES3_N6hipcub16HIPCUB_304000_NS22TransformInputIteratorIbN2at6native12_GLOBAL__N_19NonZeroOpIbEEPKblEEPiiNS8_6detail34convert_binary_result_type_wrapperINS8_3SumESH_iEEEE10hipError_tPvRmT1_T2_T3_mT4_P12ihipStream_tbEUlT_E1_NS1_11comp_targetILNS1_3genE2ELNS1_11target_archE906ELNS1_3gpuE6ELNS1_3repE0EEENS1_30default_config_static_selectorELNS0_4arch9wavefront6targetE0EEEvSQ_,"axG",@progbits,_ZN7rocprim17ROCPRIM_400000_NS6detail17trampoline_kernelINS0_14default_configENS1_22reduce_config_selectorIbEEZNS1_11reduce_implILb1ES3_N6hipcub16HIPCUB_304000_NS22TransformInputIteratorIbN2at6native12_GLOBAL__N_19NonZeroOpIbEEPKblEEPiiNS8_6detail34convert_binary_result_type_wrapperINS8_3SumESH_iEEEE10hipError_tPvRmT1_T2_T3_mT4_P12ihipStream_tbEUlT_E1_NS1_11comp_targetILNS1_3genE2ELNS1_11target_archE906ELNS1_3gpuE6ELNS1_3repE0EEENS1_30default_config_static_selectorELNS0_4arch9wavefront6targetE0EEEvSQ_,comdat
	.globl	_ZN7rocprim17ROCPRIM_400000_NS6detail17trampoline_kernelINS0_14default_configENS1_22reduce_config_selectorIbEEZNS1_11reduce_implILb1ES3_N6hipcub16HIPCUB_304000_NS22TransformInputIteratorIbN2at6native12_GLOBAL__N_19NonZeroOpIbEEPKblEEPiiNS8_6detail34convert_binary_result_type_wrapperINS8_3SumESH_iEEEE10hipError_tPvRmT1_T2_T3_mT4_P12ihipStream_tbEUlT_E1_NS1_11comp_targetILNS1_3genE2ELNS1_11target_archE906ELNS1_3gpuE6ELNS1_3repE0EEENS1_30default_config_static_selectorELNS0_4arch9wavefront6targetE0EEEvSQ_ ; -- Begin function _ZN7rocprim17ROCPRIM_400000_NS6detail17trampoline_kernelINS0_14default_configENS1_22reduce_config_selectorIbEEZNS1_11reduce_implILb1ES3_N6hipcub16HIPCUB_304000_NS22TransformInputIteratorIbN2at6native12_GLOBAL__N_19NonZeroOpIbEEPKblEEPiiNS8_6detail34convert_binary_result_type_wrapperINS8_3SumESH_iEEEE10hipError_tPvRmT1_T2_T3_mT4_P12ihipStream_tbEUlT_E1_NS1_11comp_targetILNS1_3genE2ELNS1_11target_archE906ELNS1_3gpuE6ELNS1_3repE0EEENS1_30default_config_static_selectorELNS0_4arch9wavefront6targetE0EEEvSQ_
	.p2align	8
	.type	_ZN7rocprim17ROCPRIM_400000_NS6detail17trampoline_kernelINS0_14default_configENS1_22reduce_config_selectorIbEEZNS1_11reduce_implILb1ES3_N6hipcub16HIPCUB_304000_NS22TransformInputIteratorIbN2at6native12_GLOBAL__N_19NonZeroOpIbEEPKblEEPiiNS8_6detail34convert_binary_result_type_wrapperINS8_3SumESH_iEEEE10hipError_tPvRmT1_T2_T3_mT4_P12ihipStream_tbEUlT_E1_NS1_11comp_targetILNS1_3genE2ELNS1_11target_archE906ELNS1_3gpuE6ELNS1_3repE0EEENS1_30default_config_static_selectorELNS0_4arch9wavefront6targetE0EEEvSQ_,@function
_ZN7rocprim17ROCPRIM_400000_NS6detail17trampoline_kernelINS0_14default_configENS1_22reduce_config_selectorIbEEZNS1_11reduce_implILb1ES3_N6hipcub16HIPCUB_304000_NS22TransformInputIteratorIbN2at6native12_GLOBAL__N_19NonZeroOpIbEEPKblEEPiiNS8_6detail34convert_binary_result_type_wrapperINS8_3SumESH_iEEEE10hipError_tPvRmT1_T2_T3_mT4_P12ihipStream_tbEUlT_E1_NS1_11comp_targetILNS1_3genE2ELNS1_11target_archE906ELNS1_3gpuE6ELNS1_3repE0EEENS1_30default_config_static_selectorELNS0_4arch9wavefront6targetE0EEEvSQ_: ; @_ZN7rocprim17ROCPRIM_400000_NS6detail17trampoline_kernelINS0_14default_configENS1_22reduce_config_selectorIbEEZNS1_11reduce_implILb1ES3_N6hipcub16HIPCUB_304000_NS22TransformInputIteratorIbN2at6native12_GLOBAL__N_19NonZeroOpIbEEPKblEEPiiNS8_6detail34convert_binary_result_type_wrapperINS8_3SumESH_iEEEE10hipError_tPvRmT1_T2_T3_mT4_P12ihipStream_tbEUlT_E1_NS1_11comp_targetILNS1_3genE2ELNS1_11target_archE906ELNS1_3gpuE6ELNS1_3repE0EEENS1_30default_config_static_selectorELNS0_4arch9wavefront6targetE0EEEvSQ_
; %bb.0:
	.section	.rodata,"a",@progbits
	.p2align	6, 0x0
	.amdhsa_kernel _ZN7rocprim17ROCPRIM_400000_NS6detail17trampoline_kernelINS0_14default_configENS1_22reduce_config_selectorIbEEZNS1_11reduce_implILb1ES3_N6hipcub16HIPCUB_304000_NS22TransformInputIteratorIbN2at6native12_GLOBAL__N_19NonZeroOpIbEEPKblEEPiiNS8_6detail34convert_binary_result_type_wrapperINS8_3SumESH_iEEEE10hipError_tPvRmT1_T2_T3_mT4_P12ihipStream_tbEUlT_E1_NS1_11comp_targetILNS1_3genE2ELNS1_11target_archE906ELNS1_3gpuE6ELNS1_3repE0EEENS1_30default_config_static_selectorELNS0_4arch9wavefront6targetE0EEEvSQ_
		.amdhsa_group_segment_fixed_size 0
		.amdhsa_private_segment_fixed_size 0
		.amdhsa_kernarg_size 48
		.amdhsa_user_sgpr_count 2
		.amdhsa_user_sgpr_dispatch_ptr 0
		.amdhsa_user_sgpr_queue_ptr 0
		.amdhsa_user_sgpr_kernarg_segment_ptr 1
		.amdhsa_user_sgpr_dispatch_id 0
		.amdhsa_user_sgpr_private_segment_size 0
		.amdhsa_wavefront_size32 1
		.amdhsa_uses_dynamic_stack 0
		.amdhsa_enable_private_segment 0
		.amdhsa_system_sgpr_workgroup_id_x 1
		.amdhsa_system_sgpr_workgroup_id_y 0
		.amdhsa_system_sgpr_workgroup_id_z 0
		.amdhsa_system_sgpr_workgroup_info 0
		.amdhsa_system_vgpr_workitem_id 0
		.amdhsa_next_free_vgpr 1
		.amdhsa_next_free_sgpr 1
		.amdhsa_reserve_vcc 0
		.amdhsa_float_round_mode_32 0
		.amdhsa_float_round_mode_16_64 0
		.amdhsa_float_denorm_mode_32 3
		.amdhsa_float_denorm_mode_16_64 3
		.amdhsa_fp16_overflow 0
		.amdhsa_workgroup_processor_mode 1
		.amdhsa_memory_ordered 1
		.amdhsa_forward_progress 1
		.amdhsa_inst_pref_size 0
		.amdhsa_round_robin_scheduling 0
		.amdhsa_exception_fp_ieee_invalid_op 0
		.amdhsa_exception_fp_denorm_src 0
		.amdhsa_exception_fp_ieee_div_zero 0
		.amdhsa_exception_fp_ieee_overflow 0
		.amdhsa_exception_fp_ieee_underflow 0
		.amdhsa_exception_fp_ieee_inexact 0
		.amdhsa_exception_int_div_zero 0
	.end_amdhsa_kernel
	.section	.text._ZN7rocprim17ROCPRIM_400000_NS6detail17trampoline_kernelINS0_14default_configENS1_22reduce_config_selectorIbEEZNS1_11reduce_implILb1ES3_N6hipcub16HIPCUB_304000_NS22TransformInputIteratorIbN2at6native12_GLOBAL__N_19NonZeroOpIbEEPKblEEPiiNS8_6detail34convert_binary_result_type_wrapperINS8_3SumESH_iEEEE10hipError_tPvRmT1_T2_T3_mT4_P12ihipStream_tbEUlT_E1_NS1_11comp_targetILNS1_3genE2ELNS1_11target_archE906ELNS1_3gpuE6ELNS1_3repE0EEENS1_30default_config_static_selectorELNS0_4arch9wavefront6targetE0EEEvSQ_,"axG",@progbits,_ZN7rocprim17ROCPRIM_400000_NS6detail17trampoline_kernelINS0_14default_configENS1_22reduce_config_selectorIbEEZNS1_11reduce_implILb1ES3_N6hipcub16HIPCUB_304000_NS22TransformInputIteratorIbN2at6native12_GLOBAL__N_19NonZeroOpIbEEPKblEEPiiNS8_6detail34convert_binary_result_type_wrapperINS8_3SumESH_iEEEE10hipError_tPvRmT1_T2_T3_mT4_P12ihipStream_tbEUlT_E1_NS1_11comp_targetILNS1_3genE2ELNS1_11target_archE906ELNS1_3gpuE6ELNS1_3repE0EEENS1_30default_config_static_selectorELNS0_4arch9wavefront6targetE0EEEvSQ_,comdat
.Lfunc_end725:
	.size	_ZN7rocprim17ROCPRIM_400000_NS6detail17trampoline_kernelINS0_14default_configENS1_22reduce_config_selectorIbEEZNS1_11reduce_implILb1ES3_N6hipcub16HIPCUB_304000_NS22TransformInputIteratorIbN2at6native12_GLOBAL__N_19NonZeroOpIbEEPKblEEPiiNS8_6detail34convert_binary_result_type_wrapperINS8_3SumESH_iEEEE10hipError_tPvRmT1_T2_T3_mT4_P12ihipStream_tbEUlT_E1_NS1_11comp_targetILNS1_3genE2ELNS1_11target_archE906ELNS1_3gpuE6ELNS1_3repE0EEENS1_30default_config_static_selectorELNS0_4arch9wavefront6targetE0EEEvSQ_, .Lfunc_end725-_ZN7rocprim17ROCPRIM_400000_NS6detail17trampoline_kernelINS0_14default_configENS1_22reduce_config_selectorIbEEZNS1_11reduce_implILb1ES3_N6hipcub16HIPCUB_304000_NS22TransformInputIteratorIbN2at6native12_GLOBAL__N_19NonZeroOpIbEEPKblEEPiiNS8_6detail34convert_binary_result_type_wrapperINS8_3SumESH_iEEEE10hipError_tPvRmT1_T2_T3_mT4_P12ihipStream_tbEUlT_E1_NS1_11comp_targetILNS1_3genE2ELNS1_11target_archE906ELNS1_3gpuE6ELNS1_3repE0EEENS1_30default_config_static_selectorELNS0_4arch9wavefront6targetE0EEEvSQ_
                                        ; -- End function
	.set _ZN7rocprim17ROCPRIM_400000_NS6detail17trampoline_kernelINS0_14default_configENS1_22reduce_config_selectorIbEEZNS1_11reduce_implILb1ES3_N6hipcub16HIPCUB_304000_NS22TransformInputIteratorIbN2at6native12_GLOBAL__N_19NonZeroOpIbEEPKblEEPiiNS8_6detail34convert_binary_result_type_wrapperINS8_3SumESH_iEEEE10hipError_tPvRmT1_T2_T3_mT4_P12ihipStream_tbEUlT_E1_NS1_11comp_targetILNS1_3genE2ELNS1_11target_archE906ELNS1_3gpuE6ELNS1_3repE0EEENS1_30default_config_static_selectorELNS0_4arch9wavefront6targetE0EEEvSQ_.num_vgpr, 0
	.set _ZN7rocprim17ROCPRIM_400000_NS6detail17trampoline_kernelINS0_14default_configENS1_22reduce_config_selectorIbEEZNS1_11reduce_implILb1ES3_N6hipcub16HIPCUB_304000_NS22TransformInputIteratorIbN2at6native12_GLOBAL__N_19NonZeroOpIbEEPKblEEPiiNS8_6detail34convert_binary_result_type_wrapperINS8_3SumESH_iEEEE10hipError_tPvRmT1_T2_T3_mT4_P12ihipStream_tbEUlT_E1_NS1_11comp_targetILNS1_3genE2ELNS1_11target_archE906ELNS1_3gpuE6ELNS1_3repE0EEENS1_30default_config_static_selectorELNS0_4arch9wavefront6targetE0EEEvSQ_.num_agpr, 0
	.set _ZN7rocprim17ROCPRIM_400000_NS6detail17trampoline_kernelINS0_14default_configENS1_22reduce_config_selectorIbEEZNS1_11reduce_implILb1ES3_N6hipcub16HIPCUB_304000_NS22TransformInputIteratorIbN2at6native12_GLOBAL__N_19NonZeroOpIbEEPKblEEPiiNS8_6detail34convert_binary_result_type_wrapperINS8_3SumESH_iEEEE10hipError_tPvRmT1_T2_T3_mT4_P12ihipStream_tbEUlT_E1_NS1_11comp_targetILNS1_3genE2ELNS1_11target_archE906ELNS1_3gpuE6ELNS1_3repE0EEENS1_30default_config_static_selectorELNS0_4arch9wavefront6targetE0EEEvSQ_.numbered_sgpr, 0
	.set _ZN7rocprim17ROCPRIM_400000_NS6detail17trampoline_kernelINS0_14default_configENS1_22reduce_config_selectorIbEEZNS1_11reduce_implILb1ES3_N6hipcub16HIPCUB_304000_NS22TransformInputIteratorIbN2at6native12_GLOBAL__N_19NonZeroOpIbEEPKblEEPiiNS8_6detail34convert_binary_result_type_wrapperINS8_3SumESH_iEEEE10hipError_tPvRmT1_T2_T3_mT4_P12ihipStream_tbEUlT_E1_NS1_11comp_targetILNS1_3genE2ELNS1_11target_archE906ELNS1_3gpuE6ELNS1_3repE0EEENS1_30default_config_static_selectorELNS0_4arch9wavefront6targetE0EEEvSQ_.num_named_barrier, 0
	.set _ZN7rocprim17ROCPRIM_400000_NS6detail17trampoline_kernelINS0_14default_configENS1_22reduce_config_selectorIbEEZNS1_11reduce_implILb1ES3_N6hipcub16HIPCUB_304000_NS22TransformInputIteratorIbN2at6native12_GLOBAL__N_19NonZeroOpIbEEPKblEEPiiNS8_6detail34convert_binary_result_type_wrapperINS8_3SumESH_iEEEE10hipError_tPvRmT1_T2_T3_mT4_P12ihipStream_tbEUlT_E1_NS1_11comp_targetILNS1_3genE2ELNS1_11target_archE906ELNS1_3gpuE6ELNS1_3repE0EEENS1_30default_config_static_selectorELNS0_4arch9wavefront6targetE0EEEvSQ_.private_seg_size, 0
	.set _ZN7rocprim17ROCPRIM_400000_NS6detail17trampoline_kernelINS0_14default_configENS1_22reduce_config_selectorIbEEZNS1_11reduce_implILb1ES3_N6hipcub16HIPCUB_304000_NS22TransformInputIteratorIbN2at6native12_GLOBAL__N_19NonZeroOpIbEEPKblEEPiiNS8_6detail34convert_binary_result_type_wrapperINS8_3SumESH_iEEEE10hipError_tPvRmT1_T2_T3_mT4_P12ihipStream_tbEUlT_E1_NS1_11comp_targetILNS1_3genE2ELNS1_11target_archE906ELNS1_3gpuE6ELNS1_3repE0EEENS1_30default_config_static_selectorELNS0_4arch9wavefront6targetE0EEEvSQ_.uses_vcc, 0
	.set _ZN7rocprim17ROCPRIM_400000_NS6detail17trampoline_kernelINS0_14default_configENS1_22reduce_config_selectorIbEEZNS1_11reduce_implILb1ES3_N6hipcub16HIPCUB_304000_NS22TransformInputIteratorIbN2at6native12_GLOBAL__N_19NonZeroOpIbEEPKblEEPiiNS8_6detail34convert_binary_result_type_wrapperINS8_3SumESH_iEEEE10hipError_tPvRmT1_T2_T3_mT4_P12ihipStream_tbEUlT_E1_NS1_11comp_targetILNS1_3genE2ELNS1_11target_archE906ELNS1_3gpuE6ELNS1_3repE0EEENS1_30default_config_static_selectorELNS0_4arch9wavefront6targetE0EEEvSQ_.uses_flat_scratch, 0
	.set _ZN7rocprim17ROCPRIM_400000_NS6detail17trampoline_kernelINS0_14default_configENS1_22reduce_config_selectorIbEEZNS1_11reduce_implILb1ES3_N6hipcub16HIPCUB_304000_NS22TransformInputIteratorIbN2at6native12_GLOBAL__N_19NonZeroOpIbEEPKblEEPiiNS8_6detail34convert_binary_result_type_wrapperINS8_3SumESH_iEEEE10hipError_tPvRmT1_T2_T3_mT4_P12ihipStream_tbEUlT_E1_NS1_11comp_targetILNS1_3genE2ELNS1_11target_archE906ELNS1_3gpuE6ELNS1_3repE0EEENS1_30default_config_static_selectorELNS0_4arch9wavefront6targetE0EEEvSQ_.has_dyn_sized_stack, 0
	.set _ZN7rocprim17ROCPRIM_400000_NS6detail17trampoline_kernelINS0_14default_configENS1_22reduce_config_selectorIbEEZNS1_11reduce_implILb1ES3_N6hipcub16HIPCUB_304000_NS22TransformInputIteratorIbN2at6native12_GLOBAL__N_19NonZeroOpIbEEPKblEEPiiNS8_6detail34convert_binary_result_type_wrapperINS8_3SumESH_iEEEE10hipError_tPvRmT1_T2_T3_mT4_P12ihipStream_tbEUlT_E1_NS1_11comp_targetILNS1_3genE2ELNS1_11target_archE906ELNS1_3gpuE6ELNS1_3repE0EEENS1_30default_config_static_selectorELNS0_4arch9wavefront6targetE0EEEvSQ_.has_recursion, 0
	.set _ZN7rocprim17ROCPRIM_400000_NS6detail17trampoline_kernelINS0_14default_configENS1_22reduce_config_selectorIbEEZNS1_11reduce_implILb1ES3_N6hipcub16HIPCUB_304000_NS22TransformInputIteratorIbN2at6native12_GLOBAL__N_19NonZeroOpIbEEPKblEEPiiNS8_6detail34convert_binary_result_type_wrapperINS8_3SumESH_iEEEE10hipError_tPvRmT1_T2_T3_mT4_P12ihipStream_tbEUlT_E1_NS1_11comp_targetILNS1_3genE2ELNS1_11target_archE906ELNS1_3gpuE6ELNS1_3repE0EEENS1_30default_config_static_selectorELNS0_4arch9wavefront6targetE0EEEvSQ_.has_indirect_call, 0
	.section	.AMDGPU.csdata,"",@progbits
; Kernel info:
; codeLenInByte = 0
; TotalNumSgprs: 0
; NumVgprs: 0
; ScratchSize: 0
; MemoryBound: 0
; FloatMode: 240
; IeeeMode: 1
; LDSByteSize: 0 bytes/workgroup (compile time only)
; SGPRBlocks: 0
; VGPRBlocks: 0
; NumSGPRsForWavesPerEU: 1
; NumVGPRsForWavesPerEU: 1
; Occupancy: 16
; WaveLimiterHint : 0
; COMPUTE_PGM_RSRC2:SCRATCH_EN: 0
; COMPUTE_PGM_RSRC2:USER_SGPR: 2
; COMPUTE_PGM_RSRC2:TRAP_HANDLER: 0
; COMPUTE_PGM_RSRC2:TGID_X_EN: 1
; COMPUTE_PGM_RSRC2:TGID_Y_EN: 0
; COMPUTE_PGM_RSRC2:TGID_Z_EN: 0
; COMPUTE_PGM_RSRC2:TIDIG_COMP_CNT: 0
	.section	.text._ZN7rocprim17ROCPRIM_400000_NS6detail17trampoline_kernelINS0_14default_configENS1_22reduce_config_selectorIbEEZNS1_11reduce_implILb1ES3_N6hipcub16HIPCUB_304000_NS22TransformInputIteratorIbN2at6native12_GLOBAL__N_19NonZeroOpIbEEPKblEEPiiNS8_6detail34convert_binary_result_type_wrapperINS8_3SumESH_iEEEE10hipError_tPvRmT1_T2_T3_mT4_P12ihipStream_tbEUlT_E1_NS1_11comp_targetILNS1_3genE10ELNS1_11target_archE1201ELNS1_3gpuE5ELNS1_3repE0EEENS1_30default_config_static_selectorELNS0_4arch9wavefront6targetE0EEEvSQ_,"axG",@progbits,_ZN7rocprim17ROCPRIM_400000_NS6detail17trampoline_kernelINS0_14default_configENS1_22reduce_config_selectorIbEEZNS1_11reduce_implILb1ES3_N6hipcub16HIPCUB_304000_NS22TransformInputIteratorIbN2at6native12_GLOBAL__N_19NonZeroOpIbEEPKblEEPiiNS8_6detail34convert_binary_result_type_wrapperINS8_3SumESH_iEEEE10hipError_tPvRmT1_T2_T3_mT4_P12ihipStream_tbEUlT_E1_NS1_11comp_targetILNS1_3genE10ELNS1_11target_archE1201ELNS1_3gpuE5ELNS1_3repE0EEENS1_30default_config_static_selectorELNS0_4arch9wavefront6targetE0EEEvSQ_,comdat
	.globl	_ZN7rocprim17ROCPRIM_400000_NS6detail17trampoline_kernelINS0_14default_configENS1_22reduce_config_selectorIbEEZNS1_11reduce_implILb1ES3_N6hipcub16HIPCUB_304000_NS22TransformInputIteratorIbN2at6native12_GLOBAL__N_19NonZeroOpIbEEPKblEEPiiNS8_6detail34convert_binary_result_type_wrapperINS8_3SumESH_iEEEE10hipError_tPvRmT1_T2_T3_mT4_P12ihipStream_tbEUlT_E1_NS1_11comp_targetILNS1_3genE10ELNS1_11target_archE1201ELNS1_3gpuE5ELNS1_3repE0EEENS1_30default_config_static_selectorELNS0_4arch9wavefront6targetE0EEEvSQ_ ; -- Begin function _ZN7rocprim17ROCPRIM_400000_NS6detail17trampoline_kernelINS0_14default_configENS1_22reduce_config_selectorIbEEZNS1_11reduce_implILb1ES3_N6hipcub16HIPCUB_304000_NS22TransformInputIteratorIbN2at6native12_GLOBAL__N_19NonZeroOpIbEEPKblEEPiiNS8_6detail34convert_binary_result_type_wrapperINS8_3SumESH_iEEEE10hipError_tPvRmT1_T2_T3_mT4_P12ihipStream_tbEUlT_E1_NS1_11comp_targetILNS1_3genE10ELNS1_11target_archE1201ELNS1_3gpuE5ELNS1_3repE0EEENS1_30default_config_static_selectorELNS0_4arch9wavefront6targetE0EEEvSQ_
	.p2align	8
	.type	_ZN7rocprim17ROCPRIM_400000_NS6detail17trampoline_kernelINS0_14default_configENS1_22reduce_config_selectorIbEEZNS1_11reduce_implILb1ES3_N6hipcub16HIPCUB_304000_NS22TransformInputIteratorIbN2at6native12_GLOBAL__N_19NonZeroOpIbEEPKblEEPiiNS8_6detail34convert_binary_result_type_wrapperINS8_3SumESH_iEEEE10hipError_tPvRmT1_T2_T3_mT4_P12ihipStream_tbEUlT_E1_NS1_11comp_targetILNS1_3genE10ELNS1_11target_archE1201ELNS1_3gpuE5ELNS1_3repE0EEENS1_30default_config_static_selectorELNS0_4arch9wavefront6targetE0EEEvSQ_,@function
_ZN7rocprim17ROCPRIM_400000_NS6detail17trampoline_kernelINS0_14default_configENS1_22reduce_config_selectorIbEEZNS1_11reduce_implILb1ES3_N6hipcub16HIPCUB_304000_NS22TransformInputIteratorIbN2at6native12_GLOBAL__N_19NonZeroOpIbEEPKblEEPiiNS8_6detail34convert_binary_result_type_wrapperINS8_3SumESH_iEEEE10hipError_tPvRmT1_T2_T3_mT4_P12ihipStream_tbEUlT_E1_NS1_11comp_targetILNS1_3genE10ELNS1_11target_archE1201ELNS1_3gpuE5ELNS1_3repE0EEENS1_30default_config_static_selectorELNS0_4arch9wavefront6targetE0EEEvSQ_: ; @_ZN7rocprim17ROCPRIM_400000_NS6detail17trampoline_kernelINS0_14default_configENS1_22reduce_config_selectorIbEEZNS1_11reduce_implILb1ES3_N6hipcub16HIPCUB_304000_NS22TransformInputIteratorIbN2at6native12_GLOBAL__N_19NonZeroOpIbEEPKblEEPiiNS8_6detail34convert_binary_result_type_wrapperINS8_3SumESH_iEEEE10hipError_tPvRmT1_T2_T3_mT4_P12ihipStream_tbEUlT_E1_NS1_11comp_targetILNS1_3genE10ELNS1_11target_archE1201ELNS1_3gpuE5ELNS1_3repE0EEENS1_30default_config_static_selectorELNS0_4arch9wavefront6targetE0EEEvSQ_
; %bb.0:
	s_clause 0x2
	s_load_b32 s33, s[0:1], 0x4
	s_load_b64 s[40:41], s[0:1], 0x8
	s_load_b128 s[36:39], s[0:1], 0x18
	s_mov_b32 s34, ttmp9
	s_wait_kmcnt 0x0
	s_cmp_lt_i32 s33, 16
	s_cbranch_scc1 .LBB726_12
; %bb.1:
	s_cmp_gt_i32 s33, 63
	s_cbranch_scc0 .LBB726_13
; %bb.2:
	s_cmp_gt_i32 s33, 0x7f
	s_cbranch_scc0 .LBB726_22
; %bb.3:
	s_cmp_eq_u32 s33, 0x80
	s_mov_b32 s6, 0
	s_cbranch_scc0 .LBB726_23
; %bb.4:
	s_mov_b32 s35, 0
	s_lshl_b32 s4, s34, 15
	s_lshr_b64 s[2:3], s[36:37], 15
	s_mov_b32 s5, s35
	s_cmp_lg_u64 s[2:3], s[34:35]
	s_add_nc_u64 s[2:3], s[40:41], s[4:5]
	s_cbranch_scc0 .LBB726_34
; %bb.5:
	s_clause 0x1f
	global_load_u8 v1, v0, s[2:3]
	global_load_u8 v2, v0, s[2:3] offset:256
	global_load_u8 v3, v0, s[2:3] offset:512
	global_load_u8 v4, v0, s[2:3] offset:768
	global_load_u8 v5, v0, s[2:3] offset:1024
	global_load_u8 v6, v0, s[2:3] offset:1280
	global_load_u8 v7, v0, s[2:3] offset:1536
	global_load_u8 v8, v0, s[2:3] offset:1792
	global_load_u8 v9, v0, s[2:3] offset:2048
	global_load_u8 v10, v0, s[2:3] offset:2304
	global_load_u8 v11, v0, s[2:3] offset:2560
	global_load_u8 v12, v0, s[2:3] offset:2816
	global_load_u8 v13, v0, s[2:3] offset:3072
	global_load_u8 v14, v0, s[2:3] offset:3328
	global_load_u8 v15, v0, s[2:3] offset:3584
	global_load_u8 v16, v0, s[2:3] offset:3840
	global_load_u8 v17, v0, s[2:3] offset:4096
	global_load_u8 v18, v0, s[2:3] offset:4352
	global_load_u8 v19, v0, s[2:3] offset:4608
	global_load_u8 v20, v0, s[2:3] offset:4864
	global_load_u8 v21, v0, s[2:3] offset:5120
	global_load_u8 v22, v0, s[2:3] offset:5376
	global_load_u8 v23, v0, s[2:3] offset:5632
	global_load_u8 v24, v0, s[2:3] offset:5888
	global_load_u8 v25, v0, s[2:3] offset:6144
	global_load_u8 v26, v0, s[2:3] offset:6400
	global_load_u8 v27, v0, s[2:3] offset:6656
	global_load_u8 v28, v0, s[2:3] offset:6912
	global_load_u8 v29, v0, s[2:3] offset:7168
	global_load_u8 v30, v0, s[2:3] offset:7424
	global_load_u8 v31, v0, s[2:3] offset:7680
	global_load_u8 v32, v0, s[2:3] offset:7936
	s_clause 0x1f
	global_load_u8 v33, v0, s[2:3] offset:8192
	global_load_u8 v34, v0, s[2:3] offset:8448
	global_load_u8 v35, v0, s[2:3] offset:8704
	global_load_u8 v36, v0, s[2:3] offset:8960
	global_load_u8 v37, v0, s[2:3] offset:9216
	global_load_u8 v38, v0, s[2:3] offset:9472
	global_load_u8 v39, v0, s[2:3] offset:9728
	global_load_u8 v40, v0, s[2:3] offset:9984
	global_load_u8 v41, v0, s[2:3] offset:10240
	global_load_u8 v42, v0, s[2:3] offset:10496
	global_load_u8 v43, v0, s[2:3] offset:10752
	global_load_u8 v44, v0, s[2:3] offset:11008
	global_load_u8 v45, v0, s[2:3] offset:11264
	global_load_u8 v46, v0, s[2:3] offset:11520
	global_load_u8 v47, v0, s[2:3] offset:11776
	global_load_u8 v48, v0, s[2:3] offset:12032
	global_load_u8 v49, v0, s[2:3] offset:12288
	global_load_u8 v50, v0, s[2:3] offset:12544
	global_load_u8 v51, v0, s[2:3] offset:12800
	global_load_u8 v52, v0, s[2:3] offset:13056
	global_load_u8 v53, v0, s[2:3] offset:13312
	global_load_u8 v54, v0, s[2:3] offset:13568
	global_load_u8 v55, v0, s[2:3] offset:13824
	global_load_u8 v56, v0, s[2:3] offset:14080
	global_load_u8 v57, v0, s[2:3] offset:14336
	global_load_u8 v58, v0, s[2:3] offset:14592
	global_load_u8 v59, v0, s[2:3] offset:14848
	global_load_u8 v60, v0, s[2:3] offset:15104
	global_load_u8 v61, v0, s[2:3] offset:15360
	global_load_u8 v62, v0, s[2:3] offset:15616
	global_load_u8 v63, v0, s[2:3] offset:15872
	global_load_u8 v64, v0, s[2:3] offset:16128
	s_clause 0x1f
	global_load_u8 v65, v0, s[2:3] offset:16384
	;; [unrolled: 33-line block ×3, first 2 shown]
	global_load_u8 v98, v0, s[2:3] offset:24832
	global_load_u8 v99, v0, s[2:3] offset:25088
	;; [unrolled: 1-line block ×23, first 2 shown]
	s_mov_b32 s5, exec_lo
	s_wait_loadcnt 0x3e
	v_add_nc_u16 v1, v2, v1
	s_clause 0x1
	global_load_u8 v2, v0, s[2:3] offset:30720
	global_load_u8 v121, v0, s[2:3] offset:30976
	v_add_nc_u16 v1, v1, v3
	s_clause 0x1
	global_load_u8 v3, v0, s[2:3] offset:31232
	global_load_u8 v122, v0, s[2:3] offset:31488
	;; [unrolled: 4-line block ×3, first 2 shown]
	global_load_u8 v124, v0, s[2:3] offset:32256
	global_load_u8 v125, v0, s[2:3] offset:32512
	v_add_nc_u16 v1, v1, v5
	s_delay_alu instid0(VALU_DEP_1) | instskip(NEXT) | instid1(VALU_DEP_1)
	v_add_nc_u16 v1, v1, v6
	v_add_nc_u16 v1, v1, v7
	s_delay_alu instid0(VALU_DEP_1) | instskip(NEXT) | instid1(VALU_DEP_1)
	v_and_b32_e32 v1, 0xff, v1
	v_add_nc_u32_e32 v1, v1, v8
	s_delay_alu instid0(VALU_DEP_1) | instskip(NEXT) | instid1(VALU_DEP_1)
	v_add3_u32 v1, v1, v9, v10
	v_add3_u32 v1, v1, v11, v12
	s_delay_alu instid0(VALU_DEP_1) | instskip(NEXT) | instid1(VALU_DEP_1)
	v_add3_u32 v1, v1, v13, v14
	v_add3_u32 v1, v1, v15, v16
	;; [unrolled: 3-line block ×12, first 2 shown]
	s_delay_alu instid0(VALU_DEP_1) | instskip(SKIP_1) | instid1(VALU_DEP_1)
	v_add3_u32 v1, v1, v57, v58
	s_wait_loadcnt 0x3e
	v_add3_u32 v1, v1, v59, v60
	s_delay_alu instid0(VALU_DEP_1) | instskip(NEXT) | instid1(VALU_DEP_1)
	v_add3_u32 v1, v1, v61, v62
	v_add3_u32 v1, v1, v63, v64
	s_delay_alu instid0(VALU_DEP_1) | instskip(SKIP_1) | instid1(VALU_DEP_1)
	v_add3_u32 v1, v1, v65, v66
	s_wait_loadcnt 0x3c
	v_add3_u32 v1, v1, v67, v68
	s_wait_loadcnt 0x3a
	s_delay_alu instid0(VALU_DEP_1) | instskip(SKIP_1) | instid1(VALU_DEP_1)
	v_add3_u32 v1, v1, v69, v70
	s_wait_loadcnt 0x38
	v_add3_u32 v1, v1, v71, v72
	s_wait_loadcnt 0x36
	;; [unrolled: 5-line block ×15, first 2 shown]
	s_delay_alu instid0(VALU_DEP_1) | instskip(SKIP_1) | instid1(VALU_DEP_1)
	v_add3_u32 v1, v1, v4, v123
	s_wait_loadcnt 0x0
	v_add3_u32 v1, v1, v124, v125
	s_delay_alu instid0(VALU_DEP_1) | instskip(NEXT) | instid1(VALU_DEP_1)
	v_mov_b32_dpp v2, v1 quad_perm:[1,0,3,2] row_mask:0xf bank_mask:0xf
	v_add_nc_u32_e32 v1, v2, v1
	s_delay_alu instid0(VALU_DEP_1) | instskip(NEXT) | instid1(VALU_DEP_1)
	v_mov_b32_dpp v2, v1 quad_perm:[2,3,0,1] row_mask:0xf bank_mask:0xf
	v_add_nc_u32_e32 v1, v1, v2
	s_delay_alu instid0(VALU_DEP_1) | instskip(NEXT) | instid1(VALU_DEP_1)
	v_mov_b32_dpp v2, v1 row_ror:4 row_mask:0xf bank_mask:0xf
	v_add_nc_u32_e32 v1, v1, v2
	s_delay_alu instid0(VALU_DEP_1) | instskip(NEXT) | instid1(VALU_DEP_1)
	v_mov_b32_dpp v2, v1 row_ror:8 row_mask:0xf bank_mask:0xf
	v_add_nc_u32_e32 v1, v1, v2
	ds_swizzle_b32 v2, v1 offset:swizzle(BROADCAST,32,15)
	s_wait_dscnt 0x0
	v_dual_mov_b32 v2, 0 :: v_dual_add_nc_u32 v1, v1, v2
	ds_bpermute_b32 v1, v2, v1 offset:124
	v_mbcnt_lo_u32_b32 v2, -1, 0
	s_delay_alu instid0(VALU_DEP_1)
	v_cmpx_eq_u32_e32 0, v2
	s_cbranch_execz .LBB726_7
; %bb.6:
	v_lshrrev_b32_e32 v3, 3, v0
	s_delay_alu instid0(VALU_DEP_1)
	v_and_b32_e32 v3, 28, v3
	s_wait_dscnt 0x0
	ds_store_b32 v3, v1
.LBB726_7:
	s_or_b32 exec_lo, exec_lo, s5
	s_delay_alu instid0(SALU_CYCLE_1)
	s_mov_b32 s5, exec_lo
	s_wait_dscnt 0x0
	s_barrier_signal -1
	s_barrier_wait -1
	global_inv scope:SCOPE_SE
	v_cmpx_gt_u32_e32 32, v0
	s_cbranch_execz .LBB726_9
; %bb.8:
	v_and_b32_e32 v1, 7, v2
	s_delay_alu instid0(VALU_DEP_1) | instskip(SKIP_4) | instid1(VALU_DEP_2)
	v_lshlrev_b32_e32 v3, 2, v1
	v_cmp_ne_u32_e32 vcc_lo, 7, v1
	ds_load_b32 v3, v3
	v_add_co_ci_u32_e64 v4, null, 0, v2, vcc_lo
	v_cmp_gt_u32_e32 vcc_lo, 6, v1
	v_lshlrev_b32_e32 v4, 2, v4
	s_wait_alu 0xfffd
	v_cndmask_b32_e64 v1, 0, 2, vcc_lo
	s_delay_alu instid0(VALU_DEP_1) | instskip(SKIP_1) | instid1(VALU_DEP_1)
	v_add_lshl_u32 v1, v1, v2, 2
	v_lshlrev_b32_e32 v2, 2, v2
	v_or_b32_e32 v2, 16, v2
	s_wait_dscnt 0x0
	ds_bpermute_b32 v4, v4, v3
	s_wait_dscnt 0x0
	v_add_nc_u32_e32 v3, v4, v3
	ds_bpermute_b32 v1, v1, v3
	s_wait_dscnt 0x0
	v_add_nc_u32_e32 v1, v1, v3
	;; [unrolled: 3-line block ×3, first 2 shown]
.LBB726_9:
	s_or_b32 exec_lo, exec_lo, s5
.LBB726_10:
	v_cmp_eq_u32_e64 s2, 0, v0
	s_and_b32 vcc_lo, exec_lo, s6
	s_wait_alu 0xfffe
	s_cbranch_vccnz .LBB726_24
.LBB726_11:
	s_branch .LBB726_512
.LBB726_12:
	s_mov_b32 s2, 0
                                        ; implicit-def: $vgpr1
	s_cbranch_execz .LBB726_623
	s_branch .LBB726_513
.LBB726_13:
	s_mov_b32 s2, 0
                                        ; implicit-def: $vgpr1
	s_cbranch_execz .LBB726_512
; %bb.14:
	s_cmp_gt_i32 s33, 31
	s_cbranch_scc0 .LBB726_31
; %bb.15:
	s_cmp_eq_u32 s33, 32
	s_cbranch_scc0 .LBB726_32
; %bb.16:
	s_mov_b32 s35, 0
	s_lshl_b32 s2, s34, 13
	s_lshr_b64 s[4:5], s[36:37], 13
	s_mov_b32 s3, s35
	s_cmp_lg_u64 s[4:5], s[34:35]
	s_add_nc_u64 s[42:43], s[40:41], s[2:3]
	s_cbranch_scc0 .LBB726_296
; %bb.17:
	s_clause 0x1f
	global_load_u8 v1, v0, s[42:43]
	global_load_u8 v2, v0, s[42:43] offset:256
	global_load_u8 v3, v0, s[42:43] offset:512
	;; [unrolled: 1-line block ×31, first 2 shown]
	s_mov_b32 s3, exec_lo
	s_wait_loadcnt 0x1e
	v_add_nc_u16 v1, v2, v1
	s_wait_loadcnt 0x1d
	s_delay_alu instid0(VALU_DEP_1) | instskip(SKIP_1) | instid1(VALU_DEP_1)
	v_add_nc_u16 v1, v1, v3
	s_wait_loadcnt 0x1c
	v_add_nc_u16 v1, v1, v4
	s_wait_loadcnt 0x1b
	s_delay_alu instid0(VALU_DEP_1) | instskip(SKIP_1) | instid1(VALU_DEP_1)
	v_add_nc_u16 v1, v1, v5
	s_wait_loadcnt 0x1a
	v_add_nc_u16 v1, v1, v6
	s_wait_loadcnt 0x19
	s_delay_alu instid0(VALU_DEP_1) | instskip(NEXT) | instid1(VALU_DEP_1)
	v_add_nc_u16 v1, v1, v7
	v_and_b32_e32 v1, 0xff, v1
	s_wait_loadcnt 0x18
	s_delay_alu instid0(VALU_DEP_1) | instskip(SKIP_1) | instid1(VALU_DEP_1)
	v_add_nc_u32_e32 v1, v1, v8
	s_wait_loadcnt 0x16
	v_add3_u32 v1, v1, v9, v10
	s_wait_loadcnt 0x14
	s_delay_alu instid0(VALU_DEP_1) | instskip(SKIP_1) | instid1(VALU_DEP_1)
	v_add3_u32 v1, v1, v11, v12
	s_wait_loadcnt 0x12
	v_add3_u32 v1, v1, v13, v14
	s_wait_loadcnt 0x10
	s_delay_alu instid0(VALU_DEP_1) | instskip(SKIP_1) | instid1(VALU_DEP_1)
	v_add3_u32 v1, v1, v15, v16
	;; [unrolled: 5-line block ×5, first 2 shown]
	s_wait_loadcnt 0x2
	v_add3_u32 v1, v1, v29, v30
	s_wait_loadcnt 0x0
	s_delay_alu instid0(VALU_DEP_1) | instskip(NEXT) | instid1(VALU_DEP_1)
	v_add3_u32 v1, v1, v31, v32
	v_mov_b32_dpp v2, v1 quad_perm:[1,0,3,2] row_mask:0xf bank_mask:0xf
	s_delay_alu instid0(VALU_DEP_1) | instskip(NEXT) | instid1(VALU_DEP_1)
	v_add_nc_u32_e32 v1, v2, v1
	v_mov_b32_dpp v2, v1 quad_perm:[2,3,0,1] row_mask:0xf bank_mask:0xf
	s_delay_alu instid0(VALU_DEP_1) | instskip(NEXT) | instid1(VALU_DEP_1)
	v_add_nc_u32_e32 v1, v1, v2
	v_mov_b32_dpp v2, v1 row_ror:4 row_mask:0xf bank_mask:0xf
	s_delay_alu instid0(VALU_DEP_1) | instskip(NEXT) | instid1(VALU_DEP_1)
	v_add_nc_u32_e32 v1, v1, v2
	v_mov_b32_dpp v2, v1 row_ror:8 row_mask:0xf bank_mask:0xf
	s_delay_alu instid0(VALU_DEP_1)
	v_add_nc_u32_e32 v1, v1, v2
	ds_swizzle_b32 v2, v1 offset:swizzle(BROADCAST,32,15)
	s_wait_dscnt 0x0
	v_dual_mov_b32 v2, 0 :: v_dual_add_nc_u32 v1, v1, v2
	ds_bpermute_b32 v1, v2, v1 offset:124
	v_mbcnt_lo_u32_b32 v2, -1, 0
	s_delay_alu instid0(VALU_DEP_1)
	v_cmpx_eq_u32_e32 0, v2
	s_cbranch_execz .LBB726_19
; %bb.18:
	v_lshrrev_b32_e32 v3, 3, v0
	s_delay_alu instid0(VALU_DEP_1)
	v_and_b32_e32 v3, 28, v3
	s_wait_dscnt 0x0
	ds_store_b32 v3, v1 offset:128
.LBB726_19:
	s_or_b32 exec_lo, exec_lo, s3
	s_delay_alu instid0(SALU_CYCLE_1)
	s_mov_b32 s3, exec_lo
	s_wait_dscnt 0x0
	s_barrier_signal -1
	s_barrier_wait -1
	global_inv scope:SCOPE_SE
	v_cmpx_gt_u32_e32 32, v0
	s_cbranch_execz .LBB726_21
; %bb.20:
	v_and_b32_e32 v1, 7, v2
	s_delay_alu instid0(VALU_DEP_1) | instskip(SKIP_4) | instid1(VALU_DEP_2)
	v_lshlrev_b32_e32 v3, 2, v1
	v_cmp_ne_u32_e32 vcc_lo, 7, v1
	ds_load_b32 v3, v3 offset:128
	v_add_co_ci_u32_e64 v4, null, 0, v2, vcc_lo
	v_cmp_gt_u32_e32 vcc_lo, 6, v1
	v_lshlrev_b32_e32 v4, 2, v4
	s_wait_alu 0xfffd
	v_cndmask_b32_e64 v1, 0, 2, vcc_lo
	s_delay_alu instid0(VALU_DEP_1) | instskip(SKIP_1) | instid1(VALU_DEP_1)
	v_add_lshl_u32 v1, v1, v2, 2
	v_lshlrev_b32_e32 v2, 2, v2
	v_or_b32_e32 v2, 16, v2
	s_wait_dscnt 0x0
	ds_bpermute_b32 v4, v4, v3
	s_wait_dscnt 0x0
	v_add_nc_u32_e32 v3, v4, v3
	ds_bpermute_b32 v1, v1, v3
	s_wait_dscnt 0x0
	v_add_nc_u32_e32 v1, v1, v3
	;; [unrolled: 3-line block ×3, first 2 shown]
.LBB726_21:
	s_or_b32 exec_lo, exec_lo, s3
	s_mov_b32 s3, 0
	s_branch .LBB726_297
.LBB726_22:
	s_mov_b32 s6, -1
.LBB726_23:
	s_mov_b32 s2, 0
                                        ; implicit-def: $vgpr1
	s_and_b32 vcc_lo, exec_lo, s6
	s_cbranch_vccz .LBB726_11
.LBB726_24:
	s_cmp_eq_u32 s33, 64
	s_cbranch_scc0 .LBB726_33
; %bb.25:
	s_mov_b32 s35, 0
	s_lshl_b32 s4, s34, 14
	s_lshr_b64 s[2:3], s[36:37], 14
	s_mov_b32 s5, s35
	s_wait_alu 0xfffe
	s_cmp_lg_u64 s[2:3], s[34:35]
	s_add_nc_u64 s[2:3], s[40:41], s[4:5]
	s_cbranch_scc0 .LBB726_376
; %bb.26:
	s_clause 0x1f
	global_load_u8 v1, v0, s[2:3]
	global_load_u8 v2, v0, s[2:3] offset:256
	global_load_u8 v3, v0, s[2:3] offset:512
	;; [unrolled: 1-line block ×31, first 2 shown]
	s_clause 0x1f
	global_load_u8 v33, v0, s[2:3] offset:8192
	global_load_u8 v34, v0, s[2:3] offset:8448
	;; [unrolled: 1-line block ×32, first 2 shown]
	s_mov_b32 s5, exec_lo
	s_wait_loadcnt 0x3e
	v_add_nc_u16 v1, v2, v1
	s_wait_loadcnt 0x3d
	s_delay_alu instid0(VALU_DEP_1) | instskip(SKIP_1) | instid1(VALU_DEP_1)
	v_add_nc_u16 v1, v1, v3
	s_wait_loadcnt 0x3c
	v_add_nc_u16 v1, v1, v4
	s_wait_loadcnt 0x3b
	s_delay_alu instid0(VALU_DEP_1) | instskip(SKIP_1) | instid1(VALU_DEP_1)
	v_add_nc_u16 v1, v1, v5
	s_wait_loadcnt 0x3a
	v_add_nc_u16 v1, v1, v6
	s_wait_loadcnt 0x39
	s_delay_alu instid0(VALU_DEP_1) | instskip(NEXT) | instid1(VALU_DEP_1)
	v_add_nc_u16 v1, v1, v7
	v_and_b32_e32 v1, 0xff, v1
	s_wait_loadcnt 0x38
	s_delay_alu instid0(VALU_DEP_1) | instskip(SKIP_1) | instid1(VALU_DEP_1)
	v_add_nc_u32_e32 v1, v1, v8
	s_wait_loadcnt 0x36
	v_add3_u32 v1, v1, v9, v10
	s_wait_loadcnt 0x34
	s_delay_alu instid0(VALU_DEP_1) | instskip(SKIP_1) | instid1(VALU_DEP_1)
	v_add3_u32 v1, v1, v11, v12
	s_wait_loadcnt 0x32
	v_add3_u32 v1, v1, v13, v14
	s_wait_loadcnt 0x30
	s_delay_alu instid0(VALU_DEP_1) | instskip(SKIP_1) | instid1(VALU_DEP_1)
	v_add3_u32 v1, v1, v15, v16
	s_wait_loadcnt 0x2e
	v_add3_u32 v1, v1, v17, v18
	s_wait_loadcnt 0x2c
	s_delay_alu instid0(VALU_DEP_1) | instskip(SKIP_1) | instid1(VALU_DEP_1)
	v_add3_u32 v1, v1, v19, v20
	s_wait_loadcnt 0x2a
	v_add3_u32 v1, v1, v21, v22
	s_wait_loadcnt 0x28
	s_delay_alu instid0(VALU_DEP_1) | instskip(SKIP_1) | instid1(VALU_DEP_1)
	v_add3_u32 v1, v1, v23, v24
	s_wait_loadcnt 0x26
	v_add3_u32 v1, v1, v25, v26
	s_wait_loadcnt 0x24
	s_delay_alu instid0(VALU_DEP_1) | instskip(SKIP_1) | instid1(VALU_DEP_1)
	v_add3_u32 v1, v1, v27, v28
	s_wait_loadcnt 0x22
	v_add3_u32 v1, v1, v29, v30
	s_wait_loadcnt 0x20
	s_delay_alu instid0(VALU_DEP_1) | instskip(SKIP_1) | instid1(VALU_DEP_1)
	v_add3_u32 v1, v1, v31, v32
	s_wait_loadcnt 0x1e
	v_add3_u32 v1, v1, v33, v34
	s_wait_loadcnt 0x1c
	s_delay_alu instid0(VALU_DEP_1) | instskip(SKIP_1) | instid1(VALU_DEP_1)
	v_add3_u32 v1, v1, v35, v36
	s_wait_loadcnt 0x1a
	v_add3_u32 v1, v1, v37, v38
	s_wait_loadcnt 0x18
	s_delay_alu instid0(VALU_DEP_1) | instskip(SKIP_1) | instid1(VALU_DEP_1)
	v_add3_u32 v1, v1, v39, v40
	s_wait_loadcnt 0x16
	v_add3_u32 v1, v1, v41, v42
	s_wait_loadcnt 0x14
	s_delay_alu instid0(VALU_DEP_1) | instskip(SKIP_1) | instid1(VALU_DEP_1)
	v_add3_u32 v1, v1, v43, v44
	s_wait_loadcnt 0x12
	v_add3_u32 v1, v1, v45, v46
	s_wait_loadcnt 0x10
	s_delay_alu instid0(VALU_DEP_1) | instskip(SKIP_1) | instid1(VALU_DEP_1)
	v_add3_u32 v1, v1, v47, v48
	s_wait_loadcnt 0xe
	v_add3_u32 v1, v1, v49, v50
	s_wait_loadcnt 0xc
	s_delay_alu instid0(VALU_DEP_1) | instskip(SKIP_1) | instid1(VALU_DEP_1)
	v_add3_u32 v1, v1, v51, v52
	s_wait_loadcnt 0xa
	v_add3_u32 v1, v1, v53, v54
	s_wait_loadcnt 0x8
	s_delay_alu instid0(VALU_DEP_1) | instskip(SKIP_1) | instid1(VALU_DEP_1)
	v_add3_u32 v1, v1, v55, v56
	s_wait_loadcnt 0x6
	v_add3_u32 v1, v1, v57, v58
	s_wait_loadcnt 0x4
	s_delay_alu instid0(VALU_DEP_1) | instskip(SKIP_1) | instid1(VALU_DEP_1)
	v_add3_u32 v1, v1, v59, v60
	s_wait_loadcnt 0x2
	v_add3_u32 v1, v1, v61, v62
	s_wait_loadcnt 0x0
	s_delay_alu instid0(VALU_DEP_1) | instskip(NEXT) | instid1(VALU_DEP_1)
	v_add3_u32 v1, v1, v63, v64
	v_mov_b32_dpp v2, v1 quad_perm:[1,0,3,2] row_mask:0xf bank_mask:0xf
	s_delay_alu instid0(VALU_DEP_1) | instskip(NEXT) | instid1(VALU_DEP_1)
	v_add_nc_u32_e32 v1, v2, v1
	v_mov_b32_dpp v2, v1 quad_perm:[2,3,0,1] row_mask:0xf bank_mask:0xf
	s_delay_alu instid0(VALU_DEP_1) | instskip(NEXT) | instid1(VALU_DEP_1)
	v_add_nc_u32_e32 v1, v1, v2
	v_mov_b32_dpp v2, v1 row_ror:4 row_mask:0xf bank_mask:0xf
	s_delay_alu instid0(VALU_DEP_1) | instskip(NEXT) | instid1(VALU_DEP_1)
	v_add_nc_u32_e32 v1, v1, v2
	v_mov_b32_dpp v2, v1 row_ror:8 row_mask:0xf bank_mask:0xf
	s_delay_alu instid0(VALU_DEP_1)
	v_add_nc_u32_e32 v1, v1, v2
	ds_swizzle_b32 v2, v1 offset:swizzle(BROADCAST,32,15)
	s_wait_dscnt 0x0
	v_dual_mov_b32 v2, 0 :: v_dual_add_nc_u32 v1, v1, v2
	ds_bpermute_b32 v1, v2, v1 offset:124
	v_mbcnt_lo_u32_b32 v2, -1, 0
	s_delay_alu instid0(VALU_DEP_1)
	v_cmpx_eq_u32_e32 0, v2
	s_cbranch_execz .LBB726_28
; %bb.27:
	v_lshrrev_b32_e32 v3, 3, v0
	s_delay_alu instid0(VALU_DEP_1)
	v_and_b32_e32 v3, 28, v3
	s_wait_dscnt 0x0
	ds_store_b32 v3, v1 offset:192
.LBB726_28:
	s_wait_alu 0xfffe
	s_or_b32 exec_lo, exec_lo, s5
	s_delay_alu instid0(SALU_CYCLE_1)
	s_mov_b32 s5, exec_lo
	s_wait_dscnt 0x0
	s_barrier_signal -1
	s_barrier_wait -1
	global_inv scope:SCOPE_SE
	v_cmpx_gt_u32_e32 32, v0
	s_cbranch_execz .LBB726_30
; %bb.29:
	v_and_b32_e32 v1, 7, v2
	s_delay_alu instid0(VALU_DEP_1)
	v_lshlrev_b32_e32 v3, 2, v1
	v_cmp_ne_u32_e32 vcc_lo, 7, v1
	ds_load_b32 v3, v3 offset:192
	s_wait_alu 0xfffd
	v_add_co_ci_u32_e64 v4, null, 0, v2, vcc_lo
	v_cmp_gt_u32_e32 vcc_lo, 6, v1
	s_delay_alu instid0(VALU_DEP_2) | instskip(SKIP_2) | instid1(VALU_DEP_1)
	v_lshlrev_b32_e32 v4, 2, v4
	s_wait_alu 0xfffd
	v_cndmask_b32_e64 v1, 0, 2, vcc_lo
	v_add_lshl_u32 v1, v1, v2, 2
	v_lshlrev_b32_e32 v2, 2, v2
	s_delay_alu instid0(VALU_DEP_1)
	v_or_b32_e32 v2, 16, v2
	s_wait_dscnt 0x0
	ds_bpermute_b32 v4, v4, v3
	s_wait_dscnt 0x0
	v_add_nc_u32_e32 v3, v4, v3
	ds_bpermute_b32 v1, v1, v3
	s_wait_dscnt 0x0
	v_add_nc_u32_e32 v1, v1, v3
	ds_bpermute_b32 v2, v2, v1
	s_wait_dscnt 0x0
	v_add_nc_u32_e32 v1, v2, v1
.LBB726_30:
	s_wait_alu 0xfffe
	s_or_b32 exec_lo, exec_lo, s5
	s_mov_b32 s5, 0
	s_branch .LBB726_377
.LBB726_31:
                                        ; implicit-def: $vgpr1
	s_cbranch_execz .LBB726_512
	s_branch .LBB726_368
.LBB726_32:
                                        ; implicit-def: $vgpr1
	s_branch .LBB726_512
.LBB726_33:
                                        ; implicit-def: $vgpr1
	s_branch .LBB726_512
.LBB726_34:
                                        ; implicit-def: $vgpr1
	s_cbranch_execz .LBB726_10
; %bb.35:
	s_sub_co_i32 s4, s36, s4
	s_mov_b32 s5, exec_lo
                                        ; implicit-def: $vgpr1
	v_cmpx_gt_u32_e64 s4, v0
	s_cbranch_execz .LBB726_37
; %bb.36:
	global_load_u8 v1, v0, s[2:3]
.LBB726_37:
	s_or_b32 exec_lo, exec_lo, s5
	v_or_b32_e32 v3, 0x100, v0
	v_mov_b32_e32 v2, 0
	s_delay_alu instid0(VALU_DEP_2)
	v_cmp_gt_u32_e32 vcc_lo, s4, v3
	v_mov_b32_e32 v3, 0
	s_and_saveexec_b32 s5, vcc_lo
	s_cbranch_execz .LBB726_39
; %bb.38:
	global_load_u8 v3, v0, s[2:3] offset:256
.LBB726_39:
	s_wait_alu 0xfffe
	s_or_b32 exec_lo, exec_lo, s5
	v_or_b32_e32 v4, 0x200, v0
	s_mov_b32 s5, exec_lo
	s_delay_alu instid0(VALU_DEP_1)
	v_cmpx_gt_u32_e64 s4, v4
	s_cbranch_execz .LBB726_41
; %bb.40:
	global_load_u8 v2, v0, s[2:3] offset:512
.LBB726_41:
	s_wait_alu 0xfffe
	s_or_b32 exec_lo, exec_lo, s5
	v_or_b32_e32 v5, 0x300, v0
	v_mov_b32_e32 v4, 0
	s_delay_alu instid0(VALU_DEP_2)
	v_cmp_gt_u32_e32 vcc_lo, s4, v5
	v_mov_b32_e32 v5, 0
	s_and_saveexec_b32 s5, vcc_lo
	s_cbranch_execz .LBB726_43
; %bb.42:
	global_load_u8 v5, v0, s[2:3] offset:768
.LBB726_43:
	s_wait_alu 0xfffe
	s_or_b32 exec_lo, exec_lo, s5
	v_or_b32_e32 v6, 0x400, v0
	s_mov_b32 s5, exec_lo
	s_delay_alu instid0(VALU_DEP_1)
	v_cmpx_gt_u32_e64 s4, v6
	s_cbranch_execz .LBB726_45
; %bb.44:
	global_load_u8 v4, v0, s[2:3] offset:1024
.LBB726_45:
	s_wait_alu 0xfffe
	;; [unrolled: 22-line block ×63, first 2 shown]
	s_or_b32 exec_lo, exec_lo, s5
	v_or_b32_e32 v128, 0x7f00, v0
	s_delay_alu instid0(VALU_DEP_1)
	v_cmp_gt_u32_e32 vcc_lo, s4, v128
	v_mov_b32_e32 v128, 0
	s_and_saveexec_b32 s5, vcc_lo
	s_cbranch_execz .LBB726_291
; %bb.290:
	global_load_u8 v128, v0, s[2:3] offset:32512
.LBB726_291:
	s_wait_alu 0xfffe
	s_or_b32 exec_lo, exec_lo, s5
	s_wait_loadcnt 0x0
	v_add_nc_u32_e32 v1, v3, v1
	s_min_u32 s2, s4, 0x100
	s_mov_b32 s3, exec_lo
	s_delay_alu instid0(VALU_DEP_1) | instskip(SKIP_1) | instid1(VALU_DEP_2)
	v_add3_u32 v1, v1, v2, v5
	v_mbcnt_lo_u32_b32 v2, -1, 0
	v_add3_u32 v1, v1, v4, v7
	s_delay_alu instid0(VALU_DEP_2) | instskip(SKIP_1) | instid1(VALU_DEP_3)
	v_cmp_ne_u32_e32 vcc_lo, 31, v2
	v_add_nc_u32_e32 v5, 1, v2
	v_add3_u32 v1, v1, v6, v9
	v_add_co_ci_u32_e64 v3, null, 0, v2, vcc_lo
	v_cmp_gt_u32_e32 vcc_lo, 30, v2
	s_delay_alu instid0(VALU_DEP_3) | instskip(NEXT) | instid1(VALU_DEP_3)
	v_add3_u32 v1, v1, v8, v11
	v_lshlrev_b32_e32 v3, 2, v3
	s_wait_alu 0xfffd
	v_cndmask_b32_e64 v6, 0, 2, vcc_lo
	s_delay_alu instid0(VALU_DEP_3) | instskip(NEXT) | instid1(VALU_DEP_1)
	v_add3_u32 v1, v1, v10, v13
	v_add3_u32 v1, v1, v12, v15
	s_delay_alu instid0(VALU_DEP_1) | instskip(NEXT) | instid1(VALU_DEP_1)
	v_add3_u32 v1, v1, v14, v17
	v_add3_u32 v1, v1, v16, v19
	s_delay_alu instid0(VALU_DEP_1) | instskip(NEXT) | instid1(VALU_DEP_1)
	;; [unrolled: 3-line block ×28, first 2 shown]
	v_add3_u32 v1, v1, v122, v125
	v_add3_u32 v1, v1, v124, v127
	s_delay_alu instid0(VALU_DEP_1) | instskip(SKIP_2) | instid1(VALU_DEP_1)
	v_add3_u32 v1, v1, v126, v128
	ds_bpermute_b32 v3, v3, v1
	v_and_b32_e32 v4, 0xe0, v0
	v_sub_nc_u32_e64 v4, s2, v4 clamp
	s_delay_alu instid0(VALU_DEP_1)
	v_cmp_lt_u32_e32 vcc_lo, v5, v4
	v_add_lshl_u32 v5, v6, v2, 2
	s_wait_dscnt 0x0
	s_wait_alu 0xfffd
	v_cndmask_b32_e32 v3, 0, v3, vcc_lo
	v_cmp_gt_u32_e32 vcc_lo, 28, v2
	s_delay_alu instid0(VALU_DEP_2) | instskip(SKIP_4) | instid1(VALU_DEP_1)
	v_add_nc_u32_e32 v1, v3, v1
	s_wait_alu 0xfffd
	v_cndmask_b32_e64 v6, 0, 4, vcc_lo
	ds_bpermute_b32 v3, v5, v1
	v_add_nc_u32_e32 v5, 2, v2
	v_cmp_lt_u32_e32 vcc_lo, v5, v4
	v_add_lshl_u32 v5, v6, v2, 2
	s_wait_dscnt 0x0
	s_wait_alu 0xfffd
	v_cndmask_b32_e32 v3, 0, v3, vcc_lo
	v_cmp_gt_u32_e32 vcc_lo, 24, v2
	s_delay_alu instid0(VALU_DEP_2) | instskip(SKIP_4) | instid1(VALU_DEP_1)
	v_add_nc_u32_e32 v1, v1, v3
	s_wait_alu 0xfffd
	v_cndmask_b32_e64 v6, 0, 8, vcc_lo
	ds_bpermute_b32 v3, v5, v1
	v_add_nc_u32_e32 v5, 4, v2
	v_cmp_lt_u32_e32 vcc_lo, v5, v4
	v_add_lshl_u32 v5, v6, v2, 2
	s_wait_dscnt 0x0
	s_wait_alu 0xfffd
	v_dual_cndmask_b32 v3, 0, v3 :: v_dual_add_nc_u32 v6, 8, v2
	s_delay_alu instid0(VALU_DEP_1) | instskip(NEXT) | instid1(VALU_DEP_2)
	v_cmp_lt_u32_e32 vcc_lo, v6, v4
	v_add_nc_u32_e32 v1, v1, v3
	v_lshlrev_b32_e32 v3, 2, v2
	ds_bpermute_b32 v5, v5, v1
	v_or_b32_e32 v6, 64, v3
	s_wait_dscnt 0x0
	s_wait_alu 0xfffd
	v_cndmask_b32_e32 v5, 0, v5, vcc_lo
	s_delay_alu instid0(VALU_DEP_1) | instskip(SKIP_2) | instid1(VALU_DEP_1)
	v_add_nc_u32_e32 v1, v1, v5
	ds_bpermute_b32 v5, v6, v1
	v_add_nc_u32_e32 v6, 16, v2
	v_cmp_lt_u32_e32 vcc_lo, v6, v4
	s_wait_dscnt 0x0
	s_wait_alu 0xfffd
	v_cndmask_b32_e32 v4, 0, v5, vcc_lo
	s_delay_alu instid0(VALU_DEP_1)
	v_add_nc_u32_e32 v1, v1, v4
	v_cmpx_eq_u32_e32 0, v2
; %bb.292:
	v_lshrrev_b32_e32 v4, 3, v0
	s_delay_alu instid0(VALU_DEP_1)
	v_and_b32_e32 v4, 28, v4
	ds_store_b32 v4, v1 offset:256
; %bb.293:
	s_or_b32 exec_lo, exec_lo, s3
	s_delay_alu instid0(SALU_CYCLE_1)
	s_mov_b32 s3, exec_lo
	s_wait_dscnt 0x0
	s_barrier_signal -1
	s_barrier_wait -1
	global_inv scope:SCOPE_SE
	v_cmpx_gt_u32_e32 8, v0
	s_cbranch_execz .LBB726_295
; %bb.294:
	ds_load_b32 v1, v3 offset:256
	v_and_b32_e32 v4, 7, v2
	s_add_co_i32 s2, s2, 31
	s_wait_alu 0xfffe
	s_lshr_b32 s2, s2, 5
	s_delay_alu instid0(VALU_DEP_1) | instskip(SKIP_4) | instid1(VALU_DEP_2)
	v_cmp_ne_u32_e32 vcc_lo, 7, v4
	v_add_nc_u32_e32 v6, 1, v4
	s_wait_alu 0xfffd
	v_add_co_ci_u32_e64 v5, null, 0, v2, vcc_lo
	v_cmp_gt_u32_e32 vcc_lo, 6, v4
	v_lshlrev_b32_e32 v5, 2, v5
	s_wait_alu 0xfffd
	v_cndmask_b32_e64 v7, 0, 2, vcc_lo
	s_wait_alu 0xfffe
	v_cmp_gt_u32_e32 vcc_lo, s2, v6
	s_wait_dscnt 0x0
	ds_bpermute_b32 v5, v5, v1
	v_add_lshl_u32 v2, v7, v2, 2
	s_wait_dscnt 0x0
	s_wait_alu 0xfffd
	v_cndmask_b32_e32 v5, 0, v5, vcc_lo
	s_delay_alu instid0(VALU_DEP_1)
	v_add_nc_u32_e32 v1, v5, v1
	v_add_nc_u32_e32 v5, 2, v4
	ds_bpermute_b32 v2, v2, v1
	v_cmp_gt_u32_e32 vcc_lo, s2, v5
	s_wait_dscnt 0x0
	s_wait_alu 0xfffd
	v_cndmask_b32_e32 v2, 0, v2, vcc_lo
	s_delay_alu instid0(VALU_DEP_1)
	v_add_nc_u32_e32 v1, v1, v2
	v_or_b32_e32 v2, 16, v3
	v_add_nc_u32_e32 v3, 4, v4
	ds_bpermute_b32 v2, v2, v1
	v_cmp_gt_u32_e32 vcc_lo, s2, v3
	s_wait_dscnt 0x0
	s_wait_alu 0xfffd
	v_cndmask_b32_e32 v2, 0, v2, vcc_lo
	s_delay_alu instid0(VALU_DEP_1)
	v_add_nc_u32_e32 v1, v1, v2
.LBB726_295:
	s_wait_alu 0xfffe
	s_or_b32 exec_lo, exec_lo, s3
	v_cmp_eq_u32_e64 s2, 0, v0
	s_and_b32 vcc_lo, exec_lo, s6
	s_wait_alu 0xfffe
	s_cbranch_vccnz .LBB726_24
	s_branch .LBB726_11
.LBB726_296:
	s_mov_b32 s3, -1
                                        ; implicit-def: $vgpr1
.LBB726_297:
	s_delay_alu instid0(SALU_CYCLE_1)
	s_and_b32 vcc_lo, exec_lo, s3
	s_wait_alu 0xfffe
	s_cbranch_vccz .LBB726_367
; %bb.298:
	v_mov_b32_e32 v1, 0
	s_sub_co_i32 s44, s36, s2
	s_delay_alu instid0(SALU_CYCLE_1) | instskip(NEXT) | instid1(VALU_DEP_2)
	v_cmp_gt_u32_e32 vcc_lo, s44, v0
	v_dual_mov_b32 v2, v1 :: v_dual_mov_b32 v3, v1
	v_dual_mov_b32 v4, v1 :: v_dual_mov_b32 v5, v1
	;; [unrolled: 1-line block ×15, first 2 shown]
	v_mov_b32_e32 v32, v1
	s_and_saveexec_b32 s2, vcc_lo
	s_cbranch_execz .LBB726_300
; %bb.299:
	global_load_u8 v2, v0, s[42:43]
	v_mov_b32_e32 v33, v1
	v_dual_mov_b32 v3, v1 :: v_dual_mov_b32 v4, v1
	v_dual_mov_b32 v5, v1 :: v_dual_mov_b32 v6, v1
	;; [unrolled: 1-line block ×15, first 2 shown]
	s_wait_loadcnt 0x0
	v_mov_b32_e32 v1, v2
	v_mov_b32_e32 v2, v3
	;; [unrolled: 1-line block ×32, first 2 shown]
.LBB726_300:
	s_or_b32 exec_lo, exec_lo, s2
	v_or_b32_e32 v33, 0x100, v0
	s_delay_alu instid0(VALU_DEP_1)
	v_cmp_gt_u32_e32 vcc_lo, s44, v33
	s_and_saveexec_b32 s2, vcc_lo
	s_cbranch_execz .LBB726_302
; %bb.301:
	global_load_u8 v2, v0, s[42:43] offset:256
.LBB726_302:
	s_or_b32 exec_lo, exec_lo, s2
	v_or_b32_e32 v33, 0x200, v0
	s_delay_alu instid0(VALU_DEP_1)
	v_cmp_gt_u32_e64 s2, s44, v33
	s_and_saveexec_b32 s3, s2
	s_cbranch_execz .LBB726_304
; %bb.303:
	global_load_u8 v3, v0, s[42:43] offset:512
.LBB726_304:
	s_or_b32 exec_lo, exec_lo, s3
	v_or_b32_e32 v33, 0x300, v0
	s_delay_alu instid0(VALU_DEP_1)
	v_cmp_gt_u32_e64 s3, s44, v33
	s_and_saveexec_b32 s4, s3
	;; [unrolled: 9-line block ×30, first 2 shown]
	s_cbranch_execz .LBB726_362
; %bb.361:
	global_load_u8 v32, v0, s[42:43] offset:7936
.LBB726_362:
	s_wait_alu 0xfffe
	s_or_b32 exec_lo, exec_lo, s45
	s_wait_loadcnt 0x0
	v_cndmask_b32_e32 v2, 0, v2, vcc_lo
	v_cndmask_b32_e64 v3, 0, v3, s2
	v_cndmask_b32_e64 v4, 0, v4, s3
	s_min_u32 s2, s44, 0x100
	s_mov_b32 s3, exec_lo
	v_add_nc_u32_e32 v1, v2, v1
	v_cndmask_b32_e64 v2, 0, v5, s4
	v_cndmask_b32_e64 v5, 0, v6, s5
	;; [unrolled: 1-line block ×3, first 2 shown]
	s_delay_alu instid0(VALU_DEP_4) | instskip(SKIP_3) | instid1(VALU_DEP_4)
	v_add3_u32 v1, v1, v3, v4
	v_cndmask_b32_e64 v3, 0, v7, s6
	v_cndmask_b32_e64 v4, 0, v8, s7
	;; [unrolled: 1-line block ×3, first 2 shown]
	v_add3_u32 v1, v1, v2, v5
	v_cndmask_b32_e64 v2, 0, v9, s8
	v_cndmask_b32_e64 v5, 0, v10, s9
	s_delay_alu instid0(VALU_DEP_3) | instskip(SKIP_2) | instid1(VALU_DEP_3)
	v_add3_u32 v1, v1, v3, v4
	v_cndmask_b32_e64 v3, 0, v11, s10
	v_cndmask_b32_e64 v4, 0, v12, s11
	v_add3_u32 v1, v1, v2, v5
	v_cndmask_b32_e64 v2, 0, v13, s12
	v_cndmask_b32_e64 v5, 0, v14, s13
	s_delay_alu instid0(VALU_DEP_3) | instskip(SKIP_2) | instid1(VALU_DEP_3)
	v_add3_u32 v1, v1, v3, v4
	v_cndmask_b32_e64 v3, 0, v15, s14
	v_cndmask_b32_e64 v4, 0, v16, s15
	;; [unrolled: 7-line block ×5, first 2 shown]
	v_add3_u32 v1, v1, v2, v5
	v_mbcnt_lo_u32_b32 v2, -1, 0
	v_cndmask_b32_e64 v5, 0, v29, s28
	s_delay_alu instid0(VALU_DEP_3) | instskip(NEXT) | instid1(VALU_DEP_3)
	v_add3_u32 v1, v1, v3, v4
	v_cmp_ne_u32_e32 vcc_lo, 31, v2
	v_cndmask_b32_e64 v3, 0, v32, s31
	s_delay_alu instid0(VALU_DEP_3)
	v_add3_u32 v1, v1, v5, v6
	s_wait_alu 0xfffd
	v_add_co_ci_u32_e64 v4, null, 0, v2, vcc_lo
	v_add_nc_u32_e32 v5, 1, v2
	v_cmp_gt_u32_e32 vcc_lo, 30, v2
	v_add3_u32 v1, v1, v7, v3
	s_delay_alu instid0(VALU_DEP_4)
	v_lshlrev_b32_e32 v4, 2, v4
	s_wait_alu 0xfffd
	v_cndmask_b32_e64 v6, 0, 2, vcc_lo
	ds_bpermute_b32 v3, v4, v1
	v_and_b32_e32 v4, 0xe0, v0
	s_wait_alu 0xfffe
	s_delay_alu instid0(VALU_DEP_1) | instskip(NEXT) | instid1(VALU_DEP_1)
	v_sub_nc_u32_e64 v4, s2, v4 clamp
	v_cmp_lt_u32_e32 vcc_lo, v5, v4
	v_add_lshl_u32 v5, v6, v2, 2
	s_wait_dscnt 0x0
	s_wait_alu 0xfffd
	v_cndmask_b32_e32 v3, 0, v3, vcc_lo
	v_cmp_gt_u32_e32 vcc_lo, 28, v2
	s_delay_alu instid0(VALU_DEP_2) | instskip(SKIP_4) | instid1(VALU_DEP_1)
	v_add_nc_u32_e32 v1, v1, v3
	s_wait_alu 0xfffd
	v_cndmask_b32_e64 v6, 0, 4, vcc_lo
	ds_bpermute_b32 v3, v5, v1
	v_add_nc_u32_e32 v5, 2, v2
	v_cmp_lt_u32_e32 vcc_lo, v5, v4
	v_add_lshl_u32 v5, v6, v2, 2
	s_wait_dscnt 0x0
	s_wait_alu 0xfffd
	v_cndmask_b32_e32 v3, 0, v3, vcc_lo
	v_cmp_gt_u32_e32 vcc_lo, 24, v2
	s_delay_alu instid0(VALU_DEP_2) | instskip(SKIP_4) | instid1(VALU_DEP_1)
	v_add_nc_u32_e32 v1, v1, v3
	s_wait_alu 0xfffd
	v_cndmask_b32_e64 v6, 0, 8, vcc_lo
	ds_bpermute_b32 v3, v5, v1
	v_add_nc_u32_e32 v5, 4, v2
	v_cmp_lt_u32_e32 vcc_lo, v5, v4
	v_add_lshl_u32 v5, v6, v2, 2
	s_wait_dscnt 0x0
	s_wait_alu 0xfffd
	v_cndmask_b32_e32 v3, 0, v3, vcc_lo
	s_delay_alu instid0(VALU_DEP_1) | instskip(SKIP_3) | instid1(VALU_DEP_1)
	v_add_nc_u32_e32 v1, v1, v3
	v_lshlrev_b32_e32 v3, 2, v2
	ds_bpermute_b32 v5, v5, v1
	v_add_nc_u32_e32 v6, 8, v2
	v_cmp_lt_u32_e32 vcc_lo, v6, v4
	v_or_b32_e32 v6, 64, v3
	s_wait_dscnt 0x0
	s_wait_alu 0xfffd
	v_cndmask_b32_e32 v5, 0, v5, vcc_lo
	s_delay_alu instid0(VALU_DEP_1) | instskip(SKIP_2) | instid1(VALU_DEP_1)
	v_add_nc_u32_e32 v1, v1, v5
	ds_bpermute_b32 v5, v6, v1
	v_add_nc_u32_e32 v6, 16, v2
	v_cmp_lt_u32_e32 vcc_lo, v6, v4
	s_wait_dscnt 0x0
	s_wait_alu 0xfffd
	v_cndmask_b32_e32 v4, 0, v5, vcc_lo
	s_delay_alu instid0(VALU_DEP_1)
	v_add_nc_u32_e32 v1, v1, v4
	v_cmpx_eq_u32_e32 0, v2
; %bb.363:
	v_lshrrev_b32_e32 v4, 3, v0
	s_delay_alu instid0(VALU_DEP_1)
	v_and_b32_e32 v4, 28, v4
	ds_store_b32 v4, v1 offset:256
; %bb.364:
	s_or_b32 exec_lo, exec_lo, s3
	s_delay_alu instid0(SALU_CYCLE_1)
	s_mov_b32 s3, exec_lo
	s_wait_dscnt 0x0
	s_barrier_signal -1
	s_barrier_wait -1
	global_inv scope:SCOPE_SE
	v_cmpx_gt_u32_e32 8, v0
	s_cbranch_execz .LBB726_366
; %bb.365:
	ds_load_b32 v1, v3 offset:256
	v_and_b32_e32 v4, 7, v2
	s_add_co_i32 s2, s2, 31
	s_wait_alu 0xfffe
	s_lshr_b32 s2, s2, 5
	s_delay_alu instid0(VALU_DEP_1) | instskip(SKIP_4) | instid1(VALU_DEP_2)
	v_cmp_ne_u32_e32 vcc_lo, 7, v4
	v_add_nc_u32_e32 v6, 1, v4
	s_wait_alu 0xfffd
	v_add_co_ci_u32_e64 v5, null, 0, v2, vcc_lo
	v_cmp_gt_u32_e32 vcc_lo, 6, v4
	v_lshlrev_b32_e32 v5, 2, v5
	s_wait_alu 0xfffd
	v_cndmask_b32_e64 v7, 0, 2, vcc_lo
	s_wait_alu 0xfffe
	v_cmp_gt_u32_e32 vcc_lo, s2, v6
	s_wait_dscnt 0x0
	ds_bpermute_b32 v5, v5, v1
	v_add_lshl_u32 v2, v7, v2, 2
	s_wait_dscnt 0x0
	s_wait_alu 0xfffd
	v_cndmask_b32_e32 v5, 0, v5, vcc_lo
	s_delay_alu instid0(VALU_DEP_1)
	v_add_nc_u32_e32 v1, v5, v1
	v_add_nc_u32_e32 v5, 2, v4
	ds_bpermute_b32 v2, v2, v1
	v_cmp_gt_u32_e32 vcc_lo, s2, v5
	s_wait_dscnt 0x0
	s_wait_alu 0xfffd
	v_cndmask_b32_e32 v2, 0, v2, vcc_lo
	s_delay_alu instid0(VALU_DEP_1)
	v_add_nc_u32_e32 v1, v1, v2
	v_or_b32_e32 v2, 16, v3
	v_add_nc_u32_e32 v3, 4, v4
	ds_bpermute_b32 v2, v2, v1
	v_cmp_gt_u32_e32 vcc_lo, s2, v3
	s_wait_dscnt 0x0
	s_wait_alu 0xfffd
	v_cndmask_b32_e32 v2, 0, v2, vcc_lo
	s_delay_alu instid0(VALU_DEP_1)
	v_add_nc_u32_e32 v1, v1, v2
.LBB726_366:
	s_wait_alu 0xfffe
	s_or_b32 exec_lo, exec_lo, s3
.LBB726_367:
	v_cmp_eq_u32_e64 s2, 0, v0
	s_branch .LBB726_512
.LBB726_368:
	s_cmp_eq_u32 s33, 16
	s_cbranch_scc0 .LBB726_375
; %bb.369:
	s_mov_b32 s35, 0
	s_lshl_b32 s2, s34, 12
	s_lshr_b64 s[4:5], s[36:37], 12
	s_mov_b32 s3, s35
	s_cmp_lg_u64 s[4:5], s[34:35]
	s_add_nc_u64 s[16:17], s[40:41], s[2:3]
	s_cbranch_scc0 .LBB726_533
; %bb.370:
	s_clause 0xf
	global_load_u8 v1, v0, s[16:17]
	global_load_u8 v2, v0, s[16:17] offset:256
	global_load_u8 v3, v0, s[16:17] offset:512
	;; [unrolled: 1-line block ×15, first 2 shown]
	s_mov_b32 s3, exec_lo
	s_wait_loadcnt 0xe
	v_add_nc_u16 v1, v2, v1
	s_wait_loadcnt 0xd
	s_delay_alu instid0(VALU_DEP_1) | instskip(SKIP_1) | instid1(VALU_DEP_1)
	v_add_nc_u16 v1, v1, v3
	s_wait_loadcnt 0xc
	v_add_nc_u16 v1, v1, v4
	s_wait_loadcnt 0xb
	s_delay_alu instid0(VALU_DEP_1) | instskip(SKIP_1) | instid1(VALU_DEP_1)
	v_add_nc_u16 v1, v1, v5
	s_wait_loadcnt 0xa
	v_add_nc_u16 v1, v1, v6
	s_wait_loadcnt 0x9
	s_delay_alu instid0(VALU_DEP_1) | instskip(NEXT) | instid1(VALU_DEP_1)
	v_add_nc_u16 v1, v1, v7
	v_and_b32_e32 v1, 0xff, v1
	s_wait_loadcnt 0x8
	s_delay_alu instid0(VALU_DEP_1) | instskip(SKIP_1) | instid1(VALU_DEP_1)
	v_add_nc_u32_e32 v1, v1, v8
	s_wait_loadcnt 0x6
	v_add3_u32 v1, v1, v9, v10
	s_wait_loadcnt 0x4
	s_delay_alu instid0(VALU_DEP_1) | instskip(SKIP_1) | instid1(VALU_DEP_1)
	v_add3_u32 v1, v1, v11, v12
	s_wait_loadcnt 0x2
	v_add3_u32 v1, v1, v13, v14
	s_wait_loadcnt 0x0
	s_delay_alu instid0(VALU_DEP_1) | instskip(NEXT) | instid1(VALU_DEP_1)
	v_add3_u32 v1, v1, v15, v16
	v_mov_b32_dpp v2, v1 quad_perm:[1,0,3,2] row_mask:0xf bank_mask:0xf
	s_delay_alu instid0(VALU_DEP_1) | instskip(NEXT) | instid1(VALU_DEP_1)
	v_add_nc_u32_e32 v1, v2, v1
	v_mov_b32_dpp v2, v1 quad_perm:[2,3,0,1] row_mask:0xf bank_mask:0xf
	s_delay_alu instid0(VALU_DEP_1) | instskip(NEXT) | instid1(VALU_DEP_1)
	v_add_nc_u32_e32 v1, v1, v2
	v_mov_b32_dpp v2, v1 row_ror:4 row_mask:0xf bank_mask:0xf
	s_delay_alu instid0(VALU_DEP_1) | instskip(NEXT) | instid1(VALU_DEP_1)
	v_add_nc_u32_e32 v1, v1, v2
	v_mov_b32_dpp v2, v1 row_ror:8 row_mask:0xf bank_mask:0xf
	s_delay_alu instid0(VALU_DEP_1)
	v_add_nc_u32_e32 v1, v1, v2
	ds_swizzle_b32 v2, v1 offset:swizzle(BROADCAST,32,15)
	s_wait_dscnt 0x0
	v_dual_mov_b32 v2, 0 :: v_dual_add_nc_u32 v1, v1, v2
	ds_bpermute_b32 v1, v2, v1 offset:124
	v_mbcnt_lo_u32_b32 v2, -1, 0
	s_delay_alu instid0(VALU_DEP_1)
	v_cmpx_eq_u32_e32 0, v2
	s_cbranch_execz .LBB726_372
; %bb.371:
	v_lshrrev_b32_e32 v3, 3, v0
	s_delay_alu instid0(VALU_DEP_1)
	v_and_b32_e32 v3, 28, v3
	s_wait_dscnt 0x0
	ds_store_b32 v3, v1 offset:32
.LBB726_372:
	s_or_b32 exec_lo, exec_lo, s3
	s_delay_alu instid0(SALU_CYCLE_1)
	s_mov_b32 s3, exec_lo
	s_wait_dscnt 0x0
	s_barrier_signal -1
	s_barrier_wait -1
	global_inv scope:SCOPE_SE
	v_cmpx_gt_u32_e32 32, v0
	s_cbranch_execz .LBB726_374
; %bb.373:
	v_and_b32_e32 v1, 7, v2
	s_delay_alu instid0(VALU_DEP_1) | instskip(SKIP_4) | instid1(VALU_DEP_2)
	v_lshlrev_b32_e32 v3, 2, v1
	v_cmp_ne_u32_e32 vcc_lo, 7, v1
	ds_load_b32 v3, v3 offset:32
	v_add_co_ci_u32_e64 v4, null, 0, v2, vcc_lo
	v_cmp_gt_u32_e32 vcc_lo, 6, v1
	v_lshlrev_b32_e32 v4, 2, v4
	s_wait_alu 0xfffd
	v_cndmask_b32_e64 v1, 0, 2, vcc_lo
	s_delay_alu instid0(VALU_DEP_1) | instskip(SKIP_1) | instid1(VALU_DEP_1)
	v_add_lshl_u32 v1, v1, v2, 2
	v_lshlrev_b32_e32 v2, 2, v2
	v_or_b32_e32 v2, 16, v2
	s_wait_dscnt 0x0
	ds_bpermute_b32 v4, v4, v3
	s_wait_dscnt 0x0
	v_add_nc_u32_e32 v3, v4, v3
	ds_bpermute_b32 v1, v1, v3
	s_wait_dscnt 0x0
	v_add_nc_u32_e32 v1, v1, v3
	;; [unrolled: 3-line block ×3, first 2 shown]
.LBB726_374:
	s_or_b32 exec_lo, exec_lo, s3
	s_mov_b32 s3, 0
	s_branch .LBB726_534
.LBB726_375:
                                        ; implicit-def: $vgpr1
	s_branch .LBB726_623
.LBB726_376:
	s_mov_b32 s5, -1
                                        ; implicit-def: $vgpr1
.LBB726_377:
	s_wait_alu 0xfffe
	s_and_b32 vcc_lo, exec_lo, s5
	s_wait_alu 0xfffe
	s_cbranch_vccz .LBB726_511
; %bb.378:
	s_sub_co_i32 s4, s36, s4
	s_mov_b32 s5, exec_lo
                                        ; implicit-def: $vgpr1
	s_wait_alu 0xfffe
	v_cmpx_gt_u32_e64 s4, v0
	s_cbranch_execz .LBB726_380
; %bb.379:
	global_load_u8 v1, v0, s[2:3]
.LBB726_380:
	s_or_b32 exec_lo, exec_lo, s5
	v_or_b32_e32 v3, 0x100, v0
	v_mov_b32_e32 v2, 0
	s_delay_alu instid0(VALU_DEP_2)
	v_cmp_gt_u32_e32 vcc_lo, s4, v3
	v_mov_b32_e32 v3, 0
	s_and_saveexec_b32 s5, vcc_lo
	s_cbranch_execz .LBB726_382
; %bb.381:
	global_load_u8 v3, v0, s[2:3] offset:256
.LBB726_382:
	s_wait_alu 0xfffe
	s_or_b32 exec_lo, exec_lo, s5
	v_or_b32_e32 v4, 0x200, v0
	s_mov_b32 s5, exec_lo
	s_delay_alu instid0(VALU_DEP_1)
	v_cmpx_gt_u32_e64 s4, v4
	s_cbranch_execz .LBB726_384
; %bb.383:
	global_load_u8 v2, v0, s[2:3] offset:512
.LBB726_384:
	s_wait_alu 0xfffe
	s_or_b32 exec_lo, exec_lo, s5
	v_or_b32_e32 v5, 0x300, v0
	v_mov_b32_e32 v4, 0
	s_delay_alu instid0(VALU_DEP_2)
	v_cmp_gt_u32_e32 vcc_lo, s4, v5
	v_mov_b32_e32 v5, 0
	s_and_saveexec_b32 s5, vcc_lo
	s_cbranch_execz .LBB726_386
; %bb.385:
	global_load_u8 v5, v0, s[2:3] offset:768
.LBB726_386:
	s_wait_alu 0xfffe
	s_or_b32 exec_lo, exec_lo, s5
	v_or_b32_e32 v6, 0x400, v0
	s_mov_b32 s5, exec_lo
	s_delay_alu instid0(VALU_DEP_1)
	v_cmpx_gt_u32_e64 s4, v6
	s_cbranch_execz .LBB726_388
; %bb.387:
	global_load_u8 v4, v0, s[2:3] offset:1024
.LBB726_388:
	s_wait_alu 0xfffe
	;; [unrolled: 22-line block ×31, first 2 shown]
	s_or_b32 exec_lo, exec_lo, s5
	v_or_b32_e32 v64, 0x3f00, v0
	s_delay_alu instid0(VALU_DEP_1)
	v_cmp_gt_u32_e32 vcc_lo, s4, v64
	v_mov_b32_e32 v64, 0
	s_and_saveexec_b32 s5, vcc_lo
	s_cbranch_execz .LBB726_506
; %bb.505:
	global_load_u8 v64, v0, s[2:3] offset:16128
.LBB726_506:
	s_wait_alu 0xfffe
	s_or_b32 exec_lo, exec_lo, s5
	s_wait_loadcnt 0x0
	v_add_nc_u32_e32 v1, v3, v1
	s_min_u32 s2, s4, 0x100
	s_mov_b32 s3, exec_lo
	s_delay_alu instid0(VALU_DEP_1) | instskip(SKIP_1) | instid1(VALU_DEP_2)
	v_add3_u32 v1, v1, v2, v5
	v_mbcnt_lo_u32_b32 v2, -1, 0
	v_add3_u32 v1, v1, v4, v7
	s_delay_alu instid0(VALU_DEP_2) | instskip(SKIP_1) | instid1(VALU_DEP_3)
	v_cmp_ne_u32_e32 vcc_lo, 31, v2
	v_add_nc_u32_e32 v5, 1, v2
	v_add3_u32 v1, v1, v6, v9
	s_wait_alu 0xfffd
	v_add_co_ci_u32_e64 v3, null, 0, v2, vcc_lo
	v_cmp_gt_u32_e32 vcc_lo, 30, v2
	s_delay_alu instid0(VALU_DEP_3) | instskip(NEXT) | instid1(VALU_DEP_3)
	v_add3_u32 v1, v1, v8, v11
	v_lshlrev_b32_e32 v3, 2, v3
	s_wait_alu 0xfffd
	v_cndmask_b32_e64 v6, 0, 2, vcc_lo
	s_delay_alu instid0(VALU_DEP_3) | instskip(NEXT) | instid1(VALU_DEP_1)
	v_add3_u32 v1, v1, v10, v13
	v_add3_u32 v1, v1, v12, v15
	s_delay_alu instid0(VALU_DEP_1) | instskip(NEXT) | instid1(VALU_DEP_1)
	v_add3_u32 v1, v1, v14, v17
	v_add3_u32 v1, v1, v16, v19
	s_delay_alu instid0(VALU_DEP_1) | instskip(NEXT) | instid1(VALU_DEP_1)
	;; [unrolled: 3-line block ×12, first 2 shown]
	v_add3_u32 v1, v1, v58, v61
	v_add3_u32 v1, v1, v60, v63
	s_delay_alu instid0(VALU_DEP_1) | instskip(SKIP_3) | instid1(VALU_DEP_1)
	v_add3_u32 v1, v1, v62, v64
	ds_bpermute_b32 v3, v3, v1
	v_and_b32_e32 v4, 0xe0, v0
	s_wait_alu 0xfffe
	v_sub_nc_u32_e64 v4, s2, v4 clamp
	s_delay_alu instid0(VALU_DEP_1)
	v_cmp_lt_u32_e32 vcc_lo, v5, v4
	v_add_lshl_u32 v5, v6, v2, 2
	s_wait_dscnt 0x0
	s_wait_alu 0xfffd
	v_cndmask_b32_e32 v3, 0, v3, vcc_lo
	v_cmp_gt_u32_e32 vcc_lo, 28, v2
	s_delay_alu instid0(VALU_DEP_2) | instskip(SKIP_4) | instid1(VALU_DEP_1)
	v_add_nc_u32_e32 v1, v3, v1
	s_wait_alu 0xfffd
	v_cndmask_b32_e64 v6, 0, 4, vcc_lo
	ds_bpermute_b32 v3, v5, v1
	v_add_nc_u32_e32 v5, 2, v2
	v_cmp_lt_u32_e32 vcc_lo, v5, v4
	v_add_lshl_u32 v5, v6, v2, 2
	s_wait_dscnt 0x0
	s_wait_alu 0xfffd
	v_cndmask_b32_e32 v3, 0, v3, vcc_lo
	v_cmp_gt_u32_e32 vcc_lo, 24, v2
	s_delay_alu instid0(VALU_DEP_2) | instskip(SKIP_4) | instid1(VALU_DEP_1)
	v_add_nc_u32_e32 v1, v1, v3
	s_wait_alu 0xfffd
	v_cndmask_b32_e64 v6, 0, 8, vcc_lo
	ds_bpermute_b32 v3, v5, v1
	v_add_nc_u32_e32 v5, 4, v2
	v_cmp_lt_u32_e32 vcc_lo, v5, v4
	v_add_lshl_u32 v5, v6, v2, 2
	s_wait_dscnt 0x0
	s_wait_alu 0xfffd
	v_dual_cndmask_b32 v3, 0, v3 :: v_dual_add_nc_u32 v6, 8, v2
	s_delay_alu instid0(VALU_DEP_1) | instskip(NEXT) | instid1(VALU_DEP_2)
	v_cmp_lt_u32_e32 vcc_lo, v6, v4
	v_add_nc_u32_e32 v1, v1, v3
	v_lshlrev_b32_e32 v3, 2, v2
	ds_bpermute_b32 v5, v5, v1
	v_or_b32_e32 v6, 64, v3
	s_wait_dscnt 0x0
	s_wait_alu 0xfffd
	v_cndmask_b32_e32 v5, 0, v5, vcc_lo
	s_delay_alu instid0(VALU_DEP_1) | instskip(SKIP_2) | instid1(VALU_DEP_1)
	v_add_nc_u32_e32 v1, v1, v5
	ds_bpermute_b32 v5, v6, v1
	v_add_nc_u32_e32 v6, 16, v2
	v_cmp_lt_u32_e32 vcc_lo, v6, v4
	s_wait_dscnt 0x0
	s_wait_alu 0xfffd
	v_cndmask_b32_e32 v4, 0, v5, vcc_lo
	s_delay_alu instid0(VALU_DEP_1)
	v_add_nc_u32_e32 v1, v1, v4
	v_cmpx_eq_u32_e32 0, v2
; %bb.507:
	v_lshrrev_b32_e32 v4, 3, v0
	s_delay_alu instid0(VALU_DEP_1)
	v_and_b32_e32 v4, 28, v4
	ds_store_b32 v4, v1 offset:256
; %bb.508:
	s_or_b32 exec_lo, exec_lo, s3
	s_delay_alu instid0(SALU_CYCLE_1)
	s_mov_b32 s3, exec_lo
	s_wait_dscnt 0x0
	s_barrier_signal -1
	s_barrier_wait -1
	global_inv scope:SCOPE_SE
	v_cmpx_gt_u32_e32 8, v0
	s_cbranch_execz .LBB726_510
; %bb.509:
	ds_load_b32 v1, v3 offset:256
	v_and_b32_e32 v4, 7, v2
	s_add_co_i32 s2, s2, 31
	s_wait_alu 0xfffe
	s_lshr_b32 s2, s2, 5
	s_delay_alu instid0(VALU_DEP_1) | instskip(SKIP_4) | instid1(VALU_DEP_2)
	v_cmp_ne_u32_e32 vcc_lo, 7, v4
	v_add_nc_u32_e32 v6, 1, v4
	s_wait_alu 0xfffd
	v_add_co_ci_u32_e64 v5, null, 0, v2, vcc_lo
	v_cmp_gt_u32_e32 vcc_lo, 6, v4
	v_lshlrev_b32_e32 v5, 2, v5
	s_wait_alu 0xfffd
	v_cndmask_b32_e64 v7, 0, 2, vcc_lo
	s_wait_alu 0xfffe
	v_cmp_gt_u32_e32 vcc_lo, s2, v6
	s_wait_dscnt 0x0
	ds_bpermute_b32 v5, v5, v1
	v_add_lshl_u32 v2, v7, v2, 2
	s_wait_dscnt 0x0
	s_wait_alu 0xfffd
	v_cndmask_b32_e32 v5, 0, v5, vcc_lo
	s_delay_alu instid0(VALU_DEP_1)
	v_add_nc_u32_e32 v1, v5, v1
	v_add_nc_u32_e32 v5, 2, v4
	ds_bpermute_b32 v2, v2, v1
	v_cmp_gt_u32_e32 vcc_lo, s2, v5
	s_wait_dscnt 0x0
	s_wait_alu 0xfffd
	v_cndmask_b32_e32 v2, 0, v2, vcc_lo
	s_delay_alu instid0(VALU_DEP_1)
	v_add_nc_u32_e32 v1, v1, v2
	v_or_b32_e32 v2, 16, v3
	v_add_nc_u32_e32 v3, 4, v4
	ds_bpermute_b32 v2, v2, v1
	v_cmp_gt_u32_e32 vcc_lo, s2, v3
	s_wait_dscnt 0x0
	s_wait_alu 0xfffd
	v_cndmask_b32_e32 v2, 0, v2, vcc_lo
	s_delay_alu instid0(VALU_DEP_1)
	v_add_nc_u32_e32 v1, v1, v2
.LBB726_510:
	s_wait_alu 0xfffe
	s_or_b32 exec_lo, exec_lo, s3
.LBB726_511:
	v_cmp_eq_u32_e64 s2, 0, v0
.LBB726_512:
	s_branch .LBB726_623
.LBB726_513:
	s_cmp_gt_i32 s33, 3
	s_cbranch_scc0 .LBB726_522
; %bb.514:
	s_cmp_gt_i32 s33, 7
	s_cbranch_scc0 .LBB726_523
; %bb.515:
	s_cmp_eq_u32 s33, 8
	s_cbranch_scc0 .LBB726_531
; %bb.516:
	s_mov_b32 s35, 0
	s_lshl_b32 s2, s34, 11
	s_lshr_b64 s[4:5], s[36:37], 11
	s_mov_b32 s3, s35
	s_cmp_lg_u64 s[4:5], s[34:35]
	s_add_nc_u64 s[8:9], s[40:41], s[2:3]
	s_cbranch_scc0 .LBB726_573
; %bb.517:
	s_clause 0x7
	global_load_u8 v1, v0, s[8:9]
	global_load_u8 v2, v0, s[8:9] offset:256
	global_load_u8 v3, v0, s[8:9] offset:512
	;; [unrolled: 1-line block ×7, first 2 shown]
	s_mov_b32 s3, exec_lo
	s_wait_loadcnt 0x6
	v_add_nc_u16 v1, v2, v1
	s_wait_loadcnt 0x5
	s_delay_alu instid0(VALU_DEP_1) | instskip(SKIP_1) | instid1(VALU_DEP_1)
	v_add_nc_u16 v1, v1, v3
	s_wait_loadcnt 0x4
	v_add_nc_u16 v1, v1, v4
	s_wait_loadcnt 0x3
	s_delay_alu instid0(VALU_DEP_1) | instskip(SKIP_1) | instid1(VALU_DEP_1)
	v_add_nc_u16 v1, v1, v5
	s_wait_loadcnt 0x2
	v_add_nc_u16 v1, v1, v6
	s_wait_loadcnt 0x1
	s_delay_alu instid0(VALU_DEP_1) | instskip(NEXT) | instid1(VALU_DEP_1)
	v_add_nc_u16 v1, v1, v7
	v_and_b32_e32 v1, 0xff, v1
	s_wait_loadcnt 0x0
	s_delay_alu instid0(VALU_DEP_1) | instskip(NEXT) | instid1(VALU_DEP_1)
	v_add_nc_u32_e32 v1, v1, v8
	v_mov_b32_dpp v2, v1 quad_perm:[1,0,3,2] row_mask:0xf bank_mask:0xf
	s_delay_alu instid0(VALU_DEP_1) | instskip(NEXT) | instid1(VALU_DEP_1)
	v_add_nc_u32_e32 v1, v2, v1
	v_mov_b32_dpp v2, v1 quad_perm:[2,3,0,1] row_mask:0xf bank_mask:0xf
	s_delay_alu instid0(VALU_DEP_1) | instskip(NEXT) | instid1(VALU_DEP_1)
	v_add_nc_u32_e32 v1, v1, v2
	v_mov_b32_dpp v2, v1 row_ror:4 row_mask:0xf bank_mask:0xf
	s_delay_alu instid0(VALU_DEP_1) | instskip(NEXT) | instid1(VALU_DEP_1)
	v_add_nc_u32_e32 v1, v1, v2
	v_mov_b32_dpp v2, v1 row_ror:8 row_mask:0xf bank_mask:0xf
	s_delay_alu instid0(VALU_DEP_1)
	v_add_nc_u32_e32 v1, v1, v2
	ds_swizzle_b32 v2, v1 offset:swizzle(BROADCAST,32,15)
	s_wait_dscnt 0x0
	v_dual_mov_b32 v2, 0 :: v_dual_add_nc_u32 v1, v1, v2
	ds_bpermute_b32 v1, v2, v1 offset:124
	v_mbcnt_lo_u32_b32 v2, -1, 0
	s_delay_alu instid0(VALU_DEP_1)
	v_cmpx_eq_u32_e32 0, v2
	s_cbranch_execz .LBB726_519
; %bb.518:
	v_lshrrev_b32_e32 v3, 3, v0
	s_delay_alu instid0(VALU_DEP_1)
	v_and_b32_e32 v3, 28, v3
	s_wait_dscnt 0x0
	ds_store_b32 v3, v1 offset:224
.LBB726_519:
	s_or_b32 exec_lo, exec_lo, s3
	s_delay_alu instid0(SALU_CYCLE_1)
	s_mov_b32 s3, exec_lo
	s_wait_dscnt 0x0
	s_barrier_signal -1
	s_barrier_wait -1
	global_inv scope:SCOPE_SE
	v_cmpx_gt_u32_e32 32, v0
	s_cbranch_execz .LBB726_521
; %bb.520:
	v_lshl_or_b32 v1, v2, 2, 0xe0
	v_and_b32_e32 v3, 7, v2
	ds_load_b32 v1, v1
	v_cmp_ne_u32_e32 vcc_lo, 7, v3
	v_add_co_ci_u32_e64 v4, null, 0, v2, vcc_lo
	v_cmp_gt_u32_e32 vcc_lo, 6, v3
	s_delay_alu instid0(VALU_DEP_2) | instskip(SKIP_2) | instid1(VALU_DEP_1)
	v_lshlrev_b32_e32 v4, 2, v4
	s_wait_alu 0xfffd
	v_cndmask_b32_e64 v3, 0, 2, vcc_lo
	v_add_lshl_u32 v3, v3, v2, 2
	v_lshlrev_b32_e32 v2, 2, v2
	s_wait_dscnt 0x0
	ds_bpermute_b32 v4, v4, v1
	v_or_b32_e32 v2, 16, v2
	s_wait_dscnt 0x0
	v_add_nc_u32_e32 v1, v4, v1
	ds_bpermute_b32 v3, v3, v1
	s_wait_dscnt 0x0
	v_add_nc_u32_e32 v1, v3, v1
	ds_bpermute_b32 v2, v2, v1
	s_wait_dscnt 0x0
	v_add_nc_u32_e32 v1, v2, v1
.LBB726_521:
	s_or_b32 exec_lo, exec_lo, s3
	s_mov_b32 s3, 0
	s_branch .LBB726_574
.LBB726_522:
                                        ; implicit-def: $vgpr1
	s_cbranch_execnz .LBB726_614
	s_branch .LBB726_623
.LBB726_523:
                                        ; implicit-def: $vgpr1
	s_cbranch_execz .LBB726_597
; %bb.524:
	s_cmp_eq_u32 s33, 4
	s_cbranch_scc0 .LBB726_532
; %bb.525:
	s_mov_b32 s35, 0
	s_lshl_b32 s2, s34, 10
	s_lshr_b64 s[4:5], s[36:37], 10
	s_mov_b32 s3, s35
	s_cmp_lg_u64 s[4:5], s[34:35]
	s_add_nc_u64 s[4:5], s[40:41], s[2:3]
	s_cbranch_scc0 .LBB726_598
; %bb.526:
	s_clause 0x3
	global_load_u8 v1, v0, s[4:5]
	global_load_u8 v2, v0, s[4:5] offset:256
	global_load_u8 v3, v0, s[4:5] offset:512
	;; [unrolled: 1-line block ×3, first 2 shown]
	s_mov_b32 s3, exec_lo
	s_wait_loadcnt 0x2
	v_add_nc_u16 v1, v2, v1
	s_wait_loadcnt 0x1
	s_delay_alu instid0(VALU_DEP_1) | instskip(SKIP_1) | instid1(VALU_DEP_1)
	v_add_nc_u16 v1, v1, v3
	s_wait_loadcnt 0x0
	v_add_nc_u16 v1, v1, v4
	s_delay_alu instid0(VALU_DEP_1) | instskip(NEXT) | instid1(VALU_DEP_1)
	v_and_b32_e32 v1, 15, v1
	v_mov_b32_dpp v2, v1 quad_perm:[1,0,3,2] row_mask:0xf bank_mask:0xf
	s_delay_alu instid0(VALU_DEP_1) | instskip(NEXT) | instid1(VALU_DEP_1)
	v_add_nc_u32_e32 v1, v2, v1
	v_mov_b32_dpp v2, v1 quad_perm:[2,3,0,1] row_mask:0xf bank_mask:0xf
	s_delay_alu instid0(VALU_DEP_1) | instskip(NEXT) | instid1(VALU_DEP_1)
	v_add_nc_u32_e32 v1, v1, v2
	v_mov_b32_dpp v2, v1 row_ror:4 row_mask:0xf bank_mask:0xf
	s_delay_alu instid0(VALU_DEP_1) | instskip(NEXT) | instid1(VALU_DEP_1)
	v_add_nc_u32_e32 v1, v1, v2
	v_mov_b32_dpp v2, v1 row_ror:8 row_mask:0xf bank_mask:0xf
	s_delay_alu instid0(VALU_DEP_1)
	v_add_nc_u32_e32 v1, v1, v2
	ds_swizzle_b32 v2, v1 offset:swizzle(BROADCAST,32,15)
	s_wait_dscnt 0x0
	v_dual_mov_b32 v2, 0 :: v_dual_add_nc_u32 v1, v1, v2
	ds_bpermute_b32 v1, v2, v1 offset:124
	v_mbcnt_lo_u32_b32 v2, -1, 0
	s_delay_alu instid0(VALU_DEP_1)
	v_cmpx_eq_u32_e32 0, v2
	s_cbranch_execz .LBB726_528
; %bb.527:
	v_lshrrev_b32_e32 v3, 3, v0
	s_delay_alu instid0(VALU_DEP_1)
	v_and_b32_e32 v3, 28, v3
	s_wait_dscnt 0x0
	ds_store_b32 v3, v1 offset:160
.LBB726_528:
	s_or_b32 exec_lo, exec_lo, s3
	s_delay_alu instid0(SALU_CYCLE_1)
	s_mov_b32 s3, exec_lo
	s_wait_dscnt 0x0
	s_barrier_signal -1
	s_barrier_wait -1
	global_inv scope:SCOPE_SE
	v_cmpx_gt_u32_e32 32, v0
	s_cbranch_execz .LBB726_530
; %bb.529:
	v_and_b32_e32 v1, 7, v2
	s_delay_alu instid0(VALU_DEP_1) | instskip(SKIP_4) | instid1(VALU_DEP_2)
	v_lshlrev_b32_e32 v3, 2, v1
	v_cmp_ne_u32_e32 vcc_lo, 7, v1
	ds_load_b32 v3, v3 offset:160
	v_add_co_ci_u32_e64 v4, null, 0, v2, vcc_lo
	v_cmp_gt_u32_e32 vcc_lo, 6, v1
	v_lshlrev_b32_e32 v4, 2, v4
	s_wait_alu 0xfffd
	v_cndmask_b32_e64 v1, 0, 2, vcc_lo
	s_delay_alu instid0(VALU_DEP_1) | instskip(SKIP_1) | instid1(VALU_DEP_1)
	v_add_lshl_u32 v1, v1, v2, 2
	v_lshlrev_b32_e32 v2, 2, v2
	v_or_b32_e32 v2, 16, v2
	s_wait_dscnt 0x0
	ds_bpermute_b32 v4, v4, v3
	s_wait_dscnt 0x0
	v_add_nc_u32_e32 v3, v4, v3
	ds_bpermute_b32 v1, v1, v3
	s_wait_dscnt 0x0
	v_add_nc_u32_e32 v1, v1, v3
	;; [unrolled: 3-line block ×3, first 2 shown]
.LBB726_530:
	s_or_b32 exec_lo, exec_lo, s3
	s_mov_b32 s3, 0
	s_branch .LBB726_599
.LBB726_531:
                                        ; implicit-def: $vgpr1
	s_branch .LBB726_597
.LBB726_532:
                                        ; implicit-def: $vgpr1
	s_branch .LBB726_623
.LBB726_533:
	s_mov_b32 s3, -1
                                        ; implicit-def: $vgpr1
.LBB726_534:
	s_delay_alu instid0(SALU_CYCLE_1)
	s_and_b32 vcc_lo, exec_lo, s3
	s_wait_alu 0xfffe
	s_cbranch_vccz .LBB726_572
; %bb.535:
	v_mov_b32_e32 v1, 0
	s_sub_co_i32 s18, s36, s2
	s_mov_b32 s2, exec_lo
	s_delay_alu instid0(VALU_DEP_1)
	v_dual_mov_b32 v2, v1 :: v_dual_mov_b32 v3, v1
	v_dual_mov_b32 v4, v1 :: v_dual_mov_b32 v5, v1
	;; [unrolled: 1-line block ×7, first 2 shown]
	v_mov_b32_e32 v16, v1
	v_cmpx_gt_u32_e64 s18, v0
	s_cbranch_execz .LBB726_537
; %bb.536:
	v_dual_mov_b32 v2, v1 :: v_dual_mov_b32 v3, v1
	v_dual_mov_b32 v16, v1 :: v_dual_mov_b32 v17, v1
	;; [unrolled: 1-line block ×3, first 2 shown]
	global_load_d16_u8 v2, v0, s[16:17]
	v_dual_mov_b32 v6, v1 :: v_dual_mov_b32 v7, v1
	v_dual_mov_b32 v8, v1 :: v_dual_mov_b32 v9, v1
	;; [unrolled: 1-line block ×5, first 2 shown]
	s_wait_loadcnt 0x0
	v_mov_b32_e32 v1, v2
	v_mov_b32_e32 v2, v3
	;; [unrolled: 1-line block ×16, first 2 shown]
.LBB726_537:
	s_or_b32 exec_lo, exec_lo, s2
	v_or_b32_e32 v17, 0x100, v0
	s_delay_alu instid0(VALU_DEP_1)
	v_cmp_gt_u32_e32 vcc_lo, s18, v17
	s_and_saveexec_b32 s2, vcc_lo
	s_cbranch_execz .LBB726_539
; %bb.538:
	global_load_u8 v2, v0, s[16:17] offset:256
.LBB726_539:
	s_or_b32 exec_lo, exec_lo, s2
	v_or_b32_e32 v17, 0x200, v0
	s_delay_alu instid0(VALU_DEP_1)
	v_cmp_gt_u32_e64 s2, s18, v17
	s_and_saveexec_b32 s3, s2
	s_cbranch_execz .LBB726_541
; %bb.540:
	global_load_u8 v3, v0, s[16:17] offset:512
.LBB726_541:
	s_or_b32 exec_lo, exec_lo, s3
	v_or_b32_e32 v17, 0x300, v0
	s_delay_alu instid0(VALU_DEP_1)
	v_cmp_gt_u32_e64 s3, s18, v17
	s_and_saveexec_b32 s4, s3
	;; [unrolled: 9-line block ×14, first 2 shown]
	s_cbranch_execz .LBB726_567
; %bb.566:
	global_load_u8 v16, v0, s[16:17] offset:3840
.LBB726_567:
	s_wait_alu 0xfffe
	s_or_b32 exec_lo, exec_lo, s19
	s_wait_loadcnt 0x0
	v_cndmask_b32_e32 v2, 0, v2, vcc_lo
	v_cndmask_b32_e64 v3, 0, v3, s2
	v_cndmask_b32_e64 v4, 0, v4, s3
	s_min_u32 s2, s18, 0x100
	s_mov_b32 s3, exec_lo
	v_add_nc_u32_e32 v1, v2, v1
	v_cndmask_b32_e64 v2, 0, v5, s4
	v_cndmask_b32_e64 v5, 0, v6, s5
	;; [unrolled: 1-line block ×3, first 2 shown]
	s_delay_alu instid0(VALU_DEP_4) | instskip(SKIP_3) | instid1(VALU_DEP_4)
	v_add3_u32 v1, v1, v3, v4
	v_cndmask_b32_e64 v3, 0, v7, s6
	v_cndmask_b32_e64 v4, 0, v8, s7
	;; [unrolled: 1-line block ×3, first 2 shown]
	v_add3_u32 v1, v1, v2, v5
	v_cndmask_b32_e64 v2, 0, v9, s8
	v_cndmask_b32_e64 v5, 0, v10, s9
	s_delay_alu instid0(VALU_DEP_3) | instskip(SKIP_2) | instid1(VALU_DEP_3)
	v_add3_u32 v1, v1, v3, v4
	v_cndmask_b32_e64 v3, 0, v11, s10
	v_cndmask_b32_e64 v4, 0, v12, s11
	v_add3_u32 v1, v1, v2, v5
	v_mbcnt_lo_u32_b32 v2, -1, 0
	v_cndmask_b32_e64 v5, 0, v13, s12
	s_delay_alu instid0(VALU_DEP_3) | instskip(NEXT) | instid1(VALU_DEP_3)
	v_add3_u32 v1, v1, v3, v4
	v_cmp_ne_u32_e32 vcc_lo, 31, v2
	v_cndmask_b32_e64 v3, 0, v16, s15
	s_delay_alu instid0(VALU_DEP_3)
	v_add3_u32 v1, v1, v5, v6
	s_wait_alu 0xfffd
	v_add_co_ci_u32_e64 v4, null, 0, v2, vcc_lo
	v_add_nc_u32_e32 v5, 1, v2
	v_cmp_gt_u32_e32 vcc_lo, 30, v2
	v_add3_u32 v1, v1, v7, v3
	s_delay_alu instid0(VALU_DEP_4)
	v_lshlrev_b32_e32 v4, 2, v4
	s_wait_alu 0xfffd
	v_cndmask_b32_e64 v6, 0, 2, vcc_lo
	ds_bpermute_b32 v3, v4, v1
	v_and_b32_e32 v4, 0xe0, v0
	s_wait_alu 0xfffe
	s_delay_alu instid0(VALU_DEP_1) | instskip(NEXT) | instid1(VALU_DEP_1)
	v_sub_nc_u32_e64 v4, s2, v4 clamp
	v_cmp_lt_u32_e32 vcc_lo, v5, v4
	v_add_lshl_u32 v5, v6, v2, 2
	s_wait_dscnt 0x0
	s_wait_alu 0xfffd
	v_cndmask_b32_e32 v3, 0, v3, vcc_lo
	v_cmp_gt_u32_e32 vcc_lo, 28, v2
	s_delay_alu instid0(VALU_DEP_2) | instskip(SKIP_4) | instid1(VALU_DEP_1)
	v_add_nc_u32_e32 v1, v1, v3
	s_wait_alu 0xfffd
	v_cndmask_b32_e64 v6, 0, 4, vcc_lo
	ds_bpermute_b32 v3, v5, v1
	v_add_nc_u32_e32 v5, 2, v2
	v_cmp_lt_u32_e32 vcc_lo, v5, v4
	v_add_lshl_u32 v5, v6, v2, 2
	s_wait_dscnt 0x0
	s_wait_alu 0xfffd
	v_cndmask_b32_e32 v3, 0, v3, vcc_lo
	v_cmp_gt_u32_e32 vcc_lo, 24, v2
	s_delay_alu instid0(VALU_DEP_2) | instskip(SKIP_4) | instid1(VALU_DEP_1)
	v_add_nc_u32_e32 v1, v1, v3
	s_wait_alu 0xfffd
	v_cndmask_b32_e64 v6, 0, 8, vcc_lo
	ds_bpermute_b32 v3, v5, v1
	v_add_nc_u32_e32 v5, 4, v2
	v_cmp_lt_u32_e32 vcc_lo, v5, v4
	v_add_lshl_u32 v5, v6, v2, 2
	s_wait_dscnt 0x0
	s_wait_alu 0xfffd
	v_cndmask_b32_e32 v3, 0, v3, vcc_lo
	s_delay_alu instid0(VALU_DEP_1) | instskip(SKIP_3) | instid1(VALU_DEP_1)
	v_add_nc_u32_e32 v1, v1, v3
	v_lshlrev_b32_e32 v3, 2, v2
	ds_bpermute_b32 v5, v5, v1
	v_add_nc_u32_e32 v6, 8, v2
	v_cmp_lt_u32_e32 vcc_lo, v6, v4
	v_or_b32_e32 v6, 64, v3
	s_wait_dscnt 0x0
	s_wait_alu 0xfffd
	v_cndmask_b32_e32 v5, 0, v5, vcc_lo
	s_delay_alu instid0(VALU_DEP_1) | instskip(SKIP_2) | instid1(VALU_DEP_1)
	v_add_nc_u32_e32 v1, v1, v5
	ds_bpermute_b32 v5, v6, v1
	v_add_nc_u32_e32 v6, 16, v2
	v_cmp_lt_u32_e32 vcc_lo, v6, v4
	s_wait_dscnt 0x0
	s_wait_alu 0xfffd
	v_cndmask_b32_e32 v4, 0, v5, vcc_lo
	s_delay_alu instid0(VALU_DEP_1)
	v_add_nc_u32_e32 v1, v1, v4
	v_cmpx_eq_u32_e32 0, v2
; %bb.568:
	v_lshrrev_b32_e32 v4, 3, v0
	s_delay_alu instid0(VALU_DEP_1)
	v_and_b32_e32 v4, 28, v4
	ds_store_b32 v4, v1 offset:256
; %bb.569:
	s_or_b32 exec_lo, exec_lo, s3
	s_delay_alu instid0(SALU_CYCLE_1)
	s_mov_b32 s3, exec_lo
	s_wait_dscnt 0x0
	s_barrier_signal -1
	s_barrier_wait -1
	global_inv scope:SCOPE_SE
	v_cmpx_gt_u32_e32 8, v0
	s_cbranch_execz .LBB726_571
; %bb.570:
	ds_load_b32 v1, v3 offset:256
	v_and_b32_e32 v4, 7, v2
	s_add_co_i32 s2, s2, 31
	s_wait_alu 0xfffe
	s_lshr_b32 s2, s2, 5
	s_delay_alu instid0(VALU_DEP_1) | instskip(SKIP_4) | instid1(VALU_DEP_2)
	v_cmp_ne_u32_e32 vcc_lo, 7, v4
	v_add_nc_u32_e32 v6, 1, v4
	s_wait_alu 0xfffd
	v_add_co_ci_u32_e64 v5, null, 0, v2, vcc_lo
	v_cmp_gt_u32_e32 vcc_lo, 6, v4
	v_lshlrev_b32_e32 v5, 2, v5
	s_wait_alu 0xfffd
	v_cndmask_b32_e64 v7, 0, 2, vcc_lo
	s_wait_alu 0xfffe
	v_cmp_gt_u32_e32 vcc_lo, s2, v6
	s_wait_dscnt 0x0
	ds_bpermute_b32 v5, v5, v1
	v_add_lshl_u32 v2, v7, v2, 2
	s_wait_dscnt 0x0
	s_wait_alu 0xfffd
	v_cndmask_b32_e32 v5, 0, v5, vcc_lo
	s_delay_alu instid0(VALU_DEP_1)
	v_add_nc_u32_e32 v1, v5, v1
	v_add_nc_u32_e32 v5, 2, v4
	ds_bpermute_b32 v2, v2, v1
	v_cmp_gt_u32_e32 vcc_lo, s2, v5
	s_wait_dscnt 0x0
	s_wait_alu 0xfffd
	v_cndmask_b32_e32 v2, 0, v2, vcc_lo
	s_delay_alu instid0(VALU_DEP_1)
	v_add_nc_u32_e32 v1, v1, v2
	v_or_b32_e32 v2, 16, v3
	v_add_nc_u32_e32 v3, 4, v4
	ds_bpermute_b32 v2, v2, v1
	v_cmp_gt_u32_e32 vcc_lo, s2, v3
	s_wait_dscnt 0x0
	s_wait_alu 0xfffd
	v_cndmask_b32_e32 v2, 0, v2, vcc_lo
	s_delay_alu instid0(VALU_DEP_1)
	v_add_nc_u32_e32 v1, v1, v2
.LBB726_571:
	s_wait_alu 0xfffe
	s_or_b32 exec_lo, exec_lo, s3
.LBB726_572:
	v_cmp_eq_u32_e64 s2, 0, v0
	s_branch .LBB726_623
.LBB726_573:
	s_mov_b32 s3, -1
                                        ; implicit-def: $vgpr1
.LBB726_574:
	s_delay_alu instid0(SALU_CYCLE_1)
	s_and_b32 vcc_lo, exec_lo, s3
	s_wait_alu 0xfffe
	s_cbranch_vccz .LBB726_596
; %bb.575:
	v_mov_b32_e32 v1, 0
	s_sub_co_i32 s10, s36, s2
	s_mov_b32 s2, exec_lo
	s_delay_alu instid0(VALU_DEP_1)
	v_dual_mov_b32 v2, v1 :: v_dual_mov_b32 v3, v1
	v_dual_mov_b32 v4, v1 :: v_dual_mov_b32 v5, v1
	;; [unrolled: 1-line block ×3, first 2 shown]
	v_mov_b32_e32 v8, v1
	v_cmpx_gt_u32_e64 s10, v0
	s_cbranch_execz .LBB726_577
; %bb.576:
	v_dual_mov_b32 v2, v1 :: v_dual_mov_b32 v3, v1
	v_dual_mov_b32 v8, v1 :: v_dual_mov_b32 v9, v1
	;; [unrolled: 1-line block ×3, first 2 shown]
	global_load_d16_u8 v2, v0, s[8:9]
	v_dual_mov_b32 v6, v1 :: v_dual_mov_b32 v7, v1
	s_wait_loadcnt 0x0
	v_mov_b32_e32 v1, v2
	v_mov_b32_e32 v2, v3
	;; [unrolled: 1-line block ×8, first 2 shown]
.LBB726_577:
	s_or_b32 exec_lo, exec_lo, s2
	v_or_b32_e32 v9, 0x100, v0
	s_delay_alu instid0(VALU_DEP_1)
	v_cmp_gt_u32_e32 vcc_lo, s10, v9
	s_and_saveexec_b32 s2, vcc_lo
	s_cbranch_execz .LBB726_579
; %bb.578:
	global_load_u8 v2, v0, s[8:9] offset:256
.LBB726_579:
	s_or_b32 exec_lo, exec_lo, s2
	v_or_b32_e32 v9, 0x200, v0
	s_delay_alu instid0(VALU_DEP_1)
	v_cmp_gt_u32_e64 s2, s10, v9
	s_and_saveexec_b32 s3, s2
	s_cbranch_execz .LBB726_581
; %bb.580:
	global_load_u8 v3, v0, s[8:9] offset:512
.LBB726_581:
	s_or_b32 exec_lo, exec_lo, s3
	v_or_b32_e32 v9, 0x300, v0
	s_delay_alu instid0(VALU_DEP_1)
	v_cmp_gt_u32_e64 s3, s10, v9
	s_and_saveexec_b32 s4, s3
	;; [unrolled: 9-line block ×6, first 2 shown]
	s_cbranch_execz .LBB726_591
; %bb.590:
	global_load_u8 v8, v0, s[8:9] offset:1792
.LBB726_591:
	s_wait_alu 0xfffe
	s_or_b32 exec_lo, exec_lo, s11
	s_wait_loadcnt 0x0
	v_cndmask_b32_e32 v2, 0, v2, vcc_lo
	v_cndmask_b32_e64 v3, 0, v3, s2
	v_cndmask_b32_e64 v4, 0, v4, s3
	;; [unrolled: 1-line block ×4, first 2 shown]
	v_add_nc_u32_e32 v1, v2, v1
	v_mbcnt_lo_u32_b32 v2, -1, 0
	v_cndmask_b32_e64 v7, 0, v7, s6
	s_min_u32 s2, s10, 0x100
	s_mov_b32 s3, exec_lo
	v_add3_u32 v1, v1, v3, v4
	v_cmp_ne_u32_e32 vcc_lo, 31, v2
	v_cndmask_b32_e64 v3, 0, v8, s7
	s_delay_alu instid0(VALU_DEP_3)
	v_add3_u32 v1, v1, v5, v6
	s_wait_alu 0xfffd
	v_add_co_ci_u32_e64 v4, null, 0, v2, vcc_lo
	v_add_nc_u32_e32 v5, 1, v2
	v_cmp_gt_u32_e32 vcc_lo, 30, v2
	v_add3_u32 v1, v1, v7, v3
	s_delay_alu instid0(VALU_DEP_4)
	v_lshlrev_b32_e32 v4, 2, v4
	s_wait_alu 0xfffd
	v_cndmask_b32_e64 v6, 0, 2, vcc_lo
	ds_bpermute_b32 v3, v4, v1
	v_and_b32_e32 v4, 0xe0, v0
	s_wait_alu 0xfffe
	s_delay_alu instid0(VALU_DEP_1) | instskip(NEXT) | instid1(VALU_DEP_1)
	v_sub_nc_u32_e64 v4, s2, v4 clamp
	v_cmp_lt_u32_e32 vcc_lo, v5, v4
	v_add_lshl_u32 v5, v6, v2, 2
	s_wait_dscnt 0x0
	s_wait_alu 0xfffd
	v_cndmask_b32_e32 v3, 0, v3, vcc_lo
	v_cmp_gt_u32_e32 vcc_lo, 28, v2
	s_delay_alu instid0(VALU_DEP_2) | instskip(SKIP_4) | instid1(VALU_DEP_1)
	v_add_nc_u32_e32 v1, v1, v3
	s_wait_alu 0xfffd
	v_cndmask_b32_e64 v6, 0, 4, vcc_lo
	ds_bpermute_b32 v3, v5, v1
	v_add_nc_u32_e32 v5, 2, v2
	v_cmp_lt_u32_e32 vcc_lo, v5, v4
	v_add_lshl_u32 v5, v6, v2, 2
	s_wait_dscnt 0x0
	s_wait_alu 0xfffd
	v_cndmask_b32_e32 v3, 0, v3, vcc_lo
	v_cmp_gt_u32_e32 vcc_lo, 24, v2
	s_delay_alu instid0(VALU_DEP_2) | instskip(SKIP_4) | instid1(VALU_DEP_1)
	v_add_nc_u32_e32 v1, v1, v3
	s_wait_alu 0xfffd
	v_cndmask_b32_e64 v6, 0, 8, vcc_lo
	ds_bpermute_b32 v3, v5, v1
	v_add_nc_u32_e32 v5, 4, v2
	v_cmp_lt_u32_e32 vcc_lo, v5, v4
	v_add_lshl_u32 v5, v6, v2, 2
	s_wait_dscnt 0x0
	s_wait_alu 0xfffd
	v_cndmask_b32_e32 v3, 0, v3, vcc_lo
	s_delay_alu instid0(VALU_DEP_1) | instskip(SKIP_3) | instid1(VALU_DEP_1)
	v_add_nc_u32_e32 v1, v1, v3
	v_lshlrev_b32_e32 v3, 2, v2
	ds_bpermute_b32 v5, v5, v1
	v_add_nc_u32_e32 v6, 8, v2
	v_cmp_lt_u32_e32 vcc_lo, v6, v4
	v_or_b32_e32 v6, 64, v3
	s_wait_dscnt 0x0
	s_wait_alu 0xfffd
	v_cndmask_b32_e32 v5, 0, v5, vcc_lo
	s_delay_alu instid0(VALU_DEP_1) | instskip(SKIP_2) | instid1(VALU_DEP_1)
	v_add_nc_u32_e32 v1, v1, v5
	ds_bpermute_b32 v5, v6, v1
	v_add_nc_u32_e32 v6, 16, v2
	v_cmp_lt_u32_e32 vcc_lo, v6, v4
	s_wait_dscnt 0x0
	s_wait_alu 0xfffd
	v_cndmask_b32_e32 v4, 0, v5, vcc_lo
	s_delay_alu instid0(VALU_DEP_1)
	v_add_nc_u32_e32 v1, v1, v4
	v_cmpx_eq_u32_e32 0, v2
; %bb.592:
	v_lshrrev_b32_e32 v4, 3, v0
	s_delay_alu instid0(VALU_DEP_1)
	v_and_b32_e32 v4, 28, v4
	ds_store_b32 v4, v1 offset:256
; %bb.593:
	s_or_b32 exec_lo, exec_lo, s3
	s_delay_alu instid0(SALU_CYCLE_1)
	s_mov_b32 s3, exec_lo
	s_wait_dscnt 0x0
	s_barrier_signal -1
	s_barrier_wait -1
	global_inv scope:SCOPE_SE
	v_cmpx_gt_u32_e32 8, v0
	s_cbranch_execz .LBB726_595
; %bb.594:
	ds_load_b32 v1, v3 offset:256
	v_and_b32_e32 v4, 7, v2
	s_add_co_i32 s2, s2, 31
	s_wait_alu 0xfffe
	s_lshr_b32 s2, s2, 5
	s_delay_alu instid0(VALU_DEP_1) | instskip(SKIP_4) | instid1(VALU_DEP_2)
	v_cmp_ne_u32_e32 vcc_lo, 7, v4
	v_add_nc_u32_e32 v6, 1, v4
	s_wait_alu 0xfffd
	v_add_co_ci_u32_e64 v5, null, 0, v2, vcc_lo
	v_cmp_gt_u32_e32 vcc_lo, 6, v4
	v_lshlrev_b32_e32 v5, 2, v5
	s_wait_alu 0xfffd
	v_cndmask_b32_e64 v7, 0, 2, vcc_lo
	s_wait_alu 0xfffe
	v_cmp_gt_u32_e32 vcc_lo, s2, v6
	s_wait_dscnt 0x0
	ds_bpermute_b32 v5, v5, v1
	v_add_lshl_u32 v2, v7, v2, 2
	s_wait_dscnt 0x0
	s_wait_alu 0xfffd
	v_cndmask_b32_e32 v5, 0, v5, vcc_lo
	s_delay_alu instid0(VALU_DEP_1)
	v_add_nc_u32_e32 v1, v5, v1
	v_add_nc_u32_e32 v5, 2, v4
	ds_bpermute_b32 v2, v2, v1
	v_cmp_gt_u32_e32 vcc_lo, s2, v5
	s_wait_dscnt 0x0
	s_wait_alu 0xfffd
	v_cndmask_b32_e32 v2, 0, v2, vcc_lo
	s_delay_alu instid0(VALU_DEP_1)
	v_add_nc_u32_e32 v1, v1, v2
	v_or_b32_e32 v2, 16, v3
	v_add_nc_u32_e32 v3, 4, v4
	ds_bpermute_b32 v2, v2, v1
	v_cmp_gt_u32_e32 vcc_lo, s2, v3
	s_wait_dscnt 0x0
	s_wait_alu 0xfffd
	v_cndmask_b32_e32 v2, 0, v2, vcc_lo
	s_delay_alu instid0(VALU_DEP_1)
	v_add_nc_u32_e32 v1, v1, v2
.LBB726_595:
	s_wait_alu 0xfffe
	s_or_b32 exec_lo, exec_lo, s3
.LBB726_596:
	v_cmp_eq_u32_e64 s2, 0, v0
.LBB726_597:
	s_branch .LBB726_623
.LBB726_598:
	s_mov_b32 s3, -1
                                        ; implicit-def: $vgpr1
.LBB726_599:
	s_delay_alu instid0(SALU_CYCLE_1)
	s_and_b32 vcc_lo, exec_lo, s3
	s_wait_alu 0xfffe
	s_cbranch_vccz .LBB726_613
; %bb.600:
	v_mov_b32_e32 v1, 0
	s_sub_co_i32 s6, s36, s2
	s_mov_b32 s2, exec_lo
	s_delay_alu instid0(VALU_DEP_1)
	v_dual_mov_b32 v2, v1 :: v_dual_mov_b32 v3, v1
	v_mov_b32_e32 v4, v1
	v_cmpx_gt_u32_e64 s6, v0
	s_cbranch_execz .LBB726_602
; %bb.601:
	v_dual_mov_b32 v2, v1 :: v_dual_mov_b32 v3, v1
	v_dual_mov_b32 v4, v1 :: v_dual_mov_b32 v5, v1
	global_load_d16_u8 v2, v0, s[4:5]
	s_wait_loadcnt 0x0
	v_mov_b32_e32 v1, v2
	v_mov_b32_e32 v2, v3
	;; [unrolled: 1-line block ×4, first 2 shown]
.LBB726_602:
	s_or_b32 exec_lo, exec_lo, s2
	v_or_b32_e32 v5, 0x100, v0
	s_delay_alu instid0(VALU_DEP_1)
	v_cmp_gt_u32_e32 vcc_lo, s6, v5
	s_and_saveexec_b32 s2, vcc_lo
	s_cbranch_execz .LBB726_604
; %bb.603:
	global_load_u8 v2, v0, s[4:5] offset:256
.LBB726_604:
	s_or_b32 exec_lo, exec_lo, s2
	v_or_b32_e32 v5, 0x200, v0
	s_delay_alu instid0(VALU_DEP_1)
	v_cmp_gt_u32_e64 s2, s6, v5
	s_and_saveexec_b32 s3, s2
	s_cbranch_execz .LBB726_606
; %bb.605:
	global_load_u8 v3, v0, s[4:5] offset:512
.LBB726_606:
	s_or_b32 exec_lo, exec_lo, s3
	v_or_b32_e32 v5, 0x300, v0
	s_delay_alu instid0(VALU_DEP_1)
	v_cmp_gt_u32_e64 s3, s6, v5
	s_and_saveexec_b32 s7, s3
	s_cbranch_execz .LBB726_608
; %bb.607:
	global_load_u8 v4, v0, s[4:5] offset:768
.LBB726_608:
	s_wait_alu 0xfffe
	s_or_b32 exec_lo, exec_lo, s7
	s_wait_loadcnt 0x0
	v_cndmask_b32_e32 v5, 0, v2, vcc_lo
	v_mbcnt_lo_u32_b32 v2, -1, 0
	v_cndmask_b32_e64 v3, 0, v3, s2
	v_cndmask_b32_e64 v4, 0, v4, s3
	s_min_u32 s2, s6, 0x100
	v_add_nc_u32_e32 v1, v5, v1
	v_cmp_ne_u32_e32 vcc_lo, 31, v2
	s_mov_b32 s3, exec_lo
	s_delay_alu instid0(VALU_DEP_2) | instskip(SKIP_4) | instid1(VALU_DEP_3)
	v_add3_u32 v1, v1, v3, v4
	s_wait_alu 0xfffd
	v_add_co_ci_u32_e64 v5, null, 0, v2, vcc_lo
	v_and_b32_e32 v4, 0xe0, v0
	v_cmp_gt_u32_e32 vcc_lo, 30, v2
	v_lshlrev_b32_e32 v3, 2, v5
	v_add_nc_u32_e32 v5, 1, v2
	s_wait_alu 0xfffe
	v_sub_nc_u32_e64 v4, s2, v4 clamp
	s_wait_alu 0xfffd
	v_cndmask_b32_e64 v6, 0, 2, vcc_lo
	ds_bpermute_b32 v3, v3, v1
	v_cmp_lt_u32_e32 vcc_lo, v5, v4
	v_add_lshl_u32 v5, v6, v2, 2
	s_wait_dscnt 0x0
	s_wait_alu 0xfffd
	v_cndmask_b32_e32 v3, 0, v3, vcc_lo
	v_cmp_gt_u32_e32 vcc_lo, 28, v2
	s_delay_alu instid0(VALU_DEP_2) | instskip(SKIP_4) | instid1(VALU_DEP_1)
	v_add_nc_u32_e32 v1, v3, v1
	s_wait_alu 0xfffd
	v_cndmask_b32_e64 v6, 0, 4, vcc_lo
	ds_bpermute_b32 v3, v5, v1
	v_add_nc_u32_e32 v5, 2, v2
	v_cmp_lt_u32_e32 vcc_lo, v5, v4
	v_add_lshl_u32 v5, v6, v2, 2
	s_wait_dscnt 0x0
	s_wait_alu 0xfffd
	v_cndmask_b32_e32 v3, 0, v3, vcc_lo
	v_cmp_gt_u32_e32 vcc_lo, 24, v2
	s_delay_alu instid0(VALU_DEP_2) | instskip(SKIP_4) | instid1(VALU_DEP_1)
	v_add_nc_u32_e32 v1, v1, v3
	s_wait_alu 0xfffd
	v_cndmask_b32_e64 v6, 0, 8, vcc_lo
	ds_bpermute_b32 v3, v5, v1
	v_add_nc_u32_e32 v5, 4, v2
	v_cmp_lt_u32_e32 vcc_lo, v5, v4
	v_add_lshl_u32 v5, v6, v2, 2
	s_wait_dscnt 0x0
	s_wait_alu 0xfffd
	v_dual_cndmask_b32 v3, 0, v3 :: v_dual_add_nc_u32 v6, 8, v2
	s_delay_alu instid0(VALU_DEP_1) | instskip(NEXT) | instid1(VALU_DEP_2)
	v_cmp_lt_u32_e32 vcc_lo, v6, v4
	v_add_nc_u32_e32 v1, v1, v3
	v_lshlrev_b32_e32 v3, 2, v2
	ds_bpermute_b32 v5, v5, v1
	v_or_b32_e32 v6, 64, v3
	s_wait_dscnt 0x0
	s_wait_alu 0xfffd
	v_cndmask_b32_e32 v5, 0, v5, vcc_lo
	s_delay_alu instid0(VALU_DEP_1) | instskip(SKIP_2) | instid1(VALU_DEP_1)
	v_add_nc_u32_e32 v1, v1, v5
	ds_bpermute_b32 v5, v6, v1
	v_add_nc_u32_e32 v6, 16, v2
	v_cmp_lt_u32_e32 vcc_lo, v6, v4
	s_wait_dscnt 0x0
	s_wait_alu 0xfffd
	v_cndmask_b32_e32 v4, 0, v5, vcc_lo
	s_delay_alu instid0(VALU_DEP_1)
	v_add_nc_u32_e32 v1, v1, v4
	v_cmpx_eq_u32_e32 0, v2
; %bb.609:
	v_lshrrev_b32_e32 v4, 3, v0
	s_delay_alu instid0(VALU_DEP_1)
	v_and_b32_e32 v4, 28, v4
	ds_store_b32 v4, v1 offset:256
; %bb.610:
	s_or_b32 exec_lo, exec_lo, s3
	s_delay_alu instid0(SALU_CYCLE_1)
	s_mov_b32 s3, exec_lo
	s_wait_dscnt 0x0
	s_barrier_signal -1
	s_barrier_wait -1
	global_inv scope:SCOPE_SE
	v_cmpx_gt_u32_e32 8, v0
	s_cbranch_execz .LBB726_612
; %bb.611:
	ds_load_b32 v1, v3 offset:256
	v_and_b32_e32 v4, 7, v2
	s_add_co_i32 s2, s2, 31
	s_wait_alu 0xfffe
	s_lshr_b32 s2, s2, 5
	s_delay_alu instid0(VALU_DEP_1) | instskip(SKIP_4) | instid1(VALU_DEP_2)
	v_cmp_ne_u32_e32 vcc_lo, 7, v4
	v_add_nc_u32_e32 v6, 1, v4
	s_wait_alu 0xfffd
	v_add_co_ci_u32_e64 v5, null, 0, v2, vcc_lo
	v_cmp_gt_u32_e32 vcc_lo, 6, v4
	v_lshlrev_b32_e32 v5, 2, v5
	s_wait_alu 0xfffd
	v_cndmask_b32_e64 v7, 0, 2, vcc_lo
	s_wait_alu 0xfffe
	v_cmp_gt_u32_e32 vcc_lo, s2, v6
	s_wait_dscnt 0x0
	ds_bpermute_b32 v5, v5, v1
	v_add_lshl_u32 v2, v7, v2, 2
	s_wait_dscnt 0x0
	s_wait_alu 0xfffd
	v_cndmask_b32_e32 v5, 0, v5, vcc_lo
	s_delay_alu instid0(VALU_DEP_1)
	v_add_nc_u32_e32 v1, v5, v1
	v_add_nc_u32_e32 v5, 2, v4
	ds_bpermute_b32 v2, v2, v1
	v_cmp_gt_u32_e32 vcc_lo, s2, v5
	s_wait_dscnt 0x0
	s_wait_alu 0xfffd
	v_cndmask_b32_e32 v2, 0, v2, vcc_lo
	s_delay_alu instid0(VALU_DEP_1)
	v_add_nc_u32_e32 v1, v1, v2
	v_or_b32_e32 v2, 16, v3
	v_add_nc_u32_e32 v3, 4, v4
	ds_bpermute_b32 v2, v2, v1
	v_cmp_gt_u32_e32 vcc_lo, s2, v3
	s_wait_dscnt 0x0
	s_wait_alu 0xfffd
	v_cndmask_b32_e32 v2, 0, v2, vcc_lo
	s_delay_alu instid0(VALU_DEP_1)
	v_add_nc_u32_e32 v1, v1, v2
.LBB726_612:
	s_wait_alu 0xfffe
	s_or_b32 exec_lo, exec_lo, s3
.LBB726_613:
	v_cmp_eq_u32_e64 s2, 0, v0
	s_branch .LBB726_623
.LBB726_614:
	s_cmp_gt_i32 s33, 1
	s_cbranch_scc0 .LBB726_622
; %bb.615:
	s_cmp_eq_u32 s33, 2
	s_cbranch_scc0 .LBB726_626
; %bb.616:
	s_mov_b32 s35, 0
	s_lshl_b32 s4, s34, 9
	s_lshr_b64 s[2:3], s[36:37], 9
	s_mov_b32 s5, s35
	s_cmp_lg_u64 s[2:3], s[34:35]
	s_add_nc_u64 s[2:3], s[40:41], s[4:5]
	s_cbranch_scc0 .LBB726_627
; %bb.617:
	s_clause 0x1
	global_load_u8 v1, v0, s[2:3]
	global_load_u8 v2, v0, s[2:3] offset:256
	s_mov_b32 s5, exec_lo
	s_wait_loadcnt 0x0
	v_add_nc_u16 v1, v2, v1
	s_delay_alu instid0(VALU_DEP_1) | instskip(NEXT) | instid1(VALU_DEP_1)
	v_and_b32_e32 v1, 3, v1
	v_mov_b32_dpp v2, v1 quad_perm:[1,0,3,2] row_mask:0xf bank_mask:0xf
	s_delay_alu instid0(VALU_DEP_1) | instskip(NEXT) | instid1(VALU_DEP_1)
	v_add_nc_u32_e32 v1, v2, v1
	v_mov_b32_dpp v2, v1 quad_perm:[2,3,0,1] row_mask:0xf bank_mask:0xf
	s_delay_alu instid0(VALU_DEP_1) | instskip(NEXT) | instid1(VALU_DEP_1)
	v_add_nc_u32_e32 v1, v1, v2
	v_mov_b32_dpp v2, v1 row_ror:4 row_mask:0xf bank_mask:0xf
	s_delay_alu instid0(VALU_DEP_1) | instskip(NEXT) | instid1(VALU_DEP_1)
	v_add_nc_u32_e32 v1, v1, v2
	v_mov_b32_dpp v2, v1 row_ror:8 row_mask:0xf bank_mask:0xf
	s_delay_alu instid0(VALU_DEP_1)
	v_add_nc_u32_e32 v1, v1, v2
	ds_swizzle_b32 v2, v1 offset:swizzle(BROADCAST,32,15)
	s_wait_dscnt 0x0
	v_dual_mov_b32 v2, 0 :: v_dual_add_nc_u32 v1, v1, v2
	ds_bpermute_b32 v1, v2, v1 offset:124
	v_mbcnt_lo_u32_b32 v2, -1, 0
	s_delay_alu instid0(VALU_DEP_1)
	v_cmpx_eq_u32_e32 0, v2
	s_cbranch_execz .LBB726_619
; %bb.618:
	v_lshrrev_b32_e32 v3, 3, v0
	s_delay_alu instid0(VALU_DEP_1)
	v_and_b32_e32 v3, 28, v3
	s_wait_dscnt 0x0
	ds_store_b32 v3, v1 offset:96
.LBB726_619:
	s_or_b32 exec_lo, exec_lo, s5
	s_delay_alu instid0(SALU_CYCLE_1)
	s_mov_b32 s5, exec_lo
	s_wait_dscnt 0x0
	s_barrier_signal -1
	s_barrier_wait -1
	global_inv scope:SCOPE_SE
	v_cmpx_gt_u32_e32 32, v0
	s_cbranch_execz .LBB726_621
; %bb.620:
	v_lshl_or_b32 v1, v2, 2, 0x60
	v_and_b32_e32 v3, 7, v2
	ds_load_b32 v1, v1
	v_cmp_ne_u32_e32 vcc_lo, 7, v3
	v_add_co_ci_u32_e64 v4, null, 0, v2, vcc_lo
	v_cmp_gt_u32_e32 vcc_lo, 6, v3
	s_delay_alu instid0(VALU_DEP_2) | instskip(SKIP_2) | instid1(VALU_DEP_1)
	v_lshlrev_b32_e32 v4, 2, v4
	s_wait_alu 0xfffd
	v_cndmask_b32_e64 v3, 0, 2, vcc_lo
	v_add_lshl_u32 v3, v3, v2, 2
	v_lshlrev_b32_e32 v2, 2, v2
	s_wait_dscnt 0x0
	ds_bpermute_b32 v4, v4, v1
	v_or_b32_e32 v2, 16, v2
	s_wait_dscnt 0x0
	v_add_nc_u32_e32 v1, v4, v1
	ds_bpermute_b32 v3, v3, v1
	s_wait_dscnt 0x0
	v_add_nc_u32_e32 v1, v3, v1
	ds_bpermute_b32 v2, v2, v1
	s_wait_dscnt 0x0
	v_add_nc_u32_e32 v1, v2, v1
.LBB726_621:
	s_or_b32 exec_lo, exec_lo, s5
	s_mov_b32 s5, 0
	s_branch .LBB726_628
.LBB726_622:
                                        ; implicit-def: $vgpr1
	s_cbranch_execnz .LBB726_639
.LBB726_623:
	s_delay_alu instid0(VALU_DEP_1)
	s_and_saveexec_b32 s3, s2
	s_cbranch_execz .LBB726_625
.LBB726_624:
	s_load_b32 s2, s[0:1], 0x28
	s_lshl_b64 s[0:1], s[34:35], 2
	s_cmp_lg_u64 s[36:37], 0
	s_add_nc_u64 s[0:1], s[38:39], s[0:1]
	s_cselect_b32 vcc_lo, -1, 0
	s_wait_alu 0xfffe
	v_dual_cndmask_b32 v0, 0, v1 :: v_dual_mov_b32 v1, 0
	s_wait_kmcnt 0x0
	s_delay_alu instid0(VALU_DEP_1)
	v_add_nc_u32_e32 v0, s2, v0
	global_store_b32 v1, v0, s[0:1]
.LBB726_625:
	s_nop 0
	s_sendmsg sendmsg(MSG_DEALLOC_VGPRS)
	s_endpgm
.LBB726_626:
                                        ; implicit-def: $vgpr1
	s_branch .LBB726_623
.LBB726_627:
	s_mov_b32 s5, -1
                                        ; implicit-def: $vgpr1
.LBB726_628:
	s_delay_alu instid0(SALU_CYCLE_1)
	s_and_b32 vcc_lo, exec_lo, s5
	s_wait_alu 0xfffe
	s_cbranch_vccz .LBB726_638
; %bb.629:
	v_mov_b32_e32 v1, 0
	s_sub_co_i32 s4, s36, s4
	s_mov_b32 s5, exec_lo
	s_delay_alu instid0(VALU_DEP_1)
	v_mov_b32_e32 v2, v1
	v_cmpx_gt_u32_e64 s4, v0
	s_cbranch_execz .LBB726_631
; %bb.630:
	v_dual_mov_b32 v2, v1 :: v_dual_mov_b32 v3, v1
	global_load_d16_u8 v2, v0, s[2:3]
	s_wait_loadcnt 0x0
	v_mov_b32_e32 v1, v2
	v_mov_b32_e32 v2, v3
.LBB726_631:
	s_or_b32 exec_lo, exec_lo, s5
	v_or_b32_e32 v3, 0x100, v0
	s_delay_alu instid0(VALU_DEP_1)
	v_cmp_gt_u32_e32 vcc_lo, s4, v3
	s_and_saveexec_b32 s5, vcc_lo
	s_cbranch_execz .LBB726_633
; %bb.632:
	global_load_u8 v2, v0, s[2:3] offset:256
.LBB726_633:
	s_wait_alu 0xfffe
	s_or_b32 exec_lo, exec_lo, s5
	v_mbcnt_lo_u32_b32 v3, -1, 0
	s_wait_loadcnt 0x0
	v_cndmask_b32_e32 v2, 0, v2, vcc_lo
	s_min_u32 s2, s4, 0x100
	s_mov_b32 s3, exec_lo
	v_cmp_ne_u32_e32 vcc_lo, 31, v3
	v_add_nc_u32_e32 v5, 1, v3
	v_add_nc_u32_e32 v1, v2, v1
	s_wait_alu 0xfffd
	v_add_co_ci_u32_e64 v4, null, 0, v3, vcc_lo
	v_cmp_gt_u32_e32 vcc_lo, 30, v3
	s_delay_alu instid0(VALU_DEP_2)
	v_lshlrev_b32_e32 v2, 2, v4
	v_and_b32_e32 v4, 0xe0, v0
	s_wait_alu 0xfffd
	v_cndmask_b32_e64 v6, 0, 2, vcc_lo
	ds_bpermute_b32 v2, v2, v1
	v_sub_nc_u32_e64 v4, s2, v4 clamp
	s_delay_alu instid0(VALU_DEP_1)
	v_cmp_lt_u32_e32 vcc_lo, v5, v4
	v_add_lshl_u32 v5, v6, v3, 2
	s_wait_dscnt 0x0
	s_wait_alu 0xfffd
	v_cndmask_b32_e32 v2, 0, v2, vcc_lo
	v_cmp_gt_u32_e32 vcc_lo, 28, v3
	s_delay_alu instid0(VALU_DEP_2) | instskip(SKIP_4) | instid1(VALU_DEP_1)
	v_add_nc_u32_e32 v1, v2, v1
	s_wait_alu 0xfffd
	v_cndmask_b32_e64 v6, 0, 4, vcc_lo
	ds_bpermute_b32 v2, v5, v1
	v_add_nc_u32_e32 v5, 2, v3
	v_cmp_lt_u32_e32 vcc_lo, v5, v4
	v_add_lshl_u32 v5, v6, v3, 2
	s_wait_dscnt 0x0
	s_wait_alu 0xfffd
	v_cndmask_b32_e32 v2, 0, v2, vcc_lo
	v_cmp_gt_u32_e32 vcc_lo, 24, v3
	s_delay_alu instid0(VALU_DEP_2) | instskip(SKIP_4) | instid1(VALU_DEP_1)
	v_add_nc_u32_e32 v1, v1, v2
	s_wait_alu 0xfffd
	v_cndmask_b32_e64 v6, 0, 8, vcc_lo
	ds_bpermute_b32 v2, v5, v1
	v_add_nc_u32_e32 v5, 4, v3
	v_cmp_lt_u32_e32 vcc_lo, v5, v4
	v_add_lshl_u32 v5, v6, v3, 2
	v_add_nc_u32_e32 v6, 8, v3
	s_wait_dscnt 0x0
	s_wait_alu 0xfffd
	v_cndmask_b32_e32 v2, 0, v2, vcc_lo
	s_delay_alu instid0(VALU_DEP_2) | instskip(NEXT) | instid1(VALU_DEP_2)
	v_cmp_lt_u32_e32 vcc_lo, v6, v4
	v_add_nc_u32_e32 v1, v1, v2
	v_lshlrev_b32_e32 v2, 2, v3
	ds_bpermute_b32 v5, v5, v1
	v_or_b32_e32 v6, 64, v2
	s_wait_dscnt 0x0
	s_wait_alu 0xfffd
	v_cndmask_b32_e32 v5, 0, v5, vcc_lo
	s_delay_alu instid0(VALU_DEP_1) | instskip(SKIP_2) | instid1(VALU_DEP_1)
	v_add_nc_u32_e32 v1, v1, v5
	ds_bpermute_b32 v5, v6, v1
	v_add_nc_u32_e32 v6, 16, v3
	v_cmp_lt_u32_e32 vcc_lo, v6, v4
	s_wait_dscnt 0x0
	s_wait_alu 0xfffd
	v_cndmask_b32_e32 v4, 0, v5, vcc_lo
	s_delay_alu instid0(VALU_DEP_1)
	v_add_nc_u32_e32 v1, v1, v4
	v_cmpx_eq_u32_e32 0, v3
; %bb.634:
	v_lshrrev_b32_e32 v4, 3, v0
	s_delay_alu instid0(VALU_DEP_1)
	v_and_b32_e32 v4, 28, v4
	ds_store_b32 v4, v1 offset:256
; %bb.635:
	s_or_b32 exec_lo, exec_lo, s3
	s_delay_alu instid0(SALU_CYCLE_1)
	s_mov_b32 s3, exec_lo
	s_wait_dscnt 0x0
	s_barrier_signal -1
	s_barrier_wait -1
	global_inv scope:SCOPE_SE
	v_cmpx_gt_u32_e32 8, v0
	s_cbranch_execz .LBB726_637
; %bb.636:
	ds_load_b32 v1, v2 offset:256
	v_and_b32_e32 v4, 7, v3
	s_add_co_i32 s2, s2, 31
	v_or_b32_e32 v2, 16, v2
	s_wait_alu 0xfffe
	s_lshr_b32 s2, s2, 5
	v_cmp_ne_u32_e32 vcc_lo, 7, v4
	v_add_nc_u32_e32 v6, 1, v4
	s_wait_alu 0xfffd
	v_add_co_ci_u32_e64 v5, null, 0, v3, vcc_lo
	v_cmp_gt_u32_e32 vcc_lo, 6, v4
	s_delay_alu instid0(VALU_DEP_2)
	v_lshlrev_b32_e32 v5, 2, v5
	s_wait_alu 0xfffd
	v_cndmask_b32_e64 v7, 0, 2, vcc_lo
	s_wait_alu 0xfffe
	v_cmp_gt_u32_e32 vcc_lo, s2, v6
	s_wait_dscnt 0x0
	ds_bpermute_b32 v5, v5, v1
	v_add_lshl_u32 v3, v7, v3, 2
	s_wait_dscnt 0x0
	s_wait_alu 0xfffd
	v_cndmask_b32_e32 v5, 0, v5, vcc_lo
	s_delay_alu instid0(VALU_DEP_1)
	v_add_nc_u32_e32 v1, v5, v1
	v_add_nc_u32_e32 v5, 2, v4
	ds_bpermute_b32 v3, v3, v1
	v_cmp_gt_u32_e32 vcc_lo, s2, v5
	s_wait_dscnt 0x0
	s_wait_alu 0xfffd
	v_cndmask_b32_e32 v3, 0, v3, vcc_lo
	s_delay_alu instid0(VALU_DEP_1)
	v_add_nc_u32_e32 v1, v1, v3
	v_add_nc_u32_e32 v3, 4, v4
	ds_bpermute_b32 v2, v2, v1
	v_cmp_gt_u32_e32 vcc_lo, s2, v3
	s_wait_dscnt 0x0
	s_wait_alu 0xfffd
	v_cndmask_b32_e32 v2, 0, v2, vcc_lo
	s_delay_alu instid0(VALU_DEP_1)
	v_add_nc_u32_e32 v1, v1, v2
.LBB726_637:
	s_wait_alu 0xfffe
	s_or_b32 exec_lo, exec_lo, s3
.LBB726_638:
	v_cmp_eq_u32_e64 s2, 0, v0
	s_branch .LBB726_623
.LBB726_639:
	s_cmp_eq_u32 s33, 1
	s_cbranch_scc0 .LBB726_647
; %bb.640:
	s_mov_b32 s3, 0
	v_mbcnt_lo_u32_b32 v2, -1, 0
	s_lshr_b64 s[4:5], s[36:37], 8
	s_mov_b32 s35, s3
	s_lshl_b32 s2, s34, 8
	s_cmp_lg_u64 s[4:5], s[34:35]
	s_cbranch_scc0 .LBB726_648
; %bb.641:
	s_add_nc_u64 s[4:5], s[40:41], s[2:3]
	global_load_u8 v1, v0, s[4:5]
	s_mov_b32 s4, exec_lo
	s_wait_loadcnt 0x0
	v_mov_b32_dpp v3, v1 quad_perm:[1,0,3,2] row_mask:0xf bank_mask:0xf
	s_delay_alu instid0(VALU_DEP_1) | instskip(NEXT) | instid1(VALU_DEP_1)
	v_add_nc_u32_e32 v1, v3, v1
	v_mov_b32_dpp v3, v1 quad_perm:[2,3,0,1] row_mask:0xf bank_mask:0xf
	s_delay_alu instid0(VALU_DEP_1) | instskip(NEXT) | instid1(VALU_DEP_1)
	v_add_nc_u32_e32 v1, v1, v3
	v_mov_b32_dpp v3, v1 row_ror:4 row_mask:0xf bank_mask:0xf
	s_delay_alu instid0(VALU_DEP_1) | instskip(NEXT) | instid1(VALU_DEP_1)
	v_add_nc_u32_e32 v1, v1, v3
	v_mov_b32_dpp v3, v1 row_ror:8 row_mask:0xf bank_mask:0xf
	s_delay_alu instid0(VALU_DEP_1)
	v_add_nc_u32_e32 v1, v1, v3
	ds_swizzle_b32 v3, v1 offset:swizzle(BROADCAST,32,15)
	s_wait_dscnt 0x0
	v_add_nc_u32_e32 v1, v1, v3
	v_mov_b32_e32 v3, 0
	ds_bpermute_b32 v1, v3, v1 offset:124
	v_cmpx_eq_u32_e32 0, v2
	s_cbranch_execz .LBB726_643
; %bb.642:
	v_lshrrev_b32_e32 v3, 3, v0
	s_delay_alu instid0(VALU_DEP_1)
	v_and_b32_e32 v3, 28, v3
	s_wait_dscnt 0x0
	ds_store_b32 v3, v1 offset:64
.LBB726_643:
	s_or_b32 exec_lo, exec_lo, s4
	s_delay_alu instid0(SALU_CYCLE_1)
	s_mov_b32 s4, exec_lo
	s_wait_dscnt 0x0
	s_barrier_signal -1
	s_barrier_wait -1
	global_inv scope:SCOPE_SE
	v_cmpx_gt_u32_e32 32, v0
	s_cbranch_execz .LBB726_645
; %bb.644:
	v_and_b32_e32 v1, 7, v2
	s_delay_alu instid0(VALU_DEP_1) | instskip(SKIP_4) | instid1(VALU_DEP_2)
	v_lshlrev_b32_e32 v3, 2, v1
	v_cmp_ne_u32_e32 vcc_lo, 7, v1
	ds_load_b32 v3, v3 offset:64
	v_add_co_ci_u32_e64 v4, null, 0, v2, vcc_lo
	v_cmp_gt_u32_e32 vcc_lo, 6, v1
	v_lshlrev_b32_e32 v4, 2, v4
	s_wait_alu 0xfffd
	v_cndmask_b32_e64 v1, 0, 2, vcc_lo
	s_delay_alu instid0(VALU_DEP_1)
	v_add_lshl_u32 v1, v1, v2, 2
	s_wait_dscnt 0x0
	ds_bpermute_b32 v4, v4, v3
	s_wait_dscnt 0x0
	v_add_nc_u32_e32 v3, v4, v3
	v_lshlrev_b32_e32 v4, 2, v2
	ds_bpermute_b32 v1, v1, v3
	s_wait_dscnt 0x0
	v_add_nc_u32_e32 v1, v1, v3
	v_or_b32_e32 v3, 16, v4
	ds_bpermute_b32 v3, v3, v1
	s_wait_dscnt 0x0
	v_add_nc_u32_e32 v1, v3, v1
.LBB726_645:
	s_or_b32 exec_lo, exec_lo, s4
.LBB726_646:
	v_cmp_eq_u32_e64 s2, 0, v0
	s_and_saveexec_b32 s3, s2
	s_cbranch_execnz .LBB726_624
	s_branch .LBB726_625
.LBB726_647:
                                        ; implicit-def: $vgpr1
                                        ; implicit-def: $sgpr34_sgpr35
	s_and_saveexec_b32 s3, s2
	s_cbranch_execz .LBB726_625
	s_branch .LBB726_624
.LBB726_648:
                                        ; implicit-def: $vgpr1
	s_cbranch_execz .LBB726_646
; %bb.649:
	s_sub_co_i32 s4, s36, s2
	s_mov_b32 s5, exec_lo
                                        ; implicit-def: $vgpr1
	v_cmpx_gt_u32_e64 s4, v0
	s_cbranch_execz .LBB726_651
; %bb.650:
	s_add_nc_u64 s[2:3], s[40:41], s[2:3]
	global_load_u8 v1, v0, s[2:3]
.LBB726_651:
	s_or_b32 exec_lo, exec_lo, s5
	v_cmp_ne_u32_e32 vcc_lo, 31, v2
	s_min_u32 s2, s4, 0x100
	v_add_nc_u32_e32 v5, 1, v2
	s_mov_b32 s3, exec_lo
	v_add_co_ci_u32_e64 v3, null, 0, v2, vcc_lo
	v_cmp_gt_u32_e32 vcc_lo, 30, v2
	s_delay_alu instid0(VALU_DEP_2)
	v_lshlrev_b32_e32 v3, 2, v3
	s_wait_alu 0xfffd
	v_cndmask_b32_e64 v6, 0, 2, vcc_lo
	s_wait_loadcnt 0x0
	ds_bpermute_b32 v3, v3, v1
	v_and_b32_e32 v4, 0xe0, v0
	s_delay_alu instid0(VALU_DEP_1) | instskip(NEXT) | instid1(VALU_DEP_1)
	v_sub_nc_u32_e64 v4, s2, v4 clamp
	v_cmp_lt_u32_e32 vcc_lo, v5, v4
	v_add_lshl_u32 v5, v6, v2, 2
	s_wait_dscnt 0x0
	s_wait_alu 0xfffd
	v_cndmask_b32_e32 v3, 0, v3, vcc_lo
	v_cmp_gt_u32_e32 vcc_lo, 28, v2
	s_delay_alu instid0(VALU_DEP_2) | instskip(SKIP_4) | instid1(VALU_DEP_1)
	v_add_nc_u32_e32 v1, v3, v1
	s_wait_alu 0xfffd
	v_cndmask_b32_e64 v6, 0, 4, vcc_lo
	ds_bpermute_b32 v3, v5, v1
	v_add_nc_u32_e32 v5, 2, v2
	v_cmp_lt_u32_e32 vcc_lo, v5, v4
	v_add_lshl_u32 v5, v6, v2, 2
	s_wait_dscnt 0x0
	s_wait_alu 0xfffd
	v_cndmask_b32_e32 v3, 0, v3, vcc_lo
	v_cmp_gt_u32_e32 vcc_lo, 24, v2
	s_delay_alu instid0(VALU_DEP_2) | instskip(SKIP_4) | instid1(VALU_DEP_1)
	v_add_nc_u32_e32 v1, v1, v3
	s_wait_alu 0xfffd
	v_cndmask_b32_e64 v6, 0, 8, vcc_lo
	ds_bpermute_b32 v3, v5, v1
	v_add_nc_u32_e32 v5, 4, v2
	v_cmp_lt_u32_e32 vcc_lo, v5, v4
	v_add_lshl_u32 v5, v6, v2, 2
	s_wait_dscnt 0x0
	s_wait_alu 0xfffd
	v_dual_cndmask_b32 v3, 0, v3 :: v_dual_add_nc_u32 v6, 8, v2
	s_delay_alu instid0(VALU_DEP_1) | instskip(NEXT) | instid1(VALU_DEP_2)
	v_cmp_lt_u32_e32 vcc_lo, v6, v4
	v_add_nc_u32_e32 v1, v1, v3
	v_lshlrev_b32_e32 v3, 2, v2
	ds_bpermute_b32 v5, v5, v1
	v_or_b32_e32 v6, 64, v3
	s_wait_dscnt 0x0
	s_wait_alu 0xfffd
	v_cndmask_b32_e32 v5, 0, v5, vcc_lo
	s_delay_alu instid0(VALU_DEP_1) | instskip(SKIP_2) | instid1(VALU_DEP_1)
	v_add_nc_u32_e32 v1, v1, v5
	ds_bpermute_b32 v5, v6, v1
	v_add_nc_u32_e32 v6, 16, v2
	v_cmp_lt_u32_e32 vcc_lo, v6, v4
	s_wait_dscnt 0x0
	s_wait_alu 0xfffd
	v_cndmask_b32_e32 v4, 0, v5, vcc_lo
	s_delay_alu instid0(VALU_DEP_1)
	v_add_nc_u32_e32 v1, v1, v4
	v_cmpx_eq_u32_e32 0, v2
; %bb.652:
	v_lshrrev_b32_e32 v4, 3, v0
	s_delay_alu instid0(VALU_DEP_1)
	v_and_b32_e32 v4, 28, v4
	ds_store_b32 v4, v1 offset:256
; %bb.653:
	s_or_b32 exec_lo, exec_lo, s3
	s_delay_alu instid0(SALU_CYCLE_1)
	s_mov_b32 s3, exec_lo
	s_wait_dscnt 0x0
	s_barrier_signal -1
	s_barrier_wait -1
	global_inv scope:SCOPE_SE
	v_cmpx_gt_u32_e32 8, v0
	s_cbranch_execz .LBB726_655
; %bb.654:
	ds_load_b32 v1, v3 offset:256
	v_and_b32_e32 v4, 7, v2
	s_add_co_i32 s2, s2, 31
	s_wait_alu 0xfffe
	s_lshr_b32 s2, s2, 5
	s_delay_alu instid0(VALU_DEP_1) | instskip(SKIP_4) | instid1(VALU_DEP_2)
	v_cmp_ne_u32_e32 vcc_lo, 7, v4
	v_add_nc_u32_e32 v6, 1, v4
	s_wait_alu 0xfffd
	v_add_co_ci_u32_e64 v5, null, 0, v2, vcc_lo
	v_cmp_gt_u32_e32 vcc_lo, 6, v4
	v_lshlrev_b32_e32 v5, 2, v5
	s_wait_alu 0xfffd
	v_cndmask_b32_e64 v7, 0, 2, vcc_lo
	s_wait_alu 0xfffe
	v_cmp_gt_u32_e32 vcc_lo, s2, v6
	s_wait_dscnt 0x0
	ds_bpermute_b32 v5, v5, v1
	v_add_lshl_u32 v2, v7, v2, 2
	s_wait_dscnt 0x0
	s_wait_alu 0xfffd
	v_cndmask_b32_e32 v5, 0, v5, vcc_lo
	s_delay_alu instid0(VALU_DEP_1)
	v_add_nc_u32_e32 v1, v5, v1
	v_add_nc_u32_e32 v5, 2, v4
	ds_bpermute_b32 v2, v2, v1
	v_cmp_gt_u32_e32 vcc_lo, s2, v5
	s_wait_dscnt 0x0
	s_wait_alu 0xfffd
	v_cndmask_b32_e32 v2, 0, v2, vcc_lo
	s_delay_alu instid0(VALU_DEP_1)
	v_add_nc_u32_e32 v1, v1, v2
	v_or_b32_e32 v2, 16, v3
	v_add_nc_u32_e32 v3, 4, v4
	ds_bpermute_b32 v2, v2, v1
	v_cmp_gt_u32_e32 vcc_lo, s2, v3
	s_wait_dscnt 0x0
	s_wait_alu 0xfffd
	v_cndmask_b32_e32 v2, 0, v2, vcc_lo
	s_delay_alu instid0(VALU_DEP_1)
	v_add_nc_u32_e32 v1, v1, v2
.LBB726_655:
	s_wait_alu 0xfffe
	s_or_b32 exec_lo, exec_lo, s3
	v_cmp_eq_u32_e64 s2, 0, v0
	s_and_saveexec_b32 s3, s2
	s_cbranch_execnz .LBB726_624
	s_branch .LBB726_625
	.section	.rodata,"a",@progbits
	.p2align	6, 0x0
	.amdhsa_kernel _ZN7rocprim17ROCPRIM_400000_NS6detail17trampoline_kernelINS0_14default_configENS1_22reduce_config_selectorIbEEZNS1_11reduce_implILb1ES3_N6hipcub16HIPCUB_304000_NS22TransformInputIteratorIbN2at6native12_GLOBAL__N_19NonZeroOpIbEEPKblEEPiiNS8_6detail34convert_binary_result_type_wrapperINS8_3SumESH_iEEEE10hipError_tPvRmT1_T2_T3_mT4_P12ihipStream_tbEUlT_E1_NS1_11comp_targetILNS1_3genE10ELNS1_11target_archE1201ELNS1_3gpuE5ELNS1_3repE0EEENS1_30default_config_static_selectorELNS0_4arch9wavefront6targetE0EEEvSQ_
		.amdhsa_group_segment_fixed_size 288
		.amdhsa_private_segment_fixed_size 0
		.amdhsa_kernarg_size 48
		.amdhsa_user_sgpr_count 2
		.amdhsa_user_sgpr_dispatch_ptr 0
		.amdhsa_user_sgpr_queue_ptr 0
		.amdhsa_user_sgpr_kernarg_segment_ptr 1
		.amdhsa_user_sgpr_dispatch_id 0
		.amdhsa_user_sgpr_private_segment_size 0
		.amdhsa_wavefront_size32 1
		.amdhsa_uses_dynamic_stack 0
		.amdhsa_enable_private_segment 0
		.amdhsa_system_sgpr_workgroup_id_x 1
		.amdhsa_system_sgpr_workgroup_id_y 0
		.amdhsa_system_sgpr_workgroup_id_z 0
		.amdhsa_system_sgpr_workgroup_info 0
		.amdhsa_system_vgpr_workitem_id 0
		.amdhsa_next_free_vgpr 129
		.amdhsa_next_free_sgpr 46
		.amdhsa_reserve_vcc 1
		.amdhsa_float_round_mode_32 0
		.amdhsa_float_round_mode_16_64 0
		.amdhsa_float_denorm_mode_32 3
		.amdhsa_float_denorm_mode_16_64 3
		.amdhsa_fp16_overflow 0
		.amdhsa_workgroup_processor_mode 1
		.amdhsa_memory_ordered 1
		.amdhsa_forward_progress 1
		.amdhsa_inst_pref_size 219
		.amdhsa_round_robin_scheduling 0
		.amdhsa_exception_fp_ieee_invalid_op 0
		.amdhsa_exception_fp_denorm_src 0
		.amdhsa_exception_fp_ieee_div_zero 0
		.amdhsa_exception_fp_ieee_overflow 0
		.amdhsa_exception_fp_ieee_underflow 0
		.amdhsa_exception_fp_ieee_inexact 0
		.amdhsa_exception_int_div_zero 0
	.end_amdhsa_kernel
	.section	.text._ZN7rocprim17ROCPRIM_400000_NS6detail17trampoline_kernelINS0_14default_configENS1_22reduce_config_selectorIbEEZNS1_11reduce_implILb1ES3_N6hipcub16HIPCUB_304000_NS22TransformInputIteratorIbN2at6native12_GLOBAL__N_19NonZeroOpIbEEPKblEEPiiNS8_6detail34convert_binary_result_type_wrapperINS8_3SumESH_iEEEE10hipError_tPvRmT1_T2_T3_mT4_P12ihipStream_tbEUlT_E1_NS1_11comp_targetILNS1_3genE10ELNS1_11target_archE1201ELNS1_3gpuE5ELNS1_3repE0EEENS1_30default_config_static_selectorELNS0_4arch9wavefront6targetE0EEEvSQ_,"axG",@progbits,_ZN7rocprim17ROCPRIM_400000_NS6detail17trampoline_kernelINS0_14default_configENS1_22reduce_config_selectorIbEEZNS1_11reduce_implILb1ES3_N6hipcub16HIPCUB_304000_NS22TransformInputIteratorIbN2at6native12_GLOBAL__N_19NonZeroOpIbEEPKblEEPiiNS8_6detail34convert_binary_result_type_wrapperINS8_3SumESH_iEEEE10hipError_tPvRmT1_T2_T3_mT4_P12ihipStream_tbEUlT_E1_NS1_11comp_targetILNS1_3genE10ELNS1_11target_archE1201ELNS1_3gpuE5ELNS1_3repE0EEENS1_30default_config_static_selectorELNS0_4arch9wavefront6targetE0EEEvSQ_,comdat
.Lfunc_end726:
	.size	_ZN7rocprim17ROCPRIM_400000_NS6detail17trampoline_kernelINS0_14default_configENS1_22reduce_config_selectorIbEEZNS1_11reduce_implILb1ES3_N6hipcub16HIPCUB_304000_NS22TransformInputIteratorIbN2at6native12_GLOBAL__N_19NonZeroOpIbEEPKblEEPiiNS8_6detail34convert_binary_result_type_wrapperINS8_3SumESH_iEEEE10hipError_tPvRmT1_T2_T3_mT4_P12ihipStream_tbEUlT_E1_NS1_11comp_targetILNS1_3genE10ELNS1_11target_archE1201ELNS1_3gpuE5ELNS1_3repE0EEENS1_30default_config_static_selectorELNS0_4arch9wavefront6targetE0EEEvSQ_, .Lfunc_end726-_ZN7rocprim17ROCPRIM_400000_NS6detail17trampoline_kernelINS0_14default_configENS1_22reduce_config_selectorIbEEZNS1_11reduce_implILb1ES3_N6hipcub16HIPCUB_304000_NS22TransformInputIteratorIbN2at6native12_GLOBAL__N_19NonZeroOpIbEEPKblEEPiiNS8_6detail34convert_binary_result_type_wrapperINS8_3SumESH_iEEEE10hipError_tPvRmT1_T2_T3_mT4_P12ihipStream_tbEUlT_E1_NS1_11comp_targetILNS1_3genE10ELNS1_11target_archE1201ELNS1_3gpuE5ELNS1_3repE0EEENS1_30default_config_static_selectorELNS0_4arch9wavefront6targetE0EEEvSQ_
                                        ; -- End function
	.set _ZN7rocprim17ROCPRIM_400000_NS6detail17trampoline_kernelINS0_14default_configENS1_22reduce_config_selectorIbEEZNS1_11reduce_implILb1ES3_N6hipcub16HIPCUB_304000_NS22TransformInputIteratorIbN2at6native12_GLOBAL__N_19NonZeroOpIbEEPKblEEPiiNS8_6detail34convert_binary_result_type_wrapperINS8_3SumESH_iEEEE10hipError_tPvRmT1_T2_T3_mT4_P12ihipStream_tbEUlT_E1_NS1_11comp_targetILNS1_3genE10ELNS1_11target_archE1201ELNS1_3gpuE5ELNS1_3repE0EEENS1_30default_config_static_selectorELNS0_4arch9wavefront6targetE0EEEvSQ_.num_vgpr, 129
	.set _ZN7rocprim17ROCPRIM_400000_NS6detail17trampoline_kernelINS0_14default_configENS1_22reduce_config_selectorIbEEZNS1_11reduce_implILb1ES3_N6hipcub16HIPCUB_304000_NS22TransformInputIteratorIbN2at6native12_GLOBAL__N_19NonZeroOpIbEEPKblEEPiiNS8_6detail34convert_binary_result_type_wrapperINS8_3SumESH_iEEEE10hipError_tPvRmT1_T2_T3_mT4_P12ihipStream_tbEUlT_E1_NS1_11comp_targetILNS1_3genE10ELNS1_11target_archE1201ELNS1_3gpuE5ELNS1_3repE0EEENS1_30default_config_static_selectorELNS0_4arch9wavefront6targetE0EEEvSQ_.num_agpr, 0
	.set _ZN7rocprim17ROCPRIM_400000_NS6detail17trampoline_kernelINS0_14default_configENS1_22reduce_config_selectorIbEEZNS1_11reduce_implILb1ES3_N6hipcub16HIPCUB_304000_NS22TransformInputIteratorIbN2at6native12_GLOBAL__N_19NonZeroOpIbEEPKblEEPiiNS8_6detail34convert_binary_result_type_wrapperINS8_3SumESH_iEEEE10hipError_tPvRmT1_T2_T3_mT4_P12ihipStream_tbEUlT_E1_NS1_11comp_targetILNS1_3genE10ELNS1_11target_archE1201ELNS1_3gpuE5ELNS1_3repE0EEENS1_30default_config_static_selectorELNS0_4arch9wavefront6targetE0EEEvSQ_.numbered_sgpr, 46
	.set _ZN7rocprim17ROCPRIM_400000_NS6detail17trampoline_kernelINS0_14default_configENS1_22reduce_config_selectorIbEEZNS1_11reduce_implILb1ES3_N6hipcub16HIPCUB_304000_NS22TransformInputIteratorIbN2at6native12_GLOBAL__N_19NonZeroOpIbEEPKblEEPiiNS8_6detail34convert_binary_result_type_wrapperINS8_3SumESH_iEEEE10hipError_tPvRmT1_T2_T3_mT4_P12ihipStream_tbEUlT_E1_NS1_11comp_targetILNS1_3genE10ELNS1_11target_archE1201ELNS1_3gpuE5ELNS1_3repE0EEENS1_30default_config_static_selectorELNS0_4arch9wavefront6targetE0EEEvSQ_.num_named_barrier, 0
	.set _ZN7rocprim17ROCPRIM_400000_NS6detail17trampoline_kernelINS0_14default_configENS1_22reduce_config_selectorIbEEZNS1_11reduce_implILb1ES3_N6hipcub16HIPCUB_304000_NS22TransformInputIteratorIbN2at6native12_GLOBAL__N_19NonZeroOpIbEEPKblEEPiiNS8_6detail34convert_binary_result_type_wrapperINS8_3SumESH_iEEEE10hipError_tPvRmT1_T2_T3_mT4_P12ihipStream_tbEUlT_E1_NS1_11comp_targetILNS1_3genE10ELNS1_11target_archE1201ELNS1_3gpuE5ELNS1_3repE0EEENS1_30default_config_static_selectorELNS0_4arch9wavefront6targetE0EEEvSQ_.private_seg_size, 0
	.set _ZN7rocprim17ROCPRIM_400000_NS6detail17trampoline_kernelINS0_14default_configENS1_22reduce_config_selectorIbEEZNS1_11reduce_implILb1ES3_N6hipcub16HIPCUB_304000_NS22TransformInputIteratorIbN2at6native12_GLOBAL__N_19NonZeroOpIbEEPKblEEPiiNS8_6detail34convert_binary_result_type_wrapperINS8_3SumESH_iEEEE10hipError_tPvRmT1_T2_T3_mT4_P12ihipStream_tbEUlT_E1_NS1_11comp_targetILNS1_3genE10ELNS1_11target_archE1201ELNS1_3gpuE5ELNS1_3repE0EEENS1_30default_config_static_selectorELNS0_4arch9wavefront6targetE0EEEvSQ_.uses_vcc, 1
	.set _ZN7rocprim17ROCPRIM_400000_NS6detail17trampoline_kernelINS0_14default_configENS1_22reduce_config_selectorIbEEZNS1_11reduce_implILb1ES3_N6hipcub16HIPCUB_304000_NS22TransformInputIteratorIbN2at6native12_GLOBAL__N_19NonZeroOpIbEEPKblEEPiiNS8_6detail34convert_binary_result_type_wrapperINS8_3SumESH_iEEEE10hipError_tPvRmT1_T2_T3_mT4_P12ihipStream_tbEUlT_E1_NS1_11comp_targetILNS1_3genE10ELNS1_11target_archE1201ELNS1_3gpuE5ELNS1_3repE0EEENS1_30default_config_static_selectorELNS0_4arch9wavefront6targetE0EEEvSQ_.uses_flat_scratch, 0
	.set _ZN7rocprim17ROCPRIM_400000_NS6detail17trampoline_kernelINS0_14default_configENS1_22reduce_config_selectorIbEEZNS1_11reduce_implILb1ES3_N6hipcub16HIPCUB_304000_NS22TransformInputIteratorIbN2at6native12_GLOBAL__N_19NonZeroOpIbEEPKblEEPiiNS8_6detail34convert_binary_result_type_wrapperINS8_3SumESH_iEEEE10hipError_tPvRmT1_T2_T3_mT4_P12ihipStream_tbEUlT_E1_NS1_11comp_targetILNS1_3genE10ELNS1_11target_archE1201ELNS1_3gpuE5ELNS1_3repE0EEENS1_30default_config_static_selectorELNS0_4arch9wavefront6targetE0EEEvSQ_.has_dyn_sized_stack, 0
	.set _ZN7rocprim17ROCPRIM_400000_NS6detail17trampoline_kernelINS0_14default_configENS1_22reduce_config_selectorIbEEZNS1_11reduce_implILb1ES3_N6hipcub16HIPCUB_304000_NS22TransformInputIteratorIbN2at6native12_GLOBAL__N_19NonZeroOpIbEEPKblEEPiiNS8_6detail34convert_binary_result_type_wrapperINS8_3SumESH_iEEEE10hipError_tPvRmT1_T2_T3_mT4_P12ihipStream_tbEUlT_E1_NS1_11comp_targetILNS1_3genE10ELNS1_11target_archE1201ELNS1_3gpuE5ELNS1_3repE0EEENS1_30default_config_static_selectorELNS0_4arch9wavefront6targetE0EEEvSQ_.has_recursion, 0
	.set _ZN7rocprim17ROCPRIM_400000_NS6detail17trampoline_kernelINS0_14default_configENS1_22reduce_config_selectorIbEEZNS1_11reduce_implILb1ES3_N6hipcub16HIPCUB_304000_NS22TransformInputIteratorIbN2at6native12_GLOBAL__N_19NonZeroOpIbEEPKblEEPiiNS8_6detail34convert_binary_result_type_wrapperINS8_3SumESH_iEEEE10hipError_tPvRmT1_T2_T3_mT4_P12ihipStream_tbEUlT_E1_NS1_11comp_targetILNS1_3genE10ELNS1_11target_archE1201ELNS1_3gpuE5ELNS1_3repE0EEENS1_30default_config_static_selectorELNS0_4arch9wavefront6targetE0EEEvSQ_.has_indirect_call, 0
	.section	.AMDGPU.csdata,"",@progbits
; Kernel info:
; codeLenInByte = 27960
; TotalNumSgprs: 48
; NumVgprs: 129
; ScratchSize: 0
; MemoryBound: 0
; FloatMode: 240
; IeeeMode: 1
; LDSByteSize: 288 bytes/workgroup (compile time only)
; SGPRBlocks: 0
; VGPRBlocks: 16
; NumSGPRsForWavesPerEU: 48
; NumVGPRsForWavesPerEU: 129
; Occupancy: 10
; WaveLimiterHint : 1
; COMPUTE_PGM_RSRC2:SCRATCH_EN: 0
; COMPUTE_PGM_RSRC2:USER_SGPR: 2
; COMPUTE_PGM_RSRC2:TRAP_HANDLER: 0
; COMPUTE_PGM_RSRC2:TGID_X_EN: 1
; COMPUTE_PGM_RSRC2:TGID_Y_EN: 0
; COMPUTE_PGM_RSRC2:TGID_Z_EN: 0
; COMPUTE_PGM_RSRC2:TIDIG_COMP_CNT: 0
	.section	.text._ZN7rocprim17ROCPRIM_400000_NS6detail17trampoline_kernelINS0_14default_configENS1_22reduce_config_selectorIbEEZNS1_11reduce_implILb1ES3_N6hipcub16HIPCUB_304000_NS22TransformInputIteratorIbN2at6native12_GLOBAL__N_19NonZeroOpIbEEPKblEEPiiNS8_6detail34convert_binary_result_type_wrapperINS8_3SumESH_iEEEE10hipError_tPvRmT1_T2_T3_mT4_P12ihipStream_tbEUlT_E1_NS1_11comp_targetILNS1_3genE10ELNS1_11target_archE1200ELNS1_3gpuE4ELNS1_3repE0EEENS1_30default_config_static_selectorELNS0_4arch9wavefront6targetE0EEEvSQ_,"axG",@progbits,_ZN7rocprim17ROCPRIM_400000_NS6detail17trampoline_kernelINS0_14default_configENS1_22reduce_config_selectorIbEEZNS1_11reduce_implILb1ES3_N6hipcub16HIPCUB_304000_NS22TransformInputIteratorIbN2at6native12_GLOBAL__N_19NonZeroOpIbEEPKblEEPiiNS8_6detail34convert_binary_result_type_wrapperINS8_3SumESH_iEEEE10hipError_tPvRmT1_T2_T3_mT4_P12ihipStream_tbEUlT_E1_NS1_11comp_targetILNS1_3genE10ELNS1_11target_archE1200ELNS1_3gpuE4ELNS1_3repE0EEENS1_30default_config_static_selectorELNS0_4arch9wavefront6targetE0EEEvSQ_,comdat
	.globl	_ZN7rocprim17ROCPRIM_400000_NS6detail17trampoline_kernelINS0_14default_configENS1_22reduce_config_selectorIbEEZNS1_11reduce_implILb1ES3_N6hipcub16HIPCUB_304000_NS22TransformInputIteratorIbN2at6native12_GLOBAL__N_19NonZeroOpIbEEPKblEEPiiNS8_6detail34convert_binary_result_type_wrapperINS8_3SumESH_iEEEE10hipError_tPvRmT1_T2_T3_mT4_P12ihipStream_tbEUlT_E1_NS1_11comp_targetILNS1_3genE10ELNS1_11target_archE1200ELNS1_3gpuE4ELNS1_3repE0EEENS1_30default_config_static_selectorELNS0_4arch9wavefront6targetE0EEEvSQ_ ; -- Begin function _ZN7rocprim17ROCPRIM_400000_NS6detail17trampoline_kernelINS0_14default_configENS1_22reduce_config_selectorIbEEZNS1_11reduce_implILb1ES3_N6hipcub16HIPCUB_304000_NS22TransformInputIteratorIbN2at6native12_GLOBAL__N_19NonZeroOpIbEEPKblEEPiiNS8_6detail34convert_binary_result_type_wrapperINS8_3SumESH_iEEEE10hipError_tPvRmT1_T2_T3_mT4_P12ihipStream_tbEUlT_E1_NS1_11comp_targetILNS1_3genE10ELNS1_11target_archE1200ELNS1_3gpuE4ELNS1_3repE0EEENS1_30default_config_static_selectorELNS0_4arch9wavefront6targetE0EEEvSQ_
	.p2align	8
	.type	_ZN7rocprim17ROCPRIM_400000_NS6detail17trampoline_kernelINS0_14default_configENS1_22reduce_config_selectorIbEEZNS1_11reduce_implILb1ES3_N6hipcub16HIPCUB_304000_NS22TransformInputIteratorIbN2at6native12_GLOBAL__N_19NonZeroOpIbEEPKblEEPiiNS8_6detail34convert_binary_result_type_wrapperINS8_3SumESH_iEEEE10hipError_tPvRmT1_T2_T3_mT4_P12ihipStream_tbEUlT_E1_NS1_11comp_targetILNS1_3genE10ELNS1_11target_archE1200ELNS1_3gpuE4ELNS1_3repE0EEENS1_30default_config_static_selectorELNS0_4arch9wavefront6targetE0EEEvSQ_,@function
_ZN7rocprim17ROCPRIM_400000_NS6detail17trampoline_kernelINS0_14default_configENS1_22reduce_config_selectorIbEEZNS1_11reduce_implILb1ES3_N6hipcub16HIPCUB_304000_NS22TransformInputIteratorIbN2at6native12_GLOBAL__N_19NonZeroOpIbEEPKblEEPiiNS8_6detail34convert_binary_result_type_wrapperINS8_3SumESH_iEEEE10hipError_tPvRmT1_T2_T3_mT4_P12ihipStream_tbEUlT_E1_NS1_11comp_targetILNS1_3genE10ELNS1_11target_archE1200ELNS1_3gpuE4ELNS1_3repE0EEENS1_30default_config_static_selectorELNS0_4arch9wavefront6targetE0EEEvSQ_: ; @_ZN7rocprim17ROCPRIM_400000_NS6detail17trampoline_kernelINS0_14default_configENS1_22reduce_config_selectorIbEEZNS1_11reduce_implILb1ES3_N6hipcub16HIPCUB_304000_NS22TransformInputIteratorIbN2at6native12_GLOBAL__N_19NonZeroOpIbEEPKblEEPiiNS8_6detail34convert_binary_result_type_wrapperINS8_3SumESH_iEEEE10hipError_tPvRmT1_T2_T3_mT4_P12ihipStream_tbEUlT_E1_NS1_11comp_targetILNS1_3genE10ELNS1_11target_archE1200ELNS1_3gpuE4ELNS1_3repE0EEENS1_30default_config_static_selectorELNS0_4arch9wavefront6targetE0EEEvSQ_
; %bb.0:
	.section	.rodata,"a",@progbits
	.p2align	6, 0x0
	.amdhsa_kernel _ZN7rocprim17ROCPRIM_400000_NS6detail17trampoline_kernelINS0_14default_configENS1_22reduce_config_selectorIbEEZNS1_11reduce_implILb1ES3_N6hipcub16HIPCUB_304000_NS22TransformInputIteratorIbN2at6native12_GLOBAL__N_19NonZeroOpIbEEPKblEEPiiNS8_6detail34convert_binary_result_type_wrapperINS8_3SumESH_iEEEE10hipError_tPvRmT1_T2_T3_mT4_P12ihipStream_tbEUlT_E1_NS1_11comp_targetILNS1_3genE10ELNS1_11target_archE1200ELNS1_3gpuE4ELNS1_3repE0EEENS1_30default_config_static_selectorELNS0_4arch9wavefront6targetE0EEEvSQ_
		.amdhsa_group_segment_fixed_size 0
		.amdhsa_private_segment_fixed_size 0
		.amdhsa_kernarg_size 48
		.amdhsa_user_sgpr_count 2
		.amdhsa_user_sgpr_dispatch_ptr 0
		.amdhsa_user_sgpr_queue_ptr 0
		.amdhsa_user_sgpr_kernarg_segment_ptr 1
		.amdhsa_user_sgpr_dispatch_id 0
		.amdhsa_user_sgpr_private_segment_size 0
		.amdhsa_wavefront_size32 1
		.amdhsa_uses_dynamic_stack 0
		.amdhsa_enable_private_segment 0
		.amdhsa_system_sgpr_workgroup_id_x 1
		.amdhsa_system_sgpr_workgroup_id_y 0
		.amdhsa_system_sgpr_workgroup_id_z 0
		.amdhsa_system_sgpr_workgroup_info 0
		.amdhsa_system_vgpr_workitem_id 0
		.amdhsa_next_free_vgpr 1
		.amdhsa_next_free_sgpr 1
		.amdhsa_reserve_vcc 0
		.amdhsa_float_round_mode_32 0
		.amdhsa_float_round_mode_16_64 0
		.amdhsa_float_denorm_mode_32 3
		.amdhsa_float_denorm_mode_16_64 3
		.amdhsa_fp16_overflow 0
		.amdhsa_workgroup_processor_mode 1
		.amdhsa_memory_ordered 1
		.amdhsa_forward_progress 1
		.amdhsa_inst_pref_size 0
		.amdhsa_round_robin_scheduling 0
		.amdhsa_exception_fp_ieee_invalid_op 0
		.amdhsa_exception_fp_denorm_src 0
		.amdhsa_exception_fp_ieee_div_zero 0
		.amdhsa_exception_fp_ieee_overflow 0
		.amdhsa_exception_fp_ieee_underflow 0
		.amdhsa_exception_fp_ieee_inexact 0
		.amdhsa_exception_int_div_zero 0
	.end_amdhsa_kernel
	.section	.text._ZN7rocprim17ROCPRIM_400000_NS6detail17trampoline_kernelINS0_14default_configENS1_22reduce_config_selectorIbEEZNS1_11reduce_implILb1ES3_N6hipcub16HIPCUB_304000_NS22TransformInputIteratorIbN2at6native12_GLOBAL__N_19NonZeroOpIbEEPKblEEPiiNS8_6detail34convert_binary_result_type_wrapperINS8_3SumESH_iEEEE10hipError_tPvRmT1_T2_T3_mT4_P12ihipStream_tbEUlT_E1_NS1_11comp_targetILNS1_3genE10ELNS1_11target_archE1200ELNS1_3gpuE4ELNS1_3repE0EEENS1_30default_config_static_selectorELNS0_4arch9wavefront6targetE0EEEvSQ_,"axG",@progbits,_ZN7rocprim17ROCPRIM_400000_NS6detail17trampoline_kernelINS0_14default_configENS1_22reduce_config_selectorIbEEZNS1_11reduce_implILb1ES3_N6hipcub16HIPCUB_304000_NS22TransformInputIteratorIbN2at6native12_GLOBAL__N_19NonZeroOpIbEEPKblEEPiiNS8_6detail34convert_binary_result_type_wrapperINS8_3SumESH_iEEEE10hipError_tPvRmT1_T2_T3_mT4_P12ihipStream_tbEUlT_E1_NS1_11comp_targetILNS1_3genE10ELNS1_11target_archE1200ELNS1_3gpuE4ELNS1_3repE0EEENS1_30default_config_static_selectorELNS0_4arch9wavefront6targetE0EEEvSQ_,comdat
.Lfunc_end727:
	.size	_ZN7rocprim17ROCPRIM_400000_NS6detail17trampoline_kernelINS0_14default_configENS1_22reduce_config_selectorIbEEZNS1_11reduce_implILb1ES3_N6hipcub16HIPCUB_304000_NS22TransformInputIteratorIbN2at6native12_GLOBAL__N_19NonZeroOpIbEEPKblEEPiiNS8_6detail34convert_binary_result_type_wrapperINS8_3SumESH_iEEEE10hipError_tPvRmT1_T2_T3_mT4_P12ihipStream_tbEUlT_E1_NS1_11comp_targetILNS1_3genE10ELNS1_11target_archE1200ELNS1_3gpuE4ELNS1_3repE0EEENS1_30default_config_static_selectorELNS0_4arch9wavefront6targetE0EEEvSQ_, .Lfunc_end727-_ZN7rocprim17ROCPRIM_400000_NS6detail17trampoline_kernelINS0_14default_configENS1_22reduce_config_selectorIbEEZNS1_11reduce_implILb1ES3_N6hipcub16HIPCUB_304000_NS22TransformInputIteratorIbN2at6native12_GLOBAL__N_19NonZeroOpIbEEPKblEEPiiNS8_6detail34convert_binary_result_type_wrapperINS8_3SumESH_iEEEE10hipError_tPvRmT1_T2_T3_mT4_P12ihipStream_tbEUlT_E1_NS1_11comp_targetILNS1_3genE10ELNS1_11target_archE1200ELNS1_3gpuE4ELNS1_3repE0EEENS1_30default_config_static_selectorELNS0_4arch9wavefront6targetE0EEEvSQ_
                                        ; -- End function
	.set _ZN7rocprim17ROCPRIM_400000_NS6detail17trampoline_kernelINS0_14default_configENS1_22reduce_config_selectorIbEEZNS1_11reduce_implILb1ES3_N6hipcub16HIPCUB_304000_NS22TransformInputIteratorIbN2at6native12_GLOBAL__N_19NonZeroOpIbEEPKblEEPiiNS8_6detail34convert_binary_result_type_wrapperINS8_3SumESH_iEEEE10hipError_tPvRmT1_T2_T3_mT4_P12ihipStream_tbEUlT_E1_NS1_11comp_targetILNS1_3genE10ELNS1_11target_archE1200ELNS1_3gpuE4ELNS1_3repE0EEENS1_30default_config_static_selectorELNS0_4arch9wavefront6targetE0EEEvSQ_.num_vgpr, 0
	.set _ZN7rocprim17ROCPRIM_400000_NS6detail17trampoline_kernelINS0_14default_configENS1_22reduce_config_selectorIbEEZNS1_11reduce_implILb1ES3_N6hipcub16HIPCUB_304000_NS22TransformInputIteratorIbN2at6native12_GLOBAL__N_19NonZeroOpIbEEPKblEEPiiNS8_6detail34convert_binary_result_type_wrapperINS8_3SumESH_iEEEE10hipError_tPvRmT1_T2_T3_mT4_P12ihipStream_tbEUlT_E1_NS1_11comp_targetILNS1_3genE10ELNS1_11target_archE1200ELNS1_3gpuE4ELNS1_3repE0EEENS1_30default_config_static_selectorELNS0_4arch9wavefront6targetE0EEEvSQ_.num_agpr, 0
	.set _ZN7rocprim17ROCPRIM_400000_NS6detail17trampoline_kernelINS0_14default_configENS1_22reduce_config_selectorIbEEZNS1_11reduce_implILb1ES3_N6hipcub16HIPCUB_304000_NS22TransformInputIteratorIbN2at6native12_GLOBAL__N_19NonZeroOpIbEEPKblEEPiiNS8_6detail34convert_binary_result_type_wrapperINS8_3SumESH_iEEEE10hipError_tPvRmT1_T2_T3_mT4_P12ihipStream_tbEUlT_E1_NS1_11comp_targetILNS1_3genE10ELNS1_11target_archE1200ELNS1_3gpuE4ELNS1_3repE0EEENS1_30default_config_static_selectorELNS0_4arch9wavefront6targetE0EEEvSQ_.numbered_sgpr, 0
	.set _ZN7rocprim17ROCPRIM_400000_NS6detail17trampoline_kernelINS0_14default_configENS1_22reduce_config_selectorIbEEZNS1_11reduce_implILb1ES3_N6hipcub16HIPCUB_304000_NS22TransformInputIteratorIbN2at6native12_GLOBAL__N_19NonZeroOpIbEEPKblEEPiiNS8_6detail34convert_binary_result_type_wrapperINS8_3SumESH_iEEEE10hipError_tPvRmT1_T2_T3_mT4_P12ihipStream_tbEUlT_E1_NS1_11comp_targetILNS1_3genE10ELNS1_11target_archE1200ELNS1_3gpuE4ELNS1_3repE0EEENS1_30default_config_static_selectorELNS0_4arch9wavefront6targetE0EEEvSQ_.num_named_barrier, 0
	.set _ZN7rocprim17ROCPRIM_400000_NS6detail17trampoline_kernelINS0_14default_configENS1_22reduce_config_selectorIbEEZNS1_11reduce_implILb1ES3_N6hipcub16HIPCUB_304000_NS22TransformInputIteratorIbN2at6native12_GLOBAL__N_19NonZeroOpIbEEPKblEEPiiNS8_6detail34convert_binary_result_type_wrapperINS8_3SumESH_iEEEE10hipError_tPvRmT1_T2_T3_mT4_P12ihipStream_tbEUlT_E1_NS1_11comp_targetILNS1_3genE10ELNS1_11target_archE1200ELNS1_3gpuE4ELNS1_3repE0EEENS1_30default_config_static_selectorELNS0_4arch9wavefront6targetE0EEEvSQ_.private_seg_size, 0
	.set _ZN7rocprim17ROCPRIM_400000_NS6detail17trampoline_kernelINS0_14default_configENS1_22reduce_config_selectorIbEEZNS1_11reduce_implILb1ES3_N6hipcub16HIPCUB_304000_NS22TransformInputIteratorIbN2at6native12_GLOBAL__N_19NonZeroOpIbEEPKblEEPiiNS8_6detail34convert_binary_result_type_wrapperINS8_3SumESH_iEEEE10hipError_tPvRmT1_T2_T3_mT4_P12ihipStream_tbEUlT_E1_NS1_11comp_targetILNS1_3genE10ELNS1_11target_archE1200ELNS1_3gpuE4ELNS1_3repE0EEENS1_30default_config_static_selectorELNS0_4arch9wavefront6targetE0EEEvSQ_.uses_vcc, 0
	.set _ZN7rocprim17ROCPRIM_400000_NS6detail17trampoline_kernelINS0_14default_configENS1_22reduce_config_selectorIbEEZNS1_11reduce_implILb1ES3_N6hipcub16HIPCUB_304000_NS22TransformInputIteratorIbN2at6native12_GLOBAL__N_19NonZeroOpIbEEPKblEEPiiNS8_6detail34convert_binary_result_type_wrapperINS8_3SumESH_iEEEE10hipError_tPvRmT1_T2_T3_mT4_P12ihipStream_tbEUlT_E1_NS1_11comp_targetILNS1_3genE10ELNS1_11target_archE1200ELNS1_3gpuE4ELNS1_3repE0EEENS1_30default_config_static_selectorELNS0_4arch9wavefront6targetE0EEEvSQ_.uses_flat_scratch, 0
	.set _ZN7rocprim17ROCPRIM_400000_NS6detail17trampoline_kernelINS0_14default_configENS1_22reduce_config_selectorIbEEZNS1_11reduce_implILb1ES3_N6hipcub16HIPCUB_304000_NS22TransformInputIteratorIbN2at6native12_GLOBAL__N_19NonZeroOpIbEEPKblEEPiiNS8_6detail34convert_binary_result_type_wrapperINS8_3SumESH_iEEEE10hipError_tPvRmT1_T2_T3_mT4_P12ihipStream_tbEUlT_E1_NS1_11comp_targetILNS1_3genE10ELNS1_11target_archE1200ELNS1_3gpuE4ELNS1_3repE0EEENS1_30default_config_static_selectorELNS0_4arch9wavefront6targetE0EEEvSQ_.has_dyn_sized_stack, 0
	.set _ZN7rocprim17ROCPRIM_400000_NS6detail17trampoline_kernelINS0_14default_configENS1_22reduce_config_selectorIbEEZNS1_11reduce_implILb1ES3_N6hipcub16HIPCUB_304000_NS22TransformInputIteratorIbN2at6native12_GLOBAL__N_19NonZeroOpIbEEPKblEEPiiNS8_6detail34convert_binary_result_type_wrapperINS8_3SumESH_iEEEE10hipError_tPvRmT1_T2_T3_mT4_P12ihipStream_tbEUlT_E1_NS1_11comp_targetILNS1_3genE10ELNS1_11target_archE1200ELNS1_3gpuE4ELNS1_3repE0EEENS1_30default_config_static_selectorELNS0_4arch9wavefront6targetE0EEEvSQ_.has_recursion, 0
	.set _ZN7rocprim17ROCPRIM_400000_NS6detail17trampoline_kernelINS0_14default_configENS1_22reduce_config_selectorIbEEZNS1_11reduce_implILb1ES3_N6hipcub16HIPCUB_304000_NS22TransformInputIteratorIbN2at6native12_GLOBAL__N_19NonZeroOpIbEEPKblEEPiiNS8_6detail34convert_binary_result_type_wrapperINS8_3SumESH_iEEEE10hipError_tPvRmT1_T2_T3_mT4_P12ihipStream_tbEUlT_E1_NS1_11comp_targetILNS1_3genE10ELNS1_11target_archE1200ELNS1_3gpuE4ELNS1_3repE0EEENS1_30default_config_static_selectorELNS0_4arch9wavefront6targetE0EEEvSQ_.has_indirect_call, 0
	.section	.AMDGPU.csdata,"",@progbits
; Kernel info:
; codeLenInByte = 0
; TotalNumSgprs: 0
; NumVgprs: 0
; ScratchSize: 0
; MemoryBound: 0
; FloatMode: 240
; IeeeMode: 1
; LDSByteSize: 0 bytes/workgroup (compile time only)
; SGPRBlocks: 0
; VGPRBlocks: 0
; NumSGPRsForWavesPerEU: 1
; NumVGPRsForWavesPerEU: 1
; Occupancy: 16
; WaveLimiterHint : 0
; COMPUTE_PGM_RSRC2:SCRATCH_EN: 0
; COMPUTE_PGM_RSRC2:USER_SGPR: 2
; COMPUTE_PGM_RSRC2:TRAP_HANDLER: 0
; COMPUTE_PGM_RSRC2:TGID_X_EN: 1
; COMPUTE_PGM_RSRC2:TGID_Y_EN: 0
; COMPUTE_PGM_RSRC2:TGID_Z_EN: 0
; COMPUTE_PGM_RSRC2:TIDIG_COMP_CNT: 0
	.section	.text._ZN7rocprim17ROCPRIM_400000_NS6detail17trampoline_kernelINS0_14default_configENS1_22reduce_config_selectorIbEEZNS1_11reduce_implILb1ES3_N6hipcub16HIPCUB_304000_NS22TransformInputIteratorIbN2at6native12_GLOBAL__N_19NonZeroOpIbEEPKblEEPiiNS8_6detail34convert_binary_result_type_wrapperINS8_3SumESH_iEEEE10hipError_tPvRmT1_T2_T3_mT4_P12ihipStream_tbEUlT_E1_NS1_11comp_targetILNS1_3genE9ELNS1_11target_archE1100ELNS1_3gpuE3ELNS1_3repE0EEENS1_30default_config_static_selectorELNS0_4arch9wavefront6targetE0EEEvSQ_,"axG",@progbits,_ZN7rocprim17ROCPRIM_400000_NS6detail17trampoline_kernelINS0_14default_configENS1_22reduce_config_selectorIbEEZNS1_11reduce_implILb1ES3_N6hipcub16HIPCUB_304000_NS22TransformInputIteratorIbN2at6native12_GLOBAL__N_19NonZeroOpIbEEPKblEEPiiNS8_6detail34convert_binary_result_type_wrapperINS8_3SumESH_iEEEE10hipError_tPvRmT1_T2_T3_mT4_P12ihipStream_tbEUlT_E1_NS1_11comp_targetILNS1_3genE9ELNS1_11target_archE1100ELNS1_3gpuE3ELNS1_3repE0EEENS1_30default_config_static_selectorELNS0_4arch9wavefront6targetE0EEEvSQ_,comdat
	.globl	_ZN7rocprim17ROCPRIM_400000_NS6detail17trampoline_kernelINS0_14default_configENS1_22reduce_config_selectorIbEEZNS1_11reduce_implILb1ES3_N6hipcub16HIPCUB_304000_NS22TransformInputIteratorIbN2at6native12_GLOBAL__N_19NonZeroOpIbEEPKblEEPiiNS8_6detail34convert_binary_result_type_wrapperINS8_3SumESH_iEEEE10hipError_tPvRmT1_T2_T3_mT4_P12ihipStream_tbEUlT_E1_NS1_11comp_targetILNS1_3genE9ELNS1_11target_archE1100ELNS1_3gpuE3ELNS1_3repE0EEENS1_30default_config_static_selectorELNS0_4arch9wavefront6targetE0EEEvSQ_ ; -- Begin function _ZN7rocprim17ROCPRIM_400000_NS6detail17trampoline_kernelINS0_14default_configENS1_22reduce_config_selectorIbEEZNS1_11reduce_implILb1ES3_N6hipcub16HIPCUB_304000_NS22TransformInputIteratorIbN2at6native12_GLOBAL__N_19NonZeroOpIbEEPKblEEPiiNS8_6detail34convert_binary_result_type_wrapperINS8_3SumESH_iEEEE10hipError_tPvRmT1_T2_T3_mT4_P12ihipStream_tbEUlT_E1_NS1_11comp_targetILNS1_3genE9ELNS1_11target_archE1100ELNS1_3gpuE3ELNS1_3repE0EEENS1_30default_config_static_selectorELNS0_4arch9wavefront6targetE0EEEvSQ_
	.p2align	8
	.type	_ZN7rocprim17ROCPRIM_400000_NS6detail17trampoline_kernelINS0_14default_configENS1_22reduce_config_selectorIbEEZNS1_11reduce_implILb1ES3_N6hipcub16HIPCUB_304000_NS22TransformInputIteratorIbN2at6native12_GLOBAL__N_19NonZeroOpIbEEPKblEEPiiNS8_6detail34convert_binary_result_type_wrapperINS8_3SumESH_iEEEE10hipError_tPvRmT1_T2_T3_mT4_P12ihipStream_tbEUlT_E1_NS1_11comp_targetILNS1_3genE9ELNS1_11target_archE1100ELNS1_3gpuE3ELNS1_3repE0EEENS1_30default_config_static_selectorELNS0_4arch9wavefront6targetE0EEEvSQ_,@function
_ZN7rocprim17ROCPRIM_400000_NS6detail17trampoline_kernelINS0_14default_configENS1_22reduce_config_selectorIbEEZNS1_11reduce_implILb1ES3_N6hipcub16HIPCUB_304000_NS22TransformInputIteratorIbN2at6native12_GLOBAL__N_19NonZeroOpIbEEPKblEEPiiNS8_6detail34convert_binary_result_type_wrapperINS8_3SumESH_iEEEE10hipError_tPvRmT1_T2_T3_mT4_P12ihipStream_tbEUlT_E1_NS1_11comp_targetILNS1_3genE9ELNS1_11target_archE1100ELNS1_3gpuE3ELNS1_3repE0EEENS1_30default_config_static_selectorELNS0_4arch9wavefront6targetE0EEEvSQ_: ; @_ZN7rocprim17ROCPRIM_400000_NS6detail17trampoline_kernelINS0_14default_configENS1_22reduce_config_selectorIbEEZNS1_11reduce_implILb1ES3_N6hipcub16HIPCUB_304000_NS22TransformInputIteratorIbN2at6native12_GLOBAL__N_19NonZeroOpIbEEPKblEEPiiNS8_6detail34convert_binary_result_type_wrapperINS8_3SumESH_iEEEE10hipError_tPvRmT1_T2_T3_mT4_P12ihipStream_tbEUlT_E1_NS1_11comp_targetILNS1_3genE9ELNS1_11target_archE1100ELNS1_3gpuE3ELNS1_3repE0EEENS1_30default_config_static_selectorELNS0_4arch9wavefront6targetE0EEEvSQ_
; %bb.0:
	.section	.rodata,"a",@progbits
	.p2align	6, 0x0
	.amdhsa_kernel _ZN7rocprim17ROCPRIM_400000_NS6detail17trampoline_kernelINS0_14default_configENS1_22reduce_config_selectorIbEEZNS1_11reduce_implILb1ES3_N6hipcub16HIPCUB_304000_NS22TransformInputIteratorIbN2at6native12_GLOBAL__N_19NonZeroOpIbEEPKblEEPiiNS8_6detail34convert_binary_result_type_wrapperINS8_3SumESH_iEEEE10hipError_tPvRmT1_T2_T3_mT4_P12ihipStream_tbEUlT_E1_NS1_11comp_targetILNS1_3genE9ELNS1_11target_archE1100ELNS1_3gpuE3ELNS1_3repE0EEENS1_30default_config_static_selectorELNS0_4arch9wavefront6targetE0EEEvSQ_
		.amdhsa_group_segment_fixed_size 0
		.amdhsa_private_segment_fixed_size 0
		.amdhsa_kernarg_size 48
		.amdhsa_user_sgpr_count 2
		.amdhsa_user_sgpr_dispatch_ptr 0
		.amdhsa_user_sgpr_queue_ptr 0
		.amdhsa_user_sgpr_kernarg_segment_ptr 1
		.amdhsa_user_sgpr_dispatch_id 0
		.amdhsa_user_sgpr_private_segment_size 0
		.amdhsa_wavefront_size32 1
		.amdhsa_uses_dynamic_stack 0
		.amdhsa_enable_private_segment 0
		.amdhsa_system_sgpr_workgroup_id_x 1
		.amdhsa_system_sgpr_workgroup_id_y 0
		.amdhsa_system_sgpr_workgroup_id_z 0
		.amdhsa_system_sgpr_workgroup_info 0
		.amdhsa_system_vgpr_workitem_id 0
		.amdhsa_next_free_vgpr 1
		.amdhsa_next_free_sgpr 1
		.amdhsa_reserve_vcc 0
		.amdhsa_float_round_mode_32 0
		.amdhsa_float_round_mode_16_64 0
		.amdhsa_float_denorm_mode_32 3
		.amdhsa_float_denorm_mode_16_64 3
		.amdhsa_fp16_overflow 0
		.amdhsa_workgroup_processor_mode 1
		.amdhsa_memory_ordered 1
		.amdhsa_forward_progress 1
		.amdhsa_inst_pref_size 0
		.amdhsa_round_robin_scheduling 0
		.amdhsa_exception_fp_ieee_invalid_op 0
		.amdhsa_exception_fp_denorm_src 0
		.amdhsa_exception_fp_ieee_div_zero 0
		.amdhsa_exception_fp_ieee_overflow 0
		.amdhsa_exception_fp_ieee_underflow 0
		.amdhsa_exception_fp_ieee_inexact 0
		.amdhsa_exception_int_div_zero 0
	.end_amdhsa_kernel
	.section	.text._ZN7rocprim17ROCPRIM_400000_NS6detail17trampoline_kernelINS0_14default_configENS1_22reduce_config_selectorIbEEZNS1_11reduce_implILb1ES3_N6hipcub16HIPCUB_304000_NS22TransformInputIteratorIbN2at6native12_GLOBAL__N_19NonZeroOpIbEEPKblEEPiiNS8_6detail34convert_binary_result_type_wrapperINS8_3SumESH_iEEEE10hipError_tPvRmT1_T2_T3_mT4_P12ihipStream_tbEUlT_E1_NS1_11comp_targetILNS1_3genE9ELNS1_11target_archE1100ELNS1_3gpuE3ELNS1_3repE0EEENS1_30default_config_static_selectorELNS0_4arch9wavefront6targetE0EEEvSQ_,"axG",@progbits,_ZN7rocprim17ROCPRIM_400000_NS6detail17trampoline_kernelINS0_14default_configENS1_22reduce_config_selectorIbEEZNS1_11reduce_implILb1ES3_N6hipcub16HIPCUB_304000_NS22TransformInputIteratorIbN2at6native12_GLOBAL__N_19NonZeroOpIbEEPKblEEPiiNS8_6detail34convert_binary_result_type_wrapperINS8_3SumESH_iEEEE10hipError_tPvRmT1_T2_T3_mT4_P12ihipStream_tbEUlT_E1_NS1_11comp_targetILNS1_3genE9ELNS1_11target_archE1100ELNS1_3gpuE3ELNS1_3repE0EEENS1_30default_config_static_selectorELNS0_4arch9wavefront6targetE0EEEvSQ_,comdat
.Lfunc_end728:
	.size	_ZN7rocprim17ROCPRIM_400000_NS6detail17trampoline_kernelINS0_14default_configENS1_22reduce_config_selectorIbEEZNS1_11reduce_implILb1ES3_N6hipcub16HIPCUB_304000_NS22TransformInputIteratorIbN2at6native12_GLOBAL__N_19NonZeroOpIbEEPKblEEPiiNS8_6detail34convert_binary_result_type_wrapperINS8_3SumESH_iEEEE10hipError_tPvRmT1_T2_T3_mT4_P12ihipStream_tbEUlT_E1_NS1_11comp_targetILNS1_3genE9ELNS1_11target_archE1100ELNS1_3gpuE3ELNS1_3repE0EEENS1_30default_config_static_selectorELNS0_4arch9wavefront6targetE0EEEvSQ_, .Lfunc_end728-_ZN7rocprim17ROCPRIM_400000_NS6detail17trampoline_kernelINS0_14default_configENS1_22reduce_config_selectorIbEEZNS1_11reduce_implILb1ES3_N6hipcub16HIPCUB_304000_NS22TransformInputIteratorIbN2at6native12_GLOBAL__N_19NonZeroOpIbEEPKblEEPiiNS8_6detail34convert_binary_result_type_wrapperINS8_3SumESH_iEEEE10hipError_tPvRmT1_T2_T3_mT4_P12ihipStream_tbEUlT_E1_NS1_11comp_targetILNS1_3genE9ELNS1_11target_archE1100ELNS1_3gpuE3ELNS1_3repE0EEENS1_30default_config_static_selectorELNS0_4arch9wavefront6targetE0EEEvSQ_
                                        ; -- End function
	.set _ZN7rocprim17ROCPRIM_400000_NS6detail17trampoline_kernelINS0_14default_configENS1_22reduce_config_selectorIbEEZNS1_11reduce_implILb1ES3_N6hipcub16HIPCUB_304000_NS22TransformInputIteratorIbN2at6native12_GLOBAL__N_19NonZeroOpIbEEPKblEEPiiNS8_6detail34convert_binary_result_type_wrapperINS8_3SumESH_iEEEE10hipError_tPvRmT1_T2_T3_mT4_P12ihipStream_tbEUlT_E1_NS1_11comp_targetILNS1_3genE9ELNS1_11target_archE1100ELNS1_3gpuE3ELNS1_3repE0EEENS1_30default_config_static_selectorELNS0_4arch9wavefront6targetE0EEEvSQ_.num_vgpr, 0
	.set _ZN7rocprim17ROCPRIM_400000_NS6detail17trampoline_kernelINS0_14default_configENS1_22reduce_config_selectorIbEEZNS1_11reduce_implILb1ES3_N6hipcub16HIPCUB_304000_NS22TransformInputIteratorIbN2at6native12_GLOBAL__N_19NonZeroOpIbEEPKblEEPiiNS8_6detail34convert_binary_result_type_wrapperINS8_3SumESH_iEEEE10hipError_tPvRmT1_T2_T3_mT4_P12ihipStream_tbEUlT_E1_NS1_11comp_targetILNS1_3genE9ELNS1_11target_archE1100ELNS1_3gpuE3ELNS1_3repE0EEENS1_30default_config_static_selectorELNS0_4arch9wavefront6targetE0EEEvSQ_.num_agpr, 0
	.set _ZN7rocprim17ROCPRIM_400000_NS6detail17trampoline_kernelINS0_14default_configENS1_22reduce_config_selectorIbEEZNS1_11reduce_implILb1ES3_N6hipcub16HIPCUB_304000_NS22TransformInputIteratorIbN2at6native12_GLOBAL__N_19NonZeroOpIbEEPKblEEPiiNS8_6detail34convert_binary_result_type_wrapperINS8_3SumESH_iEEEE10hipError_tPvRmT1_T2_T3_mT4_P12ihipStream_tbEUlT_E1_NS1_11comp_targetILNS1_3genE9ELNS1_11target_archE1100ELNS1_3gpuE3ELNS1_3repE0EEENS1_30default_config_static_selectorELNS0_4arch9wavefront6targetE0EEEvSQ_.numbered_sgpr, 0
	.set _ZN7rocprim17ROCPRIM_400000_NS6detail17trampoline_kernelINS0_14default_configENS1_22reduce_config_selectorIbEEZNS1_11reduce_implILb1ES3_N6hipcub16HIPCUB_304000_NS22TransformInputIteratorIbN2at6native12_GLOBAL__N_19NonZeroOpIbEEPKblEEPiiNS8_6detail34convert_binary_result_type_wrapperINS8_3SumESH_iEEEE10hipError_tPvRmT1_T2_T3_mT4_P12ihipStream_tbEUlT_E1_NS1_11comp_targetILNS1_3genE9ELNS1_11target_archE1100ELNS1_3gpuE3ELNS1_3repE0EEENS1_30default_config_static_selectorELNS0_4arch9wavefront6targetE0EEEvSQ_.num_named_barrier, 0
	.set _ZN7rocprim17ROCPRIM_400000_NS6detail17trampoline_kernelINS0_14default_configENS1_22reduce_config_selectorIbEEZNS1_11reduce_implILb1ES3_N6hipcub16HIPCUB_304000_NS22TransformInputIteratorIbN2at6native12_GLOBAL__N_19NonZeroOpIbEEPKblEEPiiNS8_6detail34convert_binary_result_type_wrapperINS8_3SumESH_iEEEE10hipError_tPvRmT1_T2_T3_mT4_P12ihipStream_tbEUlT_E1_NS1_11comp_targetILNS1_3genE9ELNS1_11target_archE1100ELNS1_3gpuE3ELNS1_3repE0EEENS1_30default_config_static_selectorELNS0_4arch9wavefront6targetE0EEEvSQ_.private_seg_size, 0
	.set _ZN7rocprim17ROCPRIM_400000_NS6detail17trampoline_kernelINS0_14default_configENS1_22reduce_config_selectorIbEEZNS1_11reduce_implILb1ES3_N6hipcub16HIPCUB_304000_NS22TransformInputIteratorIbN2at6native12_GLOBAL__N_19NonZeroOpIbEEPKblEEPiiNS8_6detail34convert_binary_result_type_wrapperINS8_3SumESH_iEEEE10hipError_tPvRmT1_T2_T3_mT4_P12ihipStream_tbEUlT_E1_NS1_11comp_targetILNS1_3genE9ELNS1_11target_archE1100ELNS1_3gpuE3ELNS1_3repE0EEENS1_30default_config_static_selectorELNS0_4arch9wavefront6targetE0EEEvSQ_.uses_vcc, 0
	.set _ZN7rocprim17ROCPRIM_400000_NS6detail17trampoline_kernelINS0_14default_configENS1_22reduce_config_selectorIbEEZNS1_11reduce_implILb1ES3_N6hipcub16HIPCUB_304000_NS22TransformInputIteratorIbN2at6native12_GLOBAL__N_19NonZeroOpIbEEPKblEEPiiNS8_6detail34convert_binary_result_type_wrapperINS8_3SumESH_iEEEE10hipError_tPvRmT1_T2_T3_mT4_P12ihipStream_tbEUlT_E1_NS1_11comp_targetILNS1_3genE9ELNS1_11target_archE1100ELNS1_3gpuE3ELNS1_3repE0EEENS1_30default_config_static_selectorELNS0_4arch9wavefront6targetE0EEEvSQ_.uses_flat_scratch, 0
	.set _ZN7rocprim17ROCPRIM_400000_NS6detail17trampoline_kernelINS0_14default_configENS1_22reduce_config_selectorIbEEZNS1_11reduce_implILb1ES3_N6hipcub16HIPCUB_304000_NS22TransformInputIteratorIbN2at6native12_GLOBAL__N_19NonZeroOpIbEEPKblEEPiiNS8_6detail34convert_binary_result_type_wrapperINS8_3SumESH_iEEEE10hipError_tPvRmT1_T2_T3_mT4_P12ihipStream_tbEUlT_E1_NS1_11comp_targetILNS1_3genE9ELNS1_11target_archE1100ELNS1_3gpuE3ELNS1_3repE0EEENS1_30default_config_static_selectorELNS0_4arch9wavefront6targetE0EEEvSQ_.has_dyn_sized_stack, 0
	.set _ZN7rocprim17ROCPRIM_400000_NS6detail17trampoline_kernelINS0_14default_configENS1_22reduce_config_selectorIbEEZNS1_11reduce_implILb1ES3_N6hipcub16HIPCUB_304000_NS22TransformInputIteratorIbN2at6native12_GLOBAL__N_19NonZeroOpIbEEPKblEEPiiNS8_6detail34convert_binary_result_type_wrapperINS8_3SumESH_iEEEE10hipError_tPvRmT1_T2_T3_mT4_P12ihipStream_tbEUlT_E1_NS1_11comp_targetILNS1_3genE9ELNS1_11target_archE1100ELNS1_3gpuE3ELNS1_3repE0EEENS1_30default_config_static_selectorELNS0_4arch9wavefront6targetE0EEEvSQ_.has_recursion, 0
	.set _ZN7rocprim17ROCPRIM_400000_NS6detail17trampoline_kernelINS0_14default_configENS1_22reduce_config_selectorIbEEZNS1_11reduce_implILb1ES3_N6hipcub16HIPCUB_304000_NS22TransformInputIteratorIbN2at6native12_GLOBAL__N_19NonZeroOpIbEEPKblEEPiiNS8_6detail34convert_binary_result_type_wrapperINS8_3SumESH_iEEEE10hipError_tPvRmT1_T2_T3_mT4_P12ihipStream_tbEUlT_E1_NS1_11comp_targetILNS1_3genE9ELNS1_11target_archE1100ELNS1_3gpuE3ELNS1_3repE0EEENS1_30default_config_static_selectorELNS0_4arch9wavefront6targetE0EEEvSQ_.has_indirect_call, 0
	.section	.AMDGPU.csdata,"",@progbits
; Kernel info:
; codeLenInByte = 0
; TotalNumSgprs: 0
; NumVgprs: 0
; ScratchSize: 0
; MemoryBound: 0
; FloatMode: 240
; IeeeMode: 1
; LDSByteSize: 0 bytes/workgroup (compile time only)
; SGPRBlocks: 0
; VGPRBlocks: 0
; NumSGPRsForWavesPerEU: 1
; NumVGPRsForWavesPerEU: 1
; Occupancy: 16
; WaveLimiterHint : 0
; COMPUTE_PGM_RSRC2:SCRATCH_EN: 0
; COMPUTE_PGM_RSRC2:USER_SGPR: 2
; COMPUTE_PGM_RSRC2:TRAP_HANDLER: 0
; COMPUTE_PGM_RSRC2:TGID_X_EN: 1
; COMPUTE_PGM_RSRC2:TGID_Y_EN: 0
; COMPUTE_PGM_RSRC2:TGID_Z_EN: 0
; COMPUTE_PGM_RSRC2:TIDIG_COMP_CNT: 0
	.section	.text._ZN7rocprim17ROCPRIM_400000_NS6detail17trampoline_kernelINS0_14default_configENS1_22reduce_config_selectorIbEEZNS1_11reduce_implILb1ES3_N6hipcub16HIPCUB_304000_NS22TransformInputIteratorIbN2at6native12_GLOBAL__N_19NonZeroOpIbEEPKblEEPiiNS8_6detail34convert_binary_result_type_wrapperINS8_3SumESH_iEEEE10hipError_tPvRmT1_T2_T3_mT4_P12ihipStream_tbEUlT_E1_NS1_11comp_targetILNS1_3genE8ELNS1_11target_archE1030ELNS1_3gpuE2ELNS1_3repE0EEENS1_30default_config_static_selectorELNS0_4arch9wavefront6targetE0EEEvSQ_,"axG",@progbits,_ZN7rocprim17ROCPRIM_400000_NS6detail17trampoline_kernelINS0_14default_configENS1_22reduce_config_selectorIbEEZNS1_11reduce_implILb1ES3_N6hipcub16HIPCUB_304000_NS22TransformInputIteratorIbN2at6native12_GLOBAL__N_19NonZeroOpIbEEPKblEEPiiNS8_6detail34convert_binary_result_type_wrapperINS8_3SumESH_iEEEE10hipError_tPvRmT1_T2_T3_mT4_P12ihipStream_tbEUlT_E1_NS1_11comp_targetILNS1_3genE8ELNS1_11target_archE1030ELNS1_3gpuE2ELNS1_3repE0EEENS1_30default_config_static_selectorELNS0_4arch9wavefront6targetE0EEEvSQ_,comdat
	.globl	_ZN7rocprim17ROCPRIM_400000_NS6detail17trampoline_kernelINS0_14default_configENS1_22reduce_config_selectorIbEEZNS1_11reduce_implILb1ES3_N6hipcub16HIPCUB_304000_NS22TransformInputIteratorIbN2at6native12_GLOBAL__N_19NonZeroOpIbEEPKblEEPiiNS8_6detail34convert_binary_result_type_wrapperINS8_3SumESH_iEEEE10hipError_tPvRmT1_T2_T3_mT4_P12ihipStream_tbEUlT_E1_NS1_11comp_targetILNS1_3genE8ELNS1_11target_archE1030ELNS1_3gpuE2ELNS1_3repE0EEENS1_30default_config_static_selectorELNS0_4arch9wavefront6targetE0EEEvSQ_ ; -- Begin function _ZN7rocprim17ROCPRIM_400000_NS6detail17trampoline_kernelINS0_14default_configENS1_22reduce_config_selectorIbEEZNS1_11reduce_implILb1ES3_N6hipcub16HIPCUB_304000_NS22TransformInputIteratorIbN2at6native12_GLOBAL__N_19NonZeroOpIbEEPKblEEPiiNS8_6detail34convert_binary_result_type_wrapperINS8_3SumESH_iEEEE10hipError_tPvRmT1_T2_T3_mT4_P12ihipStream_tbEUlT_E1_NS1_11comp_targetILNS1_3genE8ELNS1_11target_archE1030ELNS1_3gpuE2ELNS1_3repE0EEENS1_30default_config_static_selectorELNS0_4arch9wavefront6targetE0EEEvSQ_
	.p2align	8
	.type	_ZN7rocprim17ROCPRIM_400000_NS6detail17trampoline_kernelINS0_14default_configENS1_22reduce_config_selectorIbEEZNS1_11reduce_implILb1ES3_N6hipcub16HIPCUB_304000_NS22TransformInputIteratorIbN2at6native12_GLOBAL__N_19NonZeroOpIbEEPKblEEPiiNS8_6detail34convert_binary_result_type_wrapperINS8_3SumESH_iEEEE10hipError_tPvRmT1_T2_T3_mT4_P12ihipStream_tbEUlT_E1_NS1_11comp_targetILNS1_3genE8ELNS1_11target_archE1030ELNS1_3gpuE2ELNS1_3repE0EEENS1_30default_config_static_selectorELNS0_4arch9wavefront6targetE0EEEvSQ_,@function
_ZN7rocprim17ROCPRIM_400000_NS6detail17trampoline_kernelINS0_14default_configENS1_22reduce_config_selectorIbEEZNS1_11reduce_implILb1ES3_N6hipcub16HIPCUB_304000_NS22TransformInputIteratorIbN2at6native12_GLOBAL__N_19NonZeroOpIbEEPKblEEPiiNS8_6detail34convert_binary_result_type_wrapperINS8_3SumESH_iEEEE10hipError_tPvRmT1_T2_T3_mT4_P12ihipStream_tbEUlT_E1_NS1_11comp_targetILNS1_3genE8ELNS1_11target_archE1030ELNS1_3gpuE2ELNS1_3repE0EEENS1_30default_config_static_selectorELNS0_4arch9wavefront6targetE0EEEvSQ_: ; @_ZN7rocprim17ROCPRIM_400000_NS6detail17trampoline_kernelINS0_14default_configENS1_22reduce_config_selectorIbEEZNS1_11reduce_implILb1ES3_N6hipcub16HIPCUB_304000_NS22TransformInputIteratorIbN2at6native12_GLOBAL__N_19NonZeroOpIbEEPKblEEPiiNS8_6detail34convert_binary_result_type_wrapperINS8_3SumESH_iEEEE10hipError_tPvRmT1_T2_T3_mT4_P12ihipStream_tbEUlT_E1_NS1_11comp_targetILNS1_3genE8ELNS1_11target_archE1030ELNS1_3gpuE2ELNS1_3repE0EEENS1_30default_config_static_selectorELNS0_4arch9wavefront6targetE0EEEvSQ_
; %bb.0:
	.section	.rodata,"a",@progbits
	.p2align	6, 0x0
	.amdhsa_kernel _ZN7rocprim17ROCPRIM_400000_NS6detail17trampoline_kernelINS0_14default_configENS1_22reduce_config_selectorIbEEZNS1_11reduce_implILb1ES3_N6hipcub16HIPCUB_304000_NS22TransformInputIteratorIbN2at6native12_GLOBAL__N_19NonZeroOpIbEEPKblEEPiiNS8_6detail34convert_binary_result_type_wrapperINS8_3SumESH_iEEEE10hipError_tPvRmT1_T2_T3_mT4_P12ihipStream_tbEUlT_E1_NS1_11comp_targetILNS1_3genE8ELNS1_11target_archE1030ELNS1_3gpuE2ELNS1_3repE0EEENS1_30default_config_static_selectorELNS0_4arch9wavefront6targetE0EEEvSQ_
		.amdhsa_group_segment_fixed_size 0
		.amdhsa_private_segment_fixed_size 0
		.amdhsa_kernarg_size 48
		.amdhsa_user_sgpr_count 2
		.amdhsa_user_sgpr_dispatch_ptr 0
		.amdhsa_user_sgpr_queue_ptr 0
		.amdhsa_user_sgpr_kernarg_segment_ptr 1
		.amdhsa_user_sgpr_dispatch_id 0
		.amdhsa_user_sgpr_private_segment_size 0
		.amdhsa_wavefront_size32 1
		.amdhsa_uses_dynamic_stack 0
		.amdhsa_enable_private_segment 0
		.amdhsa_system_sgpr_workgroup_id_x 1
		.amdhsa_system_sgpr_workgroup_id_y 0
		.amdhsa_system_sgpr_workgroup_id_z 0
		.amdhsa_system_sgpr_workgroup_info 0
		.amdhsa_system_vgpr_workitem_id 0
		.amdhsa_next_free_vgpr 1
		.amdhsa_next_free_sgpr 1
		.amdhsa_reserve_vcc 0
		.amdhsa_float_round_mode_32 0
		.amdhsa_float_round_mode_16_64 0
		.amdhsa_float_denorm_mode_32 3
		.amdhsa_float_denorm_mode_16_64 3
		.amdhsa_fp16_overflow 0
		.amdhsa_workgroup_processor_mode 1
		.amdhsa_memory_ordered 1
		.amdhsa_forward_progress 1
		.amdhsa_inst_pref_size 0
		.amdhsa_round_robin_scheduling 0
		.amdhsa_exception_fp_ieee_invalid_op 0
		.amdhsa_exception_fp_denorm_src 0
		.amdhsa_exception_fp_ieee_div_zero 0
		.amdhsa_exception_fp_ieee_overflow 0
		.amdhsa_exception_fp_ieee_underflow 0
		.amdhsa_exception_fp_ieee_inexact 0
		.amdhsa_exception_int_div_zero 0
	.end_amdhsa_kernel
	.section	.text._ZN7rocprim17ROCPRIM_400000_NS6detail17trampoline_kernelINS0_14default_configENS1_22reduce_config_selectorIbEEZNS1_11reduce_implILb1ES3_N6hipcub16HIPCUB_304000_NS22TransformInputIteratorIbN2at6native12_GLOBAL__N_19NonZeroOpIbEEPKblEEPiiNS8_6detail34convert_binary_result_type_wrapperINS8_3SumESH_iEEEE10hipError_tPvRmT1_T2_T3_mT4_P12ihipStream_tbEUlT_E1_NS1_11comp_targetILNS1_3genE8ELNS1_11target_archE1030ELNS1_3gpuE2ELNS1_3repE0EEENS1_30default_config_static_selectorELNS0_4arch9wavefront6targetE0EEEvSQ_,"axG",@progbits,_ZN7rocprim17ROCPRIM_400000_NS6detail17trampoline_kernelINS0_14default_configENS1_22reduce_config_selectorIbEEZNS1_11reduce_implILb1ES3_N6hipcub16HIPCUB_304000_NS22TransformInputIteratorIbN2at6native12_GLOBAL__N_19NonZeroOpIbEEPKblEEPiiNS8_6detail34convert_binary_result_type_wrapperINS8_3SumESH_iEEEE10hipError_tPvRmT1_T2_T3_mT4_P12ihipStream_tbEUlT_E1_NS1_11comp_targetILNS1_3genE8ELNS1_11target_archE1030ELNS1_3gpuE2ELNS1_3repE0EEENS1_30default_config_static_selectorELNS0_4arch9wavefront6targetE0EEEvSQ_,comdat
.Lfunc_end729:
	.size	_ZN7rocprim17ROCPRIM_400000_NS6detail17trampoline_kernelINS0_14default_configENS1_22reduce_config_selectorIbEEZNS1_11reduce_implILb1ES3_N6hipcub16HIPCUB_304000_NS22TransformInputIteratorIbN2at6native12_GLOBAL__N_19NonZeroOpIbEEPKblEEPiiNS8_6detail34convert_binary_result_type_wrapperINS8_3SumESH_iEEEE10hipError_tPvRmT1_T2_T3_mT4_P12ihipStream_tbEUlT_E1_NS1_11comp_targetILNS1_3genE8ELNS1_11target_archE1030ELNS1_3gpuE2ELNS1_3repE0EEENS1_30default_config_static_selectorELNS0_4arch9wavefront6targetE0EEEvSQ_, .Lfunc_end729-_ZN7rocprim17ROCPRIM_400000_NS6detail17trampoline_kernelINS0_14default_configENS1_22reduce_config_selectorIbEEZNS1_11reduce_implILb1ES3_N6hipcub16HIPCUB_304000_NS22TransformInputIteratorIbN2at6native12_GLOBAL__N_19NonZeroOpIbEEPKblEEPiiNS8_6detail34convert_binary_result_type_wrapperINS8_3SumESH_iEEEE10hipError_tPvRmT1_T2_T3_mT4_P12ihipStream_tbEUlT_E1_NS1_11comp_targetILNS1_3genE8ELNS1_11target_archE1030ELNS1_3gpuE2ELNS1_3repE0EEENS1_30default_config_static_selectorELNS0_4arch9wavefront6targetE0EEEvSQ_
                                        ; -- End function
	.set _ZN7rocprim17ROCPRIM_400000_NS6detail17trampoline_kernelINS0_14default_configENS1_22reduce_config_selectorIbEEZNS1_11reduce_implILb1ES3_N6hipcub16HIPCUB_304000_NS22TransformInputIteratorIbN2at6native12_GLOBAL__N_19NonZeroOpIbEEPKblEEPiiNS8_6detail34convert_binary_result_type_wrapperINS8_3SumESH_iEEEE10hipError_tPvRmT1_T2_T3_mT4_P12ihipStream_tbEUlT_E1_NS1_11comp_targetILNS1_3genE8ELNS1_11target_archE1030ELNS1_3gpuE2ELNS1_3repE0EEENS1_30default_config_static_selectorELNS0_4arch9wavefront6targetE0EEEvSQ_.num_vgpr, 0
	.set _ZN7rocprim17ROCPRIM_400000_NS6detail17trampoline_kernelINS0_14default_configENS1_22reduce_config_selectorIbEEZNS1_11reduce_implILb1ES3_N6hipcub16HIPCUB_304000_NS22TransformInputIteratorIbN2at6native12_GLOBAL__N_19NonZeroOpIbEEPKblEEPiiNS8_6detail34convert_binary_result_type_wrapperINS8_3SumESH_iEEEE10hipError_tPvRmT1_T2_T3_mT4_P12ihipStream_tbEUlT_E1_NS1_11comp_targetILNS1_3genE8ELNS1_11target_archE1030ELNS1_3gpuE2ELNS1_3repE0EEENS1_30default_config_static_selectorELNS0_4arch9wavefront6targetE0EEEvSQ_.num_agpr, 0
	.set _ZN7rocprim17ROCPRIM_400000_NS6detail17trampoline_kernelINS0_14default_configENS1_22reduce_config_selectorIbEEZNS1_11reduce_implILb1ES3_N6hipcub16HIPCUB_304000_NS22TransformInputIteratorIbN2at6native12_GLOBAL__N_19NonZeroOpIbEEPKblEEPiiNS8_6detail34convert_binary_result_type_wrapperINS8_3SumESH_iEEEE10hipError_tPvRmT1_T2_T3_mT4_P12ihipStream_tbEUlT_E1_NS1_11comp_targetILNS1_3genE8ELNS1_11target_archE1030ELNS1_3gpuE2ELNS1_3repE0EEENS1_30default_config_static_selectorELNS0_4arch9wavefront6targetE0EEEvSQ_.numbered_sgpr, 0
	.set _ZN7rocprim17ROCPRIM_400000_NS6detail17trampoline_kernelINS0_14default_configENS1_22reduce_config_selectorIbEEZNS1_11reduce_implILb1ES3_N6hipcub16HIPCUB_304000_NS22TransformInputIteratorIbN2at6native12_GLOBAL__N_19NonZeroOpIbEEPKblEEPiiNS8_6detail34convert_binary_result_type_wrapperINS8_3SumESH_iEEEE10hipError_tPvRmT1_T2_T3_mT4_P12ihipStream_tbEUlT_E1_NS1_11comp_targetILNS1_3genE8ELNS1_11target_archE1030ELNS1_3gpuE2ELNS1_3repE0EEENS1_30default_config_static_selectorELNS0_4arch9wavefront6targetE0EEEvSQ_.num_named_barrier, 0
	.set _ZN7rocprim17ROCPRIM_400000_NS6detail17trampoline_kernelINS0_14default_configENS1_22reduce_config_selectorIbEEZNS1_11reduce_implILb1ES3_N6hipcub16HIPCUB_304000_NS22TransformInputIteratorIbN2at6native12_GLOBAL__N_19NonZeroOpIbEEPKblEEPiiNS8_6detail34convert_binary_result_type_wrapperINS8_3SumESH_iEEEE10hipError_tPvRmT1_T2_T3_mT4_P12ihipStream_tbEUlT_E1_NS1_11comp_targetILNS1_3genE8ELNS1_11target_archE1030ELNS1_3gpuE2ELNS1_3repE0EEENS1_30default_config_static_selectorELNS0_4arch9wavefront6targetE0EEEvSQ_.private_seg_size, 0
	.set _ZN7rocprim17ROCPRIM_400000_NS6detail17trampoline_kernelINS0_14default_configENS1_22reduce_config_selectorIbEEZNS1_11reduce_implILb1ES3_N6hipcub16HIPCUB_304000_NS22TransformInputIteratorIbN2at6native12_GLOBAL__N_19NonZeroOpIbEEPKblEEPiiNS8_6detail34convert_binary_result_type_wrapperINS8_3SumESH_iEEEE10hipError_tPvRmT1_T2_T3_mT4_P12ihipStream_tbEUlT_E1_NS1_11comp_targetILNS1_3genE8ELNS1_11target_archE1030ELNS1_3gpuE2ELNS1_3repE0EEENS1_30default_config_static_selectorELNS0_4arch9wavefront6targetE0EEEvSQ_.uses_vcc, 0
	.set _ZN7rocprim17ROCPRIM_400000_NS6detail17trampoline_kernelINS0_14default_configENS1_22reduce_config_selectorIbEEZNS1_11reduce_implILb1ES3_N6hipcub16HIPCUB_304000_NS22TransformInputIteratorIbN2at6native12_GLOBAL__N_19NonZeroOpIbEEPKblEEPiiNS8_6detail34convert_binary_result_type_wrapperINS8_3SumESH_iEEEE10hipError_tPvRmT1_T2_T3_mT4_P12ihipStream_tbEUlT_E1_NS1_11comp_targetILNS1_3genE8ELNS1_11target_archE1030ELNS1_3gpuE2ELNS1_3repE0EEENS1_30default_config_static_selectorELNS0_4arch9wavefront6targetE0EEEvSQ_.uses_flat_scratch, 0
	.set _ZN7rocprim17ROCPRIM_400000_NS6detail17trampoline_kernelINS0_14default_configENS1_22reduce_config_selectorIbEEZNS1_11reduce_implILb1ES3_N6hipcub16HIPCUB_304000_NS22TransformInputIteratorIbN2at6native12_GLOBAL__N_19NonZeroOpIbEEPKblEEPiiNS8_6detail34convert_binary_result_type_wrapperINS8_3SumESH_iEEEE10hipError_tPvRmT1_T2_T3_mT4_P12ihipStream_tbEUlT_E1_NS1_11comp_targetILNS1_3genE8ELNS1_11target_archE1030ELNS1_3gpuE2ELNS1_3repE0EEENS1_30default_config_static_selectorELNS0_4arch9wavefront6targetE0EEEvSQ_.has_dyn_sized_stack, 0
	.set _ZN7rocprim17ROCPRIM_400000_NS6detail17trampoline_kernelINS0_14default_configENS1_22reduce_config_selectorIbEEZNS1_11reduce_implILb1ES3_N6hipcub16HIPCUB_304000_NS22TransformInputIteratorIbN2at6native12_GLOBAL__N_19NonZeroOpIbEEPKblEEPiiNS8_6detail34convert_binary_result_type_wrapperINS8_3SumESH_iEEEE10hipError_tPvRmT1_T2_T3_mT4_P12ihipStream_tbEUlT_E1_NS1_11comp_targetILNS1_3genE8ELNS1_11target_archE1030ELNS1_3gpuE2ELNS1_3repE0EEENS1_30default_config_static_selectorELNS0_4arch9wavefront6targetE0EEEvSQ_.has_recursion, 0
	.set _ZN7rocprim17ROCPRIM_400000_NS6detail17trampoline_kernelINS0_14default_configENS1_22reduce_config_selectorIbEEZNS1_11reduce_implILb1ES3_N6hipcub16HIPCUB_304000_NS22TransformInputIteratorIbN2at6native12_GLOBAL__N_19NonZeroOpIbEEPKblEEPiiNS8_6detail34convert_binary_result_type_wrapperINS8_3SumESH_iEEEE10hipError_tPvRmT1_T2_T3_mT4_P12ihipStream_tbEUlT_E1_NS1_11comp_targetILNS1_3genE8ELNS1_11target_archE1030ELNS1_3gpuE2ELNS1_3repE0EEENS1_30default_config_static_selectorELNS0_4arch9wavefront6targetE0EEEvSQ_.has_indirect_call, 0
	.section	.AMDGPU.csdata,"",@progbits
; Kernel info:
; codeLenInByte = 0
; TotalNumSgprs: 0
; NumVgprs: 0
; ScratchSize: 0
; MemoryBound: 0
; FloatMode: 240
; IeeeMode: 1
; LDSByteSize: 0 bytes/workgroup (compile time only)
; SGPRBlocks: 0
; VGPRBlocks: 0
; NumSGPRsForWavesPerEU: 1
; NumVGPRsForWavesPerEU: 1
; Occupancy: 16
; WaveLimiterHint : 0
; COMPUTE_PGM_RSRC2:SCRATCH_EN: 0
; COMPUTE_PGM_RSRC2:USER_SGPR: 2
; COMPUTE_PGM_RSRC2:TRAP_HANDLER: 0
; COMPUTE_PGM_RSRC2:TGID_X_EN: 1
; COMPUTE_PGM_RSRC2:TGID_Y_EN: 0
; COMPUTE_PGM_RSRC2:TGID_Z_EN: 0
; COMPUTE_PGM_RSRC2:TIDIG_COMP_CNT: 0
	.section	.text._ZN7rocprim17ROCPRIM_400000_NS6detail17trampoline_kernelINS0_14default_configENS1_25partition_config_selectorILNS1_17partition_subalgoE5ElNS0_10empty_typeEbEEZZNS1_14partition_implILS5_5ELb0ES3_mN6hipcub16HIPCUB_304000_NS21CountingInputIteratorIllEEPS6_NSA_22TransformInputIteratorIbN2at6native12_GLOBAL__N_19NonZeroOpIbEEPKblEENS0_5tupleIJPlS6_EEENSN_IJSD_SD_EEES6_PiJS6_EEE10hipError_tPvRmT3_T4_T5_T6_T7_T9_mT8_P12ihipStream_tbDpT10_ENKUlT_T0_E_clISt17integral_constantIbLb0EES1B_EEDaS16_S17_EUlS16_E_NS1_11comp_targetILNS1_3genE0ELNS1_11target_archE4294967295ELNS1_3gpuE0ELNS1_3repE0EEENS1_30default_config_static_selectorELNS0_4arch9wavefront6targetE0EEEvT1_,"axG",@progbits,_ZN7rocprim17ROCPRIM_400000_NS6detail17trampoline_kernelINS0_14default_configENS1_25partition_config_selectorILNS1_17partition_subalgoE5ElNS0_10empty_typeEbEEZZNS1_14partition_implILS5_5ELb0ES3_mN6hipcub16HIPCUB_304000_NS21CountingInputIteratorIllEEPS6_NSA_22TransformInputIteratorIbN2at6native12_GLOBAL__N_19NonZeroOpIbEEPKblEENS0_5tupleIJPlS6_EEENSN_IJSD_SD_EEES6_PiJS6_EEE10hipError_tPvRmT3_T4_T5_T6_T7_T9_mT8_P12ihipStream_tbDpT10_ENKUlT_T0_E_clISt17integral_constantIbLb0EES1B_EEDaS16_S17_EUlS16_E_NS1_11comp_targetILNS1_3genE0ELNS1_11target_archE4294967295ELNS1_3gpuE0ELNS1_3repE0EEENS1_30default_config_static_selectorELNS0_4arch9wavefront6targetE0EEEvT1_,comdat
	.globl	_ZN7rocprim17ROCPRIM_400000_NS6detail17trampoline_kernelINS0_14default_configENS1_25partition_config_selectorILNS1_17partition_subalgoE5ElNS0_10empty_typeEbEEZZNS1_14partition_implILS5_5ELb0ES3_mN6hipcub16HIPCUB_304000_NS21CountingInputIteratorIllEEPS6_NSA_22TransformInputIteratorIbN2at6native12_GLOBAL__N_19NonZeroOpIbEEPKblEENS0_5tupleIJPlS6_EEENSN_IJSD_SD_EEES6_PiJS6_EEE10hipError_tPvRmT3_T4_T5_T6_T7_T9_mT8_P12ihipStream_tbDpT10_ENKUlT_T0_E_clISt17integral_constantIbLb0EES1B_EEDaS16_S17_EUlS16_E_NS1_11comp_targetILNS1_3genE0ELNS1_11target_archE4294967295ELNS1_3gpuE0ELNS1_3repE0EEENS1_30default_config_static_selectorELNS0_4arch9wavefront6targetE0EEEvT1_ ; -- Begin function _ZN7rocprim17ROCPRIM_400000_NS6detail17trampoline_kernelINS0_14default_configENS1_25partition_config_selectorILNS1_17partition_subalgoE5ElNS0_10empty_typeEbEEZZNS1_14partition_implILS5_5ELb0ES3_mN6hipcub16HIPCUB_304000_NS21CountingInputIteratorIllEEPS6_NSA_22TransformInputIteratorIbN2at6native12_GLOBAL__N_19NonZeroOpIbEEPKblEENS0_5tupleIJPlS6_EEENSN_IJSD_SD_EEES6_PiJS6_EEE10hipError_tPvRmT3_T4_T5_T6_T7_T9_mT8_P12ihipStream_tbDpT10_ENKUlT_T0_E_clISt17integral_constantIbLb0EES1B_EEDaS16_S17_EUlS16_E_NS1_11comp_targetILNS1_3genE0ELNS1_11target_archE4294967295ELNS1_3gpuE0ELNS1_3repE0EEENS1_30default_config_static_selectorELNS0_4arch9wavefront6targetE0EEEvT1_
	.p2align	8
	.type	_ZN7rocprim17ROCPRIM_400000_NS6detail17trampoline_kernelINS0_14default_configENS1_25partition_config_selectorILNS1_17partition_subalgoE5ElNS0_10empty_typeEbEEZZNS1_14partition_implILS5_5ELb0ES3_mN6hipcub16HIPCUB_304000_NS21CountingInputIteratorIllEEPS6_NSA_22TransformInputIteratorIbN2at6native12_GLOBAL__N_19NonZeroOpIbEEPKblEENS0_5tupleIJPlS6_EEENSN_IJSD_SD_EEES6_PiJS6_EEE10hipError_tPvRmT3_T4_T5_T6_T7_T9_mT8_P12ihipStream_tbDpT10_ENKUlT_T0_E_clISt17integral_constantIbLb0EES1B_EEDaS16_S17_EUlS16_E_NS1_11comp_targetILNS1_3genE0ELNS1_11target_archE4294967295ELNS1_3gpuE0ELNS1_3repE0EEENS1_30default_config_static_selectorELNS0_4arch9wavefront6targetE0EEEvT1_,@function
_ZN7rocprim17ROCPRIM_400000_NS6detail17trampoline_kernelINS0_14default_configENS1_25partition_config_selectorILNS1_17partition_subalgoE5ElNS0_10empty_typeEbEEZZNS1_14partition_implILS5_5ELb0ES3_mN6hipcub16HIPCUB_304000_NS21CountingInputIteratorIllEEPS6_NSA_22TransformInputIteratorIbN2at6native12_GLOBAL__N_19NonZeroOpIbEEPKblEENS0_5tupleIJPlS6_EEENSN_IJSD_SD_EEES6_PiJS6_EEE10hipError_tPvRmT3_T4_T5_T6_T7_T9_mT8_P12ihipStream_tbDpT10_ENKUlT_T0_E_clISt17integral_constantIbLb0EES1B_EEDaS16_S17_EUlS16_E_NS1_11comp_targetILNS1_3genE0ELNS1_11target_archE4294967295ELNS1_3gpuE0ELNS1_3repE0EEENS1_30default_config_static_selectorELNS0_4arch9wavefront6targetE0EEEvT1_: ; @_ZN7rocprim17ROCPRIM_400000_NS6detail17trampoline_kernelINS0_14default_configENS1_25partition_config_selectorILNS1_17partition_subalgoE5ElNS0_10empty_typeEbEEZZNS1_14partition_implILS5_5ELb0ES3_mN6hipcub16HIPCUB_304000_NS21CountingInputIteratorIllEEPS6_NSA_22TransformInputIteratorIbN2at6native12_GLOBAL__N_19NonZeroOpIbEEPKblEENS0_5tupleIJPlS6_EEENSN_IJSD_SD_EEES6_PiJS6_EEE10hipError_tPvRmT3_T4_T5_T6_T7_T9_mT8_P12ihipStream_tbDpT10_ENKUlT_T0_E_clISt17integral_constantIbLb0EES1B_EEDaS16_S17_EUlS16_E_NS1_11comp_targetILNS1_3genE0ELNS1_11target_archE4294967295ELNS1_3gpuE0ELNS1_3repE0EEENS1_30default_config_static_selectorELNS0_4arch9wavefront6targetE0EEEvT1_
; %bb.0:
	.section	.rodata,"a",@progbits
	.p2align	6, 0x0
	.amdhsa_kernel _ZN7rocprim17ROCPRIM_400000_NS6detail17trampoline_kernelINS0_14default_configENS1_25partition_config_selectorILNS1_17partition_subalgoE5ElNS0_10empty_typeEbEEZZNS1_14partition_implILS5_5ELb0ES3_mN6hipcub16HIPCUB_304000_NS21CountingInputIteratorIllEEPS6_NSA_22TransformInputIteratorIbN2at6native12_GLOBAL__N_19NonZeroOpIbEEPKblEENS0_5tupleIJPlS6_EEENSN_IJSD_SD_EEES6_PiJS6_EEE10hipError_tPvRmT3_T4_T5_T6_T7_T9_mT8_P12ihipStream_tbDpT10_ENKUlT_T0_E_clISt17integral_constantIbLb0EES1B_EEDaS16_S17_EUlS16_E_NS1_11comp_targetILNS1_3genE0ELNS1_11target_archE4294967295ELNS1_3gpuE0ELNS1_3repE0EEENS1_30default_config_static_selectorELNS0_4arch9wavefront6targetE0EEEvT1_
		.amdhsa_group_segment_fixed_size 0
		.amdhsa_private_segment_fixed_size 0
		.amdhsa_kernarg_size 120
		.amdhsa_user_sgpr_count 2
		.amdhsa_user_sgpr_dispatch_ptr 0
		.amdhsa_user_sgpr_queue_ptr 0
		.amdhsa_user_sgpr_kernarg_segment_ptr 1
		.amdhsa_user_sgpr_dispatch_id 0
		.amdhsa_user_sgpr_private_segment_size 0
		.amdhsa_wavefront_size32 1
		.amdhsa_uses_dynamic_stack 0
		.amdhsa_enable_private_segment 0
		.amdhsa_system_sgpr_workgroup_id_x 1
		.amdhsa_system_sgpr_workgroup_id_y 0
		.amdhsa_system_sgpr_workgroup_id_z 0
		.amdhsa_system_sgpr_workgroup_info 0
		.amdhsa_system_vgpr_workitem_id 0
		.amdhsa_next_free_vgpr 1
		.amdhsa_next_free_sgpr 1
		.amdhsa_reserve_vcc 0
		.amdhsa_float_round_mode_32 0
		.amdhsa_float_round_mode_16_64 0
		.amdhsa_float_denorm_mode_32 3
		.amdhsa_float_denorm_mode_16_64 3
		.amdhsa_fp16_overflow 0
		.amdhsa_workgroup_processor_mode 1
		.amdhsa_memory_ordered 1
		.amdhsa_forward_progress 1
		.amdhsa_inst_pref_size 0
		.amdhsa_round_robin_scheduling 0
		.amdhsa_exception_fp_ieee_invalid_op 0
		.amdhsa_exception_fp_denorm_src 0
		.amdhsa_exception_fp_ieee_div_zero 0
		.amdhsa_exception_fp_ieee_overflow 0
		.amdhsa_exception_fp_ieee_underflow 0
		.amdhsa_exception_fp_ieee_inexact 0
		.amdhsa_exception_int_div_zero 0
	.end_amdhsa_kernel
	.section	.text._ZN7rocprim17ROCPRIM_400000_NS6detail17trampoline_kernelINS0_14default_configENS1_25partition_config_selectorILNS1_17partition_subalgoE5ElNS0_10empty_typeEbEEZZNS1_14partition_implILS5_5ELb0ES3_mN6hipcub16HIPCUB_304000_NS21CountingInputIteratorIllEEPS6_NSA_22TransformInputIteratorIbN2at6native12_GLOBAL__N_19NonZeroOpIbEEPKblEENS0_5tupleIJPlS6_EEENSN_IJSD_SD_EEES6_PiJS6_EEE10hipError_tPvRmT3_T4_T5_T6_T7_T9_mT8_P12ihipStream_tbDpT10_ENKUlT_T0_E_clISt17integral_constantIbLb0EES1B_EEDaS16_S17_EUlS16_E_NS1_11comp_targetILNS1_3genE0ELNS1_11target_archE4294967295ELNS1_3gpuE0ELNS1_3repE0EEENS1_30default_config_static_selectorELNS0_4arch9wavefront6targetE0EEEvT1_,"axG",@progbits,_ZN7rocprim17ROCPRIM_400000_NS6detail17trampoline_kernelINS0_14default_configENS1_25partition_config_selectorILNS1_17partition_subalgoE5ElNS0_10empty_typeEbEEZZNS1_14partition_implILS5_5ELb0ES3_mN6hipcub16HIPCUB_304000_NS21CountingInputIteratorIllEEPS6_NSA_22TransformInputIteratorIbN2at6native12_GLOBAL__N_19NonZeroOpIbEEPKblEENS0_5tupleIJPlS6_EEENSN_IJSD_SD_EEES6_PiJS6_EEE10hipError_tPvRmT3_T4_T5_T6_T7_T9_mT8_P12ihipStream_tbDpT10_ENKUlT_T0_E_clISt17integral_constantIbLb0EES1B_EEDaS16_S17_EUlS16_E_NS1_11comp_targetILNS1_3genE0ELNS1_11target_archE4294967295ELNS1_3gpuE0ELNS1_3repE0EEENS1_30default_config_static_selectorELNS0_4arch9wavefront6targetE0EEEvT1_,comdat
.Lfunc_end730:
	.size	_ZN7rocprim17ROCPRIM_400000_NS6detail17trampoline_kernelINS0_14default_configENS1_25partition_config_selectorILNS1_17partition_subalgoE5ElNS0_10empty_typeEbEEZZNS1_14partition_implILS5_5ELb0ES3_mN6hipcub16HIPCUB_304000_NS21CountingInputIteratorIllEEPS6_NSA_22TransformInputIteratorIbN2at6native12_GLOBAL__N_19NonZeroOpIbEEPKblEENS0_5tupleIJPlS6_EEENSN_IJSD_SD_EEES6_PiJS6_EEE10hipError_tPvRmT3_T4_T5_T6_T7_T9_mT8_P12ihipStream_tbDpT10_ENKUlT_T0_E_clISt17integral_constantIbLb0EES1B_EEDaS16_S17_EUlS16_E_NS1_11comp_targetILNS1_3genE0ELNS1_11target_archE4294967295ELNS1_3gpuE0ELNS1_3repE0EEENS1_30default_config_static_selectorELNS0_4arch9wavefront6targetE0EEEvT1_, .Lfunc_end730-_ZN7rocprim17ROCPRIM_400000_NS6detail17trampoline_kernelINS0_14default_configENS1_25partition_config_selectorILNS1_17partition_subalgoE5ElNS0_10empty_typeEbEEZZNS1_14partition_implILS5_5ELb0ES3_mN6hipcub16HIPCUB_304000_NS21CountingInputIteratorIllEEPS6_NSA_22TransformInputIteratorIbN2at6native12_GLOBAL__N_19NonZeroOpIbEEPKblEENS0_5tupleIJPlS6_EEENSN_IJSD_SD_EEES6_PiJS6_EEE10hipError_tPvRmT3_T4_T5_T6_T7_T9_mT8_P12ihipStream_tbDpT10_ENKUlT_T0_E_clISt17integral_constantIbLb0EES1B_EEDaS16_S17_EUlS16_E_NS1_11comp_targetILNS1_3genE0ELNS1_11target_archE4294967295ELNS1_3gpuE0ELNS1_3repE0EEENS1_30default_config_static_selectorELNS0_4arch9wavefront6targetE0EEEvT1_
                                        ; -- End function
	.set _ZN7rocprim17ROCPRIM_400000_NS6detail17trampoline_kernelINS0_14default_configENS1_25partition_config_selectorILNS1_17partition_subalgoE5ElNS0_10empty_typeEbEEZZNS1_14partition_implILS5_5ELb0ES3_mN6hipcub16HIPCUB_304000_NS21CountingInputIteratorIllEEPS6_NSA_22TransformInputIteratorIbN2at6native12_GLOBAL__N_19NonZeroOpIbEEPKblEENS0_5tupleIJPlS6_EEENSN_IJSD_SD_EEES6_PiJS6_EEE10hipError_tPvRmT3_T4_T5_T6_T7_T9_mT8_P12ihipStream_tbDpT10_ENKUlT_T0_E_clISt17integral_constantIbLb0EES1B_EEDaS16_S17_EUlS16_E_NS1_11comp_targetILNS1_3genE0ELNS1_11target_archE4294967295ELNS1_3gpuE0ELNS1_3repE0EEENS1_30default_config_static_selectorELNS0_4arch9wavefront6targetE0EEEvT1_.num_vgpr, 0
	.set _ZN7rocprim17ROCPRIM_400000_NS6detail17trampoline_kernelINS0_14default_configENS1_25partition_config_selectorILNS1_17partition_subalgoE5ElNS0_10empty_typeEbEEZZNS1_14partition_implILS5_5ELb0ES3_mN6hipcub16HIPCUB_304000_NS21CountingInputIteratorIllEEPS6_NSA_22TransformInputIteratorIbN2at6native12_GLOBAL__N_19NonZeroOpIbEEPKblEENS0_5tupleIJPlS6_EEENSN_IJSD_SD_EEES6_PiJS6_EEE10hipError_tPvRmT3_T4_T5_T6_T7_T9_mT8_P12ihipStream_tbDpT10_ENKUlT_T0_E_clISt17integral_constantIbLb0EES1B_EEDaS16_S17_EUlS16_E_NS1_11comp_targetILNS1_3genE0ELNS1_11target_archE4294967295ELNS1_3gpuE0ELNS1_3repE0EEENS1_30default_config_static_selectorELNS0_4arch9wavefront6targetE0EEEvT1_.num_agpr, 0
	.set _ZN7rocprim17ROCPRIM_400000_NS6detail17trampoline_kernelINS0_14default_configENS1_25partition_config_selectorILNS1_17partition_subalgoE5ElNS0_10empty_typeEbEEZZNS1_14partition_implILS5_5ELb0ES3_mN6hipcub16HIPCUB_304000_NS21CountingInputIteratorIllEEPS6_NSA_22TransformInputIteratorIbN2at6native12_GLOBAL__N_19NonZeroOpIbEEPKblEENS0_5tupleIJPlS6_EEENSN_IJSD_SD_EEES6_PiJS6_EEE10hipError_tPvRmT3_T4_T5_T6_T7_T9_mT8_P12ihipStream_tbDpT10_ENKUlT_T0_E_clISt17integral_constantIbLb0EES1B_EEDaS16_S17_EUlS16_E_NS1_11comp_targetILNS1_3genE0ELNS1_11target_archE4294967295ELNS1_3gpuE0ELNS1_3repE0EEENS1_30default_config_static_selectorELNS0_4arch9wavefront6targetE0EEEvT1_.numbered_sgpr, 0
	.set _ZN7rocprim17ROCPRIM_400000_NS6detail17trampoline_kernelINS0_14default_configENS1_25partition_config_selectorILNS1_17partition_subalgoE5ElNS0_10empty_typeEbEEZZNS1_14partition_implILS5_5ELb0ES3_mN6hipcub16HIPCUB_304000_NS21CountingInputIteratorIllEEPS6_NSA_22TransformInputIteratorIbN2at6native12_GLOBAL__N_19NonZeroOpIbEEPKblEENS0_5tupleIJPlS6_EEENSN_IJSD_SD_EEES6_PiJS6_EEE10hipError_tPvRmT3_T4_T5_T6_T7_T9_mT8_P12ihipStream_tbDpT10_ENKUlT_T0_E_clISt17integral_constantIbLb0EES1B_EEDaS16_S17_EUlS16_E_NS1_11comp_targetILNS1_3genE0ELNS1_11target_archE4294967295ELNS1_3gpuE0ELNS1_3repE0EEENS1_30default_config_static_selectorELNS0_4arch9wavefront6targetE0EEEvT1_.num_named_barrier, 0
	.set _ZN7rocprim17ROCPRIM_400000_NS6detail17trampoline_kernelINS0_14default_configENS1_25partition_config_selectorILNS1_17partition_subalgoE5ElNS0_10empty_typeEbEEZZNS1_14partition_implILS5_5ELb0ES3_mN6hipcub16HIPCUB_304000_NS21CountingInputIteratorIllEEPS6_NSA_22TransformInputIteratorIbN2at6native12_GLOBAL__N_19NonZeroOpIbEEPKblEENS0_5tupleIJPlS6_EEENSN_IJSD_SD_EEES6_PiJS6_EEE10hipError_tPvRmT3_T4_T5_T6_T7_T9_mT8_P12ihipStream_tbDpT10_ENKUlT_T0_E_clISt17integral_constantIbLb0EES1B_EEDaS16_S17_EUlS16_E_NS1_11comp_targetILNS1_3genE0ELNS1_11target_archE4294967295ELNS1_3gpuE0ELNS1_3repE0EEENS1_30default_config_static_selectorELNS0_4arch9wavefront6targetE0EEEvT1_.private_seg_size, 0
	.set _ZN7rocprim17ROCPRIM_400000_NS6detail17trampoline_kernelINS0_14default_configENS1_25partition_config_selectorILNS1_17partition_subalgoE5ElNS0_10empty_typeEbEEZZNS1_14partition_implILS5_5ELb0ES3_mN6hipcub16HIPCUB_304000_NS21CountingInputIteratorIllEEPS6_NSA_22TransformInputIteratorIbN2at6native12_GLOBAL__N_19NonZeroOpIbEEPKblEENS0_5tupleIJPlS6_EEENSN_IJSD_SD_EEES6_PiJS6_EEE10hipError_tPvRmT3_T4_T5_T6_T7_T9_mT8_P12ihipStream_tbDpT10_ENKUlT_T0_E_clISt17integral_constantIbLb0EES1B_EEDaS16_S17_EUlS16_E_NS1_11comp_targetILNS1_3genE0ELNS1_11target_archE4294967295ELNS1_3gpuE0ELNS1_3repE0EEENS1_30default_config_static_selectorELNS0_4arch9wavefront6targetE0EEEvT1_.uses_vcc, 0
	.set _ZN7rocprim17ROCPRIM_400000_NS6detail17trampoline_kernelINS0_14default_configENS1_25partition_config_selectorILNS1_17partition_subalgoE5ElNS0_10empty_typeEbEEZZNS1_14partition_implILS5_5ELb0ES3_mN6hipcub16HIPCUB_304000_NS21CountingInputIteratorIllEEPS6_NSA_22TransformInputIteratorIbN2at6native12_GLOBAL__N_19NonZeroOpIbEEPKblEENS0_5tupleIJPlS6_EEENSN_IJSD_SD_EEES6_PiJS6_EEE10hipError_tPvRmT3_T4_T5_T6_T7_T9_mT8_P12ihipStream_tbDpT10_ENKUlT_T0_E_clISt17integral_constantIbLb0EES1B_EEDaS16_S17_EUlS16_E_NS1_11comp_targetILNS1_3genE0ELNS1_11target_archE4294967295ELNS1_3gpuE0ELNS1_3repE0EEENS1_30default_config_static_selectorELNS0_4arch9wavefront6targetE0EEEvT1_.uses_flat_scratch, 0
	.set _ZN7rocprim17ROCPRIM_400000_NS6detail17trampoline_kernelINS0_14default_configENS1_25partition_config_selectorILNS1_17partition_subalgoE5ElNS0_10empty_typeEbEEZZNS1_14partition_implILS5_5ELb0ES3_mN6hipcub16HIPCUB_304000_NS21CountingInputIteratorIllEEPS6_NSA_22TransformInputIteratorIbN2at6native12_GLOBAL__N_19NonZeroOpIbEEPKblEENS0_5tupleIJPlS6_EEENSN_IJSD_SD_EEES6_PiJS6_EEE10hipError_tPvRmT3_T4_T5_T6_T7_T9_mT8_P12ihipStream_tbDpT10_ENKUlT_T0_E_clISt17integral_constantIbLb0EES1B_EEDaS16_S17_EUlS16_E_NS1_11comp_targetILNS1_3genE0ELNS1_11target_archE4294967295ELNS1_3gpuE0ELNS1_3repE0EEENS1_30default_config_static_selectorELNS0_4arch9wavefront6targetE0EEEvT1_.has_dyn_sized_stack, 0
	.set _ZN7rocprim17ROCPRIM_400000_NS6detail17trampoline_kernelINS0_14default_configENS1_25partition_config_selectorILNS1_17partition_subalgoE5ElNS0_10empty_typeEbEEZZNS1_14partition_implILS5_5ELb0ES3_mN6hipcub16HIPCUB_304000_NS21CountingInputIteratorIllEEPS6_NSA_22TransformInputIteratorIbN2at6native12_GLOBAL__N_19NonZeroOpIbEEPKblEENS0_5tupleIJPlS6_EEENSN_IJSD_SD_EEES6_PiJS6_EEE10hipError_tPvRmT3_T4_T5_T6_T7_T9_mT8_P12ihipStream_tbDpT10_ENKUlT_T0_E_clISt17integral_constantIbLb0EES1B_EEDaS16_S17_EUlS16_E_NS1_11comp_targetILNS1_3genE0ELNS1_11target_archE4294967295ELNS1_3gpuE0ELNS1_3repE0EEENS1_30default_config_static_selectorELNS0_4arch9wavefront6targetE0EEEvT1_.has_recursion, 0
	.set _ZN7rocprim17ROCPRIM_400000_NS6detail17trampoline_kernelINS0_14default_configENS1_25partition_config_selectorILNS1_17partition_subalgoE5ElNS0_10empty_typeEbEEZZNS1_14partition_implILS5_5ELb0ES3_mN6hipcub16HIPCUB_304000_NS21CountingInputIteratorIllEEPS6_NSA_22TransformInputIteratorIbN2at6native12_GLOBAL__N_19NonZeroOpIbEEPKblEENS0_5tupleIJPlS6_EEENSN_IJSD_SD_EEES6_PiJS6_EEE10hipError_tPvRmT3_T4_T5_T6_T7_T9_mT8_P12ihipStream_tbDpT10_ENKUlT_T0_E_clISt17integral_constantIbLb0EES1B_EEDaS16_S17_EUlS16_E_NS1_11comp_targetILNS1_3genE0ELNS1_11target_archE4294967295ELNS1_3gpuE0ELNS1_3repE0EEENS1_30default_config_static_selectorELNS0_4arch9wavefront6targetE0EEEvT1_.has_indirect_call, 0
	.section	.AMDGPU.csdata,"",@progbits
; Kernel info:
; codeLenInByte = 0
; TotalNumSgprs: 0
; NumVgprs: 0
; ScratchSize: 0
; MemoryBound: 0
; FloatMode: 240
; IeeeMode: 1
; LDSByteSize: 0 bytes/workgroup (compile time only)
; SGPRBlocks: 0
; VGPRBlocks: 0
; NumSGPRsForWavesPerEU: 1
; NumVGPRsForWavesPerEU: 1
; Occupancy: 16
; WaveLimiterHint : 0
; COMPUTE_PGM_RSRC2:SCRATCH_EN: 0
; COMPUTE_PGM_RSRC2:USER_SGPR: 2
; COMPUTE_PGM_RSRC2:TRAP_HANDLER: 0
; COMPUTE_PGM_RSRC2:TGID_X_EN: 1
; COMPUTE_PGM_RSRC2:TGID_Y_EN: 0
; COMPUTE_PGM_RSRC2:TGID_Z_EN: 0
; COMPUTE_PGM_RSRC2:TIDIG_COMP_CNT: 0
	.section	.text._ZN7rocprim17ROCPRIM_400000_NS6detail17trampoline_kernelINS0_14default_configENS1_25partition_config_selectorILNS1_17partition_subalgoE5ElNS0_10empty_typeEbEEZZNS1_14partition_implILS5_5ELb0ES3_mN6hipcub16HIPCUB_304000_NS21CountingInputIteratorIllEEPS6_NSA_22TransformInputIteratorIbN2at6native12_GLOBAL__N_19NonZeroOpIbEEPKblEENS0_5tupleIJPlS6_EEENSN_IJSD_SD_EEES6_PiJS6_EEE10hipError_tPvRmT3_T4_T5_T6_T7_T9_mT8_P12ihipStream_tbDpT10_ENKUlT_T0_E_clISt17integral_constantIbLb0EES1B_EEDaS16_S17_EUlS16_E_NS1_11comp_targetILNS1_3genE5ELNS1_11target_archE942ELNS1_3gpuE9ELNS1_3repE0EEENS1_30default_config_static_selectorELNS0_4arch9wavefront6targetE0EEEvT1_,"axG",@progbits,_ZN7rocprim17ROCPRIM_400000_NS6detail17trampoline_kernelINS0_14default_configENS1_25partition_config_selectorILNS1_17partition_subalgoE5ElNS0_10empty_typeEbEEZZNS1_14partition_implILS5_5ELb0ES3_mN6hipcub16HIPCUB_304000_NS21CountingInputIteratorIllEEPS6_NSA_22TransformInputIteratorIbN2at6native12_GLOBAL__N_19NonZeroOpIbEEPKblEENS0_5tupleIJPlS6_EEENSN_IJSD_SD_EEES6_PiJS6_EEE10hipError_tPvRmT3_T4_T5_T6_T7_T9_mT8_P12ihipStream_tbDpT10_ENKUlT_T0_E_clISt17integral_constantIbLb0EES1B_EEDaS16_S17_EUlS16_E_NS1_11comp_targetILNS1_3genE5ELNS1_11target_archE942ELNS1_3gpuE9ELNS1_3repE0EEENS1_30default_config_static_selectorELNS0_4arch9wavefront6targetE0EEEvT1_,comdat
	.globl	_ZN7rocprim17ROCPRIM_400000_NS6detail17trampoline_kernelINS0_14default_configENS1_25partition_config_selectorILNS1_17partition_subalgoE5ElNS0_10empty_typeEbEEZZNS1_14partition_implILS5_5ELb0ES3_mN6hipcub16HIPCUB_304000_NS21CountingInputIteratorIllEEPS6_NSA_22TransformInputIteratorIbN2at6native12_GLOBAL__N_19NonZeroOpIbEEPKblEENS0_5tupleIJPlS6_EEENSN_IJSD_SD_EEES6_PiJS6_EEE10hipError_tPvRmT3_T4_T5_T6_T7_T9_mT8_P12ihipStream_tbDpT10_ENKUlT_T0_E_clISt17integral_constantIbLb0EES1B_EEDaS16_S17_EUlS16_E_NS1_11comp_targetILNS1_3genE5ELNS1_11target_archE942ELNS1_3gpuE9ELNS1_3repE0EEENS1_30default_config_static_selectorELNS0_4arch9wavefront6targetE0EEEvT1_ ; -- Begin function _ZN7rocprim17ROCPRIM_400000_NS6detail17trampoline_kernelINS0_14default_configENS1_25partition_config_selectorILNS1_17partition_subalgoE5ElNS0_10empty_typeEbEEZZNS1_14partition_implILS5_5ELb0ES3_mN6hipcub16HIPCUB_304000_NS21CountingInputIteratorIllEEPS6_NSA_22TransformInputIteratorIbN2at6native12_GLOBAL__N_19NonZeroOpIbEEPKblEENS0_5tupleIJPlS6_EEENSN_IJSD_SD_EEES6_PiJS6_EEE10hipError_tPvRmT3_T4_T5_T6_T7_T9_mT8_P12ihipStream_tbDpT10_ENKUlT_T0_E_clISt17integral_constantIbLb0EES1B_EEDaS16_S17_EUlS16_E_NS1_11comp_targetILNS1_3genE5ELNS1_11target_archE942ELNS1_3gpuE9ELNS1_3repE0EEENS1_30default_config_static_selectorELNS0_4arch9wavefront6targetE0EEEvT1_
	.p2align	8
	.type	_ZN7rocprim17ROCPRIM_400000_NS6detail17trampoline_kernelINS0_14default_configENS1_25partition_config_selectorILNS1_17partition_subalgoE5ElNS0_10empty_typeEbEEZZNS1_14partition_implILS5_5ELb0ES3_mN6hipcub16HIPCUB_304000_NS21CountingInputIteratorIllEEPS6_NSA_22TransformInputIteratorIbN2at6native12_GLOBAL__N_19NonZeroOpIbEEPKblEENS0_5tupleIJPlS6_EEENSN_IJSD_SD_EEES6_PiJS6_EEE10hipError_tPvRmT3_T4_T5_T6_T7_T9_mT8_P12ihipStream_tbDpT10_ENKUlT_T0_E_clISt17integral_constantIbLb0EES1B_EEDaS16_S17_EUlS16_E_NS1_11comp_targetILNS1_3genE5ELNS1_11target_archE942ELNS1_3gpuE9ELNS1_3repE0EEENS1_30default_config_static_selectorELNS0_4arch9wavefront6targetE0EEEvT1_,@function
_ZN7rocprim17ROCPRIM_400000_NS6detail17trampoline_kernelINS0_14default_configENS1_25partition_config_selectorILNS1_17partition_subalgoE5ElNS0_10empty_typeEbEEZZNS1_14partition_implILS5_5ELb0ES3_mN6hipcub16HIPCUB_304000_NS21CountingInputIteratorIllEEPS6_NSA_22TransformInputIteratorIbN2at6native12_GLOBAL__N_19NonZeroOpIbEEPKblEENS0_5tupleIJPlS6_EEENSN_IJSD_SD_EEES6_PiJS6_EEE10hipError_tPvRmT3_T4_T5_T6_T7_T9_mT8_P12ihipStream_tbDpT10_ENKUlT_T0_E_clISt17integral_constantIbLb0EES1B_EEDaS16_S17_EUlS16_E_NS1_11comp_targetILNS1_3genE5ELNS1_11target_archE942ELNS1_3gpuE9ELNS1_3repE0EEENS1_30default_config_static_selectorELNS0_4arch9wavefront6targetE0EEEvT1_: ; @_ZN7rocprim17ROCPRIM_400000_NS6detail17trampoline_kernelINS0_14default_configENS1_25partition_config_selectorILNS1_17partition_subalgoE5ElNS0_10empty_typeEbEEZZNS1_14partition_implILS5_5ELb0ES3_mN6hipcub16HIPCUB_304000_NS21CountingInputIteratorIllEEPS6_NSA_22TransformInputIteratorIbN2at6native12_GLOBAL__N_19NonZeroOpIbEEPKblEENS0_5tupleIJPlS6_EEENSN_IJSD_SD_EEES6_PiJS6_EEE10hipError_tPvRmT3_T4_T5_T6_T7_T9_mT8_P12ihipStream_tbDpT10_ENKUlT_T0_E_clISt17integral_constantIbLb0EES1B_EEDaS16_S17_EUlS16_E_NS1_11comp_targetILNS1_3genE5ELNS1_11target_archE942ELNS1_3gpuE9ELNS1_3repE0EEENS1_30default_config_static_selectorELNS0_4arch9wavefront6targetE0EEEvT1_
; %bb.0:
	.section	.rodata,"a",@progbits
	.p2align	6, 0x0
	.amdhsa_kernel _ZN7rocprim17ROCPRIM_400000_NS6detail17trampoline_kernelINS0_14default_configENS1_25partition_config_selectorILNS1_17partition_subalgoE5ElNS0_10empty_typeEbEEZZNS1_14partition_implILS5_5ELb0ES3_mN6hipcub16HIPCUB_304000_NS21CountingInputIteratorIllEEPS6_NSA_22TransformInputIteratorIbN2at6native12_GLOBAL__N_19NonZeroOpIbEEPKblEENS0_5tupleIJPlS6_EEENSN_IJSD_SD_EEES6_PiJS6_EEE10hipError_tPvRmT3_T4_T5_T6_T7_T9_mT8_P12ihipStream_tbDpT10_ENKUlT_T0_E_clISt17integral_constantIbLb0EES1B_EEDaS16_S17_EUlS16_E_NS1_11comp_targetILNS1_3genE5ELNS1_11target_archE942ELNS1_3gpuE9ELNS1_3repE0EEENS1_30default_config_static_selectorELNS0_4arch9wavefront6targetE0EEEvT1_
		.amdhsa_group_segment_fixed_size 0
		.amdhsa_private_segment_fixed_size 0
		.amdhsa_kernarg_size 120
		.amdhsa_user_sgpr_count 2
		.amdhsa_user_sgpr_dispatch_ptr 0
		.amdhsa_user_sgpr_queue_ptr 0
		.amdhsa_user_sgpr_kernarg_segment_ptr 1
		.amdhsa_user_sgpr_dispatch_id 0
		.amdhsa_user_sgpr_private_segment_size 0
		.amdhsa_wavefront_size32 1
		.amdhsa_uses_dynamic_stack 0
		.amdhsa_enable_private_segment 0
		.amdhsa_system_sgpr_workgroup_id_x 1
		.amdhsa_system_sgpr_workgroup_id_y 0
		.amdhsa_system_sgpr_workgroup_id_z 0
		.amdhsa_system_sgpr_workgroup_info 0
		.amdhsa_system_vgpr_workitem_id 0
		.amdhsa_next_free_vgpr 1
		.amdhsa_next_free_sgpr 1
		.amdhsa_reserve_vcc 0
		.amdhsa_float_round_mode_32 0
		.amdhsa_float_round_mode_16_64 0
		.amdhsa_float_denorm_mode_32 3
		.amdhsa_float_denorm_mode_16_64 3
		.amdhsa_fp16_overflow 0
		.amdhsa_workgroup_processor_mode 1
		.amdhsa_memory_ordered 1
		.amdhsa_forward_progress 1
		.amdhsa_inst_pref_size 0
		.amdhsa_round_robin_scheduling 0
		.amdhsa_exception_fp_ieee_invalid_op 0
		.amdhsa_exception_fp_denorm_src 0
		.amdhsa_exception_fp_ieee_div_zero 0
		.amdhsa_exception_fp_ieee_overflow 0
		.amdhsa_exception_fp_ieee_underflow 0
		.amdhsa_exception_fp_ieee_inexact 0
		.amdhsa_exception_int_div_zero 0
	.end_amdhsa_kernel
	.section	.text._ZN7rocprim17ROCPRIM_400000_NS6detail17trampoline_kernelINS0_14default_configENS1_25partition_config_selectorILNS1_17partition_subalgoE5ElNS0_10empty_typeEbEEZZNS1_14partition_implILS5_5ELb0ES3_mN6hipcub16HIPCUB_304000_NS21CountingInputIteratorIllEEPS6_NSA_22TransformInputIteratorIbN2at6native12_GLOBAL__N_19NonZeroOpIbEEPKblEENS0_5tupleIJPlS6_EEENSN_IJSD_SD_EEES6_PiJS6_EEE10hipError_tPvRmT3_T4_T5_T6_T7_T9_mT8_P12ihipStream_tbDpT10_ENKUlT_T0_E_clISt17integral_constantIbLb0EES1B_EEDaS16_S17_EUlS16_E_NS1_11comp_targetILNS1_3genE5ELNS1_11target_archE942ELNS1_3gpuE9ELNS1_3repE0EEENS1_30default_config_static_selectorELNS0_4arch9wavefront6targetE0EEEvT1_,"axG",@progbits,_ZN7rocprim17ROCPRIM_400000_NS6detail17trampoline_kernelINS0_14default_configENS1_25partition_config_selectorILNS1_17partition_subalgoE5ElNS0_10empty_typeEbEEZZNS1_14partition_implILS5_5ELb0ES3_mN6hipcub16HIPCUB_304000_NS21CountingInputIteratorIllEEPS6_NSA_22TransformInputIteratorIbN2at6native12_GLOBAL__N_19NonZeroOpIbEEPKblEENS0_5tupleIJPlS6_EEENSN_IJSD_SD_EEES6_PiJS6_EEE10hipError_tPvRmT3_T4_T5_T6_T7_T9_mT8_P12ihipStream_tbDpT10_ENKUlT_T0_E_clISt17integral_constantIbLb0EES1B_EEDaS16_S17_EUlS16_E_NS1_11comp_targetILNS1_3genE5ELNS1_11target_archE942ELNS1_3gpuE9ELNS1_3repE0EEENS1_30default_config_static_selectorELNS0_4arch9wavefront6targetE0EEEvT1_,comdat
.Lfunc_end731:
	.size	_ZN7rocprim17ROCPRIM_400000_NS6detail17trampoline_kernelINS0_14default_configENS1_25partition_config_selectorILNS1_17partition_subalgoE5ElNS0_10empty_typeEbEEZZNS1_14partition_implILS5_5ELb0ES3_mN6hipcub16HIPCUB_304000_NS21CountingInputIteratorIllEEPS6_NSA_22TransformInputIteratorIbN2at6native12_GLOBAL__N_19NonZeroOpIbEEPKblEENS0_5tupleIJPlS6_EEENSN_IJSD_SD_EEES6_PiJS6_EEE10hipError_tPvRmT3_T4_T5_T6_T7_T9_mT8_P12ihipStream_tbDpT10_ENKUlT_T0_E_clISt17integral_constantIbLb0EES1B_EEDaS16_S17_EUlS16_E_NS1_11comp_targetILNS1_3genE5ELNS1_11target_archE942ELNS1_3gpuE9ELNS1_3repE0EEENS1_30default_config_static_selectorELNS0_4arch9wavefront6targetE0EEEvT1_, .Lfunc_end731-_ZN7rocprim17ROCPRIM_400000_NS6detail17trampoline_kernelINS0_14default_configENS1_25partition_config_selectorILNS1_17partition_subalgoE5ElNS0_10empty_typeEbEEZZNS1_14partition_implILS5_5ELb0ES3_mN6hipcub16HIPCUB_304000_NS21CountingInputIteratorIllEEPS6_NSA_22TransformInputIteratorIbN2at6native12_GLOBAL__N_19NonZeroOpIbEEPKblEENS0_5tupleIJPlS6_EEENSN_IJSD_SD_EEES6_PiJS6_EEE10hipError_tPvRmT3_T4_T5_T6_T7_T9_mT8_P12ihipStream_tbDpT10_ENKUlT_T0_E_clISt17integral_constantIbLb0EES1B_EEDaS16_S17_EUlS16_E_NS1_11comp_targetILNS1_3genE5ELNS1_11target_archE942ELNS1_3gpuE9ELNS1_3repE0EEENS1_30default_config_static_selectorELNS0_4arch9wavefront6targetE0EEEvT1_
                                        ; -- End function
	.set _ZN7rocprim17ROCPRIM_400000_NS6detail17trampoline_kernelINS0_14default_configENS1_25partition_config_selectorILNS1_17partition_subalgoE5ElNS0_10empty_typeEbEEZZNS1_14partition_implILS5_5ELb0ES3_mN6hipcub16HIPCUB_304000_NS21CountingInputIteratorIllEEPS6_NSA_22TransformInputIteratorIbN2at6native12_GLOBAL__N_19NonZeroOpIbEEPKblEENS0_5tupleIJPlS6_EEENSN_IJSD_SD_EEES6_PiJS6_EEE10hipError_tPvRmT3_T4_T5_T6_T7_T9_mT8_P12ihipStream_tbDpT10_ENKUlT_T0_E_clISt17integral_constantIbLb0EES1B_EEDaS16_S17_EUlS16_E_NS1_11comp_targetILNS1_3genE5ELNS1_11target_archE942ELNS1_3gpuE9ELNS1_3repE0EEENS1_30default_config_static_selectorELNS0_4arch9wavefront6targetE0EEEvT1_.num_vgpr, 0
	.set _ZN7rocprim17ROCPRIM_400000_NS6detail17trampoline_kernelINS0_14default_configENS1_25partition_config_selectorILNS1_17partition_subalgoE5ElNS0_10empty_typeEbEEZZNS1_14partition_implILS5_5ELb0ES3_mN6hipcub16HIPCUB_304000_NS21CountingInputIteratorIllEEPS6_NSA_22TransformInputIteratorIbN2at6native12_GLOBAL__N_19NonZeroOpIbEEPKblEENS0_5tupleIJPlS6_EEENSN_IJSD_SD_EEES6_PiJS6_EEE10hipError_tPvRmT3_T4_T5_T6_T7_T9_mT8_P12ihipStream_tbDpT10_ENKUlT_T0_E_clISt17integral_constantIbLb0EES1B_EEDaS16_S17_EUlS16_E_NS1_11comp_targetILNS1_3genE5ELNS1_11target_archE942ELNS1_3gpuE9ELNS1_3repE0EEENS1_30default_config_static_selectorELNS0_4arch9wavefront6targetE0EEEvT1_.num_agpr, 0
	.set _ZN7rocprim17ROCPRIM_400000_NS6detail17trampoline_kernelINS0_14default_configENS1_25partition_config_selectorILNS1_17partition_subalgoE5ElNS0_10empty_typeEbEEZZNS1_14partition_implILS5_5ELb0ES3_mN6hipcub16HIPCUB_304000_NS21CountingInputIteratorIllEEPS6_NSA_22TransformInputIteratorIbN2at6native12_GLOBAL__N_19NonZeroOpIbEEPKblEENS0_5tupleIJPlS6_EEENSN_IJSD_SD_EEES6_PiJS6_EEE10hipError_tPvRmT3_T4_T5_T6_T7_T9_mT8_P12ihipStream_tbDpT10_ENKUlT_T0_E_clISt17integral_constantIbLb0EES1B_EEDaS16_S17_EUlS16_E_NS1_11comp_targetILNS1_3genE5ELNS1_11target_archE942ELNS1_3gpuE9ELNS1_3repE0EEENS1_30default_config_static_selectorELNS0_4arch9wavefront6targetE0EEEvT1_.numbered_sgpr, 0
	.set _ZN7rocprim17ROCPRIM_400000_NS6detail17trampoline_kernelINS0_14default_configENS1_25partition_config_selectorILNS1_17partition_subalgoE5ElNS0_10empty_typeEbEEZZNS1_14partition_implILS5_5ELb0ES3_mN6hipcub16HIPCUB_304000_NS21CountingInputIteratorIllEEPS6_NSA_22TransformInputIteratorIbN2at6native12_GLOBAL__N_19NonZeroOpIbEEPKblEENS0_5tupleIJPlS6_EEENSN_IJSD_SD_EEES6_PiJS6_EEE10hipError_tPvRmT3_T4_T5_T6_T7_T9_mT8_P12ihipStream_tbDpT10_ENKUlT_T0_E_clISt17integral_constantIbLb0EES1B_EEDaS16_S17_EUlS16_E_NS1_11comp_targetILNS1_3genE5ELNS1_11target_archE942ELNS1_3gpuE9ELNS1_3repE0EEENS1_30default_config_static_selectorELNS0_4arch9wavefront6targetE0EEEvT1_.num_named_barrier, 0
	.set _ZN7rocprim17ROCPRIM_400000_NS6detail17trampoline_kernelINS0_14default_configENS1_25partition_config_selectorILNS1_17partition_subalgoE5ElNS0_10empty_typeEbEEZZNS1_14partition_implILS5_5ELb0ES3_mN6hipcub16HIPCUB_304000_NS21CountingInputIteratorIllEEPS6_NSA_22TransformInputIteratorIbN2at6native12_GLOBAL__N_19NonZeroOpIbEEPKblEENS0_5tupleIJPlS6_EEENSN_IJSD_SD_EEES6_PiJS6_EEE10hipError_tPvRmT3_T4_T5_T6_T7_T9_mT8_P12ihipStream_tbDpT10_ENKUlT_T0_E_clISt17integral_constantIbLb0EES1B_EEDaS16_S17_EUlS16_E_NS1_11comp_targetILNS1_3genE5ELNS1_11target_archE942ELNS1_3gpuE9ELNS1_3repE0EEENS1_30default_config_static_selectorELNS0_4arch9wavefront6targetE0EEEvT1_.private_seg_size, 0
	.set _ZN7rocprim17ROCPRIM_400000_NS6detail17trampoline_kernelINS0_14default_configENS1_25partition_config_selectorILNS1_17partition_subalgoE5ElNS0_10empty_typeEbEEZZNS1_14partition_implILS5_5ELb0ES3_mN6hipcub16HIPCUB_304000_NS21CountingInputIteratorIllEEPS6_NSA_22TransformInputIteratorIbN2at6native12_GLOBAL__N_19NonZeroOpIbEEPKblEENS0_5tupleIJPlS6_EEENSN_IJSD_SD_EEES6_PiJS6_EEE10hipError_tPvRmT3_T4_T5_T6_T7_T9_mT8_P12ihipStream_tbDpT10_ENKUlT_T0_E_clISt17integral_constantIbLb0EES1B_EEDaS16_S17_EUlS16_E_NS1_11comp_targetILNS1_3genE5ELNS1_11target_archE942ELNS1_3gpuE9ELNS1_3repE0EEENS1_30default_config_static_selectorELNS0_4arch9wavefront6targetE0EEEvT1_.uses_vcc, 0
	.set _ZN7rocprim17ROCPRIM_400000_NS6detail17trampoline_kernelINS0_14default_configENS1_25partition_config_selectorILNS1_17partition_subalgoE5ElNS0_10empty_typeEbEEZZNS1_14partition_implILS5_5ELb0ES3_mN6hipcub16HIPCUB_304000_NS21CountingInputIteratorIllEEPS6_NSA_22TransformInputIteratorIbN2at6native12_GLOBAL__N_19NonZeroOpIbEEPKblEENS0_5tupleIJPlS6_EEENSN_IJSD_SD_EEES6_PiJS6_EEE10hipError_tPvRmT3_T4_T5_T6_T7_T9_mT8_P12ihipStream_tbDpT10_ENKUlT_T0_E_clISt17integral_constantIbLb0EES1B_EEDaS16_S17_EUlS16_E_NS1_11comp_targetILNS1_3genE5ELNS1_11target_archE942ELNS1_3gpuE9ELNS1_3repE0EEENS1_30default_config_static_selectorELNS0_4arch9wavefront6targetE0EEEvT1_.uses_flat_scratch, 0
	.set _ZN7rocprim17ROCPRIM_400000_NS6detail17trampoline_kernelINS0_14default_configENS1_25partition_config_selectorILNS1_17partition_subalgoE5ElNS0_10empty_typeEbEEZZNS1_14partition_implILS5_5ELb0ES3_mN6hipcub16HIPCUB_304000_NS21CountingInputIteratorIllEEPS6_NSA_22TransformInputIteratorIbN2at6native12_GLOBAL__N_19NonZeroOpIbEEPKblEENS0_5tupleIJPlS6_EEENSN_IJSD_SD_EEES6_PiJS6_EEE10hipError_tPvRmT3_T4_T5_T6_T7_T9_mT8_P12ihipStream_tbDpT10_ENKUlT_T0_E_clISt17integral_constantIbLb0EES1B_EEDaS16_S17_EUlS16_E_NS1_11comp_targetILNS1_3genE5ELNS1_11target_archE942ELNS1_3gpuE9ELNS1_3repE0EEENS1_30default_config_static_selectorELNS0_4arch9wavefront6targetE0EEEvT1_.has_dyn_sized_stack, 0
	.set _ZN7rocprim17ROCPRIM_400000_NS6detail17trampoline_kernelINS0_14default_configENS1_25partition_config_selectorILNS1_17partition_subalgoE5ElNS0_10empty_typeEbEEZZNS1_14partition_implILS5_5ELb0ES3_mN6hipcub16HIPCUB_304000_NS21CountingInputIteratorIllEEPS6_NSA_22TransformInputIteratorIbN2at6native12_GLOBAL__N_19NonZeroOpIbEEPKblEENS0_5tupleIJPlS6_EEENSN_IJSD_SD_EEES6_PiJS6_EEE10hipError_tPvRmT3_T4_T5_T6_T7_T9_mT8_P12ihipStream_tbDpT10_ENKUlT_T0_E_clISt17integral_constantIbLb0EES1B_EEDaS16_S17_EUlS16_E_NS1_11comp_targetILNS1_3genE5ELNS1_11target_archE942ELNS1_3gpuE9ELNS1_3repE0EEENS1_30default_config_static_selectorELNS0_4arch9wavefront6targetE0EEEvT1_.has_recursion, 0
	.set _ZN7rocprim17ROCPRIM_400000_NS6detail17trampoline_kernelINS0_14default_configENS1_25partition_config_selectorILNS1_17partition_subalgoE5ElNS0_10empty_typeEbEEZZNS1_14partition_implILS5_5ELb0ES3_mN6hipcub16HIPCUB_304000_NS21CountingInputIteratorIllEEPS6_NSA_22TransformInputIteratorIbN2at6native12_GLOBAL__N_19NonZeroOpIbEEPKblEENS0_5tupleIJPlS6_EEENSN_IJSD_SD_EEES6_PiJS6_EEE10hipError_tPvRmT3_T4_T5_T6_T7_T9_mT8_P12ihipStream_tbDpT10_ENKUlT_T0_E_clISt17integral_constantIbLb0EES1B_EEDaS16_S17_EUlS16_E_NS1_11comp_targetILNS1_3genE5ELNS1_11target_archE942ELNS1_3gpuE9ELNS1_3repE0EEENS1_30default_config_static_selectorELNS0_4arch9wavefront6targetE0EEEvT1_.has_indirect_call, 0
	.section	.AMDGPU.csdata,"",@progbits
; Kernel info:
; codeLenInByte = 0
; TotalNumSgprs: 0
; NumVgprs: 0
; ScratchSize: 0
; MemoryBound: 0
; FloatMode: 240
; IeeeMode: 1
; LDSByteSize: 0 bytes/workgroup (compile time only)
; SGPRBlocks: 0
; VGPRBlocks: 0
; NumSGPRsForWavesPerEU: 1
; NumVGPRsForWavesPerEU: 1
; Occupancy: 16
; WaveLimiterHint : 0
; COMPUTE_PGM_RSRC2:SCRATCH_EN: 0
; COMPUTE_PGM_RSRC2:USER_SGPR: 2
; COMPUTE_PGM_RSRC2:TRAP_HANDLER: 0
; COMPUTE_PGM_RSRC2:TGID_X_EN: 1
; COMPUTE_PGM_RSRC2:TGID_Y_EN: 0
; COMPUTE_PGM_RSRC2:TGID_Z_EN: 0
; COMPUTE_PGM_RSRC2:TIDIG_COMP_CNT: 0
	.section	.text._ZN7rocprim17ROCPRIM_400000_NS6detail17trampoline_kernelINS0_14default_configENS1_25partition_config_selectorILNS1_17partition_subalgoE5ElNS0_10empty_typeEbEEZZNS1_14partition_implILS5_5ELb0ES3_mN6hipcub16HIPCUB_304000_NS21CountingInputIteratorIllEEPS6_NSA_22TransformInputIteratorIbN2at6native12_GLOBAL__N_19NonZeroOpIbEEPKblEENS0_5tupleIJPlS6_EEENSN_IJSD_SD_EEES6_PiJS6_EEE10hipError_tPvRmT3_T4_T5_T6_T7_T9_mT8_P12ihipStream_tbDpT10_ENKUlT_T0_E_clISt17integral_constantIbLb0EES1B_EEDaS16_S17_EUlS16_E_NS1_11comp_targetILNS1_3genE4ELNS1_11target_archE910ELNS1_3gpuE8ELNS1_3repE0EEENS1_30default_config_static_selectorELNS0_4arch9wavefront6targetE0EEEvT1_,"axG",@progbits,_ZN7rocprim17ROCPRIM_400000_NS6detail17trampoline_kernelINS0_14default_configENS1_25partition_config_selectorILNS1_17partition_subalgoE5ElNS0_10empty_typeEbEEZZNS1_14partition_implILS5_5ELb0ES3_mN6hipcub16HIPCUB_304000_NS21CountingInputIteratorIllEEPS6_NSA_22TransformInputIteratorIbN2at6native12_GLOBAL__N_19NonZeroOpIbEEPKblEENS0_5tupleIJPlS6_EEENSN_IJSD_SD_EEES6_PiJS6_EEE10hipError_tPvRmT3_T4_T5_T6_T7_T9_mT8_P12ihipStream_tbDpT10_ENKUlT_T0_E_clISt17integral_constantIbLb0EES1B_EEDaS16_S17_EUlS16_E_NS1_11comp_targetILNS1_3genE4ELNS1_11target_archE910ELNS1_3gpuE8ELNS1_3repE0EEENS1_30default_config_static_selectorELNS0_4arch9wavefront6targetE0EEEvT1_,comdat
	.globl	_ZN7rocprim17ROCPRIM_400000_NS6detail17trampoline_kernelINS0_14default_configENS1_25partition_config_selectorILNS1_17partition_subalgoE5ElNS0_10empty_typeEbEEZZNS1_14partition_implILS5_5ELb0ES3_mN6hipcub16HIPCUB_304000_NS21CountingInputIteratorIllEEPS6_NSA_22TransformInputIteratorIbN2at6native12_GLOBAL__N_19NonZeroOpIbEEPKblEENS0_5tupleIJPlS6_EEENSN_IJSD_SD_EEES6_PiJS6_EEE10hipError_tPvRmT3_T4_T5_T6_T7_T9_mT8_P12ihipStream_tbDpT10_ENKUlT_T0_E_clISt17integral_constantIbLb0EES1B_EEDaS16_S17_EUlS16_E_NS1_11comp_targetILNS1_3genE4ELNS1_11target_archE910ELNS1_3gpuE8ELNS1_3repE0EEENS1_30default_config_static_selectorELNS0_4arch9wavefront6targetE0EEEvT1_ ; -- Begin function _ZN7rocprim17ROCPRIM_400000_NS6detail17trampoline_kernelINS0_14default_configENS1_25partition_config_selectorILNS1_17partition_subalgoE5ElNS0_10empty_typeEbEEZZNS1_14partition_implILS5_5ELb0ES3_mN6hipcub16HIPCUB_304000_NS21CountingInputIteratorIllEEPS6_NSA_22TransformInputIteratorIbN2at6native12_GLOBAL__N_19NonZeroOpIbEEPKblEENS0_5tupleIJPlS6_EEENSN_IJSD_SD_EEES6_PiJS6_EEE10hipError_tPvRmT3_T4_T5_T6_T7_T9_mT8_P12ihipStream_tbDpT10_ENKUlT_T0_E_clISt17integral_constantIbLb0EES1B_EEDaS16_S17_EUlS16_E_NS1_11comp_targetILNS1_3genE4ELNS1_11target_archE910ELNS1_3gpuE8ELNS1_3repE0EEENS1_30default_config_static_selectorELNS0_4arch9wavefront6targetE0EEEvT1_
	.p2align	8
	.type	_ZN7rocprim17ROCPRIM_400000_NS6detail17trampoline_kernelINS0_14default_configENS1_25partition_config_selectorILNS1_17partition_subalgoE5ElNS0_10empty_typeEbEEZZNS1_14partition_implILS5_5ELb0ES3_mN6hipcub16HIPCUB_304000_NS21CountingInputIteratorIllEEPS6_NSA_22TransformInputIteratorIbN2at6native12_GLOBAL__N_19NonZeroOpIbEEPKblEENS0_5tupleIJPlS6_EEENSN_IJSD_SD_EEES6_PiJS6_EEE10hipError_tPvRmT3_T4_T5_T6_T7_T9_mT8_P12ihipStream_tbDpT10_ENKUlT_T0_E_clISt17integral_constantIbLb0EES1B_EEDaS16_S17_EUlS16_E_NS1_11comp_targetILNS1_3genE4ELNS1_11target_archE910ELNS1_3gpuE8ELNS1_3repE0EEENS1_30default_config_static_selectorELNS0_4arch9wavefront6targetE0EEEvT1_,@function
_ZN7rocprim17ROCPRIM_400000_NS6detail17trampoline_kernelINS0_14default_configENS1_25partition_config_selectorILNS1_17partition_subalgoE5ElNS0_10empty_typeEbEEZZNS1_14partition_implILS5_5ELb0ES3_mN6hipcub16HIPCUB_304000_NS21CountingInputIteratorIllEEPS6_NSA_22TransformInputIteratorIbN2at6native12_GLOBAL__N_19NonZeroOpIbEEPKblEENS0_5tupleIJPlS6_EEENSN_IJSD_SD_EEES6_PiJS6_EEE10hipError_tPvRmT3_T4_T5_T6_T7_T9_mT8_P12ihipStream_tbDpT10_ENKUlT_T0_E_clISt17integral_constantIbLb0EES1B_EEDaS16_S17_EUlS16_E_NS1_11comp_targetILNS1_3genE4ELNS1_11target_archE910ELNS1_3gpuE8ELNS1_3repE0EEENS1_30default_config_static_selectorELNS0_4arch9wavefront6targetE0EEEvT1_: ; @_ZN7rocprim17ROCPRIM_400000_NS6detail17trampoline_kernelINS0_14default_configENS1_25partition_config_selectorILNS1_17partition_subalgoE5ElNS0_10empty_typeEbEEZZNS1_14partition_implILS5_5ELb0ES3_mN6hipcub16HIPCUB_304000_NS21CountingInputIteratorIllEEPS6_NSA_22TransformInputIteratorIbN2at6native12_GLOBAL__N_19NonZeroOpIbEEPKblEENS0_5tupleIJPlS6_EEENSN_IJSD_SD_EEES6_PiJS6_EEE10hipError_tPvRmT3_T4_T5_T6_T7_T9_mT8_P12ihipStream_tbDpT10_ENKUlT_T0_E_clISt17integral_constantIbLb0EES1B_EEDaS16_S17_EUlS16_E_NS1_11comp_targetILNS1_3genE4ELNS1_11target_archE910ELNS1_3gpuE8ELNS1_3repE0EEENS1_30default_config_static_selectorELNS0_4arch9wavefront6targetE0EEEvT1_
; %bb.0:
	.section	.rodata,"a",@progbits
	.p2align	6, 0x0
	.amdhsa_kernel _ZN7rocprim17ROCPRIM_400000_NS6detail17trampoline_kernelINS0_14default_configENS1_25partition_config_selectorILNS1_17partition_subalgoE5ElNS0_10empty_typeEbEEZZNS1_14partition_implILS5_5ELb0ES3_mN6hipcub16HIPCUB_304000_NS21CountingInputIteratorIllEEPS6_NSA_22TransformInputIteratorIbN2at6native12_GLOBAL__N_19NonZeroOpIbEEPKblEENS0_5tupleIJPlS6_EEENSN_IJSD_SD_EEES6_PiJS6_EEE10hipError_tPvRmT3_T4_T5_T6_T7_T9_mT8_P12ihipStream_tbDpT10_ENKUlT_T0_E_clISt17integral_constantIbLb0EES1B_EEDaS16_S17_EUlS16_E_NS1_11comp_targetILNS1_3genE4ELNS1_11target_archE910ELNS1_3gpuE8ELNS1_3repE0EEENS1_30default_config_static_selectorELNS0_4arch9wavefront6targetE0EEEvT1_
		.amdhsa_group_segment_fixed_size 0
		.amdhsa_private_segment_fixed_size 0
		.amdhsa_kernarg_size 120
		.amdhsa_user_sgpr_count 2
		.amdhsa_user_sgpr_dispatch_ptr 0
		.amdhsa_user_sgpr_queue_ptr 0
		.amdhsa_user_sgpr_kernarg_segment_ptr 1
		.amdhsa_user_sgpr_dispatch_id 0
		.amdhsa_user_sgpr_private_segment_size 0
		.amdhsa_wavefront_size32 1
		.amdhsa_uses_dynamic_stack 0
		.amdhsa_enable_private_segment 0
		.amdhsa_system_sgpr_workgroup_id_x 1
		.amdhsa_system_sgpr_workgroup_id_y 0
		.amdhsa_system_sgpr_workgroup_id_z 0
		.amdhsa_system_sgpr_workgroup_info 0
		.amdhsa_system_vgpr_workitem_id 0
		.amdhsa_next_free_vgpr 1
		.amdhsa_next_free_sgpr 1
		.amdhsa_reserve_vcc 0
		.amdhsa_float_round_mode_32 0
		.amdhsa_float_round_mode_16_64 0
		.amdhsa_float_denorm_mode_32 3
		.amdhsa_float_denorm_mode_16_64 3
		.amdhsa_fp16_overflow 0
		.amdhsa_workgroup_processor_mode 1
		.amdhsa_memory_ordered 1
		.amdhsa_forward_progress 1
		.amdhsa_inst_pref_size 0
		.amdhsa_round_robin_scheduling 0
		.amdhsa_exception_fp_ieee_invalid_op 0
		.amdhsa_exception_fp_denorm_src 0
		.amdhsa_exception_fp_ieee_div_zero 0
		.amdhsa_exception_fp_ieee_overflow 0
		.amdhsa_exception_fp_ieee_underflow 0
		.amdhsa_exception_fp_ieee_inexact 0
		.amdhsa_exception_int_div_zero 0
	.end_amdhsa_kernel
	.section	.text._ZN7rocprim17ROCPRIM_400000_NS6detail17trampoline_kernelINS0_14default_configENS1_25partition_config_selectorILNS1_17partition_subalgoE5ElNS0_10empty_typeEbEEZZNS1_14partition_implILS5_5ELb0ES3_mN6hipcub16HIPCUB_304000_NS21CountingInputIteratorIllEEPS6_NSA_22TransformInputIteratorIbN2at6native12_GLOBAL__N_19NonZeroOpIbEEPKblEENS0_5tupleIJPlS6_EEENSN_IJSD_SD_EEES6_PiJS6_EEE10hipError_tPvRmT3_T4_T5_T6_T7_T9_mT8_P12ihipStream_tbDpT10_ENKUlT_T0_E_clISt17integral_constantIbLb0EES1B_EEDaS16_S17_EUlS16_E_NS1_11comp_targetILNS1_3genE4ELNS1_11target_archE910ELNS1_3gpuE8ELNS1_3repE0EEENS1_30default_config_static_selectorELNS0_4arch9wavefront6targetE0EEEvT1_,"axG",@progbits,_ZN7rocprim17ROCPRIM_400000_NS6detail17trampoline_kernelINS0_14default_configENS1_25partition_config_selectorILNS1_17partition_subalgoE5ElNS0_10empty_typeEbEEZZNS1_14partition_implILS5_5ELb0ES3_mN6hipcub16HIPCUB_304000_NS21CountingInputIteratorIllEEPS6_NSA_22TransformInputIteratorIbN2at6native12_GLOBAL__N_19NonZeroOpIbEEPKblEENS0_5tupleIJPlS6_EEENSN_IJSD_SD_EEES6_PiJS6_EEE10hipError_tPvRmT3_T4_T5_T6_T7_T9_mT8_P12ihipStream_tbDpT10_ENKUlT_T0_E_clISt17integral_constantIbLb0EES1B_EEDaS16_S17_EUlS16_E_NS1_11comp_targetILNS1_3genE4ELNS1_11target_archE910ELNS1_3gpuE8ELNS1_3repE0EEENS1_30default_config_static_selectorELNS0_4arch9wavefront6targetE0EEEvT1_,comdat
.Lfunc_end732:
	.size	_ZN7rocprim17ROCPRIM_400000_NS6detail17trampoline_kernelINS0_14default_configENS1_25partition_config_selectorILNS1_17partition_subalgoE5ElNS0_10empty_typeEbEEZZNS1_14partition_implILS5_5ELb0ES3_mN6hipcub16HIPCUB_304000_NS21CountingInputIteratorIllEEPS6_NSA_22TransformInputIteratorIbN2at6native12_GLOBAL__N_19NonZeroOpIbEEPKblEENS0_5tupleIJPlS6_EEENSN_IJSD_SD_EEES6_PiJS6_EEE10hipError_tPvRmT3_T4_T5_T6_T7_T9_mT8_P12ihipStream_tbDpT10_ENKUlT_T0_E_clISt17integral_constantIbLb0EES1B_EEDaS16_S17_EUlS16_E_NS1_11comp_targetILNS1_3genE4ELNS1_11target_archE910ELNS1_3gpuE8ELNS1_3repE0EEENS1_30default_config_static_selectorELNS0_4arch9wavefront6targetE0EEEvT1_, .Lfunc_end732-_ZN7rocprim17ROCPRIM_400000_NS6detail17trampoline_kernelINS0_14default_configENS1_25partition_config_selectorILNS1_17partition_subalgoE5ElNS0_10empty_typeEbEEZZNS1_14partition_implILS5_5ELb0ES3_mN6hipcub16HIPCUB_304000_NS21CountingInputIteratorIllEEPS6_NSA_22TransformInputIteratorIbN2at6native12_GLOBAL__N_19NonZeroOpIbEEPKblEENS0_5tupleIJPlS6_EEENSN_IJSD_SD_EEES6_PiJS6_EEE10hipError_tPvRmT3_T4_T5_T6_T7_T9_mT8_P12ihipStream_tbDpT10_ENKUlT_T0_E_clISt17integral_constantIbLb0EES1B_EEDaS16_S17_EUlS16_E_NS1_11comp_targetILNS1_3genE4ELNS1_11target_archE910ELNS1_3gpuE8ELNS1_3repE0EEENS1_30default_config_static_selectorELNS0_4arch9wavefront6targetE0EEEvT1_
                                        ; -- End function
	.set _ZN7rocprim17ROCPRIM_400000_NS6detail17trampoline_kernelINS0_14default_configENS1_25partition_config_selectorILNS1_17partition_subalgoE5ElNS0_10empty_typeEbEEZZNS1_14partition_implILS5_5ELb0ES3_mN6hipcub16HIPCUB_304000_NS21CountingInputIteratorIllEEPS6_NSA_22TransformInputIteratorIbN2at6native12_GLOBAL__N_19NonZeroOpIbEEPKblEENS0_5tupleIJPlS6_EEENSN_IJSD_SD_EEES6_PiJS6_EEE10hipError_tPvRmT3_T4_T5_T6_T7_T9_mT8_P12ihipStream_tbDpT10_ENKUlT_T0_E_clISt17integral_constantIbLb0EES1B_EEDaS16_S17_EUlS16_E_NS1_11comp_targetILNS1_3genE4ELNS1_11target_archE910ELNS1_3gpuE8ELNS1_3repE0EEENS1_30default_config_static_selectorELNS0_4arch9wavefront6targetE0EEEvT1_.num_vgpr, 0
	.set _ZN7rocprim17ROCPRIM_400000_NS6detail17trampoline_kernelINS0_14default_configENS1_25partition_config_selectorILNS1_17partition_subalgoE5ElNS0_10empty_typeEbEEZZNS1_14partition_implILS5_5ELb0ES3_mN6hipcub16HIPCUB_304000_NS21CountingInputIteratorIllEEPS6_NSA_22TransformInputIteratorIbN2at6native12_GLOBAL__N_19NonZeroOpIbEEPKblEENS0_5tupleIJPlS6_EEENSN_IJSD_SD_EEES6_PiJS6_EEE10hipError_tPvRmT3_T4_T5_T6_T7_T9_mT8_P12ihipStream_tbDpT10_ENKUlT_T0_E_clISt17integral_constantIbLb0EES1B_EEDaS16_S17_EUlS16_E_NS1_11comp_targetILNS1_3genE4ELNS1_11target_archE910ELNS1_3gpuE8ELNS1_3repE0EEENS1_30default_config_static_selectorELNS0_4arch9wavefront6targetE0EEEvT1_.num_agpr, 0
	.set _ZN7rocprim17ROCPRIM_400000_NS6detail17trampoline_kernelINS0_14default_configENS1_25partition_config_selectorILNS1_17partition_subalgoE5ElNS0_10empty_typeEbEEZZNS1_14partition_implILS5_5ELb0ES3_mN6hipcub16HIPCUB_304000_NS21CountingInputIteratorIllEEPS6_NSA_22TransformInputIteratorIbN2at6native12_GLOBAL__N_19NonZeroOpIbEEPKblEENS0_5tupleIJPlS6_EEENSN_IJSD_SD_EEES6_PiJS6_EEE10hipError_tPvRmT3_T4_T5_T6_T7_T9_mT8_P12ihipStream_tbDpT10_ENKUlT_T0_E_clISt17integral_constantIbLb0EES1B_EEDaS16_S17_EUlS16_E_NS1_11comp_targetILNS1_3genE4ELNS1_11target_archE910ELNS1_3gpuE8ELNS1_3repE0EEENS1_30default_config_static_selectorELNS0_4arch9wavefront6targetE0EEEvT1_.numbered_sgpr, 0
	.set _ZN7rocprim17ROCPRIM_400000_NS6detail17trampoline_kernelINS0_14default_configENS1_25partition_config_selectorILNS1_17partition_subalgoE5ElNS0_10empty_typeEbEEZZNS1_14partition_implILS5_5ELb0ES3_mN6hipcub16HIPCUB_304000_NS21CountingInputIteratorIllEEPS6_NSA_22TransformInputIteratorIbN2at6native12_GLOBAL__N_19NonZeroOpIbEEPKblEENS0_5tupleIJPlS6_EEENSN_IJSD_SD_EEES6_PiJS6_EEE10hipError_tPvRmT3_T4_T5_T6_T7_T9_mT8_P12ihipStream_tbDpT10_ENKUlT_T0_E_clISt17integral_constantIbLb0EES1B_EEDaS16_S17_EUlS16_E_NS1_11comp_targetILNS1_3genE4ELNS1_11target_archE910ELNS1_3gpuE8ELNS1_3repE0EEENS1_30default_config_static_selectorELNS0_4arch9wavefront6targetE0EEEvT1_.num_named_barrier, 0
	.set _ZN7rocprim17ROCPRIM_400000_NS6detail17trampoline_kernelINS0_14default_configENS1_25partition_config_selectorILNS1_17partition_subalgoE5ElNS0_10empty_typeEbEEZZNS1_14partition_implILS5_5ELb0ES3_mN6hipcub16HIPCUB_304000_NS21CountingInputIteratorIllEEPS6_NSA_22TransformInputIteratorIbN2at6native12_GLOBAL__N_19NonZeroOpIbEEPKblEENS0_5tupleIJPlS6_EEENSN_IJSD_SD_EEES6_PiJS6_EEE10hipError_tPvRmT3_T4_T5_T6_T7_T9_mT8_P12ihipStream_tbDpT10_ENKUlT_T0_E_clISt17integral_constantIbLb0EES1B_EEDaS16_S17_EUlS16_E_NS1_11comp_targetILNS1_3genE4ELNS1_11target_archE910ELNS1_3gpuE8ELNS1_3repE0EEENS1_30default_config_static_selectorELNS0_4arch9wavefront6targetE0EEEvT1_.private_seg_size, 0
	.set _ZN7rocprim17ROCPRIM_400000_NS6detail17trampoline_kernelINS0_14default_configENS1_25partition_config_selectorILNS1_17partition_subalgoE5ElNS0_10empty_typeEbEEZZNS1_14partition_implILS5_5ELb0ES3_mN6hipcub16HIPCUB_304000_NS21CountingInputIteratorIllEEPS6_NSA_22TransformInputIteratorIbN2at6native12_GLOBAL__N_19NonZeroOpIbEEPKblEENS0_5tupleIJPlS6_EEENSN_IJSD_SD_EEES6_PiJS6_EEE10hipError_tPvRmT3_T4_T5_T6_T7_T9_mT8_P12ihipStream_tbDpT10_ENKUlT_T0_E_clISt17integral_constantIbLb0EES1B_EEDaS16_S17_EUlS16_E_NS1_11comp_targetILNS1_3genE4ELNS1_11target_archE910ELNS1_3gpuE8ELNS1_3repE0EEENS1_30default_config_static_selectorELNS0_4arch9wavefront6targetE0EEEvT1_.uses_vcc, 0
	.set _ZN7rocprim17ROCPRIM_400000_NS6detail17trampoline_kernelINS0_14default_configENS1_25partition_config_selectorILNS1_17partition_subalgoE5ElNS0_10empty_typeEbEEZZNS1_14partition_implILS5_5ELb0ES3_mN6hipcub16HIPCUB_304000_NS21CountingInputIteratorIllEEPS6_NSA_22TransformInputIteratorIbN2at6native12_GLOBAL__N_19NonZeroOpIbEEPKblEENS0_5tupleIJPlS6_EEENSN_IJSD_SD_EEES6_PiJS6_EEE10hipError_tPvRmT3_T4_T5_T6_T7_T9_mT8_P12ihipStream_tbDpT10_ENKUlT_T0_E_clISt17integral_constantIbLb0EES1B_EEDaS16_S17_EUlS16_E_NS1_11comp_targetILNS1_3genE4ELNS1_11target_archE910ELNS1_3gpuE8ELNS1_3repE0EEENS1_30default_config_static_selectorELNS0_4arch9wavefront6targetE0EEEvT1_.uses_flat_scratch, 0
	.set _ZN7rocprim17ROCPRIM_400000_NS6detail17trampoline_kernelINS0_14default_configENS1_25partition_config_selectorILNS1_17partition_subalgoE5ElNS0_10empty_typeEbEEZZNS1_14partition_implILS5_5ELb0ES3_mN6hipcub16HIPCUB_304000_NS21CountingInputIteratorIllEEPS6_NSA_22TransformInputIteratorIbN2at6native12_GLOBAL__N_19NonZeroOpIbEEPKblEENS0_5tupleIJPlS6_EEENSN_IJSD_SD_EEES6_PiJS6_EEE10hipError_tPvRmT3_T4_T5_T6_T7_T9_mT8_P12ihipStream_tbDpT10_ENKUlT_T0_E_clISt17integral_constantIbLb0EES1B_EEDaS16_S17_EUlS16_E_NS1_11comp_targetILNS1_3genE4ELNS1_11target_archE910ELNS1_3gpuE8ELNS1_3repE0EEENS1_30default_config_static_selectorELNS0_4arch9wavefront6targetE0EEEvT1_.has_dyn_sized_stack, 0
	.set _ZN7rocprim17ROCPRIM_400000_NS6detail17trampoline_kernelINS0_14default_configENS1_25partition_config_selectorILNS1_17partition_subalgoE5ElNS0_10empty_typeEbEEZZNS1_14partition_implILS5_5ELb0ES3_mN6hipcub16HIPCUB_304000_NS21CountingInputIteratorIllEEPS6_NSA_22TransformInputIteratorIbN2at6native12_GLOBAL__N_19NonZeroOpIbEEPKblEENS0_5tupleIJPlS6_EEENSN_IJSD_SD_EEES6_PiJS6_EEE10hipError_tPvRmT3_T4_T5_T6_T7_T9_mT8_P12ihipStream_tbDpT10_ENKUlT_T0_E_clISt17integral_constantIbLb0EES1B_EEDaS16_S17_EUlS16_E_NS1_11comp_targetILNS1_3genE4ELNS1_11target_archE910ELNS1_3gpuE8ELNS1_3repE0EEENS1_30default_config_static_selectorELNS0_4arch9wavefront6targetE0EEEvT1_.has_recursion, 0
	.set _ZN7rocprim17ROCPRIM_400000_NS6detail17trampoline_kernelINS0_14default_configENS1_25partition_config_selectorILNS1_17partition_subalgoE5ElNS0_10empty_typeEbEEZZNS1_14partition_implILS5_5ELb0ES3_mN6hipcub16HIPCUB_304000_NS21CountingInputIteratorIllEEPS6_NSA_22TransformInputIteratorIbN2at6native12_GLOBAL__N_19NonZeroOpIbEEPKblEENS0_5tupleIJPlS6_EEENSN_IJSD_SD_EEES6_PiJS6_EEE10hipError_tPvRmT3_T4_T5_T6_T7_T9_mT8_P12ihipStream_tbDpT10_ENKUlT_T0_E_clISt17integral_constantIbLb0EES1B_EEDaS16_S17_EUlS16_E_NS1_11comp_targetILNS1_3genE4ELNS1_11target_archE910ELNS1_3gpuE8ELNS1_3repE0EEENS1_30default_config_static_selectorELNS0_4arch9wavefront6targetE0EEEvT1_.has_indirect_call, 0
	.section	.AMDGPU.csdata,"",@progbits
; Kernel info:
; codeLenInByte = 0
; TotalNumSgprs: 0
; NumVgprs: 0
; ScratchSize: 0
; MemoryBound: 0
; FloatMode: 240
; IeeeMode: 1
; LDSByteSize: 0 bytes/workgroup (compile time only)
; SGPRBlocks: 0
; VGPRBlocks: 0
; NumSGPRsForWavesPerEU: 1
; NumVGPRsForWavesPerEU: 1
; Occupancy: 16
; WaveLimiterHint : 0
; COMPUTE_PGM_RSRC2:SCRATCH_EN: 0
; COMPUTE_PGM_RSRC2:USER_SGPR: 2
; COMPUTE_PGM_RSRC2:TRAP_HANDLER: 0
; COMPUTE_PGM_RSRC2:TGID_X_EN: 1
; COMPUTE_PGM_RSRC2:TGID_Y_EN: 0
; COMPUTE_PGM_RSRC2:TGID_Z_EN: 0
; COMPUTE_PGM_RSRC2:TIDIG_COMP_CNT: 0
	.section	.text._ZN7rocprim17ROCPRIM_400000_NS6detail17trampoline_kernelINS0_14default_configENS1_25partition_config_selectorILNS1_17partition_subalgoE5ElNS0_10empty_typeEbEEZZNS1_14partition_implILS5_5ELb0ES3_mN6hipcub16HIPCUB_304000_NS21CountingInputIteratorIllEEPS6_NSA_22TransformInputIteratorIbN2at6native12_GLOBAL__N_19NonZeroOpIbEEPKblEENS0_5tupleIJPlS6_EEENSN_IJSD_SD_EEES6_PiJS6_EEE10hipError_tPvRmT3_T4_T5_T6_T7_T9_mT8_P12ihipStream_tbDpT10_ENKUlT_T0_E_clISt17integral_constantIbLb0EES1B_EEDaS16_S17_EUlS16_E_NS1_11comp_targetILNS1_3genE3ELNS1_11target_archE908ELNS1_3gpuE7ELNS1_3repE0EEENS1_30default_config_static_selectorELNS0_4arch9wavefront6targetE0EEEvT1_,"axG",@progbits,_ZN7rocprim17ROCPRIM_400000_NS6detail17trampoline_kernelINS0_14default_configENS1_25partition_config_selectorILNS1_17partition_subalgoE5ElNS0_10empty_typeEbEEZZNS1_14partition_implILS5_5ELb0ES3_mN6hipcub16HIPCUB_304000_NS21CountingInputIteratorIllEEPS6_NSA_22TransformInputIteratorIbN2at6native12_GLOBAL__N_19NonZeroOpIbEEPKblEENS0_5tupleIJPlS6_EEENSN_IJSD_SD_EEES6_PiJS6_EEE10hipError_tPvRmT3_T4_T5_T6_T7_T9_mT8_P12ihipStream_tbDpT10_ENKUlT_T0_E_clISt17integral_constantIbLb0EES1B_EEDaS16_S17_EUlS16_E_NS1_11comp_targetILNS1_3genE3ELNS1_11target_archE908ELNS1_3gpuE7ELNS1_3repE0EEENS1_30default_config_static_selectorELNS0_4arch9wavefront6targetE0EEEvT1_,comdat
	.globl	_ZN7rocprim17ROCPRIM_400000_NS6detail17trampoline_kernelINS0_14default_configENS1_25partition_config_selectorILNS1_17partition_subalgoE5ElNS0_10empty_typeEbEEZZNS1_14partition_implILS5_5ELb0ES3_mN6hipcub16HIPCUB_304000_NS21CountingInputIteratorIllEEPS6_NSA_22TransformInputIteratorIbN2at6native12_GLOBAL__N_19NonZeroOpIbEEPKblEENS0_5tupleIJPlS6_EEENSN_IJSD_SD_EEES6_PiJS6_EEE10hipError_tPvRmT3_T4_T5_T6_T7_T9_mT8_P12ihipStream_tbDpT10_ENKUlT_T0_E_clISt17integral_constantIbLb0EES1B_EEDaS16_S17_EUlS16_E_NS1_11comp_targetILNS1_3genE3ELNS1_11target_archE908ELNS1_3gpuE7ELNS1_3repE0EEENS1_30default_config_static_selectorELNS0_4arch9wavefront6targetE0EEEvT1_ ; -- Begin function _ZN7rocprim17ROCPRIM_400000_NS6detail17trampoline_kernelINS0_14default_configENS1_25partition_config_selectorILNS1_17partition_subalgoE5ElNS0_10empty_typeEbEEZZNS1_14partition_implILS5_5ELb0ES3_mN6hipcub16HIPCUB_304000_NS21CountingInputIteratorIllEEPS6_NSA_22TransformInputIteratorIbN2at6native12_GLOBAL__N_19NonZeroOpIbEEPKblEENS0_5tupleIJPlS6_EEENSN_IJSD_SD_EEES6_PiJS6_EEE10hipError_tPvRmT3_T4_T5_T6_T7_T9_mT8_P12ihipStream_tbDpT10_ENKUlT_T0_E_clISt17integral_constantIbLb0EES1B_EEDaS16_S17_EUlS16_E_NS1_11comp_targetILNS1_3genE3ELNS1_11target_archE908ELNS1_3gpuE7ELNS1_3repE0EEENS1_30default_config_static_selectorELNS0_4arch9wavefront6targetE0EEEvT1_
	.p2align	8
	.type	_ZN7rocprim17ROCPRIM_400000_NS6detail17trampoline_kernelINS0_14default_configENS1_25partition_config_selectorILNS1_17partition_subalgoE5ElNS0_10empty_typeEbEEZZNS1_14partition_implILS5_5ELb0ES3_mN6hipcub16HIPCUB_304000_NS21CountingInputIteratorIllEEPS6_NSA_22TransformInputIteratorIbN2at6native12_GLOBAL__N_19NonZeroOpIbEEPKblEENS0_5tupleIJPlS6_EEENSN_IJSD_SD_EEES6_PiJS6_EEE10hipError_tPvRmT3_T4_T5_T6_T7_T9_mT8_P12ihipStream_tbDpT10_ENKUlT_T0_E_clISt17integral_constantIbLb0EES1B_EEDaS16_S17_EUlS16_E_NS1_11comp_targetILNS1_3genE3ELNS1_11target_archE908ELNS1_3gpuE7ELNS1_3repE0EEENS1_30default_config_static_selectorELNS0_4arch9wavefront6targetE0EEEvT1_,@function
_ZN7rocprim17ROCPRIM_400000_NS6detail17trampoline_kernelINS0_14default_configENS1_25partition_config_selectorILNS1_17partition_subalgoE5ElNS0_10empty_typeEbEEZZNS1_14partition_implILS5_5ELb0ES3_mN6hipcub16HIPCUB_304000_NS21CountingInputIteratorIllEEPS6_NSA_22TransformInputIteratorIbN2at6native12_GLOBAL__N_19NonZeroOpIbEEPKblEENS0_5tupleIJPlS6_EEENSN_IJSD_SD_EEES6_PiJS6_EEE10hipError_tPvRmT3_T4_T5_T6_T7_T9_mT8_P12ihipStream_tbDpT10_ENKUlT_T0_E_clISt17integral_constantIbLb0EES1B_EEDaS16_S17_EUlS16_E_NS1_11comp_targetILNS1_3genE3ELNS1_11target_archE908ELNS1_3gpuE7ELNS1_3repE0EEENS1_30default_config_static_selectorELNS0_4arch9wavefront6targetE0EEEvT1_: ; @_ZN7rocprim17ROCPRIM_400000_NS6detail17trampoline_kernelINS0_14default_configENS1_25partition_config_selectorILNS1_17partition_subalgoE5ElNS0_10empty_typeEbEEZZNS1_14partition_implILS5_5ELb0ES3_mN6hipcub16HIPCUB_304000_NS21CountingInputIteratorIllEEPS6_NSA_22TransformInputIteratorIbN2at6native12_GLOBAL__N_19NonZeroOpIbEEPKblEENS0_5tupleIJPlS6_EEENSN_IJSD_SD_EEES6_PiJS6_EEE10hipError_tPvRmT3_T4_T5_T6_T7_T9_mT8_P12ihipStream_tbDpT10_ENKUlT_T0_E_clISt17integral_constantIbLb0EES1B_EEDaS16_S17_EUlS16_E_NS1_11comp_targetILNS1_3genE3ELNS1_11target_archE908ELNS1_3gpuE7ELNS1_3repE0EEENS1_30default_config_static_selectorELNS0_4arch9wavefront6targetE0EEEvT1_
; %bb.0:
	.section	.rodata,"a",@progbits
	.p2align	6, 0x0
	.amdhsa_kernel _ZN7rocprim17ROCPRIM_400000_NS6detail17trampoline_kernelINS0_14default_configENS1_25partition_config_selectorILNS1_17partition_subalgoE5ElNS0_10empty_typeEbEEZZNS1_14partition_implILS5_5ELb0ES3_mN6hipcub16HIPCUB_304000_NS21CountingInputIteratorIllEEPS6_NSA_22TransformInputIteratorIbN2at6native12_GLOBAL__N_19NonZeroOpIbEEPKblEENS0_5tupleIJPlS6_EEENSN_IJSD_SD_EEES6_PiJS6_EEE10hipError_tPvRmT3_T4_T5_T6_T7_T9_mT8_P12ihipStream_tbDpT10_ENKUlT_T0_E_clISt17integral_constantIbLb0EES1B_EEDaS16_S17_EUlS16_E_NS1_11comp_targetILNS1_3genE3ELNS1_11target_archE908ELNS1_3gpuE7ELNS1_3repE0EEENS1_30default_config_static_selectorELNS0_4arch9wavefront6targetE0EEEvT1_
		.amdhsa_group_segment_fixed_size 0
		.amdhsa_private_segment_fixed_size 0
		.amdhsa_kernarg_size 120
		.amdhsa_user_sgpr_count 2
		.amdhsa_user_sgpr_dispatch_ptr 0
		.amdhsa_user_sgpr_queue_ptr 0
		.amdhsa_user_sgpr_kernarg_segment_ptr 1
		.amdhsa_user_sgpr_dispatch_id 0
		.amdhsa_user_sgpr_private_segment_size 0
		.amdhsa_wavefront_size32 1
		.amdhsa_uses_dynamic_stack 0
		.amdhsa_enable_private_segment 0
		.amdhsa_system_sgpr_workgroup_id_x 1
		.amdhsa_system_sgpr_workgroup_id_y 0
		.amdhsa_system_sgpr_workgroup_id_z 0
		.amdhsa_system_sgpr_workgroup_info 0
		.amdhsa_system_vgpr_workitem_id 0
		.amdhsa_next_free_vgpr 1
		.amdhsa_next_free_sgpr 1
		.amdhsa_reserve_vcc 0
		.amdhsa_float_round_mode_32 0
		.amdhsa_float_round_mode_16_64 0
		.amdhsa_float_denorm_mode_32 3
		.amdhsa_float_denorm_mode_16_64 3
		.amdhsa_fp16_overflow 0
		.amdhsa_workgroup_processor_mode 1
		.amdhsa_memory_ordered 1
		.amdhsa_forward_progress 1
		.amdhsa_inst_pref_size 0
		.amdhsa_round_robin_scheduling 0
		.amdhsa_exception_fp_ieee_invalid_op 0
		.amdhsa_exception_fp_denorm_src 0
		.amdhsa_exception_fp_ieee_div_zero 0
		.amdhsa_exception_fp_ieee_overflow 0
		.amdhsa_exception_fp_ieee_underflow 0
		.amdhsa_exception_fp_ieee_inexact 0
		.amdhsa_exception_int_div_zero 0
	.end_amdhsa_kernel
	.section	.text._ZN7rocprim17ROCPRIM_400000_NS6detail17trampoline_kernelINS0_14default_configENS1_25partition_config_selectorILNS1_17partition_subalgoE5ElNS0_10empty_typeEbEEZZNS1_14partition_implILS5_5ELb0ES3_mN6hipcub16HIPCUB_304000_NS21CountingInputIteratorIllEEPS6_NSA_22TransformInputIteratorIbN2at6native12_GLOBAL__N_19NonZeroOpIbEEPKblEENS0_5tupleIJPlS6_EEENSN_IJSD_SD_EEES6_PiJS6_EEE10hipError_tPvRmT3_T4_T5_T6_T7_T9_mT8_P12ihipStream_tbDpT10_ENKUlT_T0_E_clISt17integral_constantIbLb0EES1B_EEDaS16_S17_EUlS16_E_NS1_11comp_targetILNS1_3genE3ELNS1_11target_archE908ELNS1_3gpuE7ELNS1_3repE0EEENS1_30default_config_static_selectorELNS0_4arch9wavefront6targetE0EEEvT1_,"axG",@progbits,_ZN7rocprim17ROCPRIM_400000_NS6detail17trampoline_kernelINS0_14default_configENS1_25partition_config_selectorILNS1_17partition_subalgoE5ElNS0_10empty_typeEbEEZZNS1_14partition_implILS5_5ELb0ES3_mN6hipcub16HIPCUB_304000_NS21CountingInputIteratorIllEEPS6_NSA_22TransformInputIteratorIbN2at6native12_GLOBAL__N_19NonZeroOpIbEEPKblEENS0_5tupleIJPlS6_EEENSN_IJSD_SD_EEES6_PiJS6_EEE10hipError_tPvRmT3_T4_T5_T6_T7_T9_mT8_P12ihipStream_tbDpT10_ENKUlT_T0_E_clISt17integral_constantIbLb0EES1B_EEDaS16_S17_EUlS16_E_NS1_11comp_targetILNS1_3genE3ELNS1_11target_archE908ELNS1_3gpuE7ELNS1_3repE0EEENS1_30default_config_static_selectorELNS0_4arch9wavefront6targetE0EEEvT1_,comdat
.Lfunc_end733:
	.size	_ZN7rocprim17ROCPRIM_400000_NS6detail17trampoline_kernelINS0_14default_configENS1_25partition_config_selectorILNS1_17partition_subalgoE5ElNS0_10empty_typeEbEEZZNS1_14partition_implILS5_5ELb0ES3_mN6hipcub16HIPCUB_304000_NS21CountingInputIteratorIllEEPS6_NSA_22TransformInputIteratorIbN2at6native12_GLOBAL__N_19NonZeroOpIbEEPKblEENS0_5tupleIJPlS6_EEENSN_IJSD_SD_EEES6_PiJS6_EEE10hipError_tPvRmT3_T4_T5_T6_T7_T9_mT8_P12ihipStream_tbDpT10_ENKUlT_T0_E_clISt17integral_constantIbLb0EES1B_EEDaS16_S17_EUlS16_E_NS1_11comp_targetILNS1_3genE3ELNS1_11target_archE908ELNS1_3gpuE7ELNS1_3repE0EEENS1_30default_config_static_selectorELNS0_4arch9wavefront6targetE0EEEvT1_, .Lfunc_end733-_ZN7rocprim17ROCPRIM_400000_NS6detail17trampoline_kernelINS0_14default_configENS1_25partition_config_selectorILNS1_17partition_subalgoE5ElNS0_10empty_typeEbEEZZNS1_14partition_implILS5_5ELb0ES3_mN6hipcub16HIPCUB_304000_NS21CountingInputIteratorIllEEPS6_NSA_22TransformInputIteratorIbN2at6native12_GLOBAL__N_19NonZeroOpIbEEPKblEENS0_5tupleIJPlS6_EEENSN_IJSD_SD_EEES6_PiJS6_EEE10hipError_tPvRmT3_T4_T5_T6_T7_T9_mT8_P12ihipStream_tbDpT10_ENKUlT_T0_E_clISt17integral_constantIbLb0EES1B_EEDaS16_S17_EUlS16_E_NS1_11comp_targetILNS1_3genE3ELNS1_11target_archE908ELNS1_3gpuE7ELNS1_3repE0EEENS1_30default_config_static_selectorELNS0_4arch9wavefront6targetE0EEEvT1_
                                        ; -- End function
	.set _ZN7rocprim17ROCPRIM_400000_NS6detail17trampoline_kernelINS0_14default_configENS1_25partition_config_selectorILNS1_17partition_subalgoE5ElNS0_10empty_typeEbEEZZNS1_14partition_implILS5_5ELb0ES3_mN6hipcub16HIPCUB_304000_NS21CountingInputIteratorIllEEPS6_NSA_22TransformInputIteratorIbN2at6native12_GLOBAL__N_19NonZeroOpIbEEPKblEENS0_5tupleIJPlS6_EEENSN_IJSD_SD_EEES6_PiJS6_EEE10hipError_tPvRmT3_T4_T5_T6_T7_T9_mT8_P12ihipStream_tbDpT10_ENKUlT_T0_E_clISt17integral_constantIbLb0EES1B_EEDaS16_S17_EUlS16_E_NS1_11comp_targetILNS1_3genE3ELNS1_11target_archE908ELNS1_3gpuE7ELNS1_3repE0EEENS1_30default_config_static_selectorELNS0_4arch9wavefront6targetE0EEEvT1_.num_vgpr, 0
	.set _ZN7rocprim17ROCPRIM_400000_NS6detail17trampoline_kernelINS0_14default_configENS1_25partition_config_selectorILNS1_17partition_subalgoE5ElNS0_10empty_typeEbEEZZNS1_14partition_implILS5_5ELb0ES3_mN6hipcub16HIPCUB_304000_NS21CountingInputIteratorIllEEPS6_NSA_22TransformInputIteratorIbN2at6native12_GLOBAL__N_19NonZeroOpIbEEPKblEENS0_5tupleIJPlS6_EEENSN_IJSD_SD_EEES6_PiJS6_EEE10hipError_tPvRmT3_T4_T5_T6_T7_T9_mT8_P12ihipStream_tbDpT10_ENKUlT_T0_E_clISt17integral_constantIbLb0EES1B_EEDaS16_S17_EUlS16_E_NS1_11comp_targetILNS1_3genE3ELNS1_11target_archE908ELNS1_3gpuE7ELNS1_3repE0EEENS1_30default_config_static_selectorELNS0_4arch9wavefront6targetE0EEEvT1_.num_agpr, 0
	.set _ZN7rocprim17ROCPRIM_400000_NS6detail17trampoline_kernelINS0_14default_configENS1_25partition_config_selectorILNS1_17partition_subalgoE5ElNS0_10empty_typeEbEEZZNS1_14partition_implILS5_5ELb0ES3_mN6hipcub16HIPCUB_304000_NS21CountingInputIteratorIllEEPS6_NSA_22TransformInputIteratorIbN2at6native12_GLOBAL__N_19NonZeroOpIbEEPKblEENS0_5tupleIJPlS6_EEENSN_IJSD_SD_EEES6_PiJS6_EEE10hipError_tPvRmT3_T4_T5_T6_T7_T9_mT8_P12ihipStream_tbDpT10_ENKUlT_T0_E_clISt17integral_constantIbLb0EES1B_EEDaS16_S17_EUlS16_E_NS1_11comp_targetILNS1_3genE3ELNS1_11target_archE908ELNS1_3gpuE7ELNS1_3repE0EEENS1_30default_config_static_selectorELNS0_4arch9wavefront6targetE0EEEvT1_.numbered_sgpr, 0
	.set _ZN7rocprim17ROCPRIM_400000_NS6detail17trampoline_kernelINS0_14default_configENS1_25partition_config_selectorILNS1_17partition_subalgoE5ElNS0_10empty_typeEbEEZZNS1_14partition_implILS5_5ELb0ES3_mN6hipcub16HIPCUB_304000_NS21CountingInputIteratorIllEEPS6_NSA_22TransformInputIteratorIbN2at6native12_GLOBAL__N_19NonZeroOpIbEEPKblEENS0_5tupleIJPlS6_EEENSN_IJSD_SD_EEES6_PiJS6_EEE10hipError_tPvRmT3_T4_T5_T6_T7_T9_mT8_P12ihipStream_tbDpT10_ENKUlT_T0_E_clISt17integral_constantIbLb0EES1B_EEDaS16_S17_EUlS16_E_NS1_11comp_targetILNS1_3genE3ELNS1_11target_archE908ELNS1_3gpuE7ELNS1_3repE0EEENS1_30default_config_static_selectorELNS0_4arch9wavefront6targetE0EEEvT1_.num_named_barrier, 0
	.set _ZN7rocprim17ROCPRIM_400000_NS6detail17trampoline_kernelINS0_14default_configENS1_25partition_config_selectorILNS1_17partition_subalgoE5ElNS0_10empty_typeEbEEZZNS1_14partition_implILS5_5ELb0ES3_mN6hipcub16HIPCUB_304000_NS21CountingInputIteratorIllEEPS6_NSA_22TransformInputIteratorIbN2at6native12_GLOBAL__N_19NonZeroOpIbEEPKblEENS0_5tupleIJPlS6_EEENSN_IJSD_SD_EEES6_PiJS6_EEE10hipError_tPvRmT3_T4_T5_T6_T7_T9_mT8_P12ihipStream_tbDpT10_ENKUlT_T0_E_clISt17integral_constantIbLb0EES1B_EEDaS16_S17_EUlS16_E_NS1_11comp_targetILNS1_3genE3ELNS1_11target_archE908ELNS1_3gpuE7ELNS1_3repE0EEENS1_30default_config_static_selectorELNS0_4arch9wavefront6targetE0EEEvT1_.private_seg_size, 0
	.set _ZN7rocprim17ROCPRIM_400000_NS6detail17trampoline_kernelINS0_14default_configENS1_25partition_config_selectorILNS1_17partition_subalgoE5ElNS0_10empty_typeEbEEZZNS1_14partition_implILS5_5ELb0ES3_mN6hipcub16HIPCUB_304000_NS21CountingInputIteratorIllEEPS6_NSA_22TransformInputIteratorIbN2at6native12_GLOBAL__N_19NonZeroOpIbEEPKblEENS0_5tupleIJPlS6_EEENSN_IJSD_SD_EEES6_PiJS6_EEE10hipError_tPvRmT3_T4_T5_T6_T7_T9_mT8_P12ihipStream_tbDpT10_ENKUlT_T0_E_clISt17integral_constantIbLb0EES1B_EEDaS16_S17_EUlS16_E_NS1_11comp_targetILNS1_3genE3ELNS1_11target_archE908ELNS1_3gpuE7ELNS1_3repE0EEENS1_30default_config_static_selectorELNS0_4arch9wavefront6targetE0EEEvT1_.uses_vcc, 0
	.set _ZN7rocprim17ROCPRIM_400000_NS6detail17trampoline_kernelINS0_14default_configENS1_25partition_config_selectorILNS1_17partition_subalgoE5ElNS0_10empty_typeEbEEZZNS1_14partition_implILS5_5ELb0ES3_mN6hipcub16HIPCUB_304000_NS21CountingInputIteratorIllEEPS6_NSA_22TransformInputIteratorIbN2at6native12_GLOBAL__N_19NonZeroOpIbEEPKblEENS0_5tupleIJPlS6_EEENSN_IJSD_SD_EEES6_PiJS6_EEE10hipError_tPvRmT3_T4_T5_T6_T7_T9_mT8_P12ihipStream_tbDpT10_ENKUlT_T0_E_clISt17integral_constantIbLb0EES1B_EEDaS16_S17_EUlS16_E_NS1_11comp_targetILNS1_3genE3ELNS1_11target_archE908ELNS1_3gpuE7ELNS1_3repE0EEENS1_30default_config_static_selectorELNS0_4arch9wavefront6targetE0EEEvT1_.uses_flat_scratch, 0
	.set _ZN7rocprim17ROCPRIM_400000_NS6detail17trampoline_kernelINS0_14default_configENS1_25partition_config_selectorILNS1_17partition_subalgoE5ElNS0_10empty_typeEbEEZZNS1_14partition_implILS5_5ELb0ES3_mN6hipcub16HIPCUB_304000_NS21CountingInputIteratorIllEEPS6_NSA_22TransformInputIteratorIbN2at6native12_GLOBAL__N_19NonZeroOpIbEEPKblEENS0_5tupleIJPlS6_EEENSN_IJSD_SD_EEES6_PiJS6_EEE10hipError_tPvRmT3_T4_T5_T6_T7_T9_mT8_P12ihipStream_tbDpT10_ENKUlT_T0_E_clISt17integral_constantIbLb0EES1B_EEDaS16_S17_EUlS16_E_NS1_11comp_targetILNS1_3genE3ELNS1_11target_archE908ELNS1_3gpuE7ELNS1_3repE0EEENS1_30default_config_static_selectorELNS0_4arch9wavefront6targetE0EEEvT1_.has_dyn_sized_stack, 0
	.set _ZN7rocprim17ROCPRIM_400000_NS6detail17trampoline_kernelINS0_14default_configENS1_25partition_config_selectorILNS1_17partition_subalgoE5ElNS0_10empty_typeEbEEZZNS1_14partition_implILS5_5ELb0ES3_mN6hipcub16HIPCUB_304000_NS21CountingInputIteratorIllEEPS6_NSA_22TransformInputIteratorIbN2at6native12_GLOBAL__N_19NonZeroOpIbEEPKblEENS0_5tupleIJPlS6_EEENSN_IJSD_SD_EEES6_PiJS6_EEE10hipError_tPvRmT3_T4_T5_T6_T7_T9_mT8_P12ihipStream_tbDpT10_ENKUlT_T0_E_clISt17integral_constantIbLb0EES1B_EEDaS16_S17_EUlS16_E_NS1_11comp_targetILNS1_3genE3ELNS1_11target_archE908ELNS1_3gpuE7ELNS1_3repE0EEENS1_30default_config_static_selectorELNS0_4arch9wavefront6targetE0EEEvT1_.has_recursion, 0
	.set _ZN7rocprim17ROCPRIM_400000_NS6detail17trampoline_kernelINS0_14default_configENS1_25partition_config_selectorILNS1_17partition_subalgoE5ElNS0_10empty_typeEbEEZZNS1_14partition_implILS5_5ELb0ES3_mN6hipcub16HIPCUB_304000_NS21CountingInputIteratorIllEEPS6_NSA_22TransformInputIteratorIbN2at6native12_GLOBAL__N_19NonZeroOpIbEEPKblEENS0_5tupleIJPlS6_EEENSN_IJSD_SD_EEES6_PiJS6_EEE10hipError_tPvRmT3_T4_T5_T6_T7_T9_mT8_P12ihipStream_tbDpT10_ENKUlT_T0_E_clISt17integral_constantIbLb0EES1B_EEDaS16_S17_EUlS16_E_NS1_11comp_targetILNS1_3genE3ELNS1_11target_archE908ELNS1_3gpuE7ELNS1_3repE0EEENS1_30default_config_static_selectorELNS0_4arch9wavefront6targetE0EEEvT1_.has_indirect_call, 0
	.section	.AMDGPU.csdata,"",@progbits
; Kernel info:
; codeLenInByte = 0
; TotalNumSgprs: 0
; NumVgprs: 0
; ScratchSize: 0
; MemoryBound: 0
; FloatMode: 240
; IeeeMode: 1
; LDSByteSize: 0 bytes/workgroup (compile time only)
; SGPRBlocks: 0
; VGPRBlocks: 0
; NumSGPRsForWavesPerEU: 1
; NumVGPRsForWavesPerEU: 1
; Occupancy: 16
; WaveLimiterHint : 0
; COMPUTE_PGM_RSRC2:SCRATCH_EN: 0
; COMPUTE_PGM_RSRC2:USER_SGPR: 2
; COMPUTE_PGM_RSRC2:TRAP_HANDLER: 0
; COMPUTE_PGM_RSRC2:TGID_X_EN: 1
; COMPUTE_PGM_RSRC2:TGID_Y_EN: 0
; COMPUTE_PGM_RSRC2:TGID_Z_EN: 0
; COMPUTE_PGM_RSRC2:TIDIG_COMP_CNT: 0
	.section	.text._ZN7rocprim17ROCPRIM_400000_NS6detail17trampoline_kernelINS0_14default_configENS1_25partition_config_selectorILNS1_17partition_subalgoE5ElNS0_10empty_typeEbEEZZNS1_14partition_implILS5_5ELb0ES3_mN6hipcub16HIPCUB_304000_NS21CountingInputIteratorIllEEPS6_NSA_22TransformInputIteratorIbN2at6native12_GLOBAL__N_19NonZeroOpIbEEPKblEENS0_5tupleIJPlS6_EEENSN_IJSD_SD_EEES6_PiJS6_EEE10hipError_tPvRmT3_T4_T5_T6_T7_T9_mT8_P12ihipStream_tbDpT10_ENKUlT_T0_E_clISt17integral_constantIbLb0EES1B_EEDaS16_S17_EUlS16_E_NS1_11comp_targetILNS1_3genE2ELNS1_11target_archE906ELNS1_3gpuE6ELNS1_3repE0EEENS1_30default_config_static_selectorELNS0_4arch9wavefront6targetE0EEEvT1_,"axG",@progbits,_ZN7rocprim17ROCPRIM_400000_NS6detail17trampoline_kernelINS0_14default_configENS1_25partition_config_selectorILNS1_17partition_subalgoE5ElNS0_10empty_typeEbEEZZNS1_14partition_implILS5_5ELb0ES3_mN6hipcub16HIPCUB_304000_NS21CountingInputIteratorIllEEPS6_NSA_22TransformInputIteratorIbN2at6native12_GLOBAL__N_19NonZeroOpIbEEPKblEENS0_5tupleIJPlS6_EEENSN_IJSD_SD_EEES6_PiJS6_EEE10hipError_tPvRmT3_T4_T5_T6_T7_T9_mT8_P12ihipStream_tbDpT10_ENKUlT_T0_E_clISt17integral_constantIbLb0EES1B_EEDaS16_S17_EUlS16_E_NS1_11comp_targetILNS1_3genE2ELNS1_11target_archE906ELNS1_3gpuE6ELNS1_3repE0EEENS1_30default_config_static_selectorELNS0_4arch9wavefront6targetE0EEEvT1_,comdat
	.globl	_ZN7rocprim17ROCPRIM_400000_NS6detail17trampoline_kernelINS0_14default_configENS1_25partition_config_selectorILNS1_17partition_subalgoE5ElNS0_10empty_typeEbEEZZNS1_14partition_implILS5_5ELb0ES3_mN6hipcub16HIPCUB_304000_NS21CountingInputIteratorIllEEPS6_NSA_22TransformInputIteratorIbN2at6native12_GLOBAL__N_19NonZeroOpIbEEPKblEENS0_5tupleIJPlS6_EEENSN_IJSD_SD_EEES6_PiJS6_EEE10hipError_tPvRmT3_T4_T5_T6_T7_T9_mT8_P12ihipStream_tbDpT10_ENKUlT_T0_E_clISt17integral_constantIbLb0EES1B_EEDaS16_S17_EUlS16_E_NS1_11comp_targetILNS1_3genE2ELNS1_11target_archE906ELNS1_3gpuE6ELNS1_3repE0EEENS1_30default_config_static_selectorELNS0_4arch9wavefront6targetE0EEEvT1_ ; -- Begin function _ZN7rocprim17ROCPRIM_400000_NS6detail17trampoline_kernelINS0_14default_configENS1_25partition_config_selectorILNS1_17partition_subalgoE5ElNS0_10empty_typeEbEEZZNS1_14partition_implILS5_5ELb0ES3_mN6hipcub16HIPCUB_304000_NS21CountingInputIteratorIllEEPS6_NSA_22TransformInputIteratorIbN2at6native12_GLOBAL__N_19NonZeroOpIbEEPKblEENS0_5tupleIJPlS6_EEENSN_IJSD_SD_EEES6_PiJS6_EEE10hipError_tPvRmT3_T4_T5_T6_T7_T9_mT8_P12ihipStream_tbDpT10_ENKUlT_T0_E_clISt17integral_constantIbLb0EES1B_EEDaS16_S17_EUlS16_E_NS1_11comp_targetILNS1_3genE2ELNS1_11target_archE906ELNS1_3gpuE6ELNS1_3repE0EEENS1_30default_config_static_selectorELNS0_4arch9wavefront6targetE0EEEvT1_
	.p2align	8
	.type	_ZN7rocprim17ROCPRIM_400000_NS6detail17trampoline_kernelINS0_14default_configENS1_25partition_config_selectorILNS1_17partition_subalgoE5ElNS0_10empty_typeEbEEZZNS1_14partition_implILS5_5ELb0ES3_mN6hipcub16HIPCUB_304000_NS21CountingInputIteratorIllEEPS6_NSA_22TransformInputIteratorIbN2at6native12_GLOBAL__N_19NonZeroOpIbEEPKblEENS0_5tupleIJPlS6_EEENSN_IJSD_SD_EEES6_PiJS6_EEE10hipError_tPvRmT3_T4_T5_T6_T7_T9_mT8_P12ihipStream_tbDpT10_ENKUlT_T0_E_clISt17integral_constantIbLb0EES1B_EEDaS16_S17_EUlS16_E_NS1_11comp_targetILNS1_3genE2ELNS1_11target_archE906ELNS1_3gpuE6ELNS1_3repE0EEENS1_30default_config_static_selectorELNS0_4arch9wavefront6targetE0EEEvT1_,@function
_ZN7rocprim17ROCPRIM_400000_NS6detail17trampoline_kernelINS0_14default_configENS1_25partition_config_selectorILNS1_17partition_subalgoE5ElNS0_10empty_typeEbEEZZNS1_14partition_implILS5_5ELb0ES3_mN6hipcub16HIPCUB_304000_NS21CountingInputIteratorIllEEPS6_NSA_22TransformInputIteratorIbN2at6native12_GLOBAL__N_19NonZeroOpIbEEPKblEENS0_5tupleIJPlS6_EEENSN_IJSD_SD_EEES6_PiJS6_EEE10hipError_tPvRmT3_T4_T5_T6_T7_T9_mT8_P12ihipStream_tbDpT10_ENKUlT_T0_E_clISt17integral_constantIbLb0EES1B_EEDaS16_S17_EUlS16_E_NS1_11comp_targetILNS1_3genE2ELNS1_11target_archE906ELNS1_3gpuE6ELNS1_3repE0EEENS1_30default_config_static_selectorELNS0_4arch9wavefront6targetE0EEEvT1_: ; @_ZN7rocprim17ROCPRIM_400000_NS6detail17trampoline_kernelINS0_14default_configENS1_25partition_config_selectorILNS1_17partition_subalgoE5ElNS0_10empty_typeEbEEZZNS1_14partition_implILS5_5ELb0ES3_mN6hipcub16HIPCUB_304000_NS21CountingInputIteratorIllEEPS6_NSA_22TransformInputIteratorIbN2at6native12_GLOBAL__N_19NonZeroOpIbEEPKblEENS0_5tupleIJPlS6_EEENSN_IJSD_SD_EEES6_PiJS6_EEE10hipError_tPvRmT3_T4_T5_T6_T7_T9_mT8_P12ihipStream_tbDpT10_ENKUlT_T0_E_clISt17integral_constantIbLb0EES1B_EEDaS16_S17_EUlS16_E_NS1_11comp_targetILNS1_3genE2ELNS1_11target_archE906ELNS1_3gpuE6ELNS1_3repE0EEENS1_30default_config_static_selectorELNS0_4arch9wavefront6targetE0EEEvT1_
; %bb.0:
	.section	.rodata,"a",@progbits
	.p2align	6, 0x0
	.amdhsa_kernel _ZN7rocprim17ROCPRIM_400000_NS6detail17trampoline_kernelINS0_14default_configENS1_25partition_config_selectorILNS1_17partition_subalgoE5ElNS0_10empty_typeEbEEZZNS1_14partition_implILS5_5ELb0ES3_mN6hipcub16HIPCUB_304000_NS21CountingInputIteratorIllEEPS6_NSA_22TransformInputIteratorIbN2at6native12_GLOBAL__N_19NonZeroOpIbEEPKblEENS0_5tupleIJPlS6_EEENSN_IJSD_SD_EEES6_PiJS6_EEE10hipError_tPvRmT3_T4_T5_T6_T7_T9_mT8_P12ihipStream_tbDpT10_ENKUlT_T0_E_clISt17integral_constantIbLb0EES1B_EEDaS16_S17_EUlS16_E_NS1_11comp_targetILNS1_3genE2ELNS1_11target_archE906ELNS1_3gpuE6ELNS1_3repE0EEENS1_30default_config_static_selectorELNS0_4arch9wavefront6targetE0EEEvT1_
		.amdhsa_group_segment_fixed_size 0
		.amdhsa_private_segment_fixed_size 0
		.amdhsa_kernarg_size 120
		.amdhsa_user_sgpr_count 2
		.amdhsa_user_sgpr_dispatch_ptr 0
		.amdhsa_user_sgpr_queue_ptr 0
		.amdhsa_user_sgpr_kernarg_segment_ptr 1
		.amdhsa_user_sgpr_dispatch_id 0
		.amdhsa_user_sgpr_private_segment_size 0
		.amdhsa_wavefront_size32 1
		.amdhsa_uses_dynamic_stack 0
		.amdhsa_enable_private_segment 0
		.amdhsa_system_sgpr_workgroup_id_x 1
		.amdhsa_system_sgpr_workgroup_id_y 0
		.amdhsa_system_sgpr_workgroup_id_z 0
		.amdhsa_system_sgpr_workgroup_info 0
		.amdhsa_system_vgpr_workitem_id 0
		.amdhsa_next_free_vgpr 1
		.amdhsa_next_free_sgpr 1
		.amdhsa_reserve_vcc 0
		.amdhsa_float_round_mode_32 0
		.amdhsa_float_round_mode_16_64 0
		.amdhsa_float_denorm_mode_32 3
		.amdhsa_float_denorm_mode_16_64 3
		.amdhsa_fp16_overflow 0
		.amdhsa_workgroup_processor_mode 1
		.amdhsa_memory_ordered 1
		.amdhsa_forward_progress 1
		.amdhsa_inst_pref_size 0
		.amdhsa_round_robin_scheduling 0
		.amdhsa_exception_fp_ieee_invalid_op 0
		.amdhsa_exception_fp_denorm_src 0
		.amdhsa_exception_fp_ieee_div_zero 0
		.amdhsa_exception_fp_ieee_overflow 0
		.amdhsa_exception_fp_ieee_underflow 0
		.amdhsa_exception_fp_ieee_inexact 0
		.amdhsa_exception_int_div_zero 0
	.end_amdhsa_kernel
	.section	.text._ZN7rocprim17ROCPRIM_400000_NS6detail17trampoline_kernelINS0_14default_configENS1_25partition_config_selectorILNS1_17partition_subalgoE5ElNS0_10empty_typeEbEEZZNS1_14partition_implILS5_5ELb0ES3_mN6hipcub16HIPCUB_304000_NS21CountingInputIteratorIllEEPS6_NSA_22TransformInputIteratorIbN2at6native12_GLOBAL__N_19NonZeroOpIbEEPKblEENS0_5tupleIJPlS6_EEENSN_IJSD_SD_EEES6_PiJS6_EEE10hipError_tPvRmT3_T4_T5_T6_T7_T9_mT8_P12ihipStream_tbDpT10_ENKUlT_T0_E_clISt17integral_constantIbLb0EES1B_EEDaS16_S17_EUlS16_E_NS1_11comp_targetILNS1_3genE2ELNS1_11target_archE906ELNS1_3gpuE6ELNS1_3repE0EEENS1_30default_config_static_selectorELNS0_4arch9wavefront6targetE0EEEvT1_,"axG",@progbits,_ZN7rocprim17ROCPRIM_400000_NS6detail17trampoline_kernelINS0_14default_configENS1_25partition_config_selectorILNS1_17partition_subalgoE5ElNS0_10empty_typeEbEEZZNS1_14partition_implILS5_5ELb0ES3_mN6hipcub16HIPCUB_304000_NS21CountingInputIteratorIllEEPS6_NSA_22TransformInputIteratorIbN2at6native12_GLOBAL__N_19NonZeroOpIbEEPKblEENS0_5tupleIJPlS6_EEENSN_IJSD_SD_EEES6_PiJS6_EEE10hipError_tPvRmT3_T4_T5_T6_T7_T9_mT8_P12ihipStream_tbDpT10_ENKUlT_T0_E_clISt17integral_constantIbLb0EES1B_EEDaS16_S17_EUlS16_E_NS1_11comp_targetILNS1_3genE2ELNS1_11target_archE906ELNS1_3gpuE6ELNS1_3repE0EEENS1_30default_config_static_selectorELNS0_4arch9wavefront6targetE0EEEvT1_,comdat
.Lfunc_end734:
	.size	_ZN7rocprim17ROCPRIM_400000_NS6detail17trampoline_kernelINS0_14default_configENS1_25partition_config_selectorILNS1_17partition_subalgoE5ElNS0_10empty_typeEbEEZZNS1_14partition_implILS5_5ELb0ES3_mN6hipcub16HIPCUB_304000_NS21CountingInputIteratorIllEEPS6_NSA_22TransformInputIteratorIbN2at6native12_GLOBAL__N_19NonZeroOpIbEEPKblEENS0_5tupleIJPlS6_EEENSN_IJSD_SD_EEES6_PiJS6_EEE10hipError_tPvRmT3_T4_T5_T6_T7_T9_mT8_P12ihipStream_tbDpT10_ENKUlT_T0_E_clISt17integral_constantIbLb0EES1B_EEDaS16_S17_EUlS16_E_NS1_11comp_targetILNS1_3genE2ELNS1_11target_archE906ELNS1_3gpuE6ELNS1_3repE0EEENS1_30default_config_static_selectorELNS0_4arch9wavefront6targetE0EEEvT1_, .Lfunc_end734-_ZN7rocprim17ROCPRIM_400000_NS6detail17trampoline_kernelINS0_14default_configENS1_25partition_config_selectorILNS1_17partition_subalgoE5ElNS0_10empty_typeEbEEZZNS1_14partition_implILS5_5ELb0ES3_mN6hipcub16HIPCUB_304000_NS21CountingInputIteratorIllEEPS6_NSA_22TransformInputIteratorIbN2at6native12_GLOBAL__N_19NonZeroOpIbEEPKblEENS0_5tupleIJPlS6_EEENSN_IJSD_SD_EEES6_PiJS6_EEE10hipError_tPvRmT3_T4_T5_T6_T7_T9_mT8_P12ihipStream_tbDpT10_ENKUlT_T0_E_clISt17integral_constantIbLb0EES1B_EEDaS16_S17_EUlS16_E_NS1_11comp_targetILNS1_3genE2ELNS1_11target_archE906ELNS1_3gpuE6ELNS1_3repE0EEENS1_30default_config_static_selectorELNS0_4arch9wavefront6targetE0EEEvT1_
                                        ; -- End function
	.set _ZN7rocprim17ROCPRIM_400000_NS6detail17trampoline_kernelINS0_14default_configENS1_25partition_config_selectorILNS1_17partition_subalgoE5ElNS0_10empty_typeEbEEZZNS1_14partition_implILS5_5ELb0ES3_mN6hipcub16HIPCUB_304000_NS21CountingInputIteratorIllEEPS6_NSA_22TransformInputIteratorIbN2at6native12_GLOBAL__N_19NonZeroOpIbEEPKblEENS0_5tupleIJPlS6_EEENSN_IJSD_SD_EEES6_PiJS6_EEE10hipError_tPvRmT3_T4_T5_T6_T7_T9_mT8_P12ihipStream_tbDpT10_ENKUlT_T0_E_clISt17integral_constantIbLb0EES1B_EEDaS16_S17_EUlS16_E_NS1_11comp_targetILNS1_3genE2ELNS1_11target_archE906ELNS1_3gpuE6ELNS1_3repE0EEENS1_30default_config_static_selectorELNS0_4arch9wavefront6targetE0EEEvT1_.num_vgpr, 0
	.set _ZN7rocprim17ROCPRIM_400000_NS6detail17trampoline_kernelINS0_14default_configENS1_25partition_config_selectorILNS1_17partition_subalgoE5ElNS0_10empty_typeEbEEZZNS1_14partition_implILS5_5ELb0ES3_mN6hipcub16HIPCUB_304000_NS21CountingInputIteratorIllEEPS6_NSA_22TransformInputIteratorIbN2at6native12_GLOBAL__N_19NonZeroOpIbEEPKblEENS0_5tupleIJPlS6_EEENSN_IJSD_SD_EEES6_PiJS6_EEE10hipError_tPvRmT3_T4_T5_T6_T7_T9_mT8_P12ihipStream_tbDpT10_ENKUlT_T0_E_clISt17integral_constantIbLb0EES1B_EEDaS16_S17_EUlS16_E_NS1_11comp_targetILNS1_3genE2ELNS1_11target_archE906ELNS1_3gpuE6ELNS1_3repE0EEENS1_30default_config_static_selectorELNS0_4arch9wavefront6targetE0EEEvT1_.num_agpr, 0
	.set _ZN7rocprim17ROCPRIM_400000_NS6detail17trampoline_kernelINS0_14default_configENS1_25partition_config_selectorILNS1_17partition_subalgoE5ElNS0_10empty_typeEbEEZZNS1_14partition_implILS5_5ELb0ES3_mN6hipcub16HIPCUB_304000_NS21CountingInputIteratorIllEEPS6_NSA_22TransformInputIteratorIbN2at6native12_GLOBAL__N_19NonZeroOpIbEEPKblEENS0_5tupleIJPlS6_EEENSN_IJSD_SD_EEES6_PiJS6_EEE10hipError_tPvRmT3_T4_T5_T6_T7_T9_mT8_P12ihipStream_tbDpT10_ENKUlT_T0_E_clISt17integral_constantIbLb0EES1B_EEDaS16_S17_EUlS16_E_NS1_11comp_targetILNS1_3genE2ELNS1_11target_archE906ELNS1_3gpuE6ELNS1_3repE0EEENS1_30default_config_static_selectorELNS0_4arch9wavefront6targetE0EEEvT1_.numbered_sgpr, 0
	.set _ZN7rocprim17ROCPRIM_400000_NS6detail17trampoline_kernelINS0_14default_configENS1_25partition_config_selectorILNS1_17partition_subalgoE5ElNS0_10empty_typeEbEEZZNS1_14partition_implILS5_5ELb0ES3_mN6hipcub16HIPCUB_304000_NS21CountingInputIteratorIllEEPS6_NSA_22TransformInputIteratorIbN2at6native12_GLOBAL__N_19NonZeroOpIbEEPKblEENS0_5tupleIJPlS6_EEENSN_IJSD_SD_EEES6_PiJS6_EEE10hipError_tPvRmT3_T4_T5_T6_T7_T9_mT8_P12ihipStream_tbDpT10_ENKUlT_T0_E_clISt17integral_constantIbLb0EES1B_EEDaS16_S17_EUlS16_E_NS1_11comp_targetILNS1_3genE2ELNS1_11target_archE906ELNS1_3gpuE6ELNS1_3repE0EEENS1_30default_config_static_selectorELNS0_4arch9wavefront6targetE0EEEvT1_.num_named_barrier, 0
	.set _ZN7rocprim17ROCPRIM_400000_NS6detail17trampoline_kernelINS0_14default_configENS1_25partition_config_selectorILNS1_17partition_subalgoE5ElNS0_10empty_typeEbEEZZNS1_14partition_implILS5_5ELb0ES3_mN6hipcub16HIPCUB_304000_NS21CountingInputIteratorIllEEPS6_NSA_22TransformInputIteratorIbN2at6native12_GLOBAL__N_19NonZeroOpIbEEPKblEENS0_5tupleIJPlS6_EEENSN_IJSD_SD_EEES6_PiJS6_EEE10hipError_tPvRmT3_T4_T5_T6_T7_T9_mT8_P12ihipStream_tbDpT10_ENKUlT_T0_E_clISt17integral_constantIbLb0EES1B_EEDaS16_S17_EUlS16_E_NS1_11comp_targetILNS1_3genE2ELNS1_11target_archE906ELNS1_3gpuE6ELNS1_3repE0EEENS1_30default_config_static_selectorELNS0_4arch9wavefront6targetE0EEEvT1_.private_seg_size, 0
	.set _ZN7rocprim17ROCPRIM_400000_NS6detail17trampoline_kernelINS0_14default_configENS1_25partition_config_selectorILNS1_17partition_subalgoE5ElNS0_10empty_typeEbEEZZNS1_14partition_implILS5_5ELb0ES3_mN6hipcub16HIPCUB_304000_NS21CountingInputIteratorIllEEPS6_NSA_22TransformInputIteratorIbN2at6native12_GLOBAL__N_19NonZeroOpIbEEPKblEENS0_5tupleIJPlS6_EEENSN_IJSD_SD_EEES6_PiJS6_EEE10hipError_tPvRmT3_T4_T5_T6_T7_T9_mT8_P12ihipStream_tbDpT10_ENKUlT_T0_E_clISt17integral_constantIbLb0EES1B_EEDaS16_S17_EUlS16_E_NS1_11comp_targetILNS1_3genE2ELNS1_11target_archE906ELNS1_3gpuE6ELNS1_3repE0EEENS1_30default_config_static_selectorELNS0_4arch9wavefront6targetE0EEEvT1_.uses_vcc, 0
	.set _ZN7rocprim17ROCPRIM_400000_NS6detail17trampoline_kernelINS0_14default_configENS1_25partition_config_selectorILNS1_17partition_subalgoE5ElNS0_10empty_typeEbEEZZNS1_14partition_implILS5_5ELb0ES3_mN6hipcub16HIPCUB_304000_NS21CountingInputIteratorIllEEPS6_NSA_22TransformInputIteratorIbN2at6native12_GLOBAL__N_19NonZeroOpIbEEPKblEENS0_5tupleIJPlS6_EEENSN_IJSD_SD_EEES6_PiJS6_EEE10hipError_tPvRmT3_T4_T5_T6_T7_T9_mT8_P12ihipStream_tbDpT10_ENKUlT_T0_E_clISt17integral_constantIbLb0EES1B_EEDaS16_S17_EUlS16_E_NS1_11comp_targetILNS1_3genE2ELNS1_11target_archE906ELNS1_3gpuE6ELNS1_3repE0EEENS1_30default_config_static_selectorELNS0_4arch9wavefront6targetE0EEEvT1_.uses_flat_scratch, 0
	.set _ZN7rocprim17ROCPRIM_400000_NS6detail17trampoline_kernelINS0_14default_configENS1_25partition_config_selectorILNS1_17partition_subalgoE5ElNS0_10empty_typeEbEEZZNS1_14partition_implILS5_5ELb0ES3_mN6hipcub16HIPCUB_304000_NS21CountingInputIteratorIllEEPS6_NSA_22TransformInputIteratorIbN2at6native12_GLOBAL__N_19NonZeroOpIbEEPKblEENS0_5tupleIJPlS6_EEENSN_IJSD_SD_EEES6_PiJS6_EEE10hipError_tPvRmT3_T4_T5_T6_T7_T9_mT8_P12ihipStream_tbDpT10_ENKUlT_T0_E_clISt17integral_constantIbLb0EES1B_EEDaS16_S17_EUlS16_E_NS1_11comp_targetILNS1_3genE2ELNS1_11target_archE906ELNS1_3gpuE6ELNS1_3repE0EEENS1_30default_config_static_selectorELNS0_4arch9wavefront6targetE0EEEvT1_.has_dyn_sized_stack, 0
	.set _ZN7rocprim17ROCPRIM_400000_NS6detail17trampoline_kernelINS0_14default_configENS1_25partition_config_selectorILNS1_17partition_subalgoE5ElNS0_10empty_typeEbEEZZNS1_14partition_implILS5_5ELb0ES3_mN6hipcub16HIPCUB_304000_NS21CountingInputIteratorIllEEPS6_NSA_22TransformInputIteratorIbN2at6native12_GLOBAL__N_19NonZeroOpIbEEPKblEENS0_5tupleIJPlS6_EEENSN_IJSD_SD_EEES6_PiJS6_EEE10hipError_tPvRmT3_T4_T5_T6_T7_T9_mT8_P12ihipStream_tbDpT10_ENKUlT_T0_E_clISt17integral_constantIbLb0EES1B_EEDaS16_S17_EUlS16_E_NS1_11comp_targetILNS1_3genE2ELNS1_11target_archE906ELNS1_3gpuE6ELNS1_3repE0EEENS1_30default_config_static_selectorELNS0_4arch9wavefront6targetE0EEEvT1_.has_recursion, 0
	.set _ZN7rocprim17ROCPRIM_400000_NS6detail17trampoline_kernelINS0_14default_configENS1_25partition_config_selectorILNS1_17partition_subalgoE5ElNS0_10empty_typeEbEEZZNS1_14partition_implILS5_5ELb0ES3_mN6hipcub16HIPCUB_304000_NS21CountingInputIteratorIllEEPS6_NSA_22TransformInputIteratorIbN2at6native12_GLOBAL__N_19NonZeroOpIbEEPKblEENS0_5tupleIJPlS6_EEENSN_IJSD_SD_EEES6_PiJS6_EEE10hipError_tPvRmT3_T4_T5_T6_T7_T9_mT8_P12ihipStream_tbDpT10_ENKUlT_T0_E_clISt17integral_constantIbLb0EES1B_EEDaS16_S17_EUlS16_E_NS1_11comp_targetILNS1_3genE2ELNS1_11target_archE906ELNS1_3gpuE6ELNS1_3repE0EEENS1_30default_config_static_selectorELNS0_4arch9wavefront6targetE0EEEvT1_.has_indirect_call, 0
	.section	.AMDGPU.csdata,"",@progbits
; Kernel info:
; codeLenInByte = 0
; TotalNumSgprs: 0
; NumVgprs: 0
; ScratchSize: 0
; MemoryBound: 0
; FloatMode: 240
; IeeeMode: 1
; LDSByteSize: 0 bytes/workgroup (compile time only)
; SGPRBlocks: 0
; VGPRBlocks: 0
; NumSGPRsForWavesPerEU: 1
; NumVGPRsForWavesPerEU: 1
; Occupancy: 16
; WaveLimiterHint : 0
; COMPUTE_PGM_RSRC2:SCRATCH_EN: 0
; COMPUTE_PGM_RSRC2:USER_SGPR: 2
; COMPUTE_PGM_RSRC2:TRAP_HANDLER: 0
; COMPUTE_PGM_RSRC2:TGID_X_EN: 1
; COMPUTE_PGM_RSRC2:TGID_Y_EN: 0
; COMPUTE_PGM_RSRC2:TGID_Z_EN: 0
; COMPUTE_PGM_RSRC2:TIDIG_COMP_CNT: 0
	.section	.text._ZN7rocprim17ROCPRIM_400000_NS6detail17trampoline_kernelINS0_14default_configENS1_25partition_config_selectorILNS1_17partition_subalgoE5ElNS0_10empty_typeEbEEZZNS1_14partition_implILS5_5ELb0ES3_mN6hipcub16HIPCUB_304000_NS21CountingInputIteratorIllEEPS6_NSA_22TransformInputIteratorIbN2at6native12_GLOBAL__N_19NonZeroOpIbEEPKblEENS0_5tupleIJPlS6_EEENSN_IJSD_SD_EEES6_PiJS6_EEE10hipError_tPvRmT3_T4_T5_T6_T7_T9_mT8_P12ihipStream_tbDpT10_ENKUlT_T0_E_clISt17integral_constantIbLb0EES1B_EEDaS16_S17_EUlS16_E_NS1_11comp_targetILNS1_3genE10ELNS1_11target_archE1200ELNS1_3gpuE4ELNS1_3repE0EEENS1_30default_config_static_selectorELNS0_4arch9wavefront6targetE0EEEvT1_,"axG",@progbits,_ZN7rocprim17ROCPRIM_400000_NS6detail17trampoline_kernelINS0_14default_configENS1_25partition_config_selectorILNS1_17partition_subalgoE5ElNS0_10empty_typeEbEEZZNS1_14partition_implILS5_5ELb0ES3_mN6hipcub16HIPCUB_304000_NS21CountingInputIteratorIllEEPS6_NSA_22TransformInputIteratorIbN2at6native12_GLOBAL__N_19NonZeroOpIbEEPKblEENS0_5tupleIJPlS6_EEENSN_IJSD_SD_EEES6_PiJS6_EEE10hipError_tPvRmT3_T4_T5_T6_T7_T9_mT8_P12ihipStream_tbDpT10_ENKUlT_T0_E_clISt17integral_constantIbLb0EES1B_EEDaS16_S17_EUlS16_E_NS1_11comp_targetILNS1_3genE10ELNS1_11target_archE1200ELNS1_3gpuE4ELNS1_3repE0EEENS1_30default_config_static_selectorELNS0_4arch9wavefront6targetE0EEEvT1_,comdat
	.globl	_ZN7rocprim17ROCPRIM_400000_NS6detail17trampoline_kernelINS0_14default_configENS1_25partition_config_selectorILNS1_17partition_subalgoE5ElNS0_10empty_typeEbEEZZNS1_14partition_implILS5_5ELb0ES3_mN6hipcub16HIPCUB_304000_NS21CountingInputIteratorIllEEPS6_NSA_22TransformInputIteratorIbN2at6native12_GLOBAL__N_19NonZeroOpIbEEPKblEENS0_5tupleIJPlS6_EEENSN_IJSD_SD_EEES6_PiJS6_EEE10hipError_tPvRmT3_T4_T5_T6_T7_T9_mT8_P12ihipStream_tbDpT10_ENKUlT_T0_E_clISt17integral_constantIbLb0EES1B_EEDaS16_S17_EUlS16_E_NS1_11comp_targetILNS1_3genE10ELNS1_11target_archE1200ELNS1_3gpuE4ELNS1_3repE0EEENS1_30default_config_static_selectorELNS0_4arch9wavefront6targetE0EEEvT1_ ; -- Begin function _ZN7rocprim17ROCPRIM_400000_NS6detail17trampoline_kernelINS0_14default_configENS1_25partition_config_selectorILNS1_17partition_subalgoE5ElNS0_10empty_typeEbEEZZNS1_14partition_implILS5_5ELb0ES3_mN6hipcub16HIPCUB_304000_NS21CountingInputIteratorIllEEPS6_NSA_22TransformInputIteratorIbN2at6native12_GLOBAL__N_19NonZeroOpIbEEPKblEENS0_5tupleIJPlS6_EEENSN_IJSD_SD_EEES6_PiJS6_EEE10hipError_tPvRmT3_T4_T5_T6_T7_T9_mT8_P12ihipStream_tbDpT10_ENKUlT_T0_E_clISt17integral_constantIbLb0EES1B_EEDaS16_S17_EUlS16_E_NS1_11comp_targetILNS1_3genE10ELNS1_11target_archE1200ELNS1_3gpuE4ELNS1_3repE0EEENS1_30default_config_static_selectorELNS0_4arch9wavefront6targetE0EEEvT1_
	.p2align	8
	.type	_ZN7rocprim17ROCPRIM_400000_NS6detail17trampoline_kernelINS0_14default_configENS1_25partition_config_selectorILNS1_17partition_subalgoE5ElNS0_10empty_typeEbEEZZNS1_14partition_implILS5_5ELb0ES3_mN6hipcub16HIPCUB_304000_NS21CountingInputIteratorIllEEPS6_NSA_22TransformInputIteratorIbN2at6native12_GLOBAL__N_19NonZeroOpIbEEPKblEENS0_5tupleIJPlS6_EEENSN_IJSD_SD_EEES6_PiJS6_EEE10hipError_tPvRmT3_T4_T5_T6_T7_T9_mT8_P12ihipStream_tbDpT10_ENKUlT_T0_E_clISt17integral_constantIbLb0EES1B_EEDaS16_S17_EUlS16_E_NS1_11comp_targetILNS1_3genE10ELNS1_11target_archE1200ELNS1_3gpuE4ELNS1_3repE0EEENS1_30default_config_static_selectorELNS0_4arch9wavefront6targetE0EEEvT1_,@function
_ZN7rocprim17ROCPRIM_400000_NS6detail17trampoline_kernelINS0_14default_configENS1_25partition_config_selectorILNS1_17partition_subalgoE5ElNS0_10empty_typeEbEEZZNS1_14partition_implILS5_5ELb0ES3_mN6hipcub16HIPCUB_304000_NS21CountingInputIteratorIllEEPS6_NSA_22TransformInputIteratorIbN2at6native12_GLOBAL__N_19NonZeroOpIbEEPKblEENS0_5tupleIJPlS6_EEENSN_IJSD_SD_EEES6_PiJS6_EEE10hipError_tPvRmT3_T4_T5_T6_T7_T9_mT8_P12ihipStream_tbDpT10_ENKUlT_T0_E_clISt17integral_constantIbLb0EES1B_EEDaS16_S17_EUlS16_E_NS1_11comp_targetILNS1_3genE10ELNS1_11target_archE1200ELNS1_3gpuE4ELNS1_3repE0EEENS1_30default_config_static_selectorELNS0_4arch9wavefront6targetE0EEEvT1_: ; @_ZN7rocprim17ROCPRIM_400000_NS6detail17trampoline_kernelINS0_14default_configENS1_25partition_config_selectorILNS1_17partition_subalgoE5ElNS0_10empty_typeEbEEZZNS1_14partition_implILS5_5ELb0ES3_mN6hipcub16HIPCUB_304000_NS21CountingInputIteratorIllEEPS6_NSA_22TransformInputIteratorIbN2at6native12_GLOBAL__N_19NonZeroOpIbEEPKblEENS0_5tupleIJPlS6_EEENSN_IJSD_SD_EEES6_PiJS6_EEE10hipError_tPvRmT3_T4_T5_T6_T7_T9_mT8_P12ihipStream_tbDpT10_ENKUlT_T0_E_clISt17integral_constantIbLb0EES1B_EEDaS16_S17_EUlS16_E_NS1_11comp_targetILNS1_3genE10ELNS1_11target_archE1200ELNS1_3gpuE4ELNS1_3repE0EEENS1_30default_config_static_selectorELNS0_4arch9wavefront6targetE0EEEvT1_
; %bb.0:
	s_clause 0x3
	s_load_b128 s[8:11], s[0:1], 0x48
	s_load_b32 s16, s[0:1], 0x70
	s_load_b128 s[4:7], s[0:1], 0x8
	s_load_b64 s[2:3], s[0:1], 0x58
	s_mov_b32 s13, 0
	s_lshl_b32 s12, ttmp9, 10
	s_mov_b32 s15, s13
	v_lshrrev_b32_e32 v12, 2, v0
	v_or_b32_e32 v9, 0x200, v0
	v_or_b32_e32 v10, 0x300, v0
	v_and_b32_e32 v11, 0xf8, v0
	s_mov_b32 s19, -1
	s_wait_kmcnt 0x0
	s_load_b64 s[10:11], s[10:11], 0x0
	s_lshl_b32 s14, s16, 10
	s_add_co_i32 s16, s16, -1
	s_add_nc_u64 s[14:15], s[6:7], s[14:15]
	s_lshl_b32 s17, s16, 10
	v_cmp_le_u64_e64 s14, s[2:3], s[14:15]
	s_add_co_i32 s3, s6, s17
	s_cmp_eq_u32 ttmp9, s16
	s_add_nc_u64 s[4:5], s[6:7], s[4:5]
	s_cselect_b32 s16, -1, 0
	s_delay_alu instid0(SALU_CYCLE_1) | instskip(SKIP_2) | instid1(SALU_CYCLE_1)
	s_and_b32 s14, s16, s14
	s_wait_alu 0xfffe
	s_xor_b32 s17, s14, -1
	s_and_b32 vcc_lo, exec_lo, s17
	s_cbranch_vccz .LBB735_2
; %bb.1:
	v_or_b32_e32 v7, 0x100, v0
	v_or_b32_e32 v1, s12, v0
	v_lshrrev_b32_e32 v8, 2, v9
	v_lshrrev_b32_e32 v13, 2, v10
	v_and_b32_e32 v14, 56, v12
	v_lshrrev_b32_e32 v7, 2, v7
	v_add_co_u32 v1, s14, s4, v1
	s_wait_alu 0xf1ff
	v_add_co_ci_u32_e64 v2, null, s5, 0, s14
	v_lshlrev_b32_e32 v15, 3, v0
	v_and_b32_e32 v16, 0x78, v7
	v_add_co_u32 v3, vcc_lo, 0x100, v1
	v_and_b32_e32 v17, 0xb8, v8
	v_and_b32_e32 v13, 0xf8, v13
	v_add_co_ci_u32_e64 v4, null, 0, v2, vcc_lo
	v_add_co_u32 v5, vcc_lo, 0x200, v1
	v_add_nc_u32_e32 v14, v14, v15
	s_wait_alu 0xfffd
	v_add_co_ci_u32_e64 v6, null, 0, v2, vcc_lo
	v_add_co_u32 v7, vcc_lo, 0x300, v1
	v_add_nc_u32_e32 v16, v16, v15
	v_add_nc_u32_e32 v17, v17, v15
	s_wait_alu 0xfffd
	v_add_co_ci_u32_e64 v8, null, 0, v2, vcc_lo
	v_add_nc_u32_e32 v13, v13, v15
	ds_store_b64 v14, v[1:2]
	ds_store_b64 v16, v[3:4] offset:2048
	ds_store_b64 v17, v[5:6] offset:4096
	;; [unrolled: 1-line block ×3, first 2 shown]
	v_lshl_add_u32 v1, v0, 5, v11
	s_wait_dscnt 0x0
	s_barrier_signal -1
	s_barrier_wait -1
	global_inv scope:SCOPE_SE
	ds_load_2addr_b64 v[5:8], v1 offset1:1
	ds_load_2addr_b64 v[1:4], v1 offset0:2 offset1:3
	s_mov_b32 s19, s13
	s_branch .LBB735_3
.LBB735_2:
                                        ; implicit-def: $vgpr3_vgpr4
                                        ; implicit-def: $vgpr7_vgpr8
.LBB735_3:
	s_load_b64 s[14:15], s[0:1], 0x20
	s_sub_co_i32 s18, s2, s3
	s_and_not1_b32 vcc_lo, exec_lo, s19
	v_cmp_gt_u32_e64 s2, s18, v0
	s_wait_alu 0xfffe
	s_cbranch_vccnz .LBB735_5
; %bb.4:
	s_wait_dscnt 0x1
	v_or_b32_e32 v7, 0x100, v0
	s_add_nc_u64 s[4:5], s[4:5], s[12:13]
	v_lshrrev_b32_e32 v14, 2, v9
	s_wait_dscnt 0x0
	s_wait_alu 0xfffe
	v_add_co_u32 v1, s3, s4, v0
	s_wait_alu 0xf1ff
	v_add_co_ci_u32_e64 v2, null, s5, 0, s3
	v_add_co_u32 v3, s3, s4, v7
	s_wait_alu 0xf1ff
	v_add_co_ci_u32_e64 v4, null, s5, 0, s3
	v_cmp_gt_u32_e32 vcc_lo, s18, v7
	v_add_co_u32 v13, s3, s4, v10
	s_wait_alu 0xf1ff
	v_add_co_ci_u32_e64 v8, null, s5, 0, s3
	s_wait_alu 0xfffd
	v_dual_cndmask_b32 v4, 0, v4 :: v_dual_cndmask_b32 v3, 0, v3
	v_cmp_gt_u32_e32 vcc_lo, s18, v10
	v_lshrrev_b32_e32 v7, 2, v7
	v_lshrrev_b32_e32 v15, 2, v10
	v_cndmask_b32_e64 v2, 0, v2, s2
	v_cndmask_b32_e64 v1, 0, v1, s2
	v_add_co_u32 v5, s2, s4, v9
	v_and_b32_e32 v12, 56, v12
	v_lshlrev_b32_e32 v16, 3, v0
	s_wait_alu 0xfffd
	v_dual_cndmask_b32 v8, 0, v8 :: v_dual_and_b32 v17, 0x78, v7
	s_wait_alu 0xf1ff
	v_add_co_ci_u32_e64 v6, null, s5, 0, s2
	v_cmp_gt_u32_e64 s2, s18, v9
	v_and_b32_e32 v14, 0xb8, v14
	v_and_b32_e32 v15, 0xf8, v15
	v_dual_cndmask_b32 v7, 0, v13 :: v_dual_add_nc_u32 v12, v12, v16
	v_add_nc_u32_e32 v13, v17, v16
	s_wait_alu 0xf1ff
	v_cndmask_b32_e64 v6, 0, v6, s2
	v_cndmask_b32_e64 v5, 0, v5, s2
	v_add_nc_u32_e32 v14, v14, v16
	v_add_nc_u32_e32 v15, v15, v16
	ds_store_b64 v12, v[1:2]
	ds_store_b64 v13, v[3:4] offset:2048
	ds_store_b64 v14, v[5:6] offset:4096
	;; [unrolled: 1-line block ×3, first 2 shown]
	v_lshl_add_u32 v1, v0, 5, v11
	s_wait_loadcnt_dscnt 0x0
	s_barrier_signal -1
	s_barrier_wait -1
	global_inv scope:SCOPE_SE
	ds_load_2addr_b64 v[5:8], v1 offset1:1
	ds_load_2addr_b64 v[1:4], v1 offset0:2 offset1:3
.LBB735_5:
	v_lshrrev_b32_e32 v26, 5, v0
	s_wait_kmcnt 0x0
	s_add_nc_u64 s[2:3], s[14:15], s[6:7]
	s_and_b32 vcc_lo, exec_lo, s17
	s_wait_alu 0xfffe
	s_add_nc_u64 s[2:3], s[2:3], s[12:13]
	s_mov_b32 s4, -1
	s_wait_loadcnt_dscnt 0x0
	s_barrier_signal -1
	s_barrier_wait -1
	global_inv scope:SCOPE_SE
	s_cbranch_vccz .LBB735_7
; %bb.6:
	s_clause 0x3
	global_load_u8 v11, v0, s[2:3]
	global_load_u8 v12, v0, s[2:3] offset:256
	global_load_u8 v13, v0, s[2:3] offset:512
	;; [unrolled: 1-line block ×3, first 2 shown]
	v_or_b32_e32 v15, 0x100, v0
	v_lshrrev_b32_e32 v16, 5, v9
	v_lshrrev_b32_e32 v17, 5, v10
	v_and_b32_e32 v18, 4, v26
	s_mov_b32 s4, 0
	v_lshrrev_b32_e32 v15, 5, v15
	v_and_b32_e32 v16, 20, v16
	v_and_b32_e32 v17, 28, v17
	v_add_nc_u32_e32 v18, v18, v0
	s_delay_alu instid0(VALU_DEP_4) | instskip(NEXT) | instid1(VALU_DEP_4)
	v_and_b32_e32 v15, 12, v15
	v_add_nc_u32_e32 v16, v16, v0
	s_delay_alu instid0(VALU_DEP_4) | instskip(NEXT) | instid1(VALU_DEP_3)
	v_add_nc_u32_e32 v17, v17, v0
	v_add_nc_u32_e32 v15, v15, v0
	s_wait_loadcnt 0x3
	ds_store_b8 v18, v11
	s_wait_loadcnt 0x2
	ds_store_b8 v15, v12 offset:256
	s_wait_loadcnt 0x1
	ds_store_b8 v16, v13 offset:512
	;; [unrolled: 2-line block ×3, first 2 shown]
	s_wait_dscnt 0x0
	s_barrier_signal -1
	s_barrier_wait -1
.LBB735_7:
	s_wait_alu 0xfffe
	s_and_not1_b32 vcc_lo, exec_lo, s4
	s_wait_alu 0xfffe
	s_cbranch_vccnz .LBB735_15
; %bb.8:
	v_dual_mov_b32 v11, 0 :: v_dual_mov_b32 v12, 0
	s_mov_b32 s4, exec_lo
	v_cmpx_gt_u32_e64 s18, v0
	s_cbranch_execz .LBB735_10
; %bb.9:
	global_load_u8 v11, v0, s[2:3]
	s_wait_loadcnt 0x0
	v_and_b32_e32 v12, 0xffff, v11
.LBB735_10:
	s_wait_alu 0xfffe
	s_or_b32 exec_lo, exec_lo, s4
	v_or_b32_e32 v13, 0x100, v0
	s_mov_b32 s4, exec_lo
	s_delay_alu instid0(VALU_DEP_1)
	v_cmpx_gt_u32_e64 s18, v13
	s_cbranch_execnz .LBB735_129
; %bb.11:
	s_wait_alu 0xfffe
	s_or_b32 exec_lo, exec_lo, s4
	s_delay_alu instid0(SALU_CYCLE_1)
	s_mov_b32 s4, exec_lo
	v_cmpx_gt_u32_e64 s18, v9
	s_cbranch_execnz .LBB735_130
.LBB735_12:
	s_wait_alu 0xfffe
	s_or_b32 exec_lo, exec_lo, s4
	s_delay_alu instid0(SALU_CYCLE_1)
	s_mov_b32 s4, exec_lo
	v_cmpx_gt_u32_e64 s18, v10
	s_cbranch_execz .LBB735_14
.LBB735_13:
	global_load_u8 v14, v0, s[2:3] offset:768
	v_lshrrev_b32_e32 v15, 16, v12
	s_wait_loadcnt 0x0
	v_lshlrev_b16 v14, 8, v14
	s_delay_alu instid0(VALU_DEP_1) | instskip(NEXT) | instid1(VALU_DEP_1)
	v_or_b32_e32 v14, v15, v14
	v_lshlrev_b32_e32 v14, 16, v14
	s_delay_alu instid0(VALU_DEP_1)
	v_and_or_b32 v12, 0xffff, v12, v14
.LBB735_14:
	s_wait_alu 0xfffe
	s_or_b32 exec_lo, exec_lo, s4
	v_lshrrev_b32_e32 v13, 5, v13
	v_lshrrev_b32_e32 v9, 5, v9
	;; [unrolled: 1-line block ×3, first 2 shown]
	v_and_b32_e32 v14, 4, v26
	v_lshrrev_b32_e32 v15, 8, v12
	v_and_b32_e32 v13, 12, v13
	v_and_b32_e32 v9, 28, v9
	;; [unrolled: 1-line block ×3, first 2 shown]
	v_add_nc_u32_e32 v14, v14, v0
	v_lshrrev_b32_e32 v16, 24, v12
	v_add_nc_u32_e32 v13, v13, v0
	v_add_nc_u32_e32 v9, v9, v0
	;; [unrolled: 1-line block ×3, first 2 shown]
	ds_store_b8 v14, v11
	ds_store_b8 v13, v15 offset:256
	ds_store_b8_d16_hi v9, v12 offset:512
	ds_store_b8 v10, v16 offset:768
	s_wait_loadcnt_dscnt 0x0
	s_barrier_signal -1
	s_barrier_wait -1
.LBB735_15:
	v_lshrrev_b32_e32 v9, 3, v0
	s_wait_loadcnt 0x0
	global_inv scope:SCOPE_SE
	s_load_b64 s[6:7], s[0:1], 0x68
	v_mbcnt_lo_u32_b32 v31, -1, 0
	s_cmp_lg_u32 ttmp9, 0
	v_dual_mov_b32 v10, 0 :: v_dual_and_b32 v9, 28, v9
	s_mov_b32 s3, -1
	s_delay_alu instid0(VALU_DEP_2) | instskip(NEXT) | instid1(VALU_DEP_2)
	v_and_b32_e32 v32, 15, v31
	v_lshl_add_u32 v9, v0, 2, v9
	ds_load_b32 v27, v9
	s_wait_loadcnt_dscnt 0x0
	s_barrier_signal -1
	s_barrier_wait -1
	global_inv scope:SCOPE_SE
	v_and_b32_e32 v30, 0xff, v27
	v_bfe_u32 v29, v27, 8, 8
	v_bfe_u32 v28, v27, 16, 8
	v_lshrrev_b32_e32 v25, 24, v27
	s_delay_alu instid0(VALU_DEP_2) | instskip(NEXT) | instid1(VALU_DEP_1)
	v_add3_u32 v9, v29, v30, v28
	v_add_co_u32 v17, s2, v9, v25
	s_wait_alu 0xf1ff
	v_add_co_ci_u32_e64 v18, null, 0, 0, s2
	v_cmp_ne_u32_e64 s2, 0, v32
	s_cbranch_scc0 .LBB735_72
; %bb.16:
	v_mov_b32_e32 v11, v17
	v_mov_b32_dpp v9, v17 row_shr:1 row_mask:0xf bank_mask:0xf
	v_mov_b32_dpp v14, v10 row_shr:1 row_mask:0xf bank_mask:0xf
	v_dual_mov_b32 v13, v17 :: v_dual_mov_b32 v12, v18
	s_and_saveexec_b32 s3, s2
; %bb.17:
	s_delay_alu instid0(VALU_DEP_3) | instskip(SKIP_2) | instid1(VALU_DEP_2)
	v_add_co_u32 v13, vcc_lo, v17, v9
	s_wait_alu 0xfffd
	v_add_co_ci_u32_e64 v10, null, 0, v18, vcc_lo
	v_add_co_u32 v9, vcc_lo, 0, v13
	s_wait_alu 0xfffd
	s_delay_alu instid0(VALU_DEP_2) | instskip(NEXT) | instid1(VALU_DEP_1)
	v_add_co_ci_u32_e64 v10, null, v14, v10, vcc_lo
	v_dual_mov_b32 v12, v10 :: v_dual_mov_b32 v11, v9
; %bb.18:
	s_wait_alu 0xfffe
	s_or_b32 exec_lo, exec_lo, s3
	v_mov_b32_dpp v9, v13 row_shr:2 row_mask:0xf bank_mask:0xf
	v_mov_b32_dpp v14, v10 row_shr:2 row_mask:0xf bank_mask:0xf
	s_mov_b32 s3, exec_lo
	v_cmpx_lt_u32_e32 1, v32
; %bb.19:
	s_delay_alu instid0(VALU_DEP_3) | instskip(SKIP_2) | instid1(VALU_DEP_2)
	v_add_co_u32 v13, vcc_lo, v11, v9
	s_wait_alu 0xfffd
	v_add_co_ci_u32_e64 v10, null, 0, v12, vcc_lo
	v_add_co_u32 v9, vcc_lo, 0, v13
	s_wait_alu 0xfffd
	s_delay_alu instid0(VALU_DEP_2) | instskip(NEXT) | instid1(VALU_DEP_1)
	v_add_co_ci_u32_e64 v10, null, v14, v10, vcc_lo
	v_dual_mov_b32 v12, v10 :: v_dual_mov_b32 v11, v9
; %bb.20:
	s_wait_alu 0xfffe
	s_or_b32 exec_lo, exec_lo, s3
	v_mov_b32_dpp v9, v13 row_shr:4 row_mask:0xf bank_mask:0xf
	v_mov_b32_dpp v14, v10 row_shr:4 row_mask:0xf bank_mask:0xf
	s_mov_b32 s3, exec_lo
	v_cmpx_lt_u32_e32 3, v32
; %bb.21:
	s_delay_alu instid0(VALU_DEP_3) | instskip(SKIP_2) | instid1(VALU_DEP_2)
	v_add_co_u32 v13, vcc_lo, v11, v9
	s_wait_alu 0xfffd
	v_add_co_ci_u32_e64 v10, null, 0, v12, vcc_lo
	v_add_co_u32 v9, vcc_lo, 0, v13
	s_wait_alu 0xfffd
	s_delay_alu instid0(VALU_DEP_2) | instskip(NEXT) | instid1(VALU_DEP_1)
	v_add_co_ci_u32_e64 v10, null, v14, v10, vcc_lo
	v_dual_mov_b32 v12, v10 :: v_dual_mov_b32 v11, v9
; %bb.22:
	s_wait_alu 0xfffe
	s_or_b32 exec_lo, exec_lo, s3
	v_mov_b32_dpp v14, v13 row_shr:8 row_mask:0xf bank_mask:0xf
	v_mov_b32_dpp v9, v10 row_shr:8 row_mask:0xf bank_mask:0xf
	s_mov_b32 s3, exec_lo
	v_cmpx_lt_u32_e32 7, v32
; %bb.23:
	s_delay_alu instid0(VALU_DEP_3) | instskip(SKIP_2) | instid1(VALU_DEP_2)
	v_add_co_u32 v13, vcc_lo, v11, v14
	s_wait_alu 0xfffd
	v_add_co_ci_u32_e64 v10, null, 0, v12, vcc_lo
	v_add_co_u32 v11, vcc_lo, 0, v13
	s_wait_alu 0xfffd
	s_delay_alu instid0(VALU_DEP_2) | instskip(NEXT) | instid1(VALU_DEP_1)
	v_add_co_ci_u32_e64 v12, null, v9, v10, vcc_lo
	v_mov_b32_e32 v10, v12
; %bb.24:
	s_wait_alu 0xfffe
	s_or_b32 exec_lo, exec_lo, s3
	ds_swizzle_b32 v9, v13 offset:swizzle(BROADCAST,32,15)
	ds_swizzle_b32 v14, v10 offset:swizzle(BROADCAST,32,15)
	v_and_b32_e32 v15, 16, v31
	s_mov_b32 s3, exec_lo
	s_delay_alu instid0(VALU_DEP_1)
	v_cmpx_ne_u32_e32 0, v15
	s_cbranch_execz .LBB735_26
; %bb.25:
	s_wait_dscnt 0x1
	v_add_co_u32 v13, vcc_lo, v11, v9
	s_wait_alu 0xfffd
	v_add_co_ci_u32_e64 v10, null, 0, v12, vcc_lo
	s_delay_alu instid0(VALU_DEP_2) | instskip(SKIP_2) | instid1(VALU_DEP_2)
	v_add_co_u32 v9, vcc_lo, 0, v13
	s_wait_dscnt 0x0
	s_wait_alu 0xfffd
	v_add_co_ci_u32_e64 v10, null, v14, v10, vcc_lo
	s_delay_alu instid0(VALU_DEP_1)
	v_dual_mov_b32 v12, v10 :: v_dual_mov_b32 v11, v9
.LBB735_26:
	s_wait_alu 0xfffe
	s_or_b32 exec_lo, exec_lo, s3
	s_wait_dscnt 0x1
	v_or_b32_e32 v9, 31, v0
	s_mov_b32 s3, exec_lo
	s_delay_alu instid0(VALU_DEP_1)
	v_cmpx_eq_u32_e64 v0, v9
; %bb.27:
	v_lshlrev_b32_e32 v9, 3, v26
	ds_store_b64 v9, v[11:12]
; %bb.28:
	s_wait_alu 0xfffe
	s_or_b32 exec_lo, exec_lo, s3
	s_delay_alu instid0(SALU_CYCLE_1)
	s_mov_b32 s3, exec_lo
	s_wait_loadcnt_dscnt 0x0
	s_barrier_signal -1
	s_barrier_wait -1
	global_inv scope:SCOPE_SE
	v_cmpx_gt_u32_e32 8, v0
	s_cbranch_execz .LBB735_36
; %bb.29:
	v_lshlrev_b32_e32 v9, 3, v0
	s_mov_b32 s4, exec_lo
	ds_load_b64 v[11:12], v9
	s_wait_dscnt 0x0
	v_dual_mov_b32 v15, v11 :: v_dual_and_b32 v14, 7, v31
	v_mov_b32_dpp v19, v11 row_shr:1 row_mask:0xf bank_mask:0xf
	v_mov_b32_dpp v16, v12 row_shr:1 row_mask:0xf bank_mask:0xf
	s_delay_alu instid0(VALU_DEP_3)
	v_cmpx_ne_u32_e32 0, v14
; %bb.30:
	s_delay_alu instid0(VALU_DEP_3) | instskip(SKIP_2) | instid1(VALU_DEP_2)
	v_add_co_u32 v15, vcc_lo, v11, v19
	s_wait_alu 0xfffd
	v_add_co_ci_u32_e64 v12, null, 0, v12, vcc_lo
	v_add_co_u32 v11, vcc_lo, 0, v15
	s_wait_alu 0xfffd
	s_delay_alu instid0(VALU_DEP_2)
	v_add_co_ci_u32_e64 v12, null, v16, v12, vcc_lo
; %bb.31:
	s_wait_alu 0xfffe
	s_or_b32 exec_lo, exec_lo, s4
	v_mov_b32_dpp v19, v15 row_shr:2 row_mask:0xf bank_mask:0xf
	s_delay_alu instid0(VALU_DEP_2)
	v_mov_b32_dpp v16, v12 row_shr:2 row_mask:0xf bank_mask:0xf
	s_mov_b32 s4, exec_lo
	v_cmpx_lt_u32_e32 1, v14
; %bb.32:
	s_delay_alu instid0(VALU_DEP_3) | instskip(SKIP_2) | instid1(VALU_DEP_2)
	v_add_co_u32 v15, vcc_lo, v11, v19
	s_wait_alu 0xfffd
	v_add_co_ci_u32_e64 v12, null, 0, v12, vcc_lo
	v_add_co_u32 v11, vcc_lo, 0, v15
	s_wait_alu 0xfffd
	s_delay_alu instid0(VALU_DEP_2)
	v_add_co_ci_u32_e64 v12, null, v16, v12, vcc_lo
; %bb.33:
	s_wait_alu 0xfffe
	s_or_b32 exec_lo, exec_lo, s4
	v_mov_b32_dpp v16, v15 row_shr:4 row_mask:0xf bank_mask:0xf
	s_delay_alu instid0(VALU_DEP_2)
	v_mov_b32_dpp v15, v12 row_shr:4 row_mask:0xf bank_mask:0xf
	s_mov_b32 s4, exec_lo
	v_cmpx_lt_u32_e32 3, v14
; %bb.34:
	s_delay_alu instid0(VALU_DEP_3) | instskip(SKIP_2) | instid1(VALU_DEP_2)
	v_add_co_u32 v11, vcc_lo, v11, v16
	s_wait_alu 0xfffd
	v_add_co_ci_u32_e64 v12, null, 0, v12, vcc_lo
	v_add_co_u32 v11, vcc_lo, v11, 0
	s_wait_alu 0xfffd
	s_delay_alu instid0(VALU_DEP_2)
	v_add_co_ci_u32_e64 v12, null, v12, v15, vcc_lo
; %bb.35:
	s_wait_alu 0xfffe
	s_or_b32 exec_lo, exec_lo, s4
	ds_store_b64 v9, v[11:12]
.LBB735_36:
	s_wait_alu 0xfffe
	s_or_b32 exec_lo, exec_lo, s3
	s_delay_alu instid0(SALU_CYCLE_1)
	s_mov_b32 s4, exec_lo
	v_cmp_gt_u32_e32 vcc_lo, 32, v0
	s_wait_loadcnt_dscnt 0x0
	s_barrier_signal -1
	s_barrier_wait -1
	global_inv scope:SCOPE_SE
                                        ; implicit-def: $vgpr19_vgpr20
	v_cmpx_lt_u32_e32 31, v0
	s_cbranch_execz .LBB735_38
; %bb.37:
	v_lshl_add_u32 v9, v26, 3, -8
	ds_load_b64 v[19:20], v9
	s_wait_dscnt 0x0
	v_add_co_u32 v13, s3, v13, v19
	s_wait_alu 0xf1ff
	v_add_co_ci_u32_e64 v10, null, v10, v20, s3
.LBB735_38:
	s_wait_alu 0xfffe
	s_or_b32 exec_lo, exec_lo, s4
	v_sub_co_u32 v9, s3, v31, 1
	s_delay_alu instid0(VALU_DEP_1) | instskip(SKIP_1) | instid1(VALU_DEP_1)
	v_cmp_gt_i32_e64 s4, 0, v9
	s_wait_alu 0xf1ff
	v_cndmask_b32_e64 v9, v9, v31, s4
	s_delay_alu instid0(VALU_DEP_1)
	v_lshlrev_b32_e32 v9, 2, v9
	ds_bpermute_b32 v33, v9, v13
	ds_bpermute_b32 v34, v9, v10
	s_and_saveexec_b32 s4, vcc_lo
	s_cbranch_execz .LBB735_77
; %bb.39:
	v_mov_b32_e32 v12, 0
	ds_load_b64 v[9:10], v12 offset:56
	s_and_saveexec_b32 s5, s3
	s_cbranch_execz .LBB735_41
; %bb.40:
	s_add_co_i32 s12, ttmp9, 32
	s_wait_alu 0xfffe
	s_lshl_b64 s[12:13], s[12:13], 4
	s_wait_kmcnt 0x0
	s_wait_alu 0xfffe
	s_add_nc_u64 s[12:13], s[6:7], s[12:13]
	s_wait_alu 0xfffe
	v_dual_mov_b32 v11, 1 :: v_dual_mov_b32 v14, s13
	v_mov_b32_e32 v13, s12
	s_wait_dscnt 0x0
	;;#ASMSTART
	global_store_b128 v[13:14], v[9:12] off scope:SCOPE_DEV	
s_wait_storecnt 0x0
	;;#ASMEND
.LBB735_41:
	s_wait_alu 0xfffe
	s_or_b32 exec_lo, exec_lo, s5
	v_xad_u32 v21, v31, -1, ttmp9
	s_mov_b32 s12, 0
	s_mov_b32 s5, exec_lo
	s_delay_alu instid0(VALU_DEP_1) | instskip(NEXT) | instid1(VALU_DEP_1)
	v_add_nc_u32_e32 v11, 32, v21
	v_lshlrev_b64_e32 v[11:12], 4, v[11:12]
	s_wait_kmcnt 0x0
	s_delay_alu instid0(VALU_DEP_1) | instskip(SKIP_1) | instid1(VALU_DEP_2)
	v_add_co_u32 v11, vcc_lo, s6, v11
	s_wait_alu 0xfffd
	v_add_co_ci_u32_e64 v12, null, s7, v12, vcc_lo
	;;#ASMSTART
	global_load_b128 v[13:16], v[11:12] off scope:SCOPE_DEV	
s_wait_loadcnt 0x0
	;;#ASMEND
	v_and_b32_e32 v16, 0xff, v15
	s_delay_alu instid0(VALU_DEP_1)
	v_cmpx_eq_u16_e32 0, v16
	s_cbranch_execz .LBB735_44
.LBB735_42:                             ; =>This Inner Loop Header: Depth=1
	;;#ASMSTART
	global_load_b128 v[13:16], v[11:12] off scope:SCOPE_DEV	
s_wait_loadcnt 0x0
	;;#ASMEND
	v_and_b32_e32 v16, 0xff, v15
	s_delay_alu instid0(VALU_DEP_1)
	v_cmp_ne_u16_e32 vcc_lo, 0, v16
	s_wait_alu 0xfffe
	s_or_b32 s12, vcc_lo, s12
	s_wait_alu 0xfffe
	s_and_not1_b32 exec_lo, exec_lo, s12
	s_cbranch_execnz .LBB735_42
; %bb.43:
	s_or_b32 exec_lo, exec_lo, s12
.LBB735_44:
	s_wait_alu 0xfffe
	s_or_b32 exec_lo, exec_lo, s5
	v_cmp_ne_u32_e32 vcc_lo, 31, v31
	v_and_b32_e32 v12, 0xff, v15
	v_lshlrev_b32_e64 v36, v31, -1
	s_mov_b32 s5, exec_lo
	s_wait_alu 0xfffd
	v_add_co_ci_u32_e64 v11, null, 0, v31, vcc_lo
	v_cmp_eq_u16_e32 vcc_lo, 2, v12
	s_delay_alu instid0(VALU_DEP_2)
	v_dual_mov_b32 v12, v13 :: v_dual_lshlrev_b32 v35, 2, v11
	s_wait_alu 0xfffd
	v_and_or_b32 v11, vcc_lo, v36, 0x80000000
	ds_bpermute_b32 v22, v35, v13
	ds_bpermute_b32 v16, v35, v14
	v_ctz_i32_b32_e32 v11, v11
	s_delay_alu instid0(VALU_DEP_1)
	v_cmpx_lt_u32_e64 v31, v11
	s_cbranch_execz .LBB735_46
; %bb.45:
	s_wait_dscnt 0x1
	v_add_co_u32 v12, vcc_lo, v13, v22
	s_wait_alu 0xfffd
	v_add_co_ci_u32_e64 v14, null, 0, v14, vcc_lo
	s_delay_alu instid0(VALU_DEP_2) | instskip(SKIP_2) | instid1(VALU_DEP_2)
	v_add_co_u32 v13, vcc_lo, 0, v12
	s_wait_dscnt 0x0
	s_wait_alu 0xfffd
	v_add_co_ci_u32_e64 v14, null, v16, v14, vcc_lo
.LBB735_46:
	s_wait_alu 0xfffe
	s_or_b32 exec_lo, exec_lo, s5
	v_cmp_gt_u32_e32 vcc_lo, 30, v31
	v_add_nc_u32_e32 v38, 2, v31
	s_mov_b32 s5, exec_lo
	s_wait_dscnt 0x0
	s_wait_alu 0xfffd
	v_cndmask_b32_e64 v16, 0, 2, vcc_lo
	s_delay_alu instid0(VALU_DEP_1)
	v_add_lshl_u32 v37, v16, v31, 2
	ds_bpermute_b32 v22, v37, v12
	ds_bpermute_b32 v16, v37, v14
	v_cmpx_le_u32_e64 v38, v11
	s_cbranch_execz .LBB735_48
; %bb.47:
	s_wait_dscnt 0x1
	v_add_co_u32 v12, vcc_lo, v13, v22
	s_wait_alu 0xfffd
	v_add_co_ci_u32_e64 v14, null, 0, v14, vcc_lo
	s_delay_alu instid0(VALU_DEP_2) | instskip(SKIP_2) | instid1(VALU_DEP_2)
	v_add_co_u32 v13, vcc_lo, 0, v12
	s_wait_dscnt 0x0
	s_wait_alu 0xfffd
	v_add_co_ci_u32_e64 v14, null, v16, v14, vcc_lo
.LBB735_48:
	s_wait_alu 0xfffe
	s_or_b32 exec_lo, exec_lo, s5
	v_cmp_gt_u32_e32 vcc_lo, 28, v31
	v_add_nc_u32_e32 v40, 4, v31
	s_mov_b32 s5, exec_lo
	s_wait_dscnt 0x0
	s_wait_alu 0xfffd
	v_cndmask_b32_e64 v16, 0, 4, vcc_lo
	s_delay_alu instid0(VALU_DEP_1)
	v_add_lshl_u32 v39, v16, v31, 2
	ds_bpermute_b32 v22, v39, v12
	ds_bpermute_b32 v16, v39, v14
	v_cmpx_le_u32_e64 v40, v11
	;; [unrolled: 25-line block ×3, first 2 shown]
	s_cbranch_execz .LBB735_52
; %bb.51:
	s_wait_dscnt 0x1
	v_add_co_u32 v12, vcc_lo, v13, v22
	s_wait_alu 0xfffd
	v_add_co_ci_u32_e64 v14, null, 0, v14, vcc_lo
	s_delay_alu instid0(VALU_DEP_2) | instskip(SKIP_2) | instid1(VALU_DEP_2)
	v_add_co_u32 v13, vcc_lo, 0, v12
	s_wait_dscnt 0x0
	s_wait_alu 0xfffd
	v_add_co_ci_u32_e64 v14, null, v16, v14, vcc_lo
.LBB735_52:
	s_wait_alu 0xfffe
	s_or_b32 exec_lo, exec_lo, s5
	v_lshl_or_b32 v43, v31, 2, 64
	v_add_nc_u32_e32 v44, 16, v31
	s_mov_b32 s5, exec_lo
	s_wait_dscnt 0x0
	ds_bpermute_b32 v16, v43, v12
	ds_bpermute_b32 v12, v43, v14
	v_cmpx_le_u32_e64 v44, v11
	s_cbranch_execz .LBB735_54
; %bb.53:
	s_wait_dscnt 0x1
	v_add_co_u32 v11, vcc_lo, v13, v16
	s_wait_alu 0xfffd
	v_add_co_ci_u32_e64 v14, null, 0, v14, vcc_lo
	s_delay_alu instid0(VALU_DEP_2) | instskip(SKIP_2) | instid1(VALU_DEP_2)
	v_add_co_u32 v13, vcc_lo, v11, 0
	s_wait_dscnt 0x0
	s_wait_alu 0xfffd
	v_add_co_ci_u32_e64 v14, null, v14, v12, vcc_lo
.LBB735_54:
	s_wait_alu 0xfffe
	s_or_b32 exec_lo, exec_lo, s5
	v_mov_b32_e32 v22, 0
	s_branch .LBB735_57
.LBB735_55:                             ;   in Loop: Header=BB735_57 Depth=1
	s_wait_alu 0xfffe
	s_or_b32 exec_lo, exec_lo, s5
	v_add_co_u32 v13, vcc_lo, v13, v11
	v_subrev_nc_u32_e32 v21, 32, v21
	s_wait_alu 0xfffd
	v_add_co_ci_u32_e64 v14, null, v14, v12, vcc_lo
	s_mov_b32 s5, 0
.LBB735_56:                             ;   in Loop: Header=BB735_57 Depth=1
	s_wait_alu 0xfffe
	s_and_b32 vcc_lo, exec_lo, s5
	s_wait_alu 0xfffe
	s_cbranch_vccnz .LBB735_73
.LBB735_57:                             ; =>This Loop Header: Depth=1
                                        ;     Child Loop BB735_60 Depth 2
	v_and_b32_e32 v11, 0xff, v15
	s_mov_b32 s5, -1
	s_delay_alu instid0(VALU_DEP_1)
	v_cmp_ne_u16_e32 vcc_lo, 2, v11
	s_wait_dscnt 0x0
	v_dual_mov_b32 v11, v13 :: v_dual_mov_b32 v12, v14
                                        ; implicit-def: $vgpr13_vgpr14
	s_cmp_lg_u32 vcc_lo, exec_lo
	s_cbranch_scc1 .LBB735_56
; %bb.58:                               ;   in Loop: Header=BB735_57 Depth=1
	v_lshlrev_b64_e32 v[13:14], 4, v[21:22]
	s_mov_b32 s5, exec_lo
	s_delay_alu instid0(VALU_DEP_1) | instskip(SKIP_1) | instid1(VALU_DEP_2)
	v_add_co_u32 v23, vcc_lo, s6, v13
	s_wait_alu 0xfffd
	v_add_co_ci_u32_e64 v24, null, s7, v14, vcc_lo
	;;#ASMSTART
	global_load_b128 v[13:16], v[23:24] off scope:SCOPE_DEV	
s_wait_loadcnt 0x0
	;;#ASMEND
	v_and_b32_e32 v16, 0xff, v15
	s_delay_alu instid0(VALU_DEP_1)
	v_cmpx_eq_u16_e32 0, v16
	s_cbranch_execz .LBB735_62
; %bb.59:                               ;   in Loop: Header=BB735_57 Depth=1
	s_mov_b32 s12, 0
.LBB735_60:                             ;   Parent Loop BB735_57 Depth=1
                                        ; =>  This Inner Loop Header: Depth=2
	;;#ASMSTART
	global_load_b128 v[13:16], v[23:24] off scope:SCOPE_DEV	
s_wait_loadcnt 0x0
	;;#ASMEND
	v_and_b32_e32 v16, 0xff, v15
	s_delay_alu instid0(VALU_DEP_1)
	v_cmp_ne_u16_e32 vcc_lo, 0, v16
	s_wait_alu 0xfffe
	s_or_b32 s12, vcc_lo, s12
	s_wait_alu 0xfffe
	s_and_not1_b32 exec_lo, exec_lo, s12
	s_cbranch_execnz .LBB735_60
; %bb.61:                               ;   in Loop: Header=BB735_57 Depth=1
	s_or_b32 exec_lo, exec_lo, s12
.LBB735_62:                             ;   in Loop: Header=BB735_57 Depth=1
	s_wait_alu 0xfffe
	s_or_b32 exec_lo, exec_lo, s5
	v_dual_mov_b32 v23, v13 :: v_dual_and_b32 v16, 0xff, v15
	ds_bpermute_b32 v45, v35, v13
	ds_bpermute_b32 v24, v35, v14
	s_mov_b32 s5, exec_lo
	v_cmp_eq_u16_e32 vcc_lo, 2, v16
	s_wait_alu 0xfffd
	v_and_or_b32 v16, vcc_lo, v36, 0x80000000
	s_delay_alu instid0(VALU_DEP_1) | instskip(NEXT) | instid1(VALU_DEP_1)
	v_ctz_i32_b32_e32 v16, v16
	v_cmpx_lt_u32_e64 v31, v16
	s_cbranch_execz .LBB735_64
; %bb.63:                               ;   in Loop: Header=BB735_57 Depth=1
	s_wait_dscnt 0x1
	v_add_co_u32 v23, vcc_lo, v13, v45
	s_wait_alu 0xfffd
	v_add_co_ci_u32_e64 v14, null, 0, v14, vcc_lo
	s_delay_alu instid0(VALU_DEP_2) | instskip(SKIP_2) | instid1(VALU_DEP_2)
	v_add_co_u32 v13, vcc_lo, 0, v23
	s_wait_dscnt 0x0
	s_wait_alu 0xfffd
	v_add_co_ci_u32_e64 v14, null, v24, v14, vcc_lo
.LBB735_64:                             ;   in Loop: Header=BB735_57 Depth=1
	s_wait_alu 0xfffe
	s_or_b32 exec_lo, exec_lo, s5
	s_wait_dscnt 0x1
	ds_bpermute_b32 v45, v37, v23
	s_wait_dscnt 0x1
	ds_bpermute_b32 v24, v37, v14
	s_mov_b32 s5, exec_lo
	v_cmpx_le_u32_e64 v38, v16
	s_cbranch_execz .LBB735_66
; %bb.65:                               ;   in Loop: Header=BB735_57 Depth=1
	s_wait_dscnt 0x1
	v_add_co_u32 v23, vcc_lo, v13, v45
	s_wait_alu 0xfffd
	v_add_co_ci_u32_e64 v14, null, 0, v14, vcc_lo
	s_delay_alu instid0(VALU_DEP_2) | instskip(SKIP_2) | instid1(VALU_DEP_2)
	v_add_co_u32 v13, vcc_lo, 0, v23
	s_wait_dscnt 0x0
	s_wait_alu 0xfffd
	v_add_co_ci_u32_e64 v14, null, v24, v14, vcc_lo
.LBB735_66:                             ;   in Loop: Header=BB735_57 Depth=1
	s_wait_alu 0xfffe
	s_or_b32 exec_lo, exec_lo, s5
	s_wait_dscnt 0x1
	ds_bpermute_b32 v45, v39, v23
	s_wait_dscnt 0x1
	ds_bpermute_b32 v24, v39, v14
	s_mov_b32 s5, exec_lo
	v_cmpx_le_u32_e64 v40, v16
	;; [unrolled: 20-line block ×3, first 2 shown]
	s_cbranch_execz .LBB735_70
; %bb.69:                               ;   in Loop: Header=BB735_57 Depth=1
	s_wait_dscnt 0x1
	v_add_co_u32 v23, vcc_lo, v13, v45
	s_wait_alu 0xfffd
	v_add_co_ci_u32_e64 v14, null, 0, v14, vcc_lo
	s_delay_alu instid0(VALU_DEP_2) | instskip(SKIP_2) | instid1(VALU_DEP_2)
	v_add_co_u32 v13, vcc_lo, 0, v23
	s_wait_dscnt 0x0
	s_wait_alu 0xfffd
	v_add_co_ci_u32_e64 v14, null, v24, v14, vcc_lo
.LBB735_70:                             ;   in Loop: Header=BB735_57 Depth=1
	s_wait_alu 0xfffe
	s_or_b32 exec_lo, exec_lo, s5
	s_wait_dscnt 0x0
	ds_bpermute_b32 v24, v43, v23
	ds_bpermute_b32 v23, v43, v14
	s_mov_b32 s5, exec_lo
	v_cmpx_le_u32_e64 v44, v16
	s_cbranch_execz .LBB735_55
; %bb.71:                               ;   in Loop: Header=BB735_57 Depth=1
	s_wait_dscnt 0x1
	v_add_co_u32 v13, vcc_lo, v13, v24
	s_wait_alu 0xfffd
	v_add_co_ci_u32_e64 v14, null, 0, v14, vcc_lo
	s_delay_alu instid0(VALU_DEP_2) | instskip(SKIP_2) | instid1(VALU_DEP_2)
	v_add_co_u32 v13, vcc_lo, v13, 0
	s_wait_dscnt 0x0
	s_wait_alu 0xfffd
	v_add_co_ci_u32_e64 v14, null, v14, v23, vcc_lo
	s_branch .LBB735_55
.LBB735_72:
                                        ; implicit-def: $vgpr15_vgpr16
                                        ; implicit-def: $vgpr13_vgpr14
                                        ; implicit-def: $vgpr19_vgpr20
                                        ; implicit-def: $vgpr21_vgpr22
                                        ; implicit-def: $vgpr11_vgpr12
	s_load_b64 s[4:5], s[0:1], 0x30
	s_and_b32 vcc_lo, exec_lo, s3
	s_wait_alu 0xfffe
	s_cbranch_vccnz .LBB735_78
	s_branch .LBB735_103
.LBB735_73:
	s_and_saveexec_b32 s5, s3
	s_cbranch_execz .LBB735_75
; %bb.74:
	s_add_co_i32 s12, ttmp9, 32
	s_mov_b32 s13, 0
	v_add_co_u32 v13, vcc_lo, v11, v9
	s_wait_alu 0xfffe
	s_lshl_b64 s[12:13], s[12:13], 4
	v_dual_mov_b32 v15, 2 :: v_dual_mov_b32 v16, 0
	s_wait_alu 0xfffe
	s_add_nc_u64 s[12:13], s[6:7], s[12:13]
	s_wait_alu 0xfffd
	v_add_co_ci_u32_e64 v14, null, v12, v10, vcc_lo
	s_wait_alu 0xfffe
	v_dual_mov_b32 v22, s13 :: v_dual_mov_b32 v21, s12
	;;#ASMSTART
	global_store_b128 v[21:22], v[13:16] off scope:SCOPE_DEV	
s_wait_storecnt 0x0
	;;#ASMEND
	ds_store_b128 v16, v[9:12] offset:8448
.LBB735_75:
	s_wait_alu 0xfffe
	s_or_b32 exec_lo, exec_lo, s5
	v_cmp_eq_u32_e32 vcc_lo, 0, v0
	s_and_b32 exec_lo, exec_lo, vcc_lo
; %bb.76:
	v_mov_b32_e32 v9, 0
	ds_store_b64 v9, v[11:12] offset:56
.LBB735_77:
	s_wait_alu 0xfffe
	s_or_b32 exec_lo, exec_lo, s4
	s_wait_dscnt 0x1
	v_cndmask_b32_e64 v10, v33, v19, s3
	v_cmp_ne_u32_e32 vcc_lo, 0, v0
	v_mov_b32_e32 v9, 0
	s_wait_loadcnt_dscnt 0x0
	s_barrier_signal -1
	s_barrier_wait -1
	global_inv scope:SCOPE_SE
	s_wait_alu 0xfffd
	v_cndmask_b32_e32 v16, 0, v10, vcc_lo
	ds_load_b64 v[13:14], v9 offset:56
	v_cndmask_b32_e64 v11, v34, v20, s3
	s_wait_loadcnt_dscnt 0x0
	s_barrier_signal -1
	s_barrier_wait -1
	global_inv scope:SCOPE_SE
	v_cndmask_b32_e32 v15, 0, v11, vcc_lo
	ds_load_b128 v[9:12], v9 offset:8448
	v_add_co_u32 v21, vcc_lo, v13, v16
	s_wait_alu 0xfffd
	v_add_co_ci_u32_e64 v22, null, v14, v15, vcc_lo
	s_delay_alu instid0(VALU_DEP_2) | instskip(SKIP_1) | instid1(VALU_DEP_2)
	v_add_co_u32 v19, vcc_lo, v21, v30
	s_wait_alu 0xfffd
	v_add_co_ci_u32_e64 v20, null, 0, v22, vcc_lo
	s_delay_alu instid0(VALU_DEP_2) | instskip(SKIP_1) | instid1(VALU_DEP_2)
	;; [unrolled: 4-line block ×3, first 2 shown]
	v_add_co_u32 v15, vcc_lo, v13, v28
	s_wait_alu 0xfffd
	v_add_co_ci_u32_e64 v16, null, 0, v14, vcc_lo
	s_load_b64 s[4:5], s[0:1], 0x30
	s_branch .LBB735_103
.LBB735_78:
	s_wait_dscnt 0x0
	v_dual_mov_b32 v10, 0 :: v_dual_mov_b32 v11, v17
	v_mov_b32_dpp v12, v17 row_shr:1 row_mask:0xf bank_mask:0xf
	s_delay_alu instid0(VALU_DEP_2)
	v_mov_b32_dpp v9, v10 row_shr:1 row_mask:0xf bank_mask:0xf
	s_and_saveexec_b32 s0, s2
; %bb.79:
	s_delay_alu instid0(VALU_DEP_2) | instskip(SKIP_2) | instid1(VALU_DEP_2)
	v_add_co_u32 v11, vcc_lo, v17, v12
	s_wait_alu 0xfffd
	v_add_co_ci_u32_e64 v10, null, 0, v18, vcc_lo
	v_add_co_u32 v17, vcc_lo, 0, v11
	s_wait_alu 0xfffd
	s_delay_alu instid0(VALU_DEP_2) | instskip(NEXT) | instid1(VALU_DEP_1)
	v_add_co_ci_u32_e64 v18, null, v9, v10, vcc_lo
	v_mov_b32_e32 v10, v18
; %bb.80:
	s_or_b32 exec_lo, exec_lo, s0
	v_mov_b32_dpp v9, v11 row_shr:2 row_mask:0xf bank_mask:0xf
	s_delay_alu instid0(VALU_DEP_2)
	v_mov_b32_dpp v12, v10 row_shr:2 row_mask:0xf bank_mask:0xf
	s_mov_b32 s0, exec_lo
	v_cmpx_lt_u32_e32 1, v32
; %bb.81:
	s_delay_alu instid0(VALU_DEP_3) | instskip(SKIP_2) | instid1(VALU_DEP_2)
	v_add_co_u32 v11, vcc_lo, v17, v9
	s_wait_alu 0xfffd
	v_add_co_ci_u32_e64 v10, null, 0, v18, vcc_lo
	v_add_co_u32 v9, vcc_lo, 0, v11
	s_wait_alu 0xfffd
	s_delay_alu instid0(VALU_DEP_2) | instskip(NEXT) | instid1(VALU_DEP_1)
	v_add_co_ci_u32_e64 v10, null, v12, v10, vcc_lo
	v_dual_mov_b32 v18, v10 :: v_dual_mov_b32 v17, v9
; %bb.82:
	s_or_b32 exec_lo, exec_lo, s0
	v_mov_b32_dpp v9, v11 row_shr:4 row_mask:0xf bank_mask:0xf
	v_mov_b32_dpp v12, v10 row_shr:4 row_mask:0xf bank_mask:0xf
	s_mov_b32 s0, exec_lo
	v_cmpx_lt_u32_e32 3, v32
; %bb.83:
	s_delay_alu instid0(VALU_DEP_3) | instskip(SKIP_2) | instid1(VALU_DEP_2)
	v_add_co_u32 v11, vcc_lo, v17, v9
	s_wait_alu 0xfffd
	v_add_co_ci_u32_e64 v10, null, 0, v18, vcc_lo
	v_add_co_u32 v9, vcc_lo, 0, v11
	s_wait_alu 0xfffd
	s_delay_alu instid0(VALU_DEP_2) | instskip(NEXT) | instid1(VALU_DEP_1)
	v_add_co_ci_u32_e64 v10, null, v12, v10, vcc_lo
	v_dual_mov_b32 v18, v10 :: v_dual_mov_b32 v17, v9
; %bb.84:
	s_or_b32 exec_lo, exec_lo, s0
	v_mov_b32_dpp v12, v11 row_shr:8 row_mask:0xf bank_mask:0xf
	v_mov_b32_dpp v9, v10 row_shr:8 row_mask:0xf bank_mask:0xf
	s_mov_b32 s0, exec_lo
	v_cmpx_lt_u32_e32 7, v32
; %bb.85:
	s_delay_alu instid0(VALU_DEP_3) | instskip(SKIP_2) | instid1(VALU_DEP_2)
	v_add_co_u32 v11, vcc_lo, v17, v12
	s_wait_alu 0xfffd
	v_add_co_ci_u32_e64 v10, null, 0, v18, vcc_lo
	v_add_co_u32 v17, vcc_lo, 0, v11
	s_wait_alu 0xfffd
	s_delay_alu instid0(VALU_DEP_2) | instskip(NEXT) | instid1(VALU_DEP_1)
	v_add_co_ci_u32_e64 v18, null, v9, v10, vcc_lo
	v_mov_b32_e32 v10, v18
; %bb.86:
	s_or_b32 exec_lo, exec_lo, s0
	ds_swizzle_b32 v11, v11 offset:swizzle(BROADCAST,32,15)
	ds_swizzle_b32 v9, v10 offset:swizzle(BROADCAST,32,15)
	v_and_b32_e32 v10, 16, v31
	s_mov_b32 s0, exec_lo
	s_delay_alu instid0(VALU_DEP_1)
	v_cmpx_ne_u32_e32 0, v10
	s_cbranch_execz .LBB735_88
; %bb.87:
	s_wait_dscnt 0x1
	v_add_co_u32 v10, vcc_lo, v17, v11
	s_wait_alu 0xfffd
	v_add_co_ci_u32_e64 v11, null, 0, v18, vcc_lo
	s_delay_alu instid0(VALU_DEP_2) | instskip(SKIP_2) | instid1(VALU_DEP_2)
	v_add_co_u32 v17, vcc_lo, v10, 0
	s_wait_dscnt 0x0
	s_wait_alu 0xfffd
	v_add_co_ci_u32_e64 v18, null, v11, v9, vcc_lo
.LBB735_88:
	s_or_b32 exec_lo, exec_lo, s0
	s_wait_dscnt 0x0
	v_or_b32_e32 v9, 31, v0
	s_mov_b32 s0, exec_lo
	s_delay_alu instid0(VALU_DEP_1)
	v_cmpx_eq_u32_e64 v0, v9
; %bb.89:
	v_lshlrev_b32_e32 v9, 3, v26
	ds_store_b64 v9, v[17:18]
; %bb.90:
	s_or_b32 exec_lo, exec_lo, s0
	s_delay_alu instid0(SALU_CYCLE_1)
	s_mov_b32 s0, exec_lo
	s_wait_loadcnt_dscnt 0x0
	s_barrier_signal -1
	s_barrier_wait -1
	global_inv scope:SCOPE_SE
	v_cmpx_gt_u32_e32 8, v0
	s_cbranch_execz .LBB735_98
; %bb.91:
	v_lshlrev_b32_e32 v11, 3, v0
	s_mov_b32 s1, exec_lo
	ds_load_b64 v[9:10], v11
	s_wait_dscnt 0x0
	v_dual_mov_b32 v13, v9 :: v_dual_and_b32 v12, 7, v31
	v_mov_b32_dpp v15, v9 row_shr:1 row_mask:0xf bank_mask:0xf
	v_mov_b32_dpp v14, v10 row_shr:1 row_mask:0xf bank_mask:0xf
	s_delay_alu instid0(VALU_DEP_3)
	v_cmpx_ne_u32_e32 0, v12
; %bb.92:
	s_delay_alu instid0(VALU_DEP_3) | instskip(SKIP_2) | instid1(VALU_DEP_2)
	v_add_co_u32 v13, vcc_lo, v9, v15
	s_wait_alu 0xfffd
	v_add_co_ci_u32_e64 v10, null, 0, v10, vcc_lo
	v_add_co_u32 v9, vcc_lo, 0, v13
	s_wait_alu 0xfffd
	s_delay_alu instid0(VALU_DEP_2)
	v_add_co_ci_u32_e64 v10, null, v14, v10, vcc_lo
; %bb.93:
	s_or_b32 exec_lo, exec_lo, s1
	v_mov_b32_dpp v15, v13 row_shr:2 row_mask:0xf bank_mask:0xf
	s_delay_alu instid0(VALU_DEP_2)
	v_mov_b32_dpp v14, v10 row_shr:2 row_mask:0xf bank_mask:0xf
	s_mov_b32 s1, exec_lo
	v_cmpx_lt_u32_e32 1, v12
; %bb.94:
	s_delay_alu instid0(VALU_DEP_3) | instskip(SKIP_2) | instid1(VALU_DEP_2)
	v_add_co_u32 v13, vcc_lo, v9, v15
	s_wait_alu 0xfffd
	v_add_co_ci_u32_e64 v10, null, 0, v10, vcc_lo
	v_add_co_u32 v9, vcc_lo, 0, v13
	s_wait_alu 0xfffd
	s_delay_alu instid0(VALU_DEP_2)
	v_add_co_ci_u32_e64 v10, null, v14, v10, vcc_lo
; %bb.95:
	s_or_b32 exec_lo, exec_lo, s1
	v_mov_b32_dpp v14, v13 row_shr:4 row_mask:0xf bank_mask:0xf
	s_delay_alu instid0(VALU_DEP_2)
	v_mov_b32_dpp v13, v10 row_shr:4 row_mask:0xf bank_mask:0xf
	s_mov_b32 s1, exec_lo
	v_cmpx_lt_u32_e32 3, v12
; %bb.96:
	s_delay_alu instid0(VALU_DEP_3) | instskip(SKIP_2) | instid1(VALU_DEP_2)
	v_add_co_u32 v9, vcc_lo, v9, v14
	s_wait_alu 0xfffd
	v_add_co_ci_u32_e64 v10, null, 0, v10, vcc_lo
	v_add_co_u32 v9, vcc_lo, v9, 0
	s_wait_alu 0xfffd
	s_delay_alu instid0(VALU_DEP_2)
	v_add_co_ci_u32_e64 v10, null, v10, v13, vcc_lo
; %bb.97:
	s_or_b32 exec_lo, exec_lo, s1
	ds_store_b64 v11, v[9:10]
.LBB735_98:
	s_or_b32 exec_lo, exec_lo, s0
	v_mov_b32_e32 v13, 0
	v_mov_b32_e32 v14, 0
	s_mov_b32 s0, exec_lo
	s_wait_loadcnt_dscnt 0x0
	s_barrier_signal -1
	s_barrier_wait -1
	global_inv scope:SCOPE_SE
	v_cmpx_lt_u32_e32 31, v0
; %bb.99:
	v_lshl_add_u32 v9, v26, 3, -8
	ds_load_b64 v[13:14], v9
; %bb.100:
	s_or_b32 exec_lo, exec_lo, s0
	v_sub_co_u32 v9, vcc_lo, v31, 1
	v_mov_b32_e32 v12, 0
	s_delay_alu instid0(VALU_DEP_2) | instskip(NEXT) | instid1(VALU_DEP_1)
	v_cmp_gt_i32_e64 s0, 0, v9
	v_cndmask_b32_e64 v9, v9, v31, s0
	s_wait_dscnt 0x0
	v_add_co_u32 v10, s0, v13, v17
	s_wait_alu 0xf1ff
	v_add_co_ci_u32_e64 v11, null, v14, v18, s0
	v_lshlrev_b32_e32 v9, 2, v9
	v_cmp_eq_u32_e64 s0, 0, v0
	ds_bpermute_b32 v15, v9, v10
	ds_bpermute_b32 v16, v9, v11
	ds_load_b64 v[9:10], v12 offset:56
	s_and_saveexec_b32 s1, s0
	s_cbranch_execz .LBB735_102
; %bb.101:
	s_wait_kmcnt 0x0
	s_add_nc_u64 s[2:3], s[6:7], 0x200
	s_wait_alu 0xfffe
	v_dual_mov_b32 v11, 2 :: v_dual_mov_b32 v18, s3
	v_mov_b32_e32 v17, s2
	s_wait_dscnt 0x0
	;;#ASMSTART
	global_store_b128 v[17:18], v[9:12] off scope:SCOPE_DEV	
s_wait_storecnt 0x0
	;;#ASMEND
.LBB735_102:
	s_wait_alu 0xfffe
	s_or_b32 exec_lo, exec_lo, s1
	s_wait_dscnt 0x1
	s_wait_alu 0xfffd
	v_dual_cndmask_b32 v11, v15, v13 :: v_dual_cndmask_b32 v12, v16, v14
	s_wait_loadcnt_dscnt 0x0
	s_barrier_signal -1
	s_barrier_wait -1
	s_delay_alu instid0(VALU_DEP_1)
	v_cndmask_b32_e64 v21, v11, 0, s0
	v_cndmask_b32_e64 v22, v12, 0, s0
	v_mov_b32_e32 v11, 0
	v_mov_b32_e32 v12, 0
	global_inv scope:SCOPE_SE
	v_add_co_u32 v19, vcc_lo, v21, v30
	s_wait_alu 0xfffd
	v_add_co_ci_u32_e64 v20, null, 0, v22, vcc_lo
	s_delay_alu instid0(VALU_DEP_2) | instskip(SKIP_1) | instid1(VALU_DEP_2)
	v_add_co_u32 v13, vcc_lo, v19, v29
	s_wait_alu 0xfffd
	v_add_co_ci_u32_e64 v14, null, 0, v20, vcc_lo
	s_delay_alu instid0(VALU_DEP_2) | instskip(SKIP_1) | instid1(VALU_DEP_2)
	v_add_co_u32 v15, vcc_lo, v13, v28
	s_wait_alu 0xfffd
	v_add_co_ci_u32_e64 v16, null, 0, v14, vcc_lo
.LBB735_103:
	v_and_b32_e32 v26, 1, v27
	s_wait_dscnt 0x0
	v_cmp_gt_u64_e32 vcc_lo, 0x101, v[9:10]
	v_lshrrev_b32_e32 v23, 16, v27
	v_lshrrev_b32_e32 v24, 8, v27
	s_mov_b32 s1, -1
	v_cmp_eq_u32_e64 s0, 1, v26
	s_cbranch_vccnz .LBB735_107
; %bb.104:
	s_wait_alu 0xfffe
	s_and_b32 vcc_lo, exec_lo, s1
	s_wait_alu 0xfffe
	s_cbranch_vccnz .LBB735_116
.LBB735_105:
	v_cmp_eq_u32_e32 vcc_lo, 0, v0
	s_and_b32 s0, vcc_lo, s16
	s_wait_alu 0xfffe
	s_and_saveexec_b32 s1, s0
	s_cbranch_execnz .LBB735_128
.LBB735_106:
	s_endpgm
.LBB735_107:
	v_add_co_u32 v17, vcc_lo, v11, v9
	s_wait_alu 0xfffd
	v_add_co_ci_u32_e64 v18, null, v12, v10, vcc_lo
	s_delay_alu instid0(VALU_DEP_1)
	v_cmp_lt_u64_e32 vcc_lo, v[21:22], v[17:18]
	s_or_b32 s1, s17, vcc_lo
	s_wait_alu 0xfffe
	s_and_b32 s1, s1, s0
	s_wait_alu 0xfffe
	s_and_saveexec_b32 s0, s1
	s_cbranch_execz .LBB735_109
; %bb.108:
	v_lshlrev_b64_e32 v[27:28], 3, v[21:22]
	s_lshl_b64 s[2:3], s[10:11], 3
	s_wait_kmcnt 0x0
	s_wait_alu 0xfffe
	s_add_nc_u64 s[2:3], s[4:5], s[2:3]
	s_wait_alu 0xfffe
	v_add_co_u32 v27, vcc_lo, s2, v27
	s_wait_alu 0xfffd
	v_add_co_ci_u32_e64 v28, null, s3, v28, vcc_lo
	global_store_b64 v[27:28], v[5:6], off
.LBB735_109:
	s_wait_alu 0xfffe
	s_or_b32 exec_lo, exec_lo, s0
	v_and_b32_e32 v22, 1, v24
	v_cmp_lt_u64_e32 vcc_lo, v[19:20], v[17:18]
	s_delay_alu instid0(VALU_DEP_2)
	v_cmp_eq_u32_e64 s0, 1, v22
	s_or_b32 s1, s17, vcc_lo
	s_wait_alu 0xfffe
	s_and_b32 s1, s1, s0
	s_wait_alu 0xfffe
	s_and_saveexec_b32 s0, s1
	s_cbranch_execz .LBB735_111
; %bb.110:
	v_lshlrev_b64_e32 v[27:28], 3, v[19:20]
	s_lshl_b64 s[2:3], s[10:11], 3
	s_wait_kmcnt 0x0
	s_wait_alu 0xfffe
	s_add_nc_u64 s[2:3], s[4:5], s[2:3]
	s_wait_alu 0xfffe
	v_add_co_u32 v27, vcc_lo, s2, v27
	s_wait_alu 0xfffd
	v_add_co_ci_u32_e64 v28, null, s3, v28, vcc_lo
	global_store_b64 v[27:28], v[7:8], off
.LBB735_111:
	s_wait_alu 0xfffe
	s_or_b32 exec_lo, exec_lo, s0
	v_and_b32_e32 v20, 1, v23
	v_cmp_lt_u64_e32 vcc_lo, v[13:14], v[17:18]
	s_delay_alu instid0(VALU_DEP_2)
	v_cmp_eq_u32_e64 s0, 1, v20
	;; [unrolled: 24-line block ×3, first 2 shown]
	s_or_b32 s1, s17, vcc_lo
	s_wait_alu 0xfffe
	s_and_b32 s1, s1, s0
	s_wait_alu 0xfffe
	s_and_saveexec_b32 s0, s1
	s_cbranch_execz .LBB735_115
; %bb.114:
	v_lshlrev_b64_e32 v[16:17], 3, v[15:16]
	s_lshl_b64 s[2:3], s[10:11], 3
	s_wait_kmcnt 0x0
	s_wait_alu 0xfffe
	s_add_nc_u64 s[2:3], s[4:5], s[2:3]
	s_wait_alu 0xfffe
	v_add_co_u32 v16, vcc_lo, s2, v16
	s_wait_alu 0xfffd
	v_add_co_ci_u32_e64 v17, null, s3, v17, vcc_lo
	global_store_b64 v[16:17], v[3:4], off
.LBB735_115:
	s_wait_alu 0xfffe
	s_or_b32 exec_lo, exec_lo, s0
	s_branch .LBB735_105
.LBB735_116:
	s_mov_b32 s0, exec_lo
	v_cmpx_eq_u32_e32 1, v26
; %bb.117:
	v_sub_nc_u32_e32 v14, v21, v11
	s_delay_alu instid0(VALU_DEP_1)
	v_lshlrev_b32_e32 v14, 3, v14
	ds_store_b64 v14, v[5:6]
; %bb.118:
	s_wait_alu 0xfffe
	s_or_b32 exec_lo, exec_lo, s0
	v_and_b32_e32 v5, 1, v24
	s_mov_b32 s0, exec_lo
	s_delay_alu instid0(VALU_DEP_1)
	v_cmpx_eq_u32_e32 1, v5
; %bb.119:
	v_sub_nc_u32_e32 v5, v19, v11
	s_delay_alu instid0(VALU_DEP_1)
	v_lshlrev_b32_e32 v5, 3, v5
	ds_store_b64 v5, v[7:8]
; %bb.120:
	s_wait_alu 0xfffe
	s_or_b32 exec_lo, exec_lo, s0
	v_and_b32_e32 v5, 1, v23
	s_mov_b32 s0, exec_lo
	s_delay_alu instid0(VALU_DEP_1)
	;; [unrolled: 12-line block ×3, first 2 shown]
	v_cmpx_eq_u32_e32 1, v1
; %bb.123:
	v_sub_nc_u32_e32 v1, v15, v11
	s_delay_alu instid0(VALU_DEP_1)
	v_lshlrev_b32_e32 v1, 3, v1
	ds_store_b64 v1, v[3:4]
; %bb.124:
	s_wait_alu 0xfffe
	s_or_b32 exec_lo, exec_lo, s0
	v_mov_b32_e32 v3, 0
	s_mov_b32 s1, exec_lo
	s_wait_storecnt 0x0
	s_wait_loadcnt_dscnt 0x0
	s_barrier_signal -1
	s_barrier_wait -1
	v_mov_b32_e32 v1, v3
	global_inv scope:SCOPE_SE
	v_cmpx_gt_u64_e64 v[9:10], v[0:1]
	s_cbranch_execz .LBB735_127
; %bb.125:
	v_lshlrev_b64_e32 v[4:5], 3, v[11:12]
	s_lshl_b64 s[2:3], s[10:11], 3
	v_or_b32_e32 v2, 0x100, v0
	s_wait_kmcnt 0x0
	s_delay_alu instid0(VALU_DEP_2) | instskip(SKIP_3) | instid1(VALU_DEP_2)
	v_add_co_u32 v4, vcc_lo, s4, v4
	s_wait_alu 0xfffd
	v_add_co_ci_u32_e64 v5, null, s5, v5, vcc_lo
	s_wait_alu 0xfffe
	v_add_co_u32 v6, vcc_lo, v4, s2
	s_wait_alu 0xfffd
	s_delay_alu instid0(VALU_DEP_2)
	v_add_co_ci_u32_e64 v7, null, s3, v5, vcc_lo
	v_dual_mov_b32 v5, v1 :: v_dual_mov_b32 v4, v0
	s_mov_b32 s2, 0
.LBB735_126:                            ; =>This Inner Loop Header: Depth=1
	s_delay_alu instid0(VALU_DEP_1) | instskip(NEXT) | instid1(VALU_DEP_2)
	v_lshlrev_b32_e32 v1, 3, v4
	v_lshlrev_b64_e32 v[15:16], 3, v[4:5]
	v_dual_mov_b32 v5, v3 :: v_dual_mov_b32 v4, v2
	v_cmp_le_u64_e32 vcc_lo, v[9:10], v[2:3]
	ds_load_b64 v[13:14], v1
	v_add_nc_u32_e32 v2, 0x100, v2
	v_add_co_u32 v15, s0, v6, v15
	s_wait_alu 0xf1ff
	v_add_co_ci_u32_e64 v16, null, v7, v16, s0
	s_wait_alu 0xfffe
	s_or_b32 s2, vcc_lo, s2
	s_wait_dscnt 0x0
	global_store_b64 v[15:16], v[13:14], off
	s_wait_alu 0xfffe
	s_and_not1_b32 exec_lo, exec_lo, s2
	s_cbranch_execnz .LBB735_126
.LBB735_127:
	s_wait_alu 0xfffe
	s_or_b32 exec_lo, exec_lo, s1
	v_cmp_eq_u32_e32 vcc_lo, 0, v0
	s_and_b32 s0, vcc_lo, s16
	s_wait_alu 0xfffe
	s_and_saveexec_b32 s1, s0
	s_cbranch_execz .LBB735_106
.LBB735_128:
	v_add_co_u32 v0, vcc_lo, v11, v9
	s_wait_alu 0xfffd
	v_add_co_ci_u32_e64 v1, null, v12, v10, vcc_lo
	v_mov_b32_e32 v2, 0
	s_delay_alu instid0(VALU_DEP_3) | instskip(SKIP_1) | instid1(VALU_DEP_3)
	v_add_co_u32 v0, vcc_lo, v0, s10
	s_wait_alu 0xfffd
	v_add_co_ci_u32_e64 v1, null, s11, v1, vcc_lo
	global_store_b64 v2, v[0:1], s[8:9]
	s_endpgm
.LBB735_129:
	global_load_u8 v14, v0, s[2:3] offset:256
	s_wait_loadcnt 0x0
	v_lshlrev_b16 v14, 8, v14
	s_delay_alu instid0(VALU_DEP_1) | instskip(NEXT) | instid1(VALU_DEP_1)
	v_or_b32_e32 v12, v12, v14
	v_and_b32_e32 v12, 0xffff, v12
	s_wait_alu 0xfffe
	s_or_b32 exec_lo, exec_lo, s4
	s_delay_alu instid0(SALU_CYCLE_1)
	s_mov_b32 s4, exec_lo
	v_cmpx_gt_u32_e64 s18, v9
	s_cbranch_execz .LBB735_12
.LBB735_130:
	global_load_u8 v14, v0, s[2:3] offset:512
	s_wait_loadcnt 0x0
	v_lshl_or_b32 v12, v14, 16, v12
	s_wait_alu 0xfffe
	s_or_b32 exec_lo, exec_lo, s4
	s_delay_alu instid0(SALU_CYCLE_1)
	s_mov_b32 s4, exec_lo
	v_cmpx_gt_u32_e64 s18, v10
	s_cbranch_execnz .LBB735_13
	s_branch .LBB735_14
	.section	.rodata,"a",@progbits
	.p2align	6, 0x0
	.amdhsa_kernel _ZN7rocprim17ROCPRIM_400000_NS6detail17trampoline_kernelINS0_14default_configENS1_25partition_config_selectorILNS1_17partition_subalgoE5ElNS0_10empty_typeEbEEZZNS1_14partition_implILS5_5ELb0ES3_mN6hipcub16HIPCUB_304000_NS21CountingInputIteratorIllEEPS6_NSA_22TransformInputIteratorIbN2at6native12_GLOBAL__N_19NonZeroOpIbEEPKblEENS0_5tupleIJPlS6_EEENSN_IJSD_SD_EEES6_PiJS6_EEE10hipError_tPvRmT3_T4_T5_T6_T7_T9_mT8_P12ihipStream_tbDpT10_ENKUlT_T0_E_clISt17integral_constantIbLb0EES1B_EEDaS16_S17_EUlS16_E_NS1_11comp_targetILNS1_3genE10ELNS1_11target_archE1200ELNS1_3gpuE4ELNS1_3repE0EEENS1_30default_config_static_selectorELNS0_4arch9wavefront6targetE0EEEvT1_
		.amdhsa_group_segment_fixed_size 8464
		.amdhsa_private_segment_fixed_size 0
		.amdhsa_kernarg_size 120
		.amdhsa_user_sgpr_count 2
		.amdhsa_user_sgpr_dispatch_ptr 0
		.amdhsa_user_sgpr_queue_ptr 0
		.amdhsa_user_sgpr_kernarg_segment_ptr 1
		.amdhsa_user_sgpr_dispatch_id 0
		.amdhsa_user_sgpr_private_segment_size 0
		.amdhsa_wavefront_size32 1
		.amdhsa_uses_dynamic_stack 0
		.amdhsa_enable_private_segment 0
		.amdhsa_system_sgpr_workgroup_id_x 1
		.amdhsa_system_sgpr_workgroup_id_y 0
		.amdhsa_system_sgpr_workgroup_id_z 0
		.amdhsa_system_sgpr_workgroup_info 0
		.amdhsa_system_vgpr_workitem_id 0
		.amdhsa_next_free_vgpr 46
		.amdhsa_next_free_sgpr 20
		.amdhsa_reserve_vcc 1
		.amdhsa_float_round_mode_32 0
		.amdhsa_float_round_mode_16_64 0
		.amdhsa_float_denorm_mode_32 3
		.amdhsa_float_denorm_mode_16_64 3
		.amdhsa_fp16_overflow 0
		.amdhsa_workgroup_processor_mode 1
		.amdhsa_memory_ordered 1
		.amdhsa_forward_progress 1
		.amdhsa_inst_pref_size 53
		.amdhsa_round_robin_scheduling 0
		.amdhsa_exception_fp_ieee_invalid_op 0
		.amdhsa_exception_fp_denorm_src 0
		.amdhsa_exception_fp_ieee_div_zero 0
		.amdhsa_exception_fp_ieee_overflow 0
		.amdhsa_exception_fp_ieee_underflow 0
		.amdhsa_exception_fp_ieee_inexact 0
		.amdhsa_exception_int_div_zero 0
	.end_amdhsa_kernel
	.section	.text._ZN7rocprim17ROCPRIM_400000_NS6detail17trampoline_kernelINS0_14default_configENS1_25partition_config_selectorILNS1_17partition_subalgoE5ElNS0_10empty_typeEbEEZZNS1_14partition_implILS5_5ELb0ES3_mN6hipcub16HIPCUB_304000_NS21CountingInputIteratorIllEEPS6_NSA_22TransformInputIteratorIbN2at6native12_GLOBAL__N_19NonZeroOpIbEEPKblEENS0_5tupleIJPlS6_EEENSN_IJSD_SD_EEES6_PiJS6_EEE10hipError_tPvRmT3_T4_T5_T6_T7_T9_mT8_P12ihipStream_tbDpT10_ENKUlT_T0_E_clISt17integral_constantIbLb0EES1B_EEDaS16_S17_EUlS16_E_NS1_11comp_targetILNS1_3genE10ELNS1_11target_archE1200ELNS1_3gpuE4ELNS1_3repE0EEENS1_30default_config_static_selectorELNS0_4arch9wavefront6targetE0EEEvT1_,"axG",@progbits,_ZN7rocprim17ROCPRIM_400000_NS6detail17trampoline_kernelINS0_14default_configENS1_25partition_config_selectorILNS1_17partition_subalgoE5ElNS0_10empty_typeEbEEZZNS1_14partition_implILS5_5ELb0ES3_mN6hipcub16HIPCUB_304000_NS21CountingInputIteratorIllEEPS6_NSA_22TransformInputIteratorIbN2at6native12_GLOBAL__N_19NonZeroOpIbEEPKblEENS0_5tupleIJPlS6_EEENSN_IJSD_SD_EEES6_PiJS6_EEE10hipError_tPvRmT3_T4_T5_T6_T7_T9_mT8_P12ihipStream_tbDpT10_ENKUlT_T0_E_clISt17integral_constantIbLb0EES1B_EEDaS16_S17_EUlS16_E_NS1_11comp_targetILNS1_3genE10ELNS1_11target_archE1200ELNS1_3gpuE4ELNS1_3repE0EEENS1_30default_config_static_selectorELNS0_4arch9wavefront6targetE0EEEvT1_,comdat
.Lfunc_end735:
	.size	_ZN7rocprim17ROCPRIM_400000_NS6detail17trampoline_kernelINS0_14default_configENS1_25partition_config_selectorILNS1_17partition_subalgoE5ElNS0_10empty_typeEbEEZZNS1_14partition_implILS5_5ELb0ES3_mN6hipcub16HIPCUB_304000_NS21CountingInputIteratorIllEEPS6_NSA_22TransformInputIteratorIbN2at6native12_GLOBAL__N_19NonZeroOpIbEEPKblEENS0_5tupleIJPlS6_EEENSN_IJSD_SD_EEES6_PiJS6_EEE10hipError_tPvRmT3_T4_T5_T6_T7_T9_mT8_P12ihipStream_tbDpT10_ENKUlT_T0_E_clISt17integral_constantIbLb0EES1B_EEDaS16_S17_EUlS16_E_NS1_11comp_targetILNS1_3genE10ELNS1_11target_archE1200ELNS1_3gpuE4ELNS1_3repE0EEENS1_30default_config_static_selectorELNS0_4arch9wavefront6targetE0EEEvT1_, .Lfunc_end735-_ZN7rocprim17ROCPRIM_400000_NS6detail17trampoline_kernelINS0_14default_configENS1_25partition_config_selectorILNS1_17partition_subalgoE5ElNS0_10empty_typeEbEEZZNS1_14partition_implILS5_5ELb0ES3_mN6hipcub16HIPCUB_304000_NS21CountingInputIteratorIllEEPS6_NSA_22TransformInputIteratorIbN2at6native12_GLOBAL__N_19NonZeroOpIbEEPKblEENS0_5tupleIJPlS6_EEENSN_IJSD_SD_EEES6_PiJS6_EEE10hipError_tPvRmT3_T4_T5_T6_T7_T9_mT8_P12ihipStream_tbDpT10_ENKUlT_T0_E_clISt17integral_constantIbLb0EES1B_EEDaS16_S17_EUlS16_E_NS1_11comp_targetILNS1_3genE10ELNS1_11target_archE1200ELNS1_3gpuE4ELNS1_3repE0EEENS1_30default_config_static_selectorELNS0_4arch9wavefront6targetE0EEEvT1_
                                        ; -- End function
	.set _ZN7rocprim17ROCPRIM_400000_NS6detail17trampoline_kernelINS0_14default_configENS1_25partition_config_selectorILNS1_17partition_subalgoE5ElNS0_10empty_typeEbEEZZNS1_14partition_implILS5_5ELb0ES3_mN6hipcub16HIPCUB_304000_NS21CountingInputIteratorIllEEPS6_NSA_22TransformInputIteratorIbN2at6native12_GLOBAL__N_19NonZeroOpIbEEPKblEENS0_5tupleIJPlS6_EEENSN_IJSD_SD_EEES6_PiJS6_EEE10hipError_tPvRmT3_T4_T5_T6_T7_T9_mT8_P12ihipStream_tbDpT10_ENKUlT_T0_E_clISt17integral_constantIbLb0EES1B_EEDaS16_S17_EUlS16_E_NS1_11comp_targetILNS1_3genE10ELNS1_11target_archE1200ELNS1_3gpuE4ELNS1_3repE0EEENS1_30default_config_static_selectorELNS0_4arch9wavefront6targetE0EEEvT1_.num_vgpr, 46
	.set _ZN7rocprim17ROCPRIM_400000_NS6detail17trampoline_kernelINS0_14default_configENS1_25partition_config_selectorILNS1_17partition_subalgoE5ElNS0_10empty_typeEbEEZZNS1_14partition_implILS5_5ELb0ES3_mN6hipcub16HIPCUB_304000_NS21CountingInputIteratorIllEEPS6_NSA_22TransformInputIteratorIbN2at6native12_GLOBAL__N_19NonZeroOpIbEEPKblEENS0_5tupleIJPlS6_EEENSN_IJSD_SD_EEES6_PiJS6_EEE10hipError_tPvRmT3_T4_T5_T6_T7_T9_mT8_P12ihipStream_tbDpT10_ENKUlT_T0_E_clISt17integral_constantIbLb0EES1B_EEDaS16_S17_EUlS16_E_NS1_11comp_targetILNS1_3genE10ELNS1_11target_archE1200ELNS1_3gpuE4ELNS1_3repE0EEENS1_30default_config_static_selectorELNS0_4arch9wavefront6targetE0EEEvT1_.num_agpr, 0
	.set _ZN7rocprim17ROCPRIM_400000_NS6detail17trampoline_kernelINS0_14default_configENS1_25partition_config_selectorILNS1_17partition_subalgoE5ElNS0_10empty_typeEbEEZZNS1_14partition_implILS5_5ELb0ES3_mN6hipcub16HIPCUB_304000_NS21CountingInputIteratorIllEEPS6_NSA_22TransformInputIteratorIbN2at6native12_GLOBAL__N_19NonZeroOpIbEEPKblEENS0_5tupleIJPlS6_EEENSN_IJSD_SD_EEES6_PiJS6_EEE10hipError_tPvRmT3_T4_T5_T6_T7_T9_mT8_P12ihipStream_tbDpT10_ENKUlT_T0_E_clISt17integral_constantIbLb0EES1B_EEDaS16_S17_EUlS16_E_NS1_11comp_targetILNS1_3genE10ELNS1_11target_archE1200ELNS1_3gpuE4ELNS1_3repE0EEENS1_30default_config_static_selectorELNS0_4arch9wavefront6targetE0EEEvT1_.numbered_sgpr, 20
	.set _ZN7rocprim17ROCPRIM_400000_NS6detail17trampoline_kernelINS0_14default_configENS1_25partition_config_selectorILNS1_17partition_subalgoE5ElNS0_10empty_typeEbEEZZNS1_14partition_implILS5_5ELb0ES3_mN6hipcub16HIPCUB_304000_NS21CountingInputIteratorIllEEPS6_NSA_22TransformInputIteratorIbN2at6native12_GLOBAL__N_19NonZeroOpIbEEPKblEENS0_5tupleIJPlS6_EEENSN_IJSD_SD_EEES6_PiJS6_EEE10hipError_tPvRmT3_T4_T5_T6_T7_T9_mT8_P12ihipStream_tbDpT10_ENKUlT_T0_E_clISt17integral_constantIbLb0EES1B_EEDaS16_S17_EUlS16_E_NS1_11comp_targetILNS1_3genE10ELNS1_11target_archE1200ELNS1_3gpuE4ELNS1_3repE0EEENS1_30default_config_static_selectorELNS0_4arch9wavefront6targetE0EEEvT1_.num_named_barrier, 0
	.set _ZN7rocprim17ROCPRIM_400000_NS6detail17trampoline_kernelINS0_14default_configENS1_25partition_config_selectorILNS1_17partition_subalgoE5ElNS0_10empty_typeEbEEZZNS1_14partition_implILS5_5ELb0ES3_mN6hipcub16HIPCUB_304000_NS21CountingInputIteratorIllEEPS6_NSA_22TransformInputIteratorIbN2at6native12_GLOBAL__N_19NonZeroOpIbEEPKblEENS0_5tupleIJPlS6_EEENSN_IJSD_SD_EEES6_PiJS6_EEE10hipError_tPvRmT3_T4_T5_T6_T7_T9_mT8_P12ihipStream_tbDpT10_ENKUlT_T0_E_clISt17integral_constantIbLb0EES1B_EEDaS16_S17_EUlS16_E_NS1_11comp_targetILNS1_3genE10ELNS1_11target_archE1200ELNS1_3gpuE4ELNS1_3repE0EEENS1_30default_config_static_selectorELNS0_4arch9wavefront6targetE0EEEvT1_.private_seg_size, 0
	.set _ZN7rocprim17ROCPRIM_400000_NS6detail17trampoline_kernelINS0_14default_configENS1_25partition_config_selectorILNS1_17partition_subalgoE5ElNS0_10empty_typeEbEEZZNS1_14partition_implILS5_5ELb0ES3_mN6hipcub16HIPCUB_304000_NS21CountingInputIteratorIllEEPS6_NSA_22TransformInputIteratorIbN2at6native12_GLOBAL__N_19NonZeroOpIbEEPKblEENS0_5tupleIJPlS6_EEENSN_IJSD_SD_EEES6_PiJS6_EEE10hipError_tPvRmT3_T4_T5_T6_T7_T9_mT8_P12ihipStream_tbDpT10_ENKUlT_T0_E_clISt17integral_constantIbLb0EES1B_EEDaS16_S17_EUlS16_E_NS1_11comp_targetILNS1_3genE10ELNS1_11target_archE1200ELNS1_3gpuE4ELNS1_3repE0EEENS1_30default_config_static_selectorELNS0_4arch9wavefront6targetE0EEEvT1_.uses_vcc, 1
	.set _ZN7rocprim17ROCPRIM_400000_NS6detail17trampoline_kernelINS0_14default_configENS1_25partition_config_selectorILNS1_17partition_subalgoE5ElNS0_10empty_typeEbEEZZNS1_14partition_implILS5_5ELb0ES3_mN6hipcub16HIPCUB_304000_NS21CountingInputIteratorIllEEPS6_NSA_22TransformInputIteratorIbN2at6native12_GLOBAL__N_19NonZeroOpIbEEPKblEENS0_5tupleIJPlS6_EEENSN_IJSD_SD_EEES6_PiJS6_EEE10hipError_tPvRmT3_T4_T5_T6_T7_T9_mT8_P12ihipStream_tbDpT10_ENKUlT_T0_E_clISt17integral_constantIbLb0EES1B_EEDaS16_S17_EUlS16_E_NS1_11comp_targetILNS1_3genE10ELNS1_11target_archE1200ELNS1_3gpuE4ELNS1_3repE0EEENS1_30default_config_static_selectorELNS0_4arch9wavefront6targetE0EEEvT1_.uses_flat_scratch, 0
	.set _ZN7rocprim17ROCPRIM_400000_NS6detail17trampoline_kernelINS0_14default_configENS1_25partition_config_selectorILNS1_17partition_subalgoE5ElNS0_10empty_typeEbEEZZNS1_14partition_implILS5_5ELb0ES3_mN6hipcub16HIPCUB_304000_NS21CountingInputIteratorIllEEPS6_NSA_22TransformInputIteratorIbN2at6native12_GLOBAL__N_19NonZeroOpIbEEPKblEENS0_5tupleIJPlS6_EEENSN_IJSD_SD_EEES6_PiJS6_EEE10hipError_tPvRmT3_T4_T5_T6_T7_T9_mT8_P12ihipStream_tbDpT10_ENKUlT_T0_E_clISt17integral_constantIbLb0EES1B_EEDaS16_S17_EUlS16_E_NS1_11comp_targetILNS1_3genE10ELNS1_11target_archE1200ELNS1_3gpuE4ELNS1_3repE0EEENS1_30default_config_static_selectorELNS0_4arch9wavefront6targetE0EEEvT1_.has_dyn_sized_stack, 0
	.set _ZN7rocprim17ROCPRIM_400000_NS6detail17trampoline_kernelINS0_14default_configENS1_25partition_config_selectorILNS1_17partition_subalgoE5ElNS0_10empty_typeEbEEZZNS1_14partition_implILS5_5ELb0ES3_mN6hipcub16HIPCUB_304000_NS21CountingInputIteratorIllEEPS6_NSA_22TransformInputIteratorIbN2at6native12_GLOBAL__N_19NonZeroOpIbEEPKblEENS0_5tupleIJPlS6_EEENSN_IJSD_SD_EEES6_PiJS6_EEE10hipError_tPvRmT3_T4_T5_T6_T7_T9_mT8_P12ihipStream_tbDpT10_ENKUlT_T0_E_clISt17integral_constantIbLb0EES1B_EEDaS16_S17_EUlS16_E_NS1_11comp_targetILNS1_3genE10ELNS1_11target_archE1200ELNS1_3gpuE4ELNS1_3repE0EEENS1_30default_config_static_selectorELNS0_4arch9wavefront6targetE0EEEvT1_.has_recursion, 0
	.set _ZN7rocprim17ROCPRIM_400000_NS6detail17trampoline_kernelINS0_14default_configENS1_25partition_config_selectorILNS1_17partition_subalgoE5ElNS0_10empty_typeEbEEZZNS1_14partition_implILS5_5ELb0ES3_mN6hipcub16HIPCUB_304000_NS21CountingInputIteratorIllEEPS6_NSA_22TransformInputIteratorIbN2at6native12_GLOBAL__N_19NonZeroOpIbEEPKblEENS0_5tupleIJPlS6_EEENSN_IJSD_SD_EEES6_PiJS6_EEE10hipError_tPvRmT3_T4_T5_T6_T7_T9_mT8_P12ihipStream_tbDpT10_ENKUlT_T0_E_clISt17integral_constantIbLb0EES1B_EEDaS16_S17_EUlS16_E_NS1_11comp_targetILNS1_3genE10ELNS1_11target_archE1200ELNS1_3gpuE4ELNS1_3repE0EEENS1_30default_config_static_selectorELNS0_4arch9wavefront6targetE0EEEvT1_.has_indirect_call, 0
	.section	.AMDGPU.csdata,"",@progbits
; Kernel info:
; codeLenInByte = 6668
; TotalNumSgprs: 22
; NumVgprs: 46
; ScratchSize: 0
; MemoryBound: 0
; FloatMode: 240
; IeeeMode: 1
; LDSByteSize: 8464 bytes/workgroup (compile time only)
; SGPRBlocks: 0
; VGPRBlocks: 5
; NumSGPRsForWavesPerEU: 22
; NumVGPRsForWavesPerEU: 46
; Occupancy: 16
; WaveLimiterHint : 1
; COMPUTE_PGM_RSRC2:SCRATCH_EN: 0
; COMPUTE_PGM_RSRC2:USER_SGPR: 2
; COMPUTE_PGM_RSRC2:TRAP_HANDLER: 0
; COMPUTE_PGM_RSRC2:TGID_X_EN: 1
; COMPUTE_PGM_RSRC2:TGID_Y_EN: 0
; COMPUTE_PGM_RSRC2:TGID_Z_EN: 0
; COMPUTE_PGM_RSRC2:TIDIG_COMP_CNT: 0
	.section	.text._ZN7rocprim17ROCPRIM_400000_NS6detail17trampoline_kernelINS0_14default_configENS1_25partition_config_selectorILNS1_17partition_subalgoE5ElNS0_10empty_typeEbEEZZNS1_14partition_implILS5_5ELb0ES3_mN6hipcub16HIPCUB_304000_NS21CountingInputIteratorIllEEPS6_NSA_22TransformInputIteratorIbN2at6native12_GLOBAL__N_19NonZeroOpIbEEPKblEENS0_5tupleIJPlS6_EEENSN_IJSD_SD_EEES6_PiJS6_EEE10hipError_tPvRmT3_T4_T5_T6_T7_T9_mT8_P12ihipStream_tbDpT10_ENKUlT_T0_E_clISt17integral_constantIbLb0EES1B_EEDaS16_S17_EUlS16_E_NS1_11comp_targetILNS1_3genE9ELNS1_11target_archE1100ELNS1_3gpuE3ELNS1_3repE0EEENS1_30default_config_static_selectorELNS0_4arch9wavefront6targetE0EEEvT1_,"axG",@progbits,_ZN7rocprim17ROCPRIM_400000_NS6detail17trampoline_kernelINS0_14default_configENS1_25partition_config_selectorILNS1_17partition_subalgoE5ElNS0_10empty_typeEbEEZZNS1_14partition_implILS5_5ELb0ES3_mN6hipcub16HIPCUB_304000_NS21CountingInputIteratorIllEEPS6_NSA_22TransformInputIteratorIbN2at6native12_GLOBAL__N_19NonZeroOpIbEEPKblEENS0_5tupleIJPlS6_EEENSN_IJSD_SD_EEES6_PiJS6_EEE10hipError_tPvRmT3_T4_T5_T6_T7_T9_mT8_P12ihipStream_tbDpT10_ENKUlT_T0_E_clISt17integral_constantIbLb0EES1B_EEDaS16_S17_EUlS16_E_NS1_11comp_targetILNS1_3genE9ELNS1_11target_archE1100ELNS1_3gpuE3ELNS1_3repE0EEENS1_30default_config_static_selectorELNS0_4arch9wavefront6targetE0EEEvT1_,comdat
	.globl	_ZN7rocprim17ROCPRIM_400000_NS6detail17trampoline_kernelINS0_14default_configENS1_25partition_config_selectorILNS1_17partition_subalgoE5ElNS0_10empty_typeEbEEZZNS1_14partition_implILS5_5ELb0ES3_mN6hipcub16HIPCUB_304000_NS21CountingInputIteratorIllEEPS6_NSA_22TransformInputIteratorIbN2at6native12_GLOBAL__N_19NonZeroOpIbEEPKblEENS0_5tupleIJPlS6_EEENSN_IJSD_SD_EEES6_PiJS6_EEE10hipError_tPvRmT3_T4_T5_T6_T7_T9_mT8_P12ihipStream_tbDpT10_ENKUlT_T0_E_clISt17integral_constantIbLb0EES1B_EEDaS16_S17_EUlS16_E_NS1_11comp_targetILNS1_3genE9ELNS1_11target_archE1100ELNS1_3gpuE3ELNS1_3repE0EEENS1_30default_config_static_selectorELNS0_4arch9wavefront6targetE0EEEvT1_ ; -- Begin function _ZN7rocprim17ROCPRIM_400000_NS6detail17trampoline_kernelINS0_14default_configENS1_25partition_config_selectorILNS1_17partition_subalgoE5ElNS0_10empty_typeEbEEZZNS1_14partition_implILS5_5ELb0ES3_mN6hipcub16HIPCUB_304000_NS21CountingInputIteratorIllEEPS6_NSA_22TransformInputIteratorIbN2at6native12_GLOBAL__N_19NonZeroOpIbEEPKblEENS0_5tupleIJPlS6_EEENSN_IJSD_SD_EEES6_PiJS6_EEE10hipError_tPvRmT3_T4_T5_T6_T7_T9_mT8_P12ihipStream_tbDpT10_ENKUlT_T0_E_clISt17integral_constantIbLb0EES1B_EEDaS16_S17_EUlS16_E_NS1_11comp_targetILNS1_3genE9ELNS1_11target_archE1100ELNS1_3gpuE3ELNS1_3repE0EEENS1_30default_config_static_selectorELNS0_4arch9wavefront6targetE0EEEvT1_
	.p2align	8
	.type	_ZN7rocprim17ROCPRIM_400000_NS6detail17trampoline_kernelINS0_14default_configENS1_25partition_config_selectorILNS1_17partition_subalgoE5ElNS0_10empty_typeEbEEZZNS1_14partition_implILS5_5ELb0ES3_mN6hipcub16HIPCUB_304000_NS21CountingInputIteratorIllEEPS6_NSA_22TransformInputIteratorIbN2at6native12_GLOBAL__N_19NonZeroOpIbEEPKblEENS0_5tupleIJPlS6_EEENSN_IJSD_SD_EEES6_PiJS6_EEE10hipError_tPvRmT3_T4_T5_T6_T7_T9_mT8_P12ihipStream_tbDpT10_ENKUlT_T0_E_clISt17integral_constantIbLb0EES1B_EEDaS16_S17_EUlS16_E_NS1_11comp_targetILNS1_3genE9ELNS1_11target_archE1100ELNS1_3gpuE3ELNS1_3repE0EEENS1_30default_config_static_selectorELNS0_4arch9wavefront6targetE0EEEvT1_,@function
_ZN7rocprim17ROCPRIM_400000_NS6detail17trampoline_kernelINS0_14default_configENS1_25partition_config_selectorILNS1_17partition_subalgoE5ElNS0_10empty_typeEbEEZZNS1_14partition_implILS5_5ELb0ES3_mN6hipcub16HIPCUB_304000_NS21CountingInputIteratorIllEEPS6_NSA_22TransformInputIteratorIbN2at6native12_GLOBAL__N_19NonZeroOpIbEEPKblEENS0_5tupleIJPlS6_EEENSN_IJSD_SD_EEES6_PiJS6_EEE10hipError_tPvRmT3_T4_T5_T6_T7_T9_mT8_P12ihipStream_tbDpT10_ENKUlT_T0_E_clISt17integral_constantIbLb0EES1B_EEDaS16_S17_EUlS16_E_NS1_11comp_targetILNS1_3genE9ELNS1_11target_archE1100ELNS1_3gpuE3ELNS1_3repE0EEENS1_30default_config_static_selectorELNS0_4arch9wavefront6targetE0EEEvT1_: ; @_ZN7rocprim17ROCPRIM_400000_NS6detail17trampoline_kernelINS0_14default_configENS1_25partition_config_selectorILNS1_17partition_subalgoE5ElNS0_10empty_typeEbEEZZNS1_14partition_implILS5_5ELb0ES3_mN6hipcub16HIPCUB_304000_NS21CountingInputIteratorIllEEPS6_NSA_22TransformInputIteratorIbN2at6native12_GLOBAL__N_19NonZeroOpIbEEPKblEENS0_5tupleIJPlS6_EEENSN_IJSD_SD_EEES6_PiJS6_EEE10hipError_tPvRmT3_T4_T5_T6_T7_T9_mT8_P12ihipStream_tbDpT10_ENKUlT_T0_E_clISt17integral_constantIbLb0EES1B_EEDaS16_S17_EUlS16_E_NS1_11comp_targetILNS1_3genE9ELNS1_11target_archE1100ELNS1_3gpuE3ELNS1_3repE0EEENS1_30default_config_static_selectorELNS0_4arch9wavefront6targetE0EEEvT1_
; %bb.0:
	.section	.rodata,"a",@progbits
	.p2align	6, 0x0
	.amdhsa_kernel _ZN7rocprim17ROCPRIM_400000_NS6detail17trampoline_kernelINS0_14default_configENS1_25partition_config_selectorILNS1_17partition_subalgoE5ElNS0_10empty_typeEbEEZZNS1_14partition_implILS5_5ELb0ES3_mN6hipcub16HIPCUB_304000_NS21CountingInputIteratorIllEEPS6_NSA_22TransformInputIteratorIbN2at6native12_GLOBAL__N_19NonZeroOpIbEEPKblEENS0_5tupleIJPlS6_EEENSN_IJSD_SD_EEES6_PiJS6_EEE10hipError_tPvRmT3_T4_T5_T6_T7_T9_mT8_P12ihipStream_tbDpT10_ENKUlT_T0_E_clISt17integral_constantIbLb0EES1B_EEDaS16_S17_EUlS16_E_NS1_11comp_targetILNS1_3genE9ELNS1_11target_archE1100ELNS1_3gpuE3ELNS1_3repE0EEENS1_30default_config_static_selectorELNS0_4arch9wavefront6targetE0EEEvT1_
		.amdhsa_group_segment_fixed_size 0
		.amdhsa_private_segment_fixed_size 0
		.amdhsa_kernarg_size 120
		.amdhsa_user_sgpr_count 2
		.amdhsa_user_sgpr_dispatch_ptr 0
		.amdhsa_user_sgpr_queue_ptr 0
		.amdhsa_user_sgpr_kernarg_segment_ptr 1
		.amdhsa_user_sgpr_dispatch_id 0
		.amdhsa_user_sgpr_private_segment_size 0
		.amdhsa_wavefront_size32 1
		.amdhsa_uses_dynamic_stack 0
		.amdhsa_enable_private_segment 0
		.amdhsa_system_sgpr_workgroup_id_x 1
		.amdhsa_system_sgpr_workgroup_id_y 0
		.amdhsa_system_sgpr_workgroup_id_z 0
		.amdhsa_system_sgpr_workgroup_info 0
		.amdhsa_system_vgpr_workitem_id 0
		.amdhsa_next_free_vgpr 1
		.amdhsa_next_free_sgpr 1
		.amdhsa_reserve_vcc 0
		.amdhsa_float_round_mode_32 0
		.amdhsa_float_round_mode_16_64 0
		.amdhsa_float_denorm_mode_32 3
		.amdhsa_float_denorm_mode_16_64 3
		.amdhsa_fp16_overflow 0
		.amdhsa_workgroup_processor_mode 1
		.amdhsa_memory_ordered 1
		.amdhsa_forward_progress 1
		.amdhsa_inst_pref_size 0
		.amdhsa_round_robin_scheduling 0
		.amdhsa_exception_fp_ieee_invalid_op 0
		.amdhsa_exception_fp_denorm_src 0
		.amdhsa_exception_fp_ieee_div_zero 0
		.amdhsa_exception_fp_ieee_overflow 0
		.amdhsa_exception_fp_ieee_underflow 0
		.amdhsa_exception_fp_ieee_inexact 0
		.amdhsa_exception_int_div_zero 0
	.end_amdhsa_kernel
	.section	.text._ZN7rocprim17ROCPRIM_400000_NS6detail17trampoline_kernelINS0_14default_configENS1_25partition_config_selectorILNS1_17partition_subalgoE5ElNS0_10empty_typeEbEEZZNS1_14partition_implILS5_5ELb0ES3_mN6hipcub16HIPCUB_304000_NS21CountingInputIteratorIllEEPS6_NSA_22TransformInputIteratorIbN2at6native12_GLOBAL__N_19NonZeroOpIbEEPKblEENS0_5tupleIJPlS6_EEENSN_IJSD_SD_EEES6_PiJS6_EEE10hipError_tPvRmT3_T4_T5_T6_T7_T9_mT8_P12ihipStream_tbDpT10_ENKUlT_T0_E_clISt17integral_constantIbLb0EES1B_EEDaS16_S17_EUlS16_E_NS1_11comp_targetILNS1_3genE9ELNS1_11target_archE1100ELNS1_3gpuE3ELNS1_3repE0EEENS1_30default_config_static_selectorELNS0_4arch9wavefront6targetE0EEEvT1_,"axG",@progbits,_ZN7rocprim17ROCPRIM_400000_NS6detail17trampoline_kernelINS0_14default_configENS1_25partition_config_selectorILNS1_17partition_subalgoE5ElNS0_10empty_typeEbEEZZNS1_14partition_implILS5_5ELb0ES3_mN6hipcub16HIPCUB_304000_NS21CountingInputIteratorIllEEPS6_NSA_22TransformInputIteratorIbN2at6native12_GLOBAL__N_19NonZeroOpIbEEPKblEENS0_5tupleIJPlS6_EEENSN_IJSD_SD_EEES6_PiJS6_EEE10hipError_tPvRmT3_T4_T5_T6_T7_T9_mT8_P12ihipStream_tbDpT10_ENKUlT_T0_E_clISt17integral_constantIbLb0EES1B_EEDaS16_S17_EUlS16_E_NS1_11comp_targetILNS1_3genE9ELNS1_11target_archE1100ELNS1_3gpuE3ELNS1_3repE0EEENS1_30default_config_static_selectorELNS0_4arch9wavefront6targetE0EEEvT1_,comdat
.Lfunc_end736:
	.size	_ZN7rocprim17ROCPRIM_400000_NS6detail17trampoline_kernelINS0_14default_configENS1_25partition_config_selectorILNS1_17partition_subalgoE5ElNS0_10empty_typeEbEEZZNS1_14partition_implILS5_5ELb0ES3_mN6hipcub16HIPCUB_304000_NS21CountingInputIteratorIllEEPS6_NSA_22TransformInputIteratorIbN2at6native12_GLOBAL__N_19NonZeroOpIbEEPKblEENS0_5tupleIJPlS6_EEENSN_IJSD_SD_EEES6_PiJS6_EEE10hipError_tPvRmT3_T4_T5_T6_T7_T9_mT8_P12ihipStream_tbDpT10_ENKUlT_T0_E_clISt17integral_constantIbLb0EES1B_EEDaS16_S17_EUlS16_E_NS1_11comp_targetILNS1_3genE9ELNS1_11target_archE1100ELNS1_3gpuE3ELNS1_3repE0EEENS1_30default_config_static_selectorELNS0_4arch9wavefront6targetE0EEEvT1_, .Lfunc_end736-_ZN7rocprim17ROCPRIM_400000_NS6detail17trampoline_kernelINS0_14default_configENS1_25partition_config_selectorILNS1_17partition_subalgoE5ElNS0_10empty_typeEbEEZZNS1_14partition_implILS5_5ELb0ES3_mN6hipcub16HIPCUB_304000_NS21CountingInputIteratorIllEEPS6_NSA_22TransformInputIteratorIbN2at6native12_GLOBAL__N_19NonZeroOpIbEEPKblEENS0_5tupleIJPlS6_EEENSN_IJSD_SD_EEES6_PiJS6_EEE10hipError_tPvRmT3_T4_T5_T6_T7_T9_mT8_P12ihipStream_tbDpT10_ENKUlT_T0_E_clISt17integral_constantIbLb0EES1B_EEDaS16_S17_EUlS16_E_NS1_11comp_targetILNS1_3genE9ELNS1_11target_archE1100ELNS1_3gpuE3ELNS1_3repE0EEENS1_30default_config_static_selectorELNS0_4arch9wavefront6targetE0EEEvT1_
                                        ; -- End function
	.set _ZN7rocprim17ROCPRIM_400000_NS6detail17trampoline_kernelINS0_14default_configENS1_25partition_config_selectorILNS1_17partition_subalgoE5ElNS0_10empty_typeEbEEZZNS1_14partition_implILS5_5ELb0ES3_mN6hipcub16HIPCUB_304000_NS21CountingInputIteratorIllEEPS6_NSA_22TransformInputIteratorIbN2at6native12_GLOBAL__N_19NonZeroOpIbEEPKblEENS0_5tupleIJPlS6_EEENSN_IJSD_SD_EEES6_PiJS6_EEE10hipError_tPvRmT3_T4_T5_T6_T7_T9_mT8_P12ihipStream_tbDpT10_ENKUlT_T0_E_clISt17integral_constantIbLb0EES1B_EEDaS16_S17_EUlS16_E_NS1_11comp_targetILNS1_3genE9ELNS1_11target_archE1100ELNS1_3gpuE3ELNS1_3repE0EEENS1_30default_config_static_selectorELNS0_4arch9wavefront6targetE0EEEvT1_.num_vgpr, 0
	.set _ZN7rocprim17ROCPRIM_400000_NS6detail17trampoline_kernelINS0_14default_configENS1_25partition_config_selectorILNS1_17partition_subalgoE5ElNS0_10empty_typeEbEEZZNS1_14partition_implILS5_5ELb0ES3_mN6hipcub16HIPCUB_304000_NS21CountingInputIteratorIllEEPS6_NSA_22TransformInputIteratorIbN2at6native12_GLOBAL__N_19NonZeroOpIbEEPKblEENS0_5tupleIJPlS6_EEENSN_IJSD_SD_EEES6_PiJS6_EEE10hipError_tPvRmT3_T4_T5_T6_T7_T9_mT8_P12ihipStream_tbDpT10_ENKUlT_T0_E_clISt17integral_constantIbLb0EES1B_EEDaS16_S17_EUlS16_E_NS1_11comp_targetILNS1_3genE9ELNS1_11target_archE1100ELNS1_3gpuE3ELNS1_3repE0EEENS1_30default_config_static_selectorELNS0_4arch9wavefront6targetE0EEEvT1_.num_agpr, 0
	.set _ZN7rocprim17ROCPRIM_400000_NS6detail17trampoline_kernelINS0_14default_configENS1_25partition_config_selectorILNS1_17partition_subalgoE5ElNS0_10empty_typeEbEEZZNS1_14partition_implILS5_5ELb0ES3_mN6hipcub16HIPCUB_304000_NS21CountingInputIteratorIllEEPS6_NSA_22TransformInputIteratorIbN2at6native12_GLOBAL__N_19NonZeroOpIbEEPKblEENS0_5tupleIJPlS6_EEENSN_IJSD_SD_EEES6_PiJS6_EEE10hipError_tPvRmT3_T4_T5_T6_T7_T9_mT8_P12ihipStream_tbDpT10_ENKUlT_T0_E_clISt17integral_constantIbLb0EES1B_EEDaS16_S17_EUlS16_E_NS1_11comp_targetILNS1_3genE9ELNS1_11target_archE1100ELNS1_3gpuE3ELNS1_3repE0EEENS1_30default_config_static_selectorELNS0_4arch9wavefront6targetE0EEEvT1_.numbered_sgpr, 0
	.set _ZN7rocprim17ROCPRIM_400000_NS6detail17trampoline_kernelINS0_14default_configENS1_25partition_config_selectorILNS1_17partition_subalgoE5ElNS0_10empty_typeEbEEZZNS1_14partition_implILS5_5ELb0ES3_mN6hipcub16HIPCUB_304000_NS21CountingInputIteratorIllEEPS6_NSA_22TransformInputIteratorIbN2at6native12_GLOBAL__N_19NonZeroOpIbEEPKblEENS0_5tupleIJPlS6_EEENSN_IJSD_SD_EEES6_PiJS6_EEE10hipError_tPvRmT3_T4_T5_T6_T7_T9_mT8_P12ihipStream_tbDpT10_ENKUlT_T0_E_clISt17integral_constantIbLb0EES1B_EEDaS16_S17_EUlS16_E_NS1_11comp_targetILNS1_3genE9ELNS1_11target_archE1100ELNS1_3gpuE3ELNS1_3repE0EEENS1_30default_config_static_selectorELNS0_4arch9wavefront6targetE0EEEvT1_.num_named_barrier, 0
	.set _ZN7rocprim17ROCPRIM_400000_NS6detail17trampoline_kernelINS0_14default_configENS1_25partition_config_selectorILNS1_17partition_subalgoE5ElNS0_10empty_typeEbEEZZNS1_14partition_implILS5_5ELb0ES3_mN6hipcub16HIPCUB_304000_NS21CountingInputIteratorIllEEPS6_NSA_22TransformInputIteratorIbN2at6native12_GLOBAL__N_19NonZeroOpIbEEPKblEENS0_5tupleIJPlS6_EEENSN_IJSD_SD_EEES6_PiJS6_EEE10hipError_tPvRmT3_T4_T5_T6_T7_T9_mT8_P12ihipStream_tbDpT10_ENKUlT_T0_E_clISt17integral_constantIbLb0EES1B_EEDaS16_S17_EUlS16_E_NS1_11comp_targetILNS1_3genE9ELNS1_11target_archE1100ELNS1_3gpuE3ELNS1_3repE0EEENS1_30default_config_static_selectorELNS0_4arch9wavefront6targetE0EEEvT1_.private_seg_size, 0
	.set _ZN7rocprim17ROCPRIM_400000_NS6detail17trampoline_kernelINS0_14default_configENS1_25partition_config_selectorILNS1_17partition_subalgoE5ElNS0_10empty_typeEbEEZZNS1_14partition_implILS5_5ELb0ES3_mN6hipcub16HIPCUB_304000_NS21CountingInputIteratorIllEEPS6_NSA_22TransformInputIteratorIbN2at6native12_GLOBAL__N_19NonZeroOpIbEEPKblEENS0_5tupleIJPlS6_EEENSN_IJSD_SD_EEES6_PiJS6_EEE10hipError_tPvRmT3_T4_T5_T6_T7_T9_mT8_P12ihipStream_tbDpT10_ENKUlT_T0_E_clISt17integral_constantIbLb0EES1B_EEDaS16_S17_EUlS16_E_NS1_11comp_targetILNS1_3genE9ELNS1_11target_archE1100ELNS1_3gpuE3ELNS1_3repE0EEENS1_30default_config_static_selectorELNS0_4arch9wavefront6targetE0EEEvT1_.uses_vcc, 0
	.set _ZN7rocprim17ROCPRIM_400000_NS6detail17trampoline_kernelINS0_14default_configENS1_25partition_config_selectorILNS1_17partition_subalgoE5ElNS0_10empty_typeEbEEZZNS1_14partition_implILS5_5ELb0ES3_mN6hipcub16HIPCUB_304000_NS21CountingInputIteratorIllEEPS6_NSA_22TransformInputIteratorIbN2at6native12_GLOBAL__N_19NonZeroOpIbEEPKblEENS0_5tupleIJPlS6_EEENSN_IJSD_SD_EEES6_PiJS6_EEE10hipError_tPvRmT3_T4_T5_T6_T7_T9_mT8_P12ihipStream_tbDpT10_ENKUlT_T0_E_clISt17integral_constantIbLb0EES1B_EEDaS16_S17_EUlS16_E_NS1_11comp_targetILNS1_3genE9ELNS1_11target_archE1100ELNS1_3gpuE3ELNS1_3repE0EEENS1_30default_config_static_selectorELNS0_4arch9wavefront6targetE0EEEvT1_.uses_flat_scratch, 0
	.set _ZN7rocprim17ROCPRIM_400000_NS6detail17trampoline_kernelINS0_14default_configENS1_25partition_config_selectorILNS1_17partition_subalgoE5ElNS0_10empty_typeEbEEZZNS1_14partition_implILS5_5ELb0ES3_mN6hipcub16HIPCUB_304000_NS21CountingInputIteratorIllEEPS6_NSA_22TransformInputIteratorIbN2at6native12_GLOBAL__N_19NonZeroOpIbEEPKblEENS0_5tupleIJPlS6_EEENSN_IJSD_SD_EEES6_PiJS6_EEE10hipError_tPvRmT3_T4_T5_T6_T7_T9_mT8_P12ihipStream_tbDpT10_ENKUlT_T0_E_clISt17integral_constantIbLb0EES1B_EEDaS16_S17_EUlS16_E_NS1_11comp_targetILNS1_3genE9ELNS1_11target_archE1100ELNS1_3gpuE3ELNS1_3repE0EEENS1_30default_config_static_selectorELNS0_4arch9wavefront6targetE0EEEvT1_.has_dyn_sized_stack, 0
	.set _ZN7rocprim17ROCPRIM_400000_NS6detail17trampoline_kernelINS0_14default_configENS1_25partition_config_selectorILNS1_17partition_subalgoE5ElNS0_10empty_typeEbEEZZNS1_14partition_implILS5_5ELb0ES3_mN6hipcub16HIPCUB_304000_NS21CountingInputIteratorIllEEPS6_NSA_22TransformInputIteratorIbN2at6native12_GLOBAL__N_19NonZeroOpIbEEPKblEENS0_5tupleIJPlS6_EEENSN_IJSD_SD_EEES6_PiJS6_EEE10hipError_tPvRmT3_T4_T5_T6_T7_T9_mT8_P12ihipStream_tbDpT10_ENKUlT_T0_E_clISt17integral_constantIbLb0EES1B_EEDaS16_S17_EUlS16_E_NS1_11comp_targetILNS1_3genE9ELNS1_11target_archE1100ELNS1_3gpuE3ELNS1_3repE0EEENS1_30default_config_static_selectorELNS0_4arch9wavefront6targetE0EEEvT1_.has_recursion, 0
	.set _ZN7rocprim17ROCPRIM_400000_NS6detail17trampoline_kernelINS0_14default_configENS1_25partition_config_selectorILNS1_17partition_subalgoE5ElNS0_10empty_typeEbEEZZNS1_14partition_implILS5_5ELb0ES3_mN6hipcub16HIPCUB_304000_NS21CountingInputIteratorIllEEPS6_NSA_22TransformInputIteratorIbN2at6native12_GLOBAL__N_19NonZeroOpIbEEPKblEENS0_5tupleIJPlS6_EEENSN_IJSD_SD_EEES6_PiJS6_EEE10hipError_tPvRmT3_T4_T5_T6_T7_T9_mT8_P12ihipStream_tbDpT10_ENKUlT_T0_E_clISt17integral_constantIbLb0EES1B_EEDaS16_S17_EUlS16_E_NS1_11comp_targetILNS1_3genE9ELNS1_11target_archE1100ELNS1_3gpuE3ELNS1_3repE0EEENS1_30default_config_static_selectorELNS0_4arch9wavefront6targetE0EEEvT1_.has_indirect_call, 0
	.section	.AMDGPU.csdata,"",@progbits
; Kernel info:
; codeLenInByte = 0
; TotalNumSgprs: 0
; NumVgprs: 0
; ScratchSize: 0
; MemoryBound: 0
; FloatMode: 240
; IeeeMode: 1
; LDSByteSize: 0 bytes/workgroup (compile time only)
; SGPRBlocks: 0
; VGPRBlocks: 0
; NumSGPRsForWavesPerEU: 1
; NumVGPRsForWavesPerEU: 1
; Occupancy: 16
; WaveLimiterHint : 0
; COMPUTE_PGM_RSRC2:SCRATCH_EN: 0
; COMPUTE_PGM_RSRC2:USER_SGPR: 2
; COMPUTE_PGM_RSRC2:TRAP_HANDLER: 0
; COMPUTE_PGM_RSRC2:TGID_X_EN: 1
; COMPUTE_PGM_RSRC2:TGID_Y_EN: 0
; COMPUTE_PGM_RSRC2:TGID_Z_EN: 0
; COMPUTE_PGM_RSRC2:TIDIG_COMP_CNT: 0
	.section	.text._ZN7rocprim17ROCPRIM_400000_NS6detail17trampoline_kernelINS0_14default_configENS1_25partition_config_selectorILNS1_17partition_subalgoE5ElNS0_10empty_typeEbEEZZNS1_14partition_implILS5_5ELb0ES3_mN6hipcub16HIPCUB_304000_NS21CountingInputIteratorIllEEPS6_NSA_22TransformInputIteratorIbN2at6native12_GLOBAL__N_19NonZeroOpIbEEPKblEENS0_5tupleIJPlS6_EEENSN_IJSD_SD_EEES6_PiJS6_EEE10hipError_tPvRmT3_T4_T5_T6_T7_T9_mT8_P12ihipStream_tbDpT10_ENKUlT_T0_E_clISt17integral_constantIbLb0EES1B_EEDaS16_S17_EUlS16_E_NS1_11comp_targetILNS1_3genE8ELNS1_11target_archE1030ELNS1_3gpuE2ELNS1_3repE0EEENS1_30default_config_static_selectorELNS0_4arch9wavefront6targetE0EEEvT1_,"axG",@progbits,_ZN7rocprim17ROCPRIM_400000_NS6detail17trampoline_kernelINS0_14default_configENS1_25partition_config_selectorILNS1_17partition_subalgoE5ElNS0_10empty_typeEbEEZZNS1_14partition_implILS5_5ELb0ES3_mN6hipcub16HIPCUB_304000_NS21CountingInputIteratorIllEEPS6_NSA_22TransformInputIteratorIbN2at6native12_GLOBAL__N_19NonZeroOpIbEEPKblEENS0_5tupleIJPlS6_EEENSN_IJSD_SD_EEES6_PiJS6_EEE10hipError_tPvRmT3_T4_T5_T6_T7_T9_mT8_P12ihipStream_tbDpT10_ENKUlT_T0_E_clISt17integral_constantIbLb0EES1B_EEDaS16_S17_EUlS16_E_NS1_11comp_targetILNS1_3genE8ELNS1_11target_archE1030ELNS1_3gpuE2ELNS1_3repE0EEENS1_30default_config_static_selectorELNS0_4arch9wavefront6targetE0EEEvT1_,comdat
	.globl	_ZN7rocprim17ROCPRIM_400000_NS6detail17trampoline_kernelINS0_14default_configENS1_25partition_config_selectorILNS1_17partition_subalgoE5ElNS0_10empty_typeEbEEZZNS1_14partition_implILS5_5ELb0ES3_mN6hipcub16HIPCUB_304000_NS21CountingInputIteratorIllEEPS6_NSA_22TransformInputIteratorIbN2at6native12_GLOBAL__N_19NonZeroOpIbEEPKblEENS0_5tupleIJPlS6_EEENSN_IJSD_SD_EEES6_PiJS6_EEE10hipError_tPvRmT3_T4_T5_T6_T7_T9_mT8_P12ihipStream_tbDpT10_ENKUlT_T0_E_clISt17integral_constantIbLb0EES1B_EEDaS16_S17_EUlS16_E_NS1_11comp_targetILNS1_3genE8ELNS1_11target_archE1030ELNS1_3gpuE2ELNS1_3repE0EEENS1_30default_config_static_selectorELNS0_4arch9wavefront6targetE0EEEvT1_ ; -- Begin function _ZN7rocprim17ROCPRIM_400000_NS6detail17trampoline_kernelINS0_14default_configENS1_25partition_config_selectorILNS1_17partition_subalgoE5ElNS0_10empty_typeEbEEZZNS1_14partition_implILS5_5ELb0ES3_mN6hipcub16HIPCUB_304000_NS21CountingInputIteratorIllEEPS6_NSA_22TransformInputIteratorIbN2at6native12_GLOBAL__N_19NonZeroOpIbEEPKblEENS0_5tupleIJPlS6_EEENSN_IJSD_SD_EEES6_PiJS6_EEE10hipError_tPvRmT3_T4_T5_T6_T7_T9_mT8_P12ihipStream_tbDpT10_ENKUlT_T0_E_clISt17integral_constantIbLb0EES1B_EEDaS16_S17_EUlS16_E_NS1_11comp_targetILNS1_3genE8ELNS1_11target_archE1030ELNS1_3gpuE2ELNS1_3repE0EEENS1_30default_config_static_selectorELNS0_4arch9wavefront6targetE0EEEvT1_
	.p2align	8
	.type	_ZN7rocprim17ROCPRIM_400000_NS6detail17trampoline_kernelINS0_14default_configENS1_25partition_config_selectorILNS1_17partition_subalgoE5ElNS0_10empty_typeEbEEZZNS1_14partition_implILS5_5ELb0ES3_mN6hipcub16HIPCUB_304000_NS21CountingInputIteratorIllEEPS6_NSA_22TransformInputIteratorIbN2at6native12_GLOBAL__N_19NonZeroOpIbEEPKblEENS0_5tupleIJPlS6_EEENSN_IJSD_SD_EEES6_PiJS6_EEE10hipError_tPvRmT3_T4_T5_T6_T7_T9_mT8_P12ihipStream_tbDpT10_ENKUlT_T0_E_clISt17integral_constantIbLb0EES1B_EEDaS16_S17_EUlS16_E_NS1_11comp_targetILNS1_3genE8ELNS1_11target_archE1030ELNS1_3gpuE2ELNS1_3repE0EEENS1_30default_config_static_selectorELNS0_4arch9wavefront6targetE0EEEvT1_,@function
_ZN7rocprim17ROCPRIM_400000_NS6detail17trampoline_kernelINS0_14default_configENS1_25partition_config_selectorILNS1_17partition_subalgoE5ElNS0_10empty_typeEbEEZZNS1_14partition_implILS5_5ELb0ES3_mN6hipcub16HIPCUB_304000_NS21CountingInputIteratorIllEEPS6_NSA_22TransformInputIteratorIbN2at6native12_GLOBAL__N_19NonZeroOpIbEEPKblEENS0_5tupleIJPlS6_EEENSN_IJSD_SD_EEES6_PiJS6_EEE10hipError_tPvRmT3_T4_T5_T6_T7_T9_mT8_P12ihipStream_tbDpT10_ENKUlT_T0_E_clISt17integral_constantIbLb0EES1B_EEDaS16_S17_EUlS16_E_NS1_11comp_targetILNS1_3genE8ELNS1_11target_archE1030ELNS1_3gpuE2ELNS1_3repE0EEENS1_30default_config_static_selectorELNS0_4arch9wavefront6targetE0EEEvT1_: ; @_ZN7rocprim17ROCPRIM_400000_NS6detail17trampoline_kernelINS0_14default_configENS1_25partition_config_selectorILNS1_17partition_subalgoE5ElNS0_10empty_typeEbEEZZNS1_14partition_implILS5_5ELb0ES3_mN6hipcub16HIPCUB_304000_NS21CountingInputIteratorIllEEPS6_NSA_22TransformInputIteratorIbN2at6native12_GLOBAL__N_19NonZeroOpIbEEPKblEENS0_5tupleIJPlS6_EEENSN_IJSD_SD_EEES6_PiJS6_EEE10hipError_tPvRmT3_T4_T5_T6_T7_T9_mT8_P12ihipStream_tbDpT10_ENKUlT_T0_E_clISt17integral_constantIbLb0EES1B_EEDaS16_S17_EUlS16_E_NS1_11comp_targetILNS1_3genE8ELNS1_11target_archE1030ELNS1_3gpuE2ELNS1_3repE0EEENS1_30default_config_static_selectorELNS0_4arch9wavefront6targetE0EEEvT1_
; %bb.0:
	.section	.rodata,"a",@progbits
	.p2align	6, 0x0
	.amdhsa_kernel _ZN7rocprim17ROCPRIM_400000_NS6detail17trampoline_kernelINS0_14default_configENS1_25partition_config_selectorILNS1_17partition_subalgoE5ElNS0_10empty_typeEbEEZZNS1_14partition_implILS5_5ELb0ES3_mN6hipcub16HIPCUB_304000_NS21CountingInputIteratorIllEEPS6_NSA_22TransformInputIteratorIbN2at6native12_GLOBAL__N_19NonZeroOpIbEEPKblEENS0_5tupleIJPlS6_EEENSN_IJSD_SD_EEES6_PiJS6_EEE10hipError_tPvRmT3_T4_T5_T6_T7_T9_mT8_P12ihipStream_tbDpT10_ENKUlT_T0_E_clISt17integral_constantIbLb0EES1B_EEDaS16_S17_EUlS16_E_NS1_11comp_targetILNS1_3genE8ELNS1_11target_archE1030ELNS1_3gpuE2ELNS1_3repE0EEENS1_30default_config_static_selectorELNS0_4arch9wavefront6targetE0EEEvT1_
		.amdhsa_group_segment_fixed_size 0
		.amdhsa_private_segment_fixed_size 0
		.amdhsa_kernarg_size 120
		.amdhsa_user_sgpr_count 2
		.amdhsa_user_sgpr_dispatch_ptr 0
		.amdhsa_user_sgpr_queue_ptr 0
		.amdhsa_user_sgpr_kernarg_segment_ptr 1
		.amdhsa_user_sgpr_dispatch_id 0
		.amdhsa_user_sgpr_private_segment_size 0
		.amdhsa_wavefront_size32 1
		.amdhsa_uses_dynamic_stack 0
		.amdhsa_enable_private_segment 0
		.amdhsa_system_sgpr_workgroup_id_x 1
		.amdhsa_system_sgpr_workgroup_id_y 0
		.amdhsa_system_sgpr_workgroup_id_z 0
		.amdhsa_system_sgpr_workgroup_info 0
		.amdhsa_system_vgpr_workitem_id 0
		.amdhsa_next_free_vgpr 1
		.amdhsa_next_free_sgpr 1
		.amdhsa_reserve_vcc 0
		.amdhsa_float_round_mode_32 0
		.amdhsa_float_round_mode_16_64 0
		.amdhsa_float_denorm_mode_32 3
		.amdhsa_float_denorm_mode_16_64 3
		.amdhsa_fp16_overflow 0
		.amdhsa_workgroup_processor_mode 1
		.amdhsa_memory_ordered 1
		.amdhsa_forward_progress 1
		.amdhsa_inst_pref_size 0
		.amdhsa_round_robin_scheduling 0
		.amdhsa_exception_fp_ieee_invalid_op 0
		.amdhsa_exception_fp_denorm_src 0
		.amdhsa_exception_fp_ieee_div_zero 0
		.amdhsa_exception_fp_ieee_overflow 0
		.amdhsa_exception_fp_ieee_underflow 0
		.amdhsa_exception_fp_ieee_inexact 0
		.amdhsa_exception_int_div_zero 0
	.end_amdhsa_kernel
	.section	.text._ZN7rocprim17ROCPRIM_400000_NS6detail17trampoline_kernelINS0_14default_configENS1_25partition_config_selectorILNS1_17partition_subalgoE5ElNS0_10empty_typeEbEEZZNS1_14partition_implILS5_5ELb0ES3_mN6hipcub16HIPCUB_304000_NS21CountingInputIteratorIllEEPS6_NSA_22TransformInputIteratorIbN2at6native12_GLOBAL__N_19NonZeroOpIbEEPKblEENS0_5tupleIJPlS6_EEENSN_IJSD_SD_EEES6_PiJS6_EEE10hipError_tPvRmT3_T4_T5_T6_T7_T9_mT8_P12ihipStream_tbDpT10_ENKUlT_T0_E_clISt17integral_constantIbLb0EES1B_EEDaS16_S17_EUlS16_E_NS1_11comp_targetILNS1_3genE8ELNS1_11target_archE1030ELNS1_3gpuE2ELNS1_3repE0EEENS1_30default_config_static_selectorELNS0_4arch9wavefront6targetE0EEEvT1_,"axG",@progbits,_ZN7rocprim17ROCPRIM_400000_NS6detail17trampoline_kernelINS0_14default_configENS1_25partition_config_selectorILNS1_17partition_subalgoE5ElNS0_10empty_typeEbEEZZNS1_14partition_implILS5_5ELb0ES3_mN6hipcub16HIPCUB_304000_NS21CountingInputIteratorIllEEPS6_NSA_22TransformInputIteratorIbN2at6native12_GLOBAL__N_19NonZeroOpIbEEPKblEENS0_5tupleIJPlS6_EEENSN_IJSD_SD_EEES6_PiJS6_EEE10hipError_tPvRmT3_T4_T5_T6_T7_T9_mT8_P12ihipStream_tbDpT10_ENKUlT_T0_E_clISt17integral_constantIbLb0EES1B_EEDaS16_S17_EUlS16_E_NS1_11comp_targetILNS1_3genE8ELNS1_11target_archE1030ELNS1_3gpuE2ELNS1_3repE0EEENS1_30default_config_static_selectorELNS0_4arch9wavefront6targetE0EEEvT1_,comdat
.Lfunc_end737:
	.size	_ZN7rocprim17ROCPRIM_400000_NS6detail17trampoline_kernelINS0_14default_configENS1_25partition_config_selectorILNS1_17partition_subalgoE5ElNS0_10empty_typeEbEEZZNS1_14partition_implILS5_5ELb0ES3_mN6hipcub16HIPCUB_304000_NS21CountingInputIteratorIllEEPS6_NSA_22TransformInputIteratorIbN2at6native12_GLOBAL__N_19NonZeroOpIbEEPKblEENS0_5tupleIJPlS6_EEENSN_IJSD_SD_EEES6_PiJS6_EEE10hipError_tPvRmT3_T4_T5_T6_T7_T9_mT8_P12ihipStream_tbDpT10_ENKUlT_T0_E_clISt17integral_constantIbLb0EES1B_EEDaS16_S17_EUlS16_E_NS1_11comp_targetILNS1_3genE8ELNS1_11target_archE1030ELNS1_3gpuE2ELNS1_3repE0EEENS1_30default_config_static_selectorELNS0_4arch9wavefront6targetE0EEEvT1_, .Lfunc_end737-_ZN7rocprim17ROCPRIM_400000_NS6detail17trampoline_kernelINS0_14default_configENS1_25partition_config_selectorILNS1_17partition_subalgoE5ElNS0_10empty_typeEbEEZZNS1_14partition_implILS5_5ELb0ES3_mN6hipcub16HIPCUB_304000_NS21CountingInputIteratorIllEEPS6_NSA_22TransformInputIteratorIbN2at6native12_GLOBAL__N_19NonZeroOpIbEEPKblEENS0_5tupleIJPlS6_EEENSN_IJSD_SD_EEES6_PiJS6_EEE10hipError_tPvRmT3_T4_T5_T6_T7_T9_mT8_P12ihipStream_tbDpT10_ENKUlT_T0_E_clISt17integral_constantIbLb0EES1B_EEDaS16_S17_EUlS16_E_NS1_11comp_targetILNS1_3genE8ELNS1_11target_archE1030ELNS1_3gpuE2ELNS1_3repE0EEENS1_30default_config_static_selectorELNS0_4arch9wavefront6targetE0EEEvT1_
                                        ; -- End function
	.set _ZN7rocprim17ROCPRIM_400000_NS6detail17trampoline_kernelINS0_14default_configENS1_25partition_config_selectorILNS1_17partition_subalgoE5ElNS0_10empty_typeEbEEZZNS1_14partition_implILS5_5ELb0ES3_mN6hipcub16HIPCUB_304000_NS21CountingInputIteratorIllEEPS6_NSA_22TransformInputIteratorIbN2at6native12_GLOBAL__N_19NonZeroOpIbEEPKblEENS0_5tupleIJPlS6_EEENSN_IJSD_SD_EEES6_PiJS6_EEE10hipError_tPvRmT3_T4_T5_T6_T7_T9_mT8_P12ihipStream_tbDpT10_ENKUlT_T0_E_clISt17integral_constantIbLb0EES1B_EEDaS16_S17_EUlS16_E_NS1_11comp_targetILNS1_3genE8ELNS1_11target_archE1030ELNS1_3gpuE2ELNS1_3repE0EEENS1_30default_config_static_selectorELNS0_4arch9wavefront6targetE0EEEvT1_.num_vgpr, 0
	.set _ZN7rocprim17ROCPRIM_400000_NS6detail17trampoline_kernelINS0_14default_configENS1_25partition_config_selectorILNS1_17partition_subalgoE5ElNS0_10empty_typeEbEEZZNS1_14partition_implILS5_5ELb0ES3_mN6hipcub16HIPCUB_304000_NS21CountingInputIteratorIllEEPS6_NSA_22TransformInputIteratorIbN2at6native12_GLOBAL__N_19NonZeroOpIbEEPKblEENS0_5tupleIJPlS6_EEENSN_IJSD_SD_EEES6_PiJS6_EEE10hipError_tPvRmT3_T4_T5_T6_T7_T9_mT8_P12ihipStream_tbDpT10_ENKUlT_T0_E_clISt17integral_constantIbLb0EES1B_EEDaS16_S17_EUlS16_E_NS1_11comp_targetILNS1_3genE8ELNS1_11target_archE1030ELNS1_3gpuE2ELNS1_3repE0EEENS1_30default_config_static_selectorELNS0_4arch9wavefront6targetE0EEEvT1_.num_agpr, 0
	.set _ZN7rocprim17ROCPRIM_400000_NS6detail17trampoline_kernelINS0_14default_configENS1_25partition_config_selectorILNS1_17partition_subalgoE5ElNS0_10empty_typeEbEEZZNS1_14partition_implILS5_5ELb0ES3_mN6hipcub16HIPCUB_304000_NS21CountingInputIteratorIllEEPS6_NSA_22TransformInputIteratorIbN2at6native12_GLOBAL__N_19NonZeroOpIbEEPKblEENS0_5tupleIJPlS6_EEENSN_IJSD_SD_EEES6_PiJS6_EEE10hipError_tPvRmT3_T4_T5_T6_T7_T9_mT8_P12ihipStream_tbDpT10_ENKUlT_T0_E_clISt17integral_constantIbLb0EES1B_EEDaS16_S17_EUlS16_E_NS1_11comp_targetILNS1_3genE8ELNS1_11target_archE1030ELNS1_3gpuE2ELNS1_3repE0EEENS1_30default_config_static_selectorELNS0_4arch9wavefront6targetE0EEEvT1_.numbered_sgpr, 0
	.set _ZN7rocprim17ROCPRIM_400000_NS6detail17trampoline_kernelINS0_14default_configENS1_25partition_config_selectorILNS1_17partition_subalgoE5ElNS0_10empty_typeEbEEZZNS1_14partition_implILS5_5ELb0ES3_mN6hipcub16HIPCUB_304000_NS21CountingInputIteratorIllEEPS6_NSA_22TransformInputIteratorIbN2at6native12_GLOBAL__N_19NonZeroOpIbEEPKblEENS0_5tupleIJPlS6_EEENSN_IJSD_SD_EEES6_PiJS6_EEE10hipError_tPvRmT3_T4_T5_T6_T7_T9_mT8_P12ihipStream_tbDpT10_ENKUlT_T0_E_clISt17integral_constantIbLb0EES1B_EEDaS16_S17_EUlS16_E_NS1_11comp_targetILNS1_3genE8ELNS1_11target_archE1030ELNS1_3gpuE2ELNS1_3repE0EEENS1_30default_config_static_selectorELNS0_4arch9wavefront6targetE0EEEvT1_.num_named_barrier, 0
	.set _ZN7rocprim17ROCPRIM_400000_NS6detail17trampoline_kernelINS0_14default_configENS1_25partition_config_selectorILNS1_17partition_subalgoE5ElNS0_10empty_typeEbEEZZNS1_14partition_implILS5_5ELb0ES3_mN6hipcub16HIPCUB_304000_NS21CountingInputIteratorIllEEPS6_NSA_22TransformInputIteratorIbN2at6native12_GLOBAL__N_19NonZeroOpIbEEPKblEENS0_5tupleIJPlS6_EEENSN_IJSD_SD_EEES6_PiJS6_EEE10hipError_tPvRmT3_T4_T5_T6_T7_T9_mT8_P12ihipStream_tbDpT10_ENKUlT_T0_E_clISt17integral_constantIbLb0EES1B_EEDaS16_S17_EUlS16_E_NS1_11comp_targetILNS1_3genE8ELNS1_11target_archE1030ELNS1_3gpuE2ELNS1_3repE0EEENS1_30default_config_static_selectorELNS0_4arch9wavefront6targetE0EEEvT1_.private_seg_size, 0
	.set _ZN7rocprim17ROCPRIM_400000_NS6detail17trampoline_kernelINS0_14default_configENS1_25partition_config_selectorILNS1_17partition_subalgoE5ElNS0_10empty_typeEbEEZZNS1_14partition_implILS5_5ELb0ES3_mN6hipcub16HIPCUB_304000_NS21CountingInputIteratorIllEEPS6_NSA_22TransformInputIteratorIbN2at6native12_GLOBAL__N_19NonZeroOpIbEEPKblEENS0_5tupleIJPlS6_EEENSN_IJSD_SD_EEES6_PiJS6_EEE10hipError_tPvRmT3_T4_T5_T6_T7_T9_mT8_P12ihipStream_tbDpT10_ENKUlT_T0_E_clISt17integral_constantIbLb0EES1B_EEDaS16_S17_EUlS16_E_NS1_11comp_targetILNS1_3genE8ELNS1_11target_archE1030ELNS1_3gpuE2ELNS1_3repE0EEENS1_30default_config_static_selectorELNS0_4arch9wavefront6targetE0EEEvT1_.uses_vcc, 0
	.set _ZN7rocprim17ROCPRIM_400000_NS6detail17trampoline_kernelINS0_14default_configENS1_25partition_config_selectorILNS1_17partition_subalgoE5ElNS0_10empty_typeEbEEZZNS1_14partition_implILS5_5ELb0ES3_mN6hipcub16HIPCUB_304000_NS21CountingInputIteratorIllEEPS6_NSA_22TransformInputIteratorIbN2at6native12_GLOBAL__N_19NonZeroOpIbEEPKblEENS0_5tupleIJPlS6_EEENSN_IJSD_SD_EEES6_PiJS6_EEE10hipError_tPvRmT3_T4_T5_T6_T7_T9_mT8_P12ihipStream_tbDpT10_ENKUlT_T0_E_clISt17integral_constantIbLb0EES1B_EEDaS16_S17_EUlS16_E_NS1_11comp_targetILNS1_3genE8ELNS1_11target_archE1030ELNS1_3gpuE2ELNS1_3repE0EEENS1_30default_config_static_selectorELNS0_4arch9wavefront6targetE0EEEvT1_.uses_flat_scratch, 0
	.set _ZN7rocprim17ROCPRIM_400000_NS6detail17trampoline_kernelINS0_14default_configENS1_25partition_config_selectorILNS1_17partition_subalgoE5ElNS0_10empty_typeEbEEZZNS1_14partition_implILS5_5ELb0ES3_mN6hipcub16HIPCUB_304000_NS21CountingInputIteratorIllEEPS6_NSA_22TransformInputIteratorIbN2at6native12_GLOBAL__N_19NonZeroOpIbEEPKblEENS0_5tupleIJPlS6_EEENSN_IJSD_SD_EEES6_PiJS6_EEE10hipError_tPvRmT3_T4_T5_T6_T7_T9_mT8_P12ihipStream_tbDpT10_ENKUlT_T0_E_clISt17integral_constantIbLb0EES1B_EEDaS16_S17_EUlS16_E_NS1_11comp_targetILNS1_3genE8ELNS1_11target_archE1030ELNS1_3gpuE2ELNS1_3repE0EEENS1_30default_config_static_selectorELNS0_4arch9wavefront6targetE0EEEvT1_.has_dyn_sized_stack, 0
	.set _ZN7rocprim17ROCPRIM_400000_NS6detail17trampoline_kernelINS0_14default_configENS1_25partition_config_selectorILNS1_17partition_subalgoE5ElNS0_10empty_typeEbEEZZNS1_14partition_implILS5_5ELb0ES3_mN6hipcub16HIPCUB_304000_NS21CountingInputIteratorIllEEPS6_NSA_22TransformInputIteratorIbN2at6native12_GLOBAL__N_19NonZeroOpIbEEPKblEENS0_5tupleIJPlS6_EEENSN_IJSD_SD_EEES6_PiJS6_EEE10hipError_tPvRmT3_T4_T5_T6_T7_T9_mT8_P12ihipStream_tbDpT10_ENKUlT_T0_E_clISt17integral_constantIbLb0EES1B_EEDaS16_S17_EUlS16_E_NS1_11comp_targetILNS1_3genE8ELNS1_11target_archE1030ELNS1_3gpuE2ELNS1_3repE0EEENS1_30default_config_static_selectorELNS0_4arch9wavefront6targetE0EEEvT1_.has_recursion, 0
	.set _ZN7rocprim17ROCPRIM_400000_NS6detail17trampoline_kernelINS0_14default_configENS1_25partition_config_selectorILNS1_17partition_subalgoE5ElNS0_10empty_typeEbEEZZNS1_14partition_implILS5_5ELb0ES3_mN6hipcub16HIPCUB_304000_NS21CountingInputIteratorIllEEPS6_NSA_22TransformInputIteratorIbN2at6native12_GLOBAL__N_19NonZeroOpIbEEPKblEENS0_5tupleIJPlS6_EEENSN_IJSD_SD_EEES6_PiJS6_EEE10hipError_tPvRmT3_T4_T5_T6_T7_T9_mT8_P12ihipStream_tbDpT10_ENKUlT_T0_E_clISt17integral_constantIbLb0EES1B_EEDaS16_S17_EUlS16_E_NS1_11comp_targetILNS1_3genE8ELNS1_11target_archE1030ELNS1_3gpuE2ELNS1_3repE0EEENS1_30default_config_static_selectorELNS0_4arch9wavefront6targetE0EEEvT1_.has_indirect_call, 0
	.section	.AMDGPU.csdata,"",@progbits
; Kernel info:
; codeLenInByte = 0
; TotalNumSgprs: 0
; NumVgprs: 0
; ScratchSize: 0
; MemoryBound: 0
; FloatMode: 240
; IeeeMode: 1
; LDSByteSize: 0 bytes/workgroup (compile time only)
; SGPRBlocks: 0
; VGPRBlocks: 0
; NumSGPRsForWavesPerEU: 1
; NumVGPRsForWavesPerEU: 1
; Occupancy: 16
; WaveLimiterHint : 0
; COMPUTE_PGM_RSRC2:SCRATCH_EN: 0
; COMPUTE_PGM_RSRC2:USER_SGPR: 2
; COMPUTE_PGM_RSRC2:TRAP_HANDLER: 0
; COMPUTE_PGM_RSRC2:TGID_X_EN: 1
; COMPUTE_PGM_RSRC2:TGID_Y_EN: 0
; COMPUTE_PGM_RSRC2:TGID_Z_EN: 0
; COMPUTE_PGM_RSRC2:TIDIG_COMP_CNT: 0
	.section	.text._ZN7rocprim17ROCPRIM_400000_NS6detail17trampoline_kernelINS0_14default_configENS1_25partition_config_selectorILNS1_17partition_subalgoE5ElNS0_10empty_typeEbEEZZNS1_14partition_implILS5_5ELb0ES3_mN6hipcub16HIPCUB_304000_NS21CountingInputIteratorIllEEPS6_NSA_22TransformInputIteratorIbN2at6native12_GLOBAL__N_19NonZeroOpIbEEPKblEENS0_5tupleIJPlS6_EEENSN_IJSD_SD_EEES6_PiJS6_EEE10hipError_tPvRmT3_T4_T5_T6_T7_T9_mT8_P12ihipStream_tbDpT10_ENKUlT_T0_E_clISt17integral_constantIbLb1EES1B_EEDaS16_S17_EUlS16_E_NS1_11comp_targetILNS1_3genE0ELNS1_11target_archE4294967295ELNS1_3gpuE0ELNS1_3repE0EEENS1_30default_config_static_selectorELNS0_4arch9wavefront6targetE0EEEvT1_,"axG",@progbits,_ZN7rocprim17ROCPRIM_400000_NS6detail17trampoline_kernelINS0_14default_configENS1_25partition_config_selectorILNS1_17partition_subalgoE5ElNS0_10empty_typeEbEEZZNS1_14partition_implILS5_5ELb0ES3_mN6hipcub16HIPCUB_304000_NS21CountingInputIteratorIllEEPS6_NSA_22TransformInputIteratorIbN2at6native12_GLOBAL__N_19NonZeroOpIbEEPKblEENS0_5tupleIJPlS6_EEENSN_IJSD_SD_EEES6_PiJS6_EEE10hipError_tPvRmT3_T4_T5_T6_T7_T9_mT8_P12ihipStream_tbDpT10_ENKUlT_T0_E_clISt17integral_constantIbLb1EES1B_EEDaS16_S17_EUlS16_E_NS1_11comp_targetILNS1_3genE0ELNS1_11target_archE4294967295ELNS1_3gpuE0ELNS1_3repE0EEENS1_30default_config_static_selectorELNS0_4arch9wavefront6targetE0EEEvT1_,comdat
	.globl	_ZN7rocprim17ROCPRIM_400000_NS6detail17trampoline_kernelINS0_14default_configENS1_25partition_config_selectorILNS1_17partition_subalgoE5ElNS0_10empty_typeEbEEZZNS1_14partition_implILS5_5ELb0ES3_mN6hipcub16HIPCUB_304000_NS21CountingInputIteratorIllEEPS6_NSA_22TransformInputIteratorIbN2at6native12_GLOBAL__N_19NonZeroOpIbEEPKblEENS0_5tupleIJPlS6_EEENSN_IJSD_SD_EEES6_PiJS6_EEE10hipError_tPvRmT3_T4_T5_T6_T7_T9_mT8_P12ihipStream_tbDpT10_ENKUlT_T0_E_clISt17integral_constantIbLb1EES1B_EEDaS16_S17_EUlS16_E_NS1_11comp_targetILNS1_3genE0ELNS1_11target_archE4294967295ELNS1_3gpuE0ELNS1_3repE0EEENS1_30default_config_static_selectorELNS0_4arch9wavefront6targetE0EEEvT1_ ; -- Begin function _ZN7rocprim17ROCPRIM_400000_NS6detail17trampoline_kernelINS0_14default_configENS1_25partition_config_selectorILNS1_17partition_subalgoE5ElNS0_10empty_typeEbEEZZNS1_14partition_implILS5_5ELb0ES3_mN6hipcub16HIPCUB_304000_NS21CountingInputIteratorIllEEPS6_NSA_22TransformInputIteratorIbN2at6native12_GLOBAL__N_19NonZeroOpIbEEPKblEENS0_5tupleIJPlS6_EEENSN_IJSD_SD_EEES6_PiJS6_EEE10hipError_tPvRmT3_T4_T5_T6_T7_T9_mT8_P12ihipStream_tbDpT10_ENKUlT_T0_E_clISt17integral_constantIbLb1EES1B_EEDaS16_S17_EUlS16_E_NS1_11comp_targetILNS1_3genE0ELNS1_11target_archE4294967295ELNS1_3gpuE0ELNS1_3repE0EEENS1_30default_config_static_selectorELNS0_4arch9wavefront6targetE0EEEvT1_
	.p2align	8
	.type	_ZN7rocprim17ROCPRIM_400000_NS6detail17trampoline_kernelINS0_14default_configENS1_25partition_config_selectorILNS1_17partition_subalgoE5ElNS0_10empty_typeEbEEZZNS1_14partition_implILS5_5ELb0ES3_mN6hipcub16HIPCUB_304000_NS21CountingInputIteratorIllEEPS6_NSA_22TransformInputIteratorIbN2at6native12_GLOBAL__N_19NonZeroOpIbEEPKblEENS0_5tupleIJPlS6_EEENSN_IJSD_SD_EEES6_PiJS6_EEE10hipError_tPvRmT3_T4_T5_T6_T7_T9_mT8_P12ihipStream_tbDpT10_ENKUlT_T0_E_clISt17integral_constantIbLb1EES1B_EEDaS16_S17_EUlS16_E_NS1_11comp_targetILNS1_3genE0ELNS1_11target_archE4294967295ELNS1_3gpuE0ELNS1_3repE0EEENS1_30default_config_static_selectorELNS0_4arch9wavefront6targetE0EEEvT1_,@function
_ZN7rocprim17ROCPRIM_400000_NS6detail17trampoline_kernelINS0_14default_configENS1_25partition_config_selectorILNS1_17partition_subalgoE5ElNS0_10empty_typeEbEEZZNS1_14partition_implILS5_5ELb0ES3_mN6hipcub16HIPCUB_304000_NS21CountingInputIteratorIllEEPS6_NSA_22TransformInputIteratorIbN2at6native12_GLOBAL__N_19NonZeroOpIbEEPKblEENS0_5tupleIJPlS6_EEENSN_IJSD_SD_EEES6_PiJS6_EEE10hipError_tPvRmT3_T4_T5_T6_T7_T9_mT8_P12ihipStream_tbDpT10_ENKUlT_T0_E_clISt17integral_constantIbLb1EES1B_EEDaS16_S17_EUlS16_E_NS1_11comp_targetILNS1_3genE0ELNS1_11target_archE4294967295ELNS1_3gpuE0ELNS1_3repE0EEENS1_30default_config_static_selectorELNS0_4arch9wavefront6targetE0EEEvT1_: ; @_ZN7rocprim17ROCPRIM_400000_NS6detail17trampoline_kernelINS0_14default_configENS1_25partition_config_selectorILNS1_17partition_subalgoE5ElNS0_10empty_typeEbEEZZNS1_14partition_implILS5_5ELb0ES3_mN6hipcub16HIPCUB_304000_NS21CountingInputIteratorIllEEPS6_NSA_22TransformInputIteratorIbN2at6native12_GLOBAL__N_19NonZeroOpIbEEPKblEENS0_5tupleIJPlS6_EEENSN_IJSD_SD_EEES6_PiJS6_EEE10hipError_tPvRmT3_T4_T5_T6_T7_T9_mT8_P12ihipStream_tbDpT10_ENKUlT_T0_E_clISt17integral_constantIbLb1EES1B_EEDaS16_S17_EUlS16_E_NS1_11comp_targetILNS1_3genE0ELNS1_11target_archE4294967295ELNS1_3gpuE0ELNS1_3repE0EEENS1_30default_config_static_selectorELNS0_4arch9wavefront6targetE0EEEvT1_
; %bb.0:
	.section	.rodata,"a",@progbits
	.p2align	6, 0x0
	.amdhsa_kernel _ZN7rocprim17ROCPRIM_400000_NS6detail17trampoline_kernelINS0_14default_configENS1_25partition_config_selectorILNS1_17partition_subalgoE5ElNS0_10empty_typeEbEEZZNS1_14partition_implILS5_5ELb0ES3_mN6hipcub16HIPCUB_304000_NS21CountingInputIteratorIllEEPS6_NSA_22TransformInputIteratorIbN2at6native12_GLOBAL__N_19NonZeroOpIbEEPKblEENS0_5tupleIJPlS6_EEENSN_IJSD_SD_EEES6_PiJS6_EEE10hipError_tPvRmT3_T4_T5_T6_T7_T9_mT8_P12ihipStream_tbDpT10_ENKUlT_T0_E_clISt17integral_constantIbLb1EES1B_EEDaS16_S17_EUlS16_E_NS1_11comp_targetILNS1_3genE0ELNS1_11target_archE4294967295ELNS1_3gpuE0ELNS1_3repE0EEENS1_30default_config_static_selectorELNS0_4arch9wavefront6targetE0EEEvT1_
		.amdhsa_group_segment_fixed_size 0
		.amdhsa_private_segment_fixed_size 0
		.amdhsa_kernarg_size 136
		.amdhsa_user_sgpr_count 2
		.amdhsa_user_sgpr_dispatch_ptr 0
		.amdhsa_user_sgpr_queue_ptr 0
		.amdhsa_user_sgpr_kernarg_segment_ptr 1
		.amdhsa_user_sgpr_dispatch_id 0
		.amdhsa_user_sgpr_private_segment_size 0
		.amdhsa_wavefront_size32 1
		.amdhsa_uses_dynamic_stack 0
		.amdhsa_enable_private_segment 0
		.amdhsa_system_sgpr_workgroup_id_x 1
		.amdhsa_system_sgpr_workgroup_id_y 0
		.amdhsa_system_sgpr_workgroup_id_z 0
		.amdhsa_system_sgpr_workgroup_info 0
		.amdhsa_system_vgpr_workitem_id 0
		.amdhsa_next_free_vgpr 1
		.amdhsa_next_free_sgpr 1
		.amdhsa_reserve_vcc 0
		.amdhsa_float_round_mode_32 0
		.amdhsa_float_round_mode_16_64 0
		.amdhsa_float_denorm_mode_32 3
		.amdhsa_float_denorm_mode_16_64 3
		.amdhsa_fp16_overflow 0
		.amdhsa_workgroup_processor_mode 1
		.amdhsa_memory_ordered 1
		.amdhsa_forward_progress 1
		.amdhsa_inst_pref_size 0
		.amdhsa_round_robin_scheduling 0
		.amdhsa_exception_fp_ieee_invalid_op 0
		.amdhsa_exception_fp_denorm_src 0
		.amdhsa_exception_fp_ieee_div_zero 0
		.amdhsa_exception_fp_ieee_overflow 0
		.amdhsa_exception_fp_ieee_underflow 0
		.amdhsa_exception_fp_ieee_inexact 0
		.amdhsa_exception_int_div_zero 0
	.end_amdhsa_kernel
	.section	.text._ZN7rocprim17ROCPRIM_400000_NS6detail17trampoline_kernelINS0_14default_configENS1_25partition_config_selectorILNS1_17partition_subalgoE5ElNS0_10empty_typeEbEEZZNS1_14partition_implILS5_5ELb0ES3_mN6hipcub16HIPCUB_304000_NS21CountingInputIteratorIllEEPS6_NSA_22TransformInputIteratorIbN2at6native12_GLOBAL__N_19NonZeroOpIbEEPKblEENS0_5tupleIJPlS6_EEENSN_IJSD_SD_EEES6_PiJS6_EEE10hipError_tPvRmT3_T4_T5_T6_T7_T9_mT8_P12ihipStream_tbDpT10_ENKUlT_T0_E_clISt17integral_constantIbLb1EES1B_EEDaS16_S17_EUlS16_E_NS1_11comp_targetILNS1_3genE0ELNS1_11target_archE4294967295ELNS1_3gpuE0ELNS1_3repE0EEENS1_30default_config_static_selectorELNS0_4arch9wavefront6targetE0EEEvT1_,"axG",@progbits,_ZN7rocprim17ROCPRIM_400000_NS6detail17trampoline_kernelINS0_14default_configENS1_25partition_config_selectorILNS1_17partition_subalgoE5ElNS0_10empty_typeEbEEZZNS1_14partition_implILS5_5ELb0ES3_mN6hipcub16HIPCUB_304000_NS21CountingInputIteratorIllEEPS6_NSA_22TransformInputIteratorIbN2at6native12_GLOBAL__N_19NonZeroOpIbEEPKblEENS0_5tupleIJPlS6_EEENSN_IJSD_SD_EEES6_PiJS6_EEE10hipError_tPvRmT3_T4_T5_T6_T7_T9_mT8_P12ihipStream_tbDpT10_ENKUlT_T0_E_clISt17integral_constantIbLb1EES1B_EEDaS16_S17_EUlS16_E_NS1_11comp_targetILNS1_3genE0ELNS1_11target_archE4294967295ELNS1_3gpuE0ELNS1_3repE0EEENS1_30default_config_static_selectorELNS0_4arch9wavefront6targetE0EEEvT1_,comdat
.Lfunc_end738:
	.size	_ZN7rocprim17ROCPRIM_400000_NS6detail17trampoline_kernelINS0_14default_configENS1_25partition_config_selectorILNS1_17partition_subalgoE5ElNS0_10empty_typeEbEEZZNS1_14partition_implILS5_5ELb0ES3_mN6hipcub16HIPCUB_304000_NS21CountingInputIteratorIllEEPS6_NSA_22TransformInputIteratorIbN2at6native12_GLOBAL__N_19NonZeroOpIbEEPKblEENS0_5tupleIJPlS6_EEENSN_IJSD_SD_EEES6_PiJS6_EEE10hipError_tPvRmT3_T4_T5_T6_T7_T9_mT8_P12ihipStream_tbDpT10_ENKUlT_T0_E_clISt17integral_constantIbLb1EES1B_EEDaS16_S17_EUlS16_E_NS1_11comp_targetILNS1_3genE0ELNS1_11target_archE4294967295ELNS1_3gpuE0ELNS1_3repE0EEENS1_30default_config_static_selectorELNS0_4arch9wavefront6targetE0EEEvT1_, .Lfunc_end738-_ZN7rocprim17ROCPRIM_400000_NS6detail17trampoline_kernelINS0_14default_configENS1_25partition_config_selectorILNS1_17partition_subalgoE5ElNS0_10empty_typeEbEEZZNS1_14partition_implILS5_5ELb0ES3_mN6hipcub16HIPCUB_304000_NS21CountingInputIteratorIllEEPS6_NSA_22TransformInputIteratorIbN2at6native12_GLOBAL__N_19NonZeroOpIbEEPKblEENS0_5tupleIJPlS6_EEENSN_IJSD_SD_EEES6_PiJS6_EEE10hipError_tPvRmT3_T4_T5_T6_T7_T9_mT8_P12ihipStream_tbDpT10_ENKUlT_T0_E_clISt17integral_constantIbLb1EES1B_EEDaS16_S17_EUlS16_E_NS1_11comp_targetILNS1_3genE0ELNS1_11target_archE4294967295ELNS1_3gpuE0ELNS1_3repE0EEENS1_30default_config_static_selectorELNS0_4arch9wavefront6targetE0EEEvT1_
                                        ; -- End function
	.set _ZN7rocprim17ROCPRIM_400000_NS6detail17trampoline_kernelINS0_14default_configENS1_25partition_config_selectorILNS1_17partition_subalgoE5ElNS0_10empty_typeEbEEZZNS1_14partition_implILS5_5ELb0ES3_mN6hipcub16HIPCUB_304000_NS21CountingInputIteratorIllEEPS6_NSA_22TransformInputIteratorIbN2at6native12_GLOBAL__N_19NonZeroOpIbEEPKblEENS0_5tupleIJPlS6_EEENSN_IJSD_SD_EEES6_PiJS6_EEE10hipError_tPvRmT3_T4_T5_T6_T7_T9_mT8_P12ihipStream_tbDpT10_ENKUlT_T0_E_clISt17integral_constantIbLb1EES1B_EEDaS16_S17_EUlS16_E_NS1_11comp_targetILNS1_3genE0ELNS1_11target_archE4294967295ELNS1_3gpuE0ELNS1_3repE0EEENS1_30default_config_static_selectorELNS0_4arch9wavefront6targetE0EEEvT1_.num_vgpr, 0
	.set _ZN7rocprim17ROCPRIM_400000_NS6detail17trampoline_kernelINS0_14default_configENS1_25partition_config_selectorILNS1_17partition_subalgoE5ElNS0_10empty_typeEbEEZZNS1_14partition_implILS5_5ELb0ES3_mN6hipcub16HIPCUB_304000_NS21CountingInputIteratorIllEEPS6_NSA_22TransformInputIteratorIbN2at6native12_GLOBAL__N_19NonZeroOpIbEEPKblEENS0_5tupleIJPlS6_EEENSN_IJSD_SD_EEES6_PiJS6_EEE10hipError_tPvRmT3_T4_T5_T6_T7_T9_mT8_P12ihipStream_tbDpT10_ENKUlT_T0_E_clISt17integral_constantIbLb1EES1B_EEDaS16_S17_EUlS16_E_NS1_11comp_targetILNS1_3genE0ELNS1_11target_archE4294967295ELNS1_3gpuE0ELNS1_3repE0EEENS1_30default_config_static_selectorELNS0_4arch9wavefront6targetE0EEEvT1_.num_agpr, 0
	.set _ZN7rocprim17ROCPRIM_400000_NS6detail17trampoline_kernelINS0_14default_configENS1_25partition_config_selectorILNS1_17partition_subalgoE5ElNS0_10empty_typeEbEEZZNS1_14partition_implILS5_5ELb0ES3_mN6hipcub16HIPCUB_304000_NS21CountingInputIteratorIllEEPS6_NSA_22TransformInputIteratorIbN2at6native12_GLOBAL__N_19NonZeroOpIbEEPKblEENS0_5tupleIJPlS6_EEENSN_IJSD_SD_EEES6_PiJS6_EEE10hipError_tPvRmT3_T4_T5_T6_T7_T9_mT8_P12ihipStream_tbDpT10_ENKUlT_T0_E_clISt17integral_constantIbLb1EES1B_EEDaS16_S17_EUlS16_E_NS1_11comp_targetILNS1_3genE0ELNS1_11target_archE4294967295ELNS1_3gpuE0ELNS1_3repE0EEENS1_30default_config_static_selectorELNS0_4arch9wavefront6targetE0EEEvT1_.numbered_sgpr, 0
	.set _ZN7rocprim17ROCPRIM_400000_NS6detail17trampoline_kernelINS0_14default_configENS1_25partition_config_selectorILNS1_17partition_subalgoE5ElNS0_10empty_typeEbEEZZNS1_14partition_implILS5_5ELb0ES3_mN6hipcub16HIPCUB_304000_NS21CountingInputIteratorIllEEPS6_NSA_22TransformInputIteratorIbN2at6native12_GLOBAL__N_19NonZeroOpIbEEPKblEENS0_5tupleIJPlS6_EEENSN_IJSD_SD_EEES6_PiJS6_EEE10hipError_tPvRmT3_T4_T5_T6_T7_T9_mT8_P12ihipStream_tbDpT10_ENKUlT_T0_E_clISt17integral_constantIbLb1EES1B_EEDaS16_S17_EUlS16_E_NS1_11comp_targetILNS1_3genE0ELNS1_11target_archE4294967295ELNS1_3gpuE0ELNS1_3repE0EEENS1_30default_config_static_selectorELNS0_4arch9wavefront6targetE0EEEvT1_.num_named_barrier, 0
	.set _ZN7rocprim17ROCPRIM_400000_NS6detail17trampoline_kernelINS0_14default_configENS1_25partition_config_selectorILNS1_17partition_subalgoE5ElNS0_10empty_typeEbEEZZNS1_14partition_implILS5_5ELb0ES3_mN6hipcub16HIPCUB_304000_NS21CountingInputIteratorIllEEPS6_NSA_22TransformInputIteratorIbN2at6native12_GLOBAL__N_19NonZeroOpIbEEPKblEENS0_5tupleIJPlS6_EEENSN_IJSD_SD_EEES6_PiJS6_EEE10hipError_tPvRmT3_T4_T5_T6_T7_T9_mT8_P12ihipStream_tbDpT10_ENKUlT_T0_E_clISt17integral_constantIbLb1EES1B_EEDaS16_S17_EUlS16_E_NS1_11comp_targetILNS1_3genE0ELNS1_11target_archE4294967295ELNS1_3gpuE0ELNS1_3repE0EEENS1_30default_config_static_selectorELNS0_4arch9wavefront6targetE0EEEvT1_.private_seg_size, 0
	.set _ZN7rocprim17ROCPRIM_400000_NS6detail17trampoline_kernelINS0_14default_configENS1_25partition_config_selectorILNS1_17partition_subalgoE5ElNS0_10empty_typeEbEEZZNS1_14partition_implILS5_5ELb0ES3_mN6hipcub16HIPCUB_304000_NS21CountingInputIteratorIllEEPS6_NSA_22TransformInputIteratorIbN2at6native12_GLOBAL__N_19NonZeroOpIbEEPKblEENS0_5tupleIJPlS6_EEENSN_IJSD_SD_EEES6_PiJS6_EEE10hipError_tPvRmT3_T4_T5_T6_T7_T9_mT8_P12ihipStream_tbDpT10_ENKUlT_T0_E_clISt17integral_constantIbLb1EES1B_EEDaS16_S17_EUlS16_E_NS1_11comp_targetILNS1_3genE0ELNS1_11target_archE4294967295ELNS1_3gpuE0ELNS1_3repE0EEENS1_30default_config_static_selectorELNS0_4arch9wavefront6targetE0EEEvT1_.uses_vcc, 0
	.set _ZN7rocprim17ROCPRIM_400000_NS6detail17trampoline_kernelINS0_14default_configENS1_25partition_config_selectorILNS1_17partition_subalgoE5ElNS0_10empty_typeEbEEZZNS1_14partition_implILS5_5ELb0ES3_mN6hipcub16HIPCUB_304000_NS21CountingInputIteratorIllEEPS6_NSA_22TransformInputIteratorIbN2at6native12_GLOBAL__N_19NonZeroOpIbEEPKblEENS0_5tupleIJPlS6_EEENSN_IJSD_SD_EEES6_PiJS6_EEE10hipError_tPvRmT3_T4_T5_T6_T7_T9_mT8_P12ihipStream_tbDpT10_ENKUlT_T0_E_clISt17integral_constantIbLb1EES1B_EEDaS16_S17_EUlS16_E_NS1_11comp_targetILNS1_3genE0ELNS1_11target_archE4294967295ELNS1_3gpuE0ELNS1_3repE0EEENS1_30default_config_static_selectorELNS0_4arch9wavefront6targetE0EEEvT1_.uses_flat_scratch, 0
	.set _ZN7rocprim17ROCPRIM_400000_NS6detail17trampoline_kernelINS0_14default_configENS1_25partition_config_selectorILNS1_17partition_subalgoE5ElNS0_10empty_typeEbEEZZNS1_14partition_implILS5_5ELb0ES3_mN6hipcub16HIPCUB_304000_NS21CountingInputIteratorIllEEPS6_NSA_22TransformInputIteratorIbN2at6native12_GLOBAL__N_19NonZeroOpIbEEPKblEENS0_5tupleIJPlS6_EEENSN_IJSD_SD_EEES6_PiJS6_EEE10hipError_tPvRmT3_T4_T5_T6_T7_T9_mT8_P12ihipStream_tbDpT10_ENKUlT_T0_E_clISt17integral_constantIbLb1EES1B_EEDaS16_S17_EUlS16_E_NS1_11comp_targetILNS1_3genE0ELNS1_11target_archE4294967295ELNS1_3gpuE0ELNS1_3repE0EEENS1_30default_config_static_selectorELNS0_4arch9wavefront6targetE0EEEvT1_.has_dyn_sized_stack, 0
	.set _ZN7rocprim17ROCPRIM_400000_NS6detail17trampoline_kernelINS0_14default_configENS1_25partition_config_selectorILNS1_17partition_subalgoE5ElNS0_10empty_typeEbEEZZNS1_14partition_implILS5_5ELb0ES3_mN6hipcub16HIPCUB_304000_NS21CountingInputIteratorIllEEPS6_NSA_22TransformInputIteratorIbN2at6native12_GLOBAL__N_19NonZeroOpIbEEPKblEENS0_5tupleIJPlS6_EEENSN_IJSD_SD_EEES6_PiJS6_EEE10hipError_tPvRmT3_T4_T5_T6_T7_T9_mT8_P12ihipStream_tbDpT10_ENKUlT_T0_E_clISt17integral_constantIbLb1EES1B_EEDaS16_S17_EUlS16_E_NS1_11comp_targetILNS1_3genE0ELNS1_11target_archE4294967295ELNS1_3gpuE0ELNS1_3repE0EEENS1_30default_config_static_selectorELNS0_4arch9wavefront6targetE0EEEvT1_.has_recursion, 0
	.set _ZN7rocprim17ROCPRIM_400000_NS6detail17trampoline_kernelINS0_14default_configENS1_25partition_config_selectorILNS1_17partition_subalgoE5ElNS0_10empty_typeEbEEZZNS1_14partition_implILS5_5ELb0ES3_mN6hipcub16HIPCUB_304000_NS21CountingInputIteratorIllEEPS6_NSA_22TransformInputIteratorIbN2at6native12_GLOBAL__N_19NonZeroOpIbEEPKblEENS0_5tupleIJPlS6_EEENSN_IJSD_SD_EEES6_PiJS6_EEE10hipError_tPvRmT3_T4_T5_T6_T7_T9_mT8_P12ihipStream_tbDpT10_ENKUlT_T0_E_clISt17integral_constantIbLb1EES1B_EEDaS16_S17_EUlS16_E_NS1_11comp_targetILNS1_3genE0ELNS1_11target_archE4294967295ELNS1_3gpuE0ELNS1_3repE0EEENS1_30default_config_static_selectorELNS0_4arch9wavefront6targetE0EEEvT1_.has_indirect_call, 0
	.section	.AMDGPU.csdata,"",@progbits
; Kernel info:
; codeLenInByte = 0
; TotalNumSgprs: 0
; NumVgprs: 0
; ScratchSize: 0
; MemoryBound: 0
; FloatMode: 240
; IeeeMode: 1
; LDSByteSize: 0 bytes/workgroup (compile time only)
; SGPRBlocks: 0
; VGPRBlocks: 0
; NumSGPRsForWavesPerEU: 1
; NumVGPRsForWavesPerEU: 1
; Occupancy: 16
; WaveLimiterHint : 0
; COMPUTE_PGM_RSRC2:SCRATCH_EN: 0
; COMPUTE_PGM_RSRC2:USER_SGPR: 2
; COMPUTE_PGM_RSRC2:TRAP_HANDLER: 0
; COMPUTE_PGM_RSRC2:TGID_X_EN: 1
; COMPUTE_PGM_RSRC2:TGID_Y_EN: 0
; COMPUTE_PGM_RSRC2:TGID_Z_EN: 0
; COMPUTE_PGM_RSRC2:TIDIG_COMP_CNT: 0
	.section	.text._ZN7rocprim17ROCPRIM_400000_NS6detail17trampoline_kernelINS0_14default_configENS1_25partition_config_selectorILNS1_17partition_subalgoE5ElNS0_10empty_typeEbEEZZNS1_14partition_implILS5_5ELb0ES3_mN6hipcub16HIPCUB_304000_NS21CountingInputIteratorIllEEPS6_NSA_22TransformInputIteratorIbN2at6native12_GLOBAL__N_19NonZeroOpIbEEPKblEENS0_5tupleIJPlS6_EEENSN_IJSD_SD_EEES6_PiJS6_EEE10hipError_tPvRmT3_T4_T5_T6_T7_T9_mT8_P12ihipStream_tbDpT10_ENKUlT_T0_E_clISt17integral_constantIbLb1EES1B_EEDaS16_S17_EUlS16_E_NS1_11comp_targetILNS1_3genE5ELNS1_11target_archE942ELNS1_3gpuE9ELNS1_3repE0EEENS1_30default_config_static_selectorELNS0_4arch9wavefront6targetE0EEEvT1_,"axG",@progbits,_ZN7rocprim17ROCPRIM_400000_NS6detail17trampoline_kernelINS0_14default_configENS1_25partition_config_selectorILNS1_17partition_subalgoE5ElNS0_10empty_typeEbEEZZNS1_14partition_implILS5_5ELb0ES3_mN6hipcub16HIPCUB_304000_NS21CountingInputIteratorIllEEPS6_NSA_22TransformInputIteratorIbN2at6native12_GLOBAL__N_19NonZeroOpIbEEPKblEENS0_5tupleIJPlS6_EEENSN_IJSD_SD_EEES6_PiJS6_EEE10hipError_tPvRmT3_T4_T5_T6_T7_T9_mT8_P12ihipStream_tbDpT10_ENKUlT_T0_E_clISt17integral_constantIbLb1EES1B_EEDaS16_S17_EUlS16_E_NS1_11comp_targetILNS1_3genE5ELNS1_11target_archE942ELNS1_3gpuE9ELNS1_3repE0EEENS1_30default_config_static_selectorELNS0_4arch9wavefront6targetE0EEEvT1_,comdat
	.globl	_ZN7rocprim17ROCPRIM_400000_NS6detail17trampoline_kernelINS0_14default_configENS1_25partition_config_selectorILNS1_17partition_subalgoE5ElNS0_10empty_typeEbEEZZNS1_14partition_implILS5_5ELb0ES3_mN6hipcub16HIPCUB_304000_NS21CountingInputIteratorIllEEPS6_NSA_22TransformInputIteratorIbN2at6native12_GLOBAL__N_19NonZeroOpIbEEPKblEENS0_5tupleIJPlS6_EEENSN_IJSD_SD_EEES6_PiJS6_EEE10hipError_tPvRmT3_T4_T5_T6_T7_T9_mT8_P12ihipStream_tbDpT10_ENKUlT_T0_E_clISt17integral_constantIbLb1EES1B_EEDaS16_S17_EUlS16_E_NS1_11comp_targetILNS1_3genE5ELNS1_11target_archE942ELNS1_3gpuE9ELNS1_3repE0EEENS1_30default_config_static_selectorELNS0_4arch9wavefront6targetE0EEEvT1_ ; -- Begin function _ZN7rocprim17ROCPRIM_400000_NS6detail17trampoline_kernelINS0_14default_configENS1_25partition_config_selectorILNS1_17partition_subalgoE5ElNS0_10empty_typeEbEEZZNS1_14partition_implILS5_5ELb0ES3_mN6hipcub16HIPCUB_304000_NS21CountingInputIteratorIllEEPS6_NSA_22TransformInputIteratorIbN2at6native12_GLOBAL__N_19NonZeroOpIbEEPKblEENS0_5tupleIJPlS6_EEENSN_IJSD_SD_EEES6_PiJS6_EEE10hipError_tPvRmT3_T4_T5_T6_T7_T9_mT8_P12ihipStream_tbDpT10_ENKUlT_T0_E_clISt17integral_constantIbLb1EES1B_EEDaS16_S17_EUlS16_E_NS1_11comp_targetILNS1_3genE5ELNS1_11target_archE942ELNS1_3gpuE9ELNS1_3repE0EEENS1_30default_config_static_selectorELNS0_4arch9wavefront6targetE0EEEvT1_
	.p2align	8
	.type	_ZN7rocprim17ROCPRIM_400000_NS6detail17trampoline_kernelINS0_14default_configENS1_25partition_config_selectorILNS1_17partition_subalgoE5ElNS0_10empty_typeEbEEZZNS1_14partition_implILS5_5ELb0ES3_mN6hipcub16HIPCUB_304000_NS21CountingInputIteratorIllEEPS6_NSA_22TransformInputIteratorIbN2at6native12_GLOBAL__N_19NonZeroOpIbEEPKblEENS0_5tupleIJPlS6_EEENSN_IJSD_SD_EEES6_PiJS6_EEE10hipError_tPvRmT3_T4_T5_T6_T7_T9_mT8_P12ihipStream_tbDpT10_ENKUlT_T0_E_clISt17integral_constantIbLb1EES1B_EEDaS16_S17_EUlS16_E_NS1_11comp_targetILNS1_3genE5ELNS1_11target_archE942ELNS1_3gpuE9ELNS1_3repE0EEENS1_30default_config_static_selectorELNS0_4arch9wavefront6targetE0EEEvT1_,@function
_ZN7rocprim17ROCPRIM_400000_NS6detail17trampoline_kernelINS0_14default_configENS1_25partition_config_selectorILNS1_17partition_subalgoE5ElNS0_10empty_typeEbEEZZNS1_14partition_implILS5_5ELb0ES3_mN6hipcub16HIPCUB_304000_NS21CountingInputIteratorIllEEPS6_NSA_22TransformInputIteratorIbN2at6native12_GLOBAL__N_19NonZeroOpIbEEPKblEENS0_5tupleIJPlS6_EEENSN_IJSD_SD_EEES6_PiJS6_EEE10hipError_tPvRmT3_T4_T5_T6_T7_T9_mT8_P12ihipStream_tbDpT10_ENKUlT_T0_E_clISt17integral_constantIbLb1EES1B_EEDaS16_S17_EUlS16_E_NS1_11comp_targetILNS1_3genE5ELNS1_11target_archE942ELNS1_3gpuE9ELNS1_3repE0EEENS1_30default_config_static_selectorELNS0_4arch9wavefront6targetE0EEEvT1_: ; @_ZN7rocprim17ROCPRIM_400000_NS6detail17trampoline_kernelINS0_14default_configENS1_25partition_config_selectorILNS1_17partition_subalgoE5ElNS0_10empty_typeEbEEZZNS1_14partition_implILS5_5ELb0ES3_mN6hipcub16HIPCUB_304000_NS21CountingInputIteratorIllEEPS6_NSA_22TransformInputIteratorIbN2at6native12_GLOBAL__N_19NonZeroOpIbEEPKblEENS0_5tupleIJPlS6_EEENSN_IJSD_SD_EEES6_PiJS6_EEE10hipError_tPvRmT3_T4_T5_T6_T7_T9_mT8_P12ihipStream_tbDpT10_ENKUlT_T0_E_clISt17integral_constantIbLb1EES1B_EEDaS16_S17_EUlS16_E_NS1_11comp_targetILNS1_3genE5ELNS1_11target_archE942ELNS1_3gpuE9ELNS1_3repE0EEENS1_30default_config_static_selectorELNS0_4arch9wavefront6targetE0EEEvT1_
; %bb.0:
	.section	.rodata,"a",@progbits
	.p2align	6, 0x0
	.amdhsa_kernel _ZN7rocprim17ROCPRIM_400000_NS6detail17trampoline_kernelINS0_14default_configENS1_25partition_config_selectorILNS1_17partition_subalgoE5ElNS0_10empty_typeEbEEZZNS1_14partition_implILS5_5ELb0ES3_mN6hipcub16HIPCUB_304000_NS21CountingInputIteratorIllEEPS6_NSA_22TransformInputIteratorIbN2at6native12_GLOBAL__N_19NonZeroOpIbEEPKblEENS0_5tupleIJPlS6_EEENSN_IJSD_SD_EEES6_PiJS6_EEE10hipError_tPvRmT3_T4_T5_T6_T7_T9_mT8_P12ihipStream_tbDpT10_ENKUlT_T0_E_clISt17integral_constantIbLb1EES1B_EEDaS16_S17_EUlS16_E_NS1_11comp_targetILNS1_3genE5ELNS1_11target_archE942ELNS1_3gpuE9ELNS1_3repE0EEENS1_30default_config_static_selectorELNS0_4arch9wavefront6targetE0EEEvT1_
		.amdhsa_group_segment_fixed_size 0
		.amdhsa_private_segment_fixed_size 0
		.amdhsa_kernarg_size 136
		.amdhsa_user_sgpr_count 2
		.amdhsa_user_sgpr_dispatch_ptr 0
		.amdhsa_user_sgpr_queue_ptr 0
		.amdhsa_user_sgpr_kernarg_segment_ptr 1
		.amdhsa_user_sgpr_dispatch_id 0
		.amdhsa_user_sgpr_private_segment_size 0
		.amdhsa_wavefront_size32 1
		.amdhsa_uses_dynamic_stack 0
		.amdhsa_enable_private_segment 0
		.amdhsa_system_sgpr_workgroup_id_x 1
		.amdhsa_system_sgpr_workgroup_id_y 0
		.amdhsa_system_sgpr_workgroup_id_z 0
		.amdhsa_system_sgpr_workgroup_info 0
		.amdhsa_system_vgpr_workitem_id 0
		.amdhsa_next_free_vgpr 1
		.amdhsa_next_free_sgpr 1
		.amdhsa_reserve_vcc 0
		.amdhsa_float_round_mode_32 0
		.amdhsa_float_round_mode_16_64 0
		.amdhsa_float_denorm_mode_32 3
		.amdhsa_float_denorm_mode_16_64 3
		.amdhsa_fp16_overflow 0
		.amdhsa_workgroup_processor_mode 1
		.amdhsa_memory_ordered 1
		.amdhsa_forward_progress 1
		.amdhsa_inst_pref_size 0
		.amdhsa_round_robin_scheduling 0
		.amdhsa_exception_fp_ieee_invalid_op 0
		.amdhsa_exception_fp_denorm_src 0
		.amdhsa_exception_fp_ieee_div_zero 0
		.amdhsa_exception_fp_ieee_overflow 0
		.amdhsa_exception_fp_ieee_underflow 0
		.amdhsa_exception_fp_ieee_inexact 0
		.amdhsa_exception_int_div_zero 0
	.end_amdhsa_kernel
	.section	.text._ZN7rocprim17ROCPRIM_400000_NS6detail17trampoline_kernelINS0_14default_configENS1_25partition_config_selectorILNS1_17partition_subalgoE5ElNS0_10empty_typeEbEEZZNS1_14partition_implILS5_5ELb0ES3_mN6hipcub16HIPCUB_304000_NS21CountingInputIteratorIllEEPS6_NSA_22TransformInputIteratorIbN2at6native12_GLOBAL__N_19NonZeroOpIbEEPKblEENS0_5tupleIJPlS6_EEENSN_IJSD_SD_EEES6_PiJS6_EEE10hipError_tPvRmT3_T4_T5_T6_T7_T9_mT8_P12ihipStream_tbDpT10_ENKUlT_T0_E_clISt17integral_constantIbLb1EES1B_EEDaS16_S17_EUlS16_E_NS1_11comp_targetILNS1_3genE5ELNS1_11target_archE942ELNS1_3gpuE9ELNS1_3repE0EEENS1_30default_config_static_selectorELNS0_4arch9wavefront6targetE0EEEvT1_,"axG",@progbits,_ZN7rocprim17ROCPRIM_400000_NS6detail17trampoline_kernelINS0_14default_configENS1_25partition_config_selectorILNS1_17partition_subalgoE5ElNS0_10empty_typeEbEEZZNS1_14partition_implILS5_5ELb0ES3_mN6hipcub16HIPCUB_304000_NS21CountingInputIteratorIllEEPS6_NSA_22TransformInputIteratorIbN2at6native12_GLOBAL__N_19NonZeroOpIbEEPKblEENS0_5tupleIJPlS6_EEENSN_IJSD_SD_EEES6_PiJS6_EEE10hipError_tPvRmT3_T4_T5_T6_T7_T9_mT8_P12ihipStream_tbDpT10_ENKUlT_T0_E_clISt17integral_constantIbLb1EES1B_EEDaS16_S17_EUlS16_E_NS1_11comp_targetILNS1_3genE5ELNS1_11target_archE942ELNS1_3gpuE9ELNS1_3repE0EEENS1_30default_config_static_selectorELNS0_4arch9wavefront6targetE0EEEvT1_,comdat
.Lfunc_end739:
	.size	_ZN7rocprim17ROCPRIM_400000_NS6detail17trampoline_kernelINS0_14default_configENS1_25partition_config_selectorILNS1_17partition_subalgoE5ElNS0_10empty_typeEbEEZZNS1_14partition_implILS5_5ELb0ES3_mN6hipcub16HIPCUB_304000_NS21CountingInputIteratorIllEEPS6_NSA_22TransformInputIteratorIbN2at6native12_GLOBAL__N_19NonZeroOpIbEEPKblEENS0_5tupleIJPlS6_EEENSN_IJSD_SD_EEES6_PiJS6_EEE10hipError_tPvRmT3_T4_T5_T6_T7_T9_mT8_P12ihipStream_tbDpT10_ENKUlT_T0_E_clISt17integral_constantIbLb1EES1B_EEDaS16_S17_EUlS16_E_NS1_11comp_targetILNS1_3genE5ELNS1_11target_archE942ELNS1_3gpuE9ELNS1_3repE0EEENS1_30default_config_static_selectorELNS0_4arch9wavefront6targetE0EEEvT1_, .Lfunc_end739-_ZN7rocprim17ROCPRIM_400000_NS6detail17trampoline_kernelINS0_14default_configENS1_25partition_config_selectorILNS1_17partition_subalgoE5ElNS0_10empty_typeEbEEZZNS1_14partition_implILS5_5ELb0ES3_mN6hipcub16HIPCUB_304000_NS21CountingInputIteratorIllEEPS6_NSA_22TransformInputIteratorIbN2at6native12_GLOBAL__N_19NonZeroOpIbEEPKblEENS0_5tupleIJPlS6_EEENSN_IJSD_SD_EEES6_PiJS6_EEE10hipError_tPvRmT3_T4_T5_T6_T7_T9_mT8_P12ihipStream_tbDpT10_ENKUlT_T0_E_clISt17integral_constantIbLb1EES1B_EEDaS16_S17_EUlS16_E_NS1_11comp_targetILNS1_3genE5ELNS1_11target_archE942ELNS1_3gpuE9ELNS1_3repE0EEENS1_30default_config_static_selectorELNS0_4arch9wavefront6targetE0EEEvT1_
                                        ; -- End function
	.set _ZN7rocprim17ROCPRIM_400000_NS6detail17trampoline_kernelINS0_14default_configENS1_25partition_config_selectorILNS1_17partition_subalgoE5ElNS0_10empty_typeEbEEZZNS1_14partition_implILS5_5ELb0ES3_mN6hipcub16HIPCUB_304000_NS21CountingInputIteratorIllEEPS6_NSA_22TransformInputIteratorIbN2at6native12_GLOBAL__N_19NonZeroOpIbEEPKblEENS0_5tupleIJPlS6_EEENSN_IJSD_SD_EEES6_PiJS6_EEE10hipError_tPvRmT3_T4_T5_T6_T7_T9_mT8_P12ihipStream_tbDpT10_ENKUlT_T0_E_clISt17integral_constantIbLb1EES1B_EEDaS16_S17_EUlS16_E_NS1_11comp_targetILNS1_3genE5ELNS1_11target_archE942ELNS1_3gpuE9ELNS1_3repE0EEENS1_30default_config_static_selectorELNS0_4arch9wavefront6targetE0EEEvT1_.num_vgpr, 0
	.set _ZN7rocprim17ROCPRIM_400000_NS6detail17trampoline_kernelINS0_14default_configENS1_25partition_config_selectorILNS1_17partition_subalgoE5ElNS0_10empty_typeEbEEZZNS1_14partition_implILS5_5ELb0ES3_mN6hipcub16HIPCUB_304000_NS21CountingInputIteratorIllEEPS6_NSA_22TransformInputIteratorIbN2at6native12_GLOBAL__N_19NonZeroOpIbEEPKblEENS0_5tupleIJPlS6_EEENSN_IJSD_SD_EEES6_PiJS6_EEE10hipError_tPvRmT3_T4_T5_T6_T7_T9_mT8_P12ihipStream_tbDpT10_ENKUlT_T0_E_clISt17integral_constantIbLb1EES1B_EEDaS16_S17_EUlS16_E_NS1_11comp_targetILNS1_3genE5ELNS1_11target_archE942ELNS1_3gpuE9ELNS1_3repE0EEENS1_30default_config_static_selectorELNS0_4arch9wavefront6targetE0EEEvT1_.num_agpr, 0
	.set _ZN7rocprim17ROCPRIM_400000_NS6detail17trampoline_kernelINS0_14default_configENS1_25partition_config_selectorILNS1_17partition_subalgoE5ElNS0_10empty_typeEbEEZZNS1_14partition_implILS5_5ELb0ES3_mN6hipcub16HIPCUB_304000_NS21CountingInputIteratorIllEEPS6_NSA_22TransformInputIteratorIbN2at6native12_GLOBAL__N_19NonZeroOpIbEEPKblEENS0_5tupleIJPlS6_EEENSN_IJSD_SD_EEES6_PiJS6_EEE10hipError_tPvRmT3_T4_T5_T6_T7_T9_mT8_P12ihipStream_tbDpT10_ENKUlT_T0_E_clISt17integral_constantIbLb1EES1B_EEDaS16_S17_EUlS16_E_NS1_11comp_targetILNS1_3genE5ELNS1_11target_archE942ELNS1_3gpuE9ELNS1_3repE0EEENS1_30default_config_static_selectorELNS0_4arch9wavefront6targetE0EEEvT1_.numbered_sgpr, 0
	.set _ZN7rocprim17ROCPRIM_400000_NS6detail17trampoline_kernelINS0_14default_configENS1_25partition_config_selectorILNS1_17partition_subalgoE5ElNS0_10empty_typeEbEEZZNS1_14partition_implILS5_5ELb0ES3_mN6hipcub16HIPCUB_304000_NS21CountingInputIteratorIllEEPS6_NSA_22TransformInputIteratorIbN2at6native12_GLOBAL__N_19NonZeroOpIbEEPKblEENS0_5tupleIJPlS6_EEENSN_IJSD_SD_EEES6_PiJS6_EEE10hipError_tPvRmT3_T4_T5_T6_T7_T9_mT8_P12ihipStream_tbDpT10_ENKUlT_T0_E_clISt17integral_constantIbLb1EES1B_EEDaS16_S17_EUlS16_E_NS1_11comp_targetILNS1_3genE5ELNS1_11target_archE942ELNS1_3gpuE9ELNS1_3repE0EEENS1_30default_config_static_selectorELNS0_4arch9wavefront6targetE0EEEvT1_.num_named_barrier, 0
	.set _ZN7rocprim17ROCPRIM_400000_NS6detail17trampoline_kernelINS0_14default_configENS1_25partition_config_selectorILNS1_17partition_subalgoE5ElNS0_10empty_typeEbEEZZNS1_14partition_implILS5_5ELb0ES3_mN6hipcub16HIPCUB_304000_NS21CountingInputIteratorIllEEPS6_NSA_22TransformInputIteratorIbN2at6native12_GLOBAL__N_19NonZeroOpIbEEPKblEENS0_5tupleIJPlS6_EEENSN_IJSD_SD_EEES6_PiJS6_EEE10hipError_tPvRmT3_T4_T5_T6_T7_T9_mT8_P12ihipStream_tbDpT10_ENKUlT_T0_E_clISt17integral_constantIbLb1EES1B_EEDaS16_S17_EUlS16_E_NS1_11comp_targetILNS1_3genE5ELNS1_11target_archE942ELNS1_3gpuE9ELNS1_3repE0EEENS1_30default_config_static_selectorELNS0_4arch9wavefront6targetE0EEEvT1_.private_seg_size, 0
	.set _ZN7rocprim17ROCPRIM_400000_NS6detail17trampoline_kernelINS0_14default_configENS1_25partition_config_selectorILNS1_17partition_subalgoE5ElNS0_10empty_typeEbEEZZNS1_14partition_implILS5_5ELb0ES3_mN6hipcub16HIPCUB_304000_NS21CountingInputIteratorIllEEPS6_NSA_22TransformInputIteratorIbN2at6native12_GLOBAL__N_19NonZeroOpIbEEPKblEENS0_5tupleIJPlS6_EEENSN_IJSD_SD_EEES6_PiJS6_EEE10hipError_tPvRmT3_T4_T5_T6_T7_T9_mT8_P12ihipStream_tbDpT10_ENKUlT_T0_E_clISt17integral_constantIbLb1EES1B_EEDaS16_S17_EUlS16_E_NS1_11comp_targetILNS1_3genE5ELNS1_11target_archE942ELNS1_3gpuE9ELNS1_3repE0EEENS1_30default_config_static_selectorELNS0_4arch9wavefront6targetE0EEEvT1_.uses_vcc, 0
	.set _ZN7rocprim17ROCPRIM_400000_NS6detail17trampoline_kernelINS0_14default_configENS1_25partition_config_selectorILNS1_17partition_subalgoE5ElNS0_10empty_typeEbEEZZNS1_14partition_implILS5_5ELb0ES3_mN6hipcub16HIPCUB_304000_NS21CountingInputIteratorIllEEPS6_NSA_22TransformInputIteratorIbN2at6native12_GLOBAL__N_19NonZeroOpIbEEPKblEENS0_5tupleIJPlS6_EEENSN_IJSD_SD_EEES6_PiJS6_EEE10hipError_tPvRmT3_T4_T5_T6_T7_T9_mT8_P12ihipStream_tbDpT10_ENKUlT_T0_E_clISt17integral_constantIbLb1EES1B_EEDaS16_S17_EUlS16_E_NS1_11comp_targetILNS1_3genE5ELNS1_11target_archE942ELNS1_3gpuE9ELNS1_3repE0EEENS1_30default_config_static_selectorELNS0_4arch9wavefront6targetE0EEEvT1_.uses_flat_scratch, 0
	.set _ZN7rocprim17ROCPRIM_400000_NS6detail17trampoline_kernelINS0_14default_configENS1_25partition_config_selectorILNS1_17partition_subalgoE5ElNS0_10empty_typeEbEEZZNS1_14partition_implILS5_5ELb0ES3_mN6hipcub16HIPCUB_304000_NS21CountingInputIteratorIllEEPS6_NSA_22TransformInputIteratorIbN2at6native12_GLOBAL__N_19NonZeroOpIbEEPKblEENS0_5tupleIJPlS6_EEENSN_IJSD_SD_EEES6_PiJS6_EEE10hipError_tPvRmT3_T4_T5_T6_T7_T9_mT8_P12ihipStream_tbDpT10_ENKUlT_T0_E_clISt17integral_constantIbLb1EES1B_EEDaS16_S17_EUlS16_E_NS1_11comp_targetILNS1_3genE5ELNS1_11target_archE942ELNS1_3gpuE9ELNS1_3repE0EEENS1_30default_config_static_selectorELNS0_4arch9wavefront6targetE0EEEvT1_.has_dyn_sized_stack, 0
	.set _ZN7rocprim17ROCPRIM_400000_NS6detail17trampoline_kernelINS0_14default_configENS1_25partition_config_selectorILNS1_17partition_subalgoE5ElNS0_10empty_typeEbEEZZNS1_14partition_implILS5_5ELb0ES3_mN6hipcub16HIPCUB_304000_NS21CountingInputIteratorIllEEPS6_NSA_22TransformInputIteratorIbN2at6native12_GLOBAL__N_19NonZeroOpIbEEPKblEENS0_5tupleIJPlS6_EEENSN_IJSD_SD_EEES6_PiJS6_EEE10hipError_tPvRmT3_T4_T5_T6_T7_T9_mT8_P12ihipStream_tbDpT10_ENKUlT_T0_E_clISt17integral_constantIbLb1EES1B_EEDaS16_S17_EUlS16_E_NS1_11comp_targetILNS1_3genE5ELNS1_11target_archE942ELNS1_3gpuE9ELNS1_3repE0EEENS1_30default_config_static_selectorELNS0_4arch9wavefront6targetE0EEEvT1_.has_recursion, 0
	.set _ZN7rocprim17ROCPRIM_400000_NS6detail17trampoline_kernelINS0_14default_configENS1_25partition_config_selectorILNS1_17partition_subalgoE5ElNS0_10empty_typeEbEEZZNS1_14partition_implILS5_5ELb0ES3_mN6hipcub16HIPCUB_304000_NS21CountingInputIteratorIllEEPS6_NSA_22TransformInputIteratorIbN2at6native12_GLOBAL__N_19NonZeroOpIbEEPKblEENS0_5tupleIJPlS6_EEENSN_IJSD_SD_EEES6_PiJS6_EEE10hipError_tPvRmT3_T4_T5_T6_T7_T9_mT8_P12ihipStream_tbDpT10_ENKUlT_T0_E_clISt17integral_constantIbLb1EES1B_EEDaS16_S17_EUlS16_E_NS1_11comp_targetILNS1_3genE5ELNS1_11target_archE942ELNS1_3gpuE9ELNS1_3repE0EEENS1_30default_config_static_selectorELNS0_4arch9wavefront6targetE0EEEvT1_.has_indirect_call, 0
	.section	.AMDGPU.csdata,"",@progbits
; Kernel info:
; codeLenInByte = 0
; TotalNumSgprs: 0
; NumVgprs: 0
; ScratchSize: 0
; MemoryBound: 0
; FloatMode: 240
; IeeeMode: 1
; LDSByteSize: 0 bytes/workgroup (compile time only)
; SGPRBlocks: 0
; VGPRBlocks: 0
; NumSGPRsForWavesPerEU: 1
; NumVGPRsForWavesPerEU: 1
; Occupancy: 16
; WaveLimiterHint : 0
; COMPUTE_PGM_RSRC2:SCRATCH_EN: 0
; COMPUTE_PGM_RSRC2:USER_SGPR: 2
; COMPUTE_PGM_RSRC2:TRAP_HANDLER: 0
; COMPUTE_PGM_RSRC2:TGID_X_EN: 1
; COMPUTE_PGM_RSRC2:TGID_Y_EN: 0
; COMPUTE_PGM_RSRC2:TGID_Z_EN: 0
; COMPUTE_PGM_RSRC2:TIDIG_COMP_CNT: 0
	.section	.text._ZN7rocprim17ROCPRIM_400000_NS6detail17trampoline_kernelINS0_14default_configENS1_25partition_config_selectorILNS1_17partition_subalgoE5ElNS0_10empty_typeEbEEZZNS1_14partition_implILS5_5ELb0ES3_mN6hipcub16HIPCUB_304000_NS21CountingInputIteratorIllEEPS6_NSA_22TransformInputIteratorIbN2at6native12_GLOBAL__N_19NonZeroOpIbEEPKblEENS0_5tupleIJPlS6_EEENSN_IJSD_SD_EEES6_PiJS6_EEE10hipError_tPvRmT3_T4_T5_T6_T7_T9_mT8_P12ihipStream_tbDpT10_ENKUlT_T0_E_clISt17integral_constantIbLb1EES1B_EEDaS16_S17_EUlS16_E_NS1_11comp_targetILNS1_3genE4ELNS1_11target_archE910ELNS1_3gpuE8ELNS1_3repE0EEENS1_30default_config_static_selectorELNS0_4arch9wavefront6targetE0EEEvT1_,"axG",@progbits,_ZN7rocprim17ROCPRIM_400000_NS6detail17trampoline_kernelINS0_14default_configENS1_25partition_config_selectorILNS1_17partition_subalgoE5ElNS0_10empty_typeEbEEZZNS1_14partition_implILS5_5ELb0ES3_mN6hipcub16HIPCUB_304000_NS21CountingInputIteratorIllEEPS6_NSA_22TransformInputIteratorIbN2at6native12_GLOBAL__N_19NonZeroOpIbEEPKblEENS0_5tupleIJPlS6_EEENSN_IJSD_SD_EEES6_PiJS6_EEE10hipError_tPvRmT3_T4_T5_T6_T7_T9_mT8_P12ihipStream_tbDpT10_ENKUlT_T0_E_clISt17integral_constantIbLb1EES1B_EEDaS16_S17_EUlS16_E_NS1_11comp_targetILNS1_3genE4ELNS1_11target_archE910ELNS1_3gpuE8ELNS1_3repE0EEENS1_30default_config_static_selectorELNS0_4arch9wavefront6targetE0EEEvT1_,comdat
	.globl	_ZN7rocprim17ROCPRIM_400000_NS6detail17trampoline_kernelINS0_14default_configENS1_25partition_config_selectorILNS1_17partition_subalgoE5ElNS0_10empty_typeEbEEZZNS1_14partition_implILS5_5ELb0ES3_mN6hipcub16HIPCUB_304000_NS21CountingInputIteratorIllEEPS6_NSA_22TransformInputIteratorIbN2at6native12_GLOBAL__N_19NonZeroOpIbEEPKblEENS0_5tupleIJPlS6_EEENSN_IJSD_SD_EEES6_PiJS6_EEE10hipError_tPvRmT3_T4_T5_T6_T7_T9_mT8_P12ihipStream_tbDpT10_ENKUlT_T0_E_clISt17integral_constantIbLb1EES1B_EEDaS16_S17_EUlS16_E_NS1_11comp_targetILNS1_3genE4ELNS1_11target_archE910ELNS1_3gpuE8ELNS1_3repE0EEENS1_30default_config_static_selectorELNS0_4arch9wavefront6targetE0EEEvT1_ ; -- Begin function _ZN7rocprim17ROCPRIM_400000_NS6detail17trampoline_kernelINS0_14default_configENS1_25partition_config_selectorILNS1_17partition_subalgoE5ElNS0_10empty_typeEbEEZZNS1_14partition_implILS5_5ELb0ES3_mN6hipcub16HIPCUB_304000_NS21CountingInputIteratorIllEEPS6_NSA_22TransformInputIteratorIbN2at6native12_GLOBAL__N_19NonZeroOpIbEEPKblEENS0_5tupleIJPlS6_EEENSN_IJSD_SD_EEES6_PiJS6_EEE10hipError_tPvRmT3_T4_T5_T6_T7_T9_mT8_P12ihipStream_tbDpT10_ENKUlT_T0_E_clISt17integral_constantIbLb1EES1B_EEDaS16_S17_EUlS16_E_NS1_11comp_targetILNS1_3genE4ELNS1_11target_archE910ELNS1_3gpuE8ELNS1_3repE0EEENS1_30default_config_static_selectorELNS0_4arch9wavefront6targetE0EEEvT1_
	.p2align	8
	.type	_ZN7rocprim17ROCPRIM_400000_NS6detail17trampoline_kernelINS0_14default_configENS1_25partition_config_selectorILNS1_17partition_subalgoE5ElNS0_10empty_typeEbEEZZNS1_14partition_implILS5_5ELb0ES3_mN6hipcub16HIPCUB_304000_NS21CountingInputIteratorIllEEPS6_NSA_22TransformInputIteratorIbN2at6native12_GLOBAL__N_19NonZeroOpIbEEPKblEENS0_5tupleIJPlS6_EEENSN_IJSD_SD_EEES6_PiJS6_EEE10hipError_tPvRmT3_T4_T5_T6_T7_T9_mT8_P12ihipStream_tbDpT10_ENKUlT_T0_E_clISt17integral_constantIbLb1EES1B_EEDaS16_S17_EUlS16_E_NS1_11comp_targetILNS1_3genE4ELNS1_11target_archE910ELNS1_3gpuE8ELNS1_3repE0EEENS1_30default_config_static_selectorELNS0_4arch9wavefront6targetE0EEEvT1_,@function
_ZN7rocprim17ROCPRIM_400000_NS6detail17trampoline_kernelINS0_14default_configENS1_25partition_config_selectorILNS1_17partition_subalgoE5ElNS0_10empty_typeEbEEZZNS1_14partition_implILS5_5ELb0ES3_mN6hipcub16HIPCUB_304000_NS21CountingInputIteratorIllEEPS6_NSA_22TransformInputIteratorIbN2at6native12_GLOBAL__N_19NonZeroOpIbEEPKblEENS0_5tupleIJPlS6_EEENSN_IJSD_SD_EEES6_PiJS6_EEE10hipError_tPvRmT3_T4_T5_T6_T7_T9_mT8_P12ihipStream_tbDpT10_ENKUlT_T0_E_clISt17integral_constantIbLb1EES1B_EEDaS16_S17_EUlS16_E_NS1_11comp_targetILNS1_3genE4ELNS1_11target_archE910ELNS1_3gpuE8ELNS1_3repE0EEENS1_30default_config_static_selectorELNS0_4arch9wavefront6targetE0EEEvT1_: ; @_ZN7rocprim17ROCPRIM_400000_NS6detail17trampoline_kernelINS0_14default_configENS1_25partition_config_selectorILNS1_17partition_subalgoE5ElNS0_10empty_typeEbEEZZNS1_14partition_implILS5_5ELb0ES3_mN6hipcub16HIPCUB_304000_NS21CountingInputIteratorIllEEPS6_NSA_22TransformInputIteratorIbN2at6native12_GLOBAL__N_19NonZeroOpIbEEPKblEENS0_5tupleIJPlS6_EEENSN_IJSD_SD_EEES6_PiJS6_EEE10hipError_tPvRmT3_T4_T5_T6_T7_T9_mT8_P12ihipStream_tbDpT10_ENKUlT_T0_E_clISt17integral_constantIbLb1EES1B_EEDaS16_S17_EUlS16_E_NS1_11comp_targetILNS1_3genE4ELNS1_11target_archE910ELNS1_3gpuE8ELNS1_3repE0EEENS1_30default_config_static_selectorELNS0_4arch9wavefront6targetE0EEEvT1_
; %bb.0:
	.section	.rodata,"a",@progbits
	.p2align	6, 0x0
	.amdhsa_kernel _ZN7rocprim17ROCPRIM_400000_NS6detail17trampoline_kernelINS0_14default_configENS1_25partition_config_selectorILNS1_17partition_subalgoE5ElNS0_10empty_typeEbEEZZNS1_14partition_implILS5_5ELb0ES3_mN6hipcub16HIPCUB_304000_NS21CountingInputIteratorIllEEPS6_NSA_22TransformInputIteratorIbN2at6native12_GLOBAL__N_19NonZeroOpIbEEPKblEENS0_5tupleIJPlS6_EEENSN_IJSD_SD_EEES6_PiJS6_EEE10hipError_tPvRmT3_T4_T5_T6_T7_T9_mT8_P12ihipStream_tbDpT10_ENKUlT_T0_E_clISt17integral_constantIbLb1EES1B_EEDaS16_S17_EUlS16_E_NS1_11comp_targetILNS1_3genE4ELNS1_11target_archE910ELNS1_3gpuE8ELNS1_3repE0EEENS1_30default_config_static_selectorELNS0_4arch9wavefront6targetE0EEEvT1_
		.amdhsa_group_segment_fixed_size 0
		.amdhsa_private_segment_fixed_size 0
		.amdhsa_kernarg_size 136
		.amdhsa_user_sgpr_count 2
		.amdhsa_user_sgpr_dispatch_ptr 0
		.amdhsa_user_sgpr_queue_ptr 0
		.amdhsa_user_sgpr_kernarg_segment_ptr 1
		.amdhsa_user_sgpr_dispatch_id 0
		.amdhsa_user_sgpr_private_segment_size 0
		.amdhsa_wavefront_size32 1
		.amdhsa_uses_dynamic_stack 0
		.amdhsa_enable_private_segment 0
		.amdhsa_system_sgpr_workgroup_id_x 1
		.amdhsa_system_sgpr_workgroup_id_y 0
		.amdhsa_system_sgpr_workgroup_id_z 0
		.amdhsa_system_sgpr_workgroup_info 0
		.amdhsa_system_vgpr_workitem_id 0
		.amdhsa_next_free_vgpr 1
		.amdhsa_next_free_sgpr 1
		.amdhsa_reserve_vcc 0
		.amdhsa_float_round_mode_32 0
		.amdhsa_float_round_mode_16_64 0
		.amdhsa_float_denorm_mode_32 3
		.amdhsa_float_denorm_mode_16_64 3
		.amdhsa_fp16_overflow 0
		.amdhsa_workgroup_processor_mode 1
		.amdhsa_memory_ordered 1
		.amdhsa_forward_progress 1
		.amdhsa_inst_pref_size 0
		.amdhsa_round_robin_scheduling 0
		.amdhsa_exception_fp_ieee_invalid_op 0
		.amdhsa_exception_fp_denorm_src 0
		.amdhsa_exception_fp_ieee_div_zero 0
		.amdhsa_exception_fp_ieee_overflow 0
		.amdhsa_exception_fp_ieee_underflow 0
		.amdhsa_exception_fp_ieee_inexact 0
		.amdhsa_exception_int_div_zero 0
	.end_amdhsa_kernel
	.section	.text._ZN7rocprim17ROCPRIM_400000_NS6detail17trampoline_kernelINS0_14default_configENS1_25partition_config_selectorILNS1_17partition_subalgoE5ElNS0_10empty_typeEbEEZZNS1_14partition_implILS5_5ELb0ES3_mN6hipcub16HIPCUB_304000_NS21CountingInputIteratorIllEEPS6_NSA_22TransformInputIteratorIbN2at6native12_GLOBAL__N_19NonZeroOpIbEEPKblEENS0_5tupleIJPlS6_EEENSN_IJSD_SD_EEES6_PiJS6_EEE10hipError_tPvRmT3_T4_T5_T6_T7_T9_mT8_P12ihipStream_tbDpT10_ENKUlT_T0_E_clISt17integral_constantIbLb1EES1B_EEDaS16_S17_EUlS16_E_NS1_11comp_targetILNS1_3genE4ELNS1_11target_archE910ELNS1_3gpuE8ELNS1_3repE0EEENS1_30default_config_static_selectorELNS0_4arch9wavefront6targetE0EEEvT1_,"axG",@progbits,_ZN7rocprim17ROCPRIM_400000_NS6detail17trampoline_kernelINS0_14default_configENS1_25partition_config_selectorILNS1_17partition_subalgoE5ElNS0_10empty_typeEbEEZZNS1_14partition_implILS5_5ELb0ES3_mN6hipcub16HIPCUB_304000_NS21CountingInputIteratorIllEEPS6_NSA_22TransformInputIteratorIbN2at6native12_GLOBAL__N_19NonZeroOpIbEEPKblEENS0_5tupleIJPlS6_EEENSN_IJSD_SD_EEES6_PiJS6_EEE10hipError_tPvRmT3_T4_T5_T6_T7_T9_mT8_P12ihipStream_tbDpT10_ENKUlT_T0_E_clISt17integral_constantIbLb1EES1B_EEDaS16_S17_EUlS16_E_NS1_11comp_targetILNS1_3genE4ELNS1_11target_archE910ELNS1_3gpuE8ELNS1_3repE0EEENS1_30default_config_static_selectorELNS0_4arch9wavefront6targetE0EEEvT1_,comdat
.Lfunc_end740:
	.size	_ZN7rocprim17ROCPRIM_400000_NS6detail17trampoline_kernelINS0_14default_configENS1_25partition_config_selectorILNS1_17partition_subalgoE5ElNS0_10empty_typeEbEEZZNS1_14partition_implILS5_5ELb0ES3_mN6hipcub16HIPCUB_304000_NS21CountingInputIteratorIllEEPS6_NSA_22TransformInputIteratorIbN2at6native12_GLOBAL__N_19NonZeroOpIbEEPKblEENS0_5tupleIJPlS6_EEENSN_IJSD_SD_EEES6_PiJS6_EEE10hipError_tPvRmT3_T4_T5_T6_T7_T9_mT8_P12ihipStream_tbDpT10_ENKUlT_T0_E_clISt17integral_constantIbLb1EES1B_EEDaS16_S17_EUlS16_E_NS1_11comp_targetILNS1_3genE4ELNS1_11target_archE910ELNS1_3gpuE8ELNS1_3repE0EEENS1_30default_config_static_selectorELNS0_4arch9wavefront6targetE0EEEvT1_, .Lfunc_end740-_ZN7rocprim17ROCPRIM_400000_NS6detail17trampoline_kernelINS0_14default_configENS1_25partition_config_selectorILNS1_17partition_subalgoE5ElNS0_10empty_typeEbEEZZNS1_14partition_implILS5_5ELb0ES3_mN6hipcub16HIPCUB_304000_NS21CountingInputIteratorIllEEPS6_NSA_22TransformInputIteratorIbN2at6native12_GLOBAL__N_19NonZeroOpIbEEPKblEENS0_5tupleIJPlS6_EEENSN_IJSD_SD_EEES6_PiJS6_EEE10hipError_tPvRmT3_T4_T5_T6_T7_T9_mT8_P12ihipStream_tbDpT10_ENKUlT_T0_E_clISt17integral_constantIbLb1EES1B_EEDaS16_S17_EUlS16_E_NS1_11comp_targetILNS1_3genE4ELNS1_11target_archE910ELNS1_3gpuE8ELNS1_3repE0EEENS1_30default_config_static_selectorELNS0_4arch9wavefront6targetE0EEEvT1_
                                        ; -- End function
	.set _ZN7rocprim17ROCPRIM_400000_NS6detail17trampoline_kernelINS0_14default_configENS1_25partition_config_selectorILNS1_17partition_subalgoE5ElNS0_10empty_typeEbEEZZNS1_14partition_implILS5_5ELb0ES3_mN6hipcub16HIPCUB_304000_NS21CountingInputIteratorIllEEPS6_NSA_22TransformInputIteratorIbN2at6native12_GLOBAL__N_19NonZeroOpIbEEPKblEENS0_5tupleIJPlS6_EEENSN_IJSD_SD_EEES6_PiJS6_EEE10hipError_tPvRmT3_T4_T5_T6_T7_T9_mT8_P12ihipStream_tbDpT10_ENKUlT_T0_E_clISt17integral_constantIbLb1EES1B_EEDaS16_S17_EUlS16_E_NS1_11comp_targetILNS1_3genE4ELNS1_11target_archE910ELNS1_3gpuE8ELNS1_3repE0EEENS1_30default_config_static_selectorELNS0_4arch9wavefront6targetE0EEEvT1_.num_vgpr, 0
	.set _ZN7rocprim17ROCPRIM_400000_NS6detail17trampoline_kernelINS0_14default_configENS1_25partition_config_selectorILNS1_17partition_subalgoE5ElNS0_10empty_typeEbEEZZNS1_14partition_implILS5_5ELb0ES3_mN6hipcub16HIPCUB_304000_NS21CountingInputIteratorIllEEPS6_NSA_22TransformInputIteratorIbN2at6native12_GLOBAL__N_19NonZeroOpIbEEPKblEENS0_5tupleIJPlS6_EEENSN_IJSD_SD_EEES6_PiJS6_EEE10hipError_tPvRmT3_T4_T5_T6_T7_T9_mT8_P12ihipStream_tbDpT10_ENKUlT_T0_E_clISt17integral_constantIbLb1EES1B_EEDaS16_S17_EUlS16_E_NS1_11comp_targetILNS1_3genE4ELNS1_11target_archE910ELNS1_3gpuE8ELNS1_3repE0EEENS1_30default_config_static_selectorELNS0_4arch9wavefront6targetE0EEEvT1_.num_agpr, 0
	.set _ZN7rocprim17ROCPRIM_400000_NS6detail17trampoline_kernelINS0_14default_configENS1_25partition_config_selectorILNS1_17partition_subalgoE5ElNS0_10empty_typeEbEEZZNS1_14partition_implILS5_5ELb0ES3_mN6hipcub16HIPCUB_304000_NS21CountingInputIteratorIllEEPS6_NSA_22TransformInputIteratorIbN2at6native12_GLOBAL__N_19NonZeroOpIbEEPKblEENS0_5tupleIJPlS6_EEENSN_IJSD_SD_EEES6_PiJS6_EEE10hipError_tPvRmT3_T4_T5_T6_T7_T9_mT8_P12ihipStream_tbDpT10_ENKUlT_T0_E_clISt17integral_constantIbLb1EES1B_EEDaS16_S17_EUlS16_E_NS1_11comp_targetILNS1_3genE4ELNS1_11target_archE910ELNS1_3gpuE8ELNS1_3repE0EEENS1_30default_config_static_selectorELNS0_4arch9wavefront6targetE0EEEvT1_.numbered_sgpr, 0
	.set _ZN7rocprim17ROCPRIM_400000_NS6detail17trampoline_kernelINS0_14default_configENS1_25partition_config_selectorILNS1_17partition_subalgoE5ElNS0_10empty_typeEbEEZZNS1_14partition_implILS5_5ELb0ES3_mN6hipcub16HIPCUB_304000_NS21CountingInputIteratorIllEEPS6_NSA_22TransformInputIteratorIbN2at6native12_GLOBAL__N_19NonZeroOpIbEEPKblEENS0_5tupleIJPlS6_EEENSN_IJSD_SD_EEES6_PiJS6_EEE10hipError_tPvRmT3_T4_T5_T6_T7_T9_mT8_P12ihipStream_tbDpT10_ENKUlT_T0_E_clISt17integral_constantIbLb1EES1B_EEDaS16_S17_EUlS16_E_NS1_11comp_targetILNS1_3genE4ELNS1_11target_archE910ELNS1_3gpuE8ELNS1_3repE0EEENS1_30default_config_static_selectorELNS0_4arch9wavefront6targetE0EEEvT1_.num_named_barrier, 0
	.set _ZN7rocprim17ROCPRIM_400000_NS6detail17trampoline_kernelINS0_14default_configENS1_25partition_config_selectorILNS1_17partition_subalgoE5ElNS0_10empty_typeEbEEZZNS1_14partition_implILS5_5ELb0ES3_mN6hipcub16HIPCUB_304000_NS21CountingInputIteratorIllEEPS6_NSA_22TransformInputIteratorIbN2at6native12_GLOBAL__N_19NonZeroOpIbEEPKblEENS0_5tupleIJPlS6_EEENSN_IJSD_SD_EEES6_PiJS6_EEE10hipError_tPvRmT3_T4_T5_T6_T7_T9_mT8_P12ihipStream_tbDpT10_ENKUlT_T0_E_clISt17integral_constantIbLb1EES1B_EEDaS16_S17_EUlS16_E_NS1_11comp_targetILNS1_3genE4ELNS1_11target_archE910ELNS1_3gpuE8ELNS1_3repE0EEENS1_30default_config_static_selectorELNS0_4arch9wavefront6targetE0EEEvT1_.private_seg_size, 0
	.set _ZN7rocprim17ROCPRIM_400000_NS6detail17trampoline_kernelINS0_14default_configENS1_25partition_config_selectorILNS1_17partition_subalgoE5ElNS0_10empty_typeEbEEZZNS1_14partition_implILS5_5ELb0ES3_mN6hipcub16HIPCUB_304000_NS21CountingInputIteratorIllEEPS6_NSA_22TransformInputIteratorIbN2at6native12_GLOBAL__N_19NonZeroOpIbEEPKblEENS0_5tupleIJPlS6_EEENSN_IJSD_SD_EEES6_PiJS6_EEE10hipError_tPvRmT3_T4_T5_T6_T7_T9_mT8_P12ihipStream_tbDpT10_ENKUlT_T0_E_clISt17integral_constantIbLb1EES1B_EEDaS16_S17_EUlS16_E_NS1_11comp_targetILNS1_3genE4ELNS1_11target_archE910ELNS1_3gpuE8ELNS1_3repE0EEENS1_30default_config_static_selectorELNS0_4arch9wavefront6targetE0EEEvT1_.uses_vcc, 0
	.set _ZN7rocprim17ROCPRIM_400000_NS6detail17trampoline_kernelINS0_14default_configENS1_25partition_config_selectorILNS1_17partition_subalgoE5ElNS0_10empty_typeEbEEZZNS1_14partition_implILS5_5ELb0ES3_mN6hipcub16HIPCUB_304000_NS21CountingInputIteratorIllEEPS6_NSA_22TransformInputIteratorIbN2at6native12_GLOBAL__N_19NonZeroOpIbEEPKblEENS0_5tupleIJPlS6_EEENSN_IJSD_SD_EEES6_PiJS6_EEE10hipError_tPvRmT3_T4_T5_T6_T7_T9_mT8_P12ihipStream_tbDpT10_ENKUlT_T0_E_clISt17integral_constantIbLb1EES1B_EEDaS16_S17_EUlS16_E_NS1_11comp_targetILNS1_3genE4ELNS1_11target_archE910ELNS1_3gpuE8ELNS1_3repE0EEENS1_30default_config_static_selectorELNS0_4arch9wavefront6targetE0EEEvT1_.uses_flat_scratch, 0
	.set _ZN7rocprim17ROCPRIM_400000_NS6detail17trampoline_kernelINS0_14default_configENS1_25partition_config_selectorILNS1_17partition_subalgoE5ElNS0_10empty_typeEbEEZZNS1_14partition_implILS5_5ELb0ES3_mN6hipcub16HIPCUB_304000_NS21CountingInputIteratorIllEEPS6_NSA_22TransformInputIteratorIbN2at6native12_GLOBAL__N_19NonZeroOpIbEEPKblEENS0_5tupleIJPlS6_EEENSN_IJSD_SD_EEES6_PiJS6_EEE10hipError_tPvRmT3_T4_T5_T6_T7_T9_mT8_P12ihipStream_tbDpT10_ENKUlT_T0_E_clISt17integral_constantIbLb1EES1B_EEDaS16_S17_EUlS16_E_NS1_11comp_targetILNS1_3genE4ELNS1_11target_archE910ELNS1_3gpuE8ELNS1_3repE0EEENS1_30default_config_static_selectorELNS0_4arch9wavefront6targetE0EEEvT1_.has_dyn_sized_stack, 0
	.set _ZN7rocprim17ROCPRIM_400000_NS6detail17trampoline_kernelINS0_14default_configENS1_25partition_config_selectorILNS1_17partition_subalgoE5ElNS0_10empty_typeEbEEZZNS1_14partition_implILS5_5ELb0ES3_mN6hipcub16HIPCUB_304000_NS21CountingInputIteratorIllEEPS6_NSA_22TransformInputIteratorIbN2at6native12_GLOBAL__N_19NonZeroOpIbEEPKblEENS0_5tupleIJPlS6_EEENSN_IJSD_SD_EEES6_PiJS6_EEE10hipError_tPvRmT3_T4_T5_T6_T7_T9_mT8_P12ihipStream_tbDpT10_ENKUlT_T0_E_clISt17integral_constantIbLb1EES1B_EEDaS16_S17_EUlS16_E_NS1_11comp_targetILNS1_3genE4ELNS1_11target_archE910ELNS1_3gpuE8ELNS1_3repE0EEENS1_30default_config_static_selectorELNS0_4arch9wavefront6targetE0EEEvT1_.has_recursion, 0
	.set _ZN7rocprim17ROCPRIM_400000_NS6detail17trampoline_kernelINS0_14default_configENS1_25partition_config_selectorILNS1_17partition_subalgoE5ElNS0_10empty_typeEbEEZZNS1_14partition_implILS5_5ELb0ES3_mN6hipcub16HIPCUB_304000_NS21CountingInputIteratorIllEEPS6_NSA_22TransformInputIteratorIbN2at6native12_GLOBAL__N_19NonZeroOpIbEEPKblEENS0_5tupleIJPlS6_EEENSN_IJSD_SD_EEES6_PiJS6_EEE10hipError_tPvRmT3_T4_T5_T6_T7_T9_mT8_P12ihipStream_tbDpT10_ENKUlT_T0_E_clISt17integral_constantIbLb1EES1B_EEDaS16_S17_EUlS16_E_NS1_11comp_targetILNS1_3genE4ELNS1_11target_archE910ELNS1_3gpuE8ELNS1_3repE0EEENS1_30default_config_static_selectorELNS0_4arch9wavefront6targetE0EEEvT1_.has_indirect_call, 0
	.section	.AMDGPU.csdata,"",@progbits
; Kernel info:
; codeLenInByte = 0
; TotalNumSgprs: 0
; NumVgprs: 0
; ScratchSize: 0
; MemoryBound: 0
; FloatMode: 240
; IeeeMode: 1
; LDSByteSize: 0 bytes/workgroup (compile time only)
; SGPRBlocks: 0
; VGPRBlocks: 0
; NumSGPRsForWavesPerEU: 1
; NumVGPRsForWavesPerEU: 1
; Occupancy: 16
; WaveLimiterHint : 0
; COMPUTE_PGM_RSRC2:SCRATCH_EN: 0
; COMPUTE_PGM_RSRC2:USER_SGPR: 2
; COMPUTE_PGM_RSRC2:TRAP_HANDLER: 0
; COMPUTE_PGM_RSRC2:TGID_X_EN: 1
; COMPUTE_PGM_RSRC2:TGID_Y_EN: 0
; COMPUTE_PGM_RSRC2:TGID_Z_EN: 0
; COMPUTE_PGM_RSRC2:TIDIG_COMP_CNT: 0
	.section	.text._ZN7rocprim17ROCPRIM_400000_NS6detail17trampoline_kernelINS0_14default_configENS1_25partition_config_selectorILNS1_17partition_subalgoE5ElNS0_10empty_typeEbEEZZNS1_14partition_implILS5_5ELb0ES3_mN6hipcub16HIPCUB_304000_NS21CountingInputIteratorIllEEPS6_NSA_22TransformInputIteratorIbN2at6native12_GLOBAL__N_19NonZeroOpIbEEPKblEENS0_5tupleIJPlS6_EEENSN_IJSD_SD_EEES6_PiJS6_EEE10hipError_tPvRmT3_T4_T5_T6_T7_T9_mT8_P12ihipStream_tbDpT10_ENKUlT_T0_E_clISt17integral_constantIbLb1EES1B_EEDaS16_S17_EUlS16_E_NS1_11comp_targetILNS1_3genE3ELNS1_11target_archE908ELNS1_3gpuE7ELNS1_3repE0EEENS1_30default_config_static_selectorELNS0_4arch9wavefront6targetE0EEEvT1_,"axG",@progbits,_ZN7rocprim17ROCPRIM_400000_NS6detail17trampoline_kernelINS0_14default_configENS1_25partition_config_selectorILNS1_17partition_subalgoE5ElNS0_10empty_typeEbEEZZNS1_14partition_implILS5_5ELb0ES3_mN6hipcub16HIPCUB_304000_NS21CountingInputIteratorIllEEPS6_NSA_22TransformInputIteratorIbN2at6native12_GLOBAL__N_19NonZeroOpIbEEPKblEENS0_5tupleIJPlS6_EEENSN_IJSD_SD_EEES6_PiJS6_EEE10hipError_tPvRmT3_T4_T5_T6_T7_T9_mT8_P12ihipStream_tbDpT10_ENKUlT_T0_E_clISt17integral_constantIbLb1EES1B_EEDaS16_S17_EUlS16_E_NS1_11comp_targetILNS1_3genE3ELNS1_11target_archE908ELNS1_3gpuE7ELNS1_3repE0EEENS1_30default_config_static_selectorELNS0_4arch9wavefront6targetE0EEEvT1_,comdat
	.globl	_ZN7rocprim17ROCPRIM_400000_NS6detail17trampoline_kernelINS0_14default_configENS1_25partition_config_selectorILNS1_17partition_subalgoE5ElNS0_10empty_typeEbEEZZNS1_14partition_implILS5_5ELb0ES3_mN6hipcub16HIPCUB_304000_NS21CountingInputIteratorIllEEPS6_NSA_22TransformInputIteratorIbN2at6native12_GLOBAL__N_19NonZeroOpIbEEPKblEENS0_5tupleIJPlS6_EEENSN_IJSD_SD_EEES6_PiJS6_EEE10hipError_tPvRmT3_T4_T5_T6_T7_T9_mT8_P12ihipStream_tbDpT10_ENKUlT_T0_E_clISt17integral_constantIbLb1EES1B_EEDaS16_S17_EUlS16_E_NS1_11comp_targetILNS1_3genE3ELNS1_11target_archE908ELNS1_3gpuE7ELNS1_3repE0EEENS1_30default_config_static_selectorELNS0_4arch9wavefront6targetE0EEEvT1_ ; -- Begin function _ZN7rocprim17ROCPRIM_400000_NS6detail17trampoline_kernelINS0_14default_configENS1_25partition_config_selectorILNS1_17partition_subalgoE5ElNS0_10empty_typeEbEEZZNS1_14partition_implILS5_5ELb0ES3_mN6hipcub16HIPCUB_304000_NS21CountingInputIteratorIllEEPS6_NSA_22TransformInputIteratorIbN2at6native12_GLOBAL__N_19NonZeroOpIbEEPKblEENS0_5tupleIJPlS6_EEENSN_IJSD_SD_EEES6_PiJS6_EEE10hipError_tPvRmT3_T4_T5_T6_T7_T9_mT8_P12ihipStream_tbDpT10_ENKUlT_T0_E_clISt17integral_constantIbLb1EES1B_EEDaS16_S17_EUlS16_E_NS1_11comp_targetILNS1_3genE3ELNS1_11target_archE908ELNS1_3gpuE7ELNS1_3repE0EEENS1_30default_config_static_selectorELNS0_4arch9wavefront6targetE0EEEvT1_
	.p2align	8
	.type	_ZN7rocprim17ROCPRIM_400000_NS6detail17trampoline_kernelINS0_14default_configENS1_25partition_config_selectorILNS1_17partition_subalgoE5ElNS0_10empty_typeEbEEZZNS1_14partition_implILS5_5ELb0ES3_mN6hipcub16HIPCUB_304000_NS21CountingInputIteratorIllEEPS6_NSA_22TransformInputIteratorIbN2at6native12_GLOBAL__N_19NonZeroOpIbEEPKblEENS0_5tupleIJPlS6_EEENSN_IJSD_SD_EEES6_PiJS6_EEE10hipError_tPvRmT3_T4_T5_T6_T7_T9_mT8_P12ihipStream_tbDpT10_ENKUlT_T0_E_clISt17integral_constantIbLb1EES1B_EEDaS16_S17_EUlS16_E_NS1_11comp_targetILNS1_3genE3ELNS1_11target_archE908ELNS1_3gpuE7ELNS1_3repE0EEENS1_30default_config_static_selectorELNS0_4arch9wavefront6targetE0EEEvT1_,@function
_ZN7rocprim17ROCPRIM_400000_NS6detail17trampoline_kernelINS0_14default_configENS1_25partition_config_selectorILNS1_17partition_subalgoE5ElNS0_10empty_typeEbEEZZNS1_14partition_implILS5_5ELb0ES3_mN6hipcub16HIPCUB_304000_NS21CountingInputIteratorIllEEPS6_NSA_22TransformInputIteratorIbN2at6native12_GLOBAL__N_19NonZeroOpIbEEPKblEENS0_5tupleIJPlS6_EEENSN_IJSD_SD_EEES6_PiJS6_EEE10hipError_tPvRmT3_T4_T5_T6_T7_T9_mT8_P12ihipStream_tbDpT10_ENKUlT_T0_E_clISt17integral_constantIbLb1EES1B_EEDaS16_S17_EUlS16_E_NS1_11comp_targetILNS1_3genE3ELNS1_11target_archE908ELNS1_3gpuE7ELNS1_3repE0EEENS1_30default_config_static_selectorELNS0_4arch9wavefront6targetE0EEEvT1_: ; @_ZN7rocprim17ROCPRIM_400000_NS6detail17trampoline_kernelINS0_14default_configENS1_25partition_config_selectorILNS1_17partition_subalgoE5ElNS0_10empty_typeEbEEZZNS1_14partition_implILS5_5ELb0ES3_mN6hipcub16HIPCUB_304000_NS21CountingInputIteratorIllEEPS6_NSA_22TransformInputIteratorIbN2at6native12_GLOBAL__N_19NonZeroOpIbEEPKblEENS0_5tupleIJPlS6_EEENSN_IJSD_SD_EEES6_PiJS6_EEE10hipError_tPvRmT3_T4_T5_T6_T7_T9_mT8_P12ihipStream_tbDpT10_ENKUlT_T0_E_clISt17integral_constantIbLb1EES1B_EEDaS16_S17_EUlS16_E_NS1_11comp_targetILNS1_3genE3ELNS1_11target_archE908ELNS1_3gpuE7ELNS1_3repE0EEENS1_30default_config_static_selectorELNS0_4arch9wavefront6targetE0EEEvT1_
; %bb.0:
	.section	.rodata,"a",@progbits
	.p2align	6, 0x0
	.amdhsa_kernel _ZN7rocprim17ROCPRIM_400000_NS6detail17trampoline_kernelINS0_14default_configENS1_25partition_config_selectorILNS1_17partition_subalgoE5ElNS0_10empty_typeEbEEZZNS1_14partition_implILS5_5ELb0ES3_mN6hipcub16HIPCUB_304000_NS21CountingInputIteratorIllEEPS6_NSA_22TransformInputIteratorIbN2at6native12_GLOBAL__N_19NonZeroOpIbEEPKblEENS0_5tupleIJPlS6_EEENSN_IJSD_SD_EEES6_PiJS6_EEE10hipError_tPvRmT3_T4_T5_T6_T7_T9_mT8_P12ihipStream_tbDpT10_ENKUlT_T0_E_clISt17integral_constantIbLb1EES1B_EEDaS16_S17_EUlS16_E_NS1_11comp_targetILNS1_3genE3ELNS1_11target_archE908ELNS1_3gpuE7ELNS1_3repE0EEENS1_30default_config_static_selectorELNS0_4arch9wavefront6targetE0EEEvT1_
		.amdhsa_group_segment_fixed_size 0
		.amdhsa_private_segment_fixed_size 0
		.amdhsa_kernarg_size 136
		.amdhsa_user_sgpr_count 2
		.amdhsa_user_sgpr_dispatch_ptr 0
		.amdhsa_user_sgpr_queue_ptr 0
		.amdhsa_user_sgpr_kernarg_segment_ptr 1
		.amdhsa_user_sgpr_dispatch_id 0
		.amdhsa_user_sgpr_private_segment_size 0
		.amdhsa_wavefront_size32 1
		.amdhsa_uses_dynamic_stack 0
		.amdhsa_enable_private_segment 0
		.amdhsa_system_sgpr_workgroup_id_x 1
		.amdhsa_system_sgpr_workgroup_id_y 0
		.amdhsa_system_sgpr_workgroup_id_z 0
		.amdhsa_system_sgpr_workgroup_info 0
		.amdhsa_system_vgpr_workitem_id 0
		.amdhsa_next_free_vgpr 1
		.amdhsa_next_free_sgpr 1
		.amdhsa_reserve_vcc 0
		.amdhsa_float_round_mode_32 0
		.amdhsa_float_round_mode_16_64 0
		.amdhsa_float_denorm_mode_32 3
		.amdhsa_float_denorm_mode_16_64 3
		.amdhsa_fp16_overflow 0
		.amdhsa_workgroup_processor_mode 1
		.amdhsa_memory_ordered 1
		.amdhsa_forward_progress 1
		.amdhsa_inst_pref_size 0
		.amdhsa_round_robin_scheduling 0
		.amdhsa_exception_fp_ieee_invalid_op 0
		.amdhsa_exception_fp_denorm_src 0
		.amdhsa_exception_fp_ieee_div_zero 0
		.amdhsa_exception_fp_ieee_overflow 0
		.amdhsa_exception_fp_ieee_underflow 0
		.amdhsa_exception_fp_ieee_inexact 0
		.amdhsa_exception_int_div_zero 0
	.end_amdhsa_kernel
	.section	.text._ZN7rocprim17ROCPRIM_400000_NS6detail17trampoline_kernelINS0_14default_configENS1_25partition_config_selectorILNS1_17partition_subalgoE5ElNS0_10empty_typeEbEEZZNS1_14partition_implILS5_5ELb0ES3_mN6hipcub16HIPCUB_304000_NS21CountingInputIteratorIllEEPS6_NSA_22TransformInputIteratorIbN2at6native12_GLOBAL__N_19NonZeroOpIbEEPKblEENS0_5tupleIJPlS6_EEENSN_IJSD_SD_EEES6_PiJS6_EEE10hipError_tPvRmT3_T4_T5_T6_T7_T9_mT8_P12ihipStream_tbDpT10_ENKUlT_T0_E_clISt17integral_constantIbLb1EES1B_EEDaS16_S17_EUlS16_E_NS1_11comp_targetILNS1_3genE3ELNS1_11target_archE908ELNS1_3gpuE7ELNS1_3repE0EEENS1_30default_config_static_selectorELNS0_4arch9wavefront6targetE0EEEvT1_,"axG",@progbits,_ZN7rocprim17ROCPRIM_400000_NS6detail17trampoline_kernelINS0_14default_configENS1_25partition_config_selectorILNS1_17partition_subalgoE5ElNS0_10empty_typeEbEEZZNS1_14partition_implILS5_5ELb0ES3_mN6hipcub16HIPCUB_304000_NS21CountingInputIteratorIllEEPS6_NSA_22TransformInputIteratorIbN2at6native12_GLOBAL__N_19NonZeroOpIbEEPKblEENS0_5tupleIJPlS6_EEENSN_IJSD_SD_EEES6_PiJS6_EEE10hipError_tPvRmT3_T4_T5_T6_T7_T9_mT8_P12ihipStream_tbDpT10_ENKUlT_T0_E_clISt17integral_constantIbLb1EES1B_EEDaS16_S17_EUlS16_E_NS1_11comp_targetILNS1_3genE3ELNS1_11target_archE908ELNS1_3gpuE7ELNS1_3repE0EEENS1_30default_config_static_selectorELNS0_4arch9wavefront6targetE0EEEvT1_,comdat
.Lfunc_end741:
	.size	_ZN7rocprim17ROCPRIM_400000_NS6detail17trampoline_kernelINS0_14default_configENS1_25partition_config_selectorILNS1_17partition_subalgoE5ElNS0_10empty_typeEbEEZZNS1_14partition_implILS5_5ELb0ES3_mN6hipcub16HIPCUB_304000_NS21CountingInputIteratorIllEEPS6_NSA_22TransformInputIteratorIbN2at6native12_GLOBAL__N_19NonZeroOpIbEEPKblEENS0_5tupleIJPlS6_EEENSN_IJSD_SD_EEES6_PiJS6_EEE10hipError_tPvRmT3_T4_T5_T6_T7_T9_mT8_P12ihipStream_tbDpT10_ENKUlT_T0_E_clISt17integral_constantIbLb1EES1B_EEDaS16_S17_EUlS16_E_NS1_11comp_targetILNS1_3genE3ELNS1_11target_archE908ELNS1_3gpuE7ELNS1_3repE0EEENS1_30default_config_static_selectorELNS0_4arch9wavefront6targetE0EEEvT1_, .Lfunc_end741-_ZN7rocprim17ROCPRIM_400000_NS6detail17trampoline_kernelINS0_14default_configENS1_25partition_config_selectorILNS1_17partition_subalgoE5ElNS0_10empty_typeEbEEZZNS1_14partition_implILS5_5ELb0ES3_mN6hipcub16HIPCUB_304000_NS21CountingInputIteratorIllEEPS6_NSA_22TransformInputIteratorIbN2at6native12_GLOBAL__N_19NonZeroOpIbEEPKblEENS0_5tupleIJPlS6_EEENSN_IJSD_SD_EEES6_PiJS6_EEE10hipError_tPvRmT3_T4_T5_T6_T7_T9_mT8_P12ihipStream_tbDpT10_ENKUlT_T0_E_clISt17integral_constantIbLb1EES1B_EEDaS16_S17_EUlS16_E_NS1_11comp_targetILNS1_3genE3ELNS1_11target_archE908ELNS1_3gpuE7ELNS1_3repE0EEENS1_30default_config_static_selectorELNS0_4arch9wavefront6targetE0EEEvT1_
                                        ; -- End function
	.set _ZN7rocprim17ROCPRIM_400000_NS6detail17trampoline_kernelINS0_14default_configENS1_25partition_config_selectorILNS1_17partition_subalgoE5ElNS0_10empty_typeEbEEZZNS1_14partition_implILS5_5ELb0ES3_mN6hipcub16HIPCUB_304000_NS21CountingInputIteratorIllEEPS6_NSA_22TransformInputIteratorIbN2at6native12_GLOBAL__N_19NonZeroOpIbEEPKblEENS0_5tupleIJPlS6_EEENSN_IJSD_SD_EEES6_PiJS6_EEE10hipError_tPvRmT3_T4_T5_T6_T7_T9_mT8_P12ihipStream_tbDpT10_ENKUlT_T0_E_clISt17integral_constantIbLb1EES1B_EEDaS16_S17_EUlS16_E_NS1_11comp_targetILNS1_3genE3ELNS1_11target_archE908ELNS1_3gpuE7ELNS1_3repE0EEENS1_30default_config_static_selectorELNS0_4arch9wavefront6targetE0EEEvT1_.num_vgpr, 0
	.set _ZN7rocprim17ROCPRIM_400000_NS6detail17trampoline_kernelINS0_14default_configENS1_25partition_config_selectorILNS1_17partition_subalgoE5ElNS0_10empty_typeEbEEZZNS1_14partition_implILS5_5ELb0ES3_mN6hipcub16HIPCUB_304000_NS21CountingInputIteratorIllEEPS6_NSA_22TransformInputIteratorIbN2at6native12_GLOBAL__N_19NonZeroOpIbEEPKblEENS0_5tupleIJPlS6_EEENSN_IJSD_SD_EEES6_PiJS6_EEE10hipError_tPvRmT3_T4_T5_T6_T7_T9_mT8_P12ihipStream_tbDpT10_ENKUlT_T0_E_clISt17integral_constantIbLb1EES1B_EEDaS16_S17_EUlS16_E_NS1_11comp_targetILNS1_3genE3ELNS1_11target_archE908ELNS1_3gpuE7ELNS1_3repE0EEENS1_30default_config_static_selectorELNS0_4arch9wavefront6targetE0EEEvT1_.num_agpr, 0
	.set _ZN7rocprim17ROCPRIM_400000_NS6detail17trampoline_kernelINS0_14default_configENS1_25partition_config_selectorILNS1_17partition_subalgoE5ElNS0_10empty_typeEbEEZZNS1_14partition_implILS5_5ELb0ES3_mN6hipcub16HIPCUB_304000_NS21CountingInputIteratorIllEEPS6_NSA_22TransformInputIteratorIbN2at6native12_GLOBAL__N_19NonZeroOpIbEEPKblEENS0_5tupleIJPlS6_EEENSN_IJSD_SD_EEES6_PiJS6_EEE10hipError_tPvRmT3_T4_T5_T6_T7_T9_mT8_P12ihipStream_tbDpT10_ENKUlT_T0_E_clISt17integral_constantIbLb1EES1B_EEDaS16_S17_EUlS16_E_NS1_11comp_targetILNS1_3genE3ELNS1_11target_archE908ELNS1_3gpuE7ELNS1_3repE0EEENS1_30default_config_static_selectorELNS0_4arch9wavefront6targetE0EEEvT1_.numbered_sgpr, 0
	.set _ZN7rocprim17ROCPRIM_400000_NS6detail17trampoline_kernelINS0_14default_configENS1_25partition_config_selectorILNS1_17partition_subalgoE5ElNS0_10empty_typeEbEEZZNS1_14partition_implILS5_5ELb0ES3_mN6hipcub16HIPCUB_304000_NS21CountingInputIteratorIllEEPS6_NSA_22TransformInputIteratorIbN2at6native12_GLOBAL__N_19NonZeroOpIbEEPKblEENS0_5tupleIJPlS6_EEENSN_IJSD_SD_EEES6_PiJS6_EEE10hipError_tPvRmT3_T4_T5_T6_T7_T9_mT8_P12ihipStream_tbDpT10_ENKUlT_T0_E_clISt17integral_constantIbLb1EES1B_EEDaS16_S17_EUlS16_E_NS1_11comp_targetILNS1_3genE3ELNS1_11target_archE908ELNS1_3gpuE7ELNS1_3repE0EEENS1_30default_config_static_selectorELNS0_4arch9wavefront6targetE0EEEvT1_.num_named_barrier, 0
	.set _ZN7rocprim17ROCPRIM_400000_NS6detail17trampoline_kernelINS0_14default_configENS1_25partition_config_selectorILNS1_17partition_subalgoE5ElNS0_10empty_typeEbEEZZNS1_14partition_implILS5_5ELb0ES3_mN6hipcub16HIPCUB_304000_NS21CountingInputIteratorIllEEPS6_NSA_22TransformInputIteratorIbN2at6native12_GLOBAL__N_19NonZeroOpIbEEPKblEENS0_5tupleIJPlS6_EEENSN_IJSD_SD_EEES6_PiJS6_EEE10hipError_tPvRmT3_T4_T5_T6_T7_T9_mT8_P12ihipStream_tbDpT10_ENKUlT_T0_E_clISt17integral_constantIbLb1EES1B_EEDaS16_S17_EUlS16_E_NS1_11comp_targetILNS1_3genE3ELNS1_11target_archE908ELNS1_3gpuE7ELNS1_3repE0EEENS1_30default_config_static_selectorELNS0_4arch9wavefront6targetE0EEEvT1_.private_seg_size, 0
	.set _ZN7rocprim17ROCPRIM_400000_NS6detail17trampoline_kernelINS0_14default_configENS1_25partition_config_selectorILNS1_17partition_subalgoE5ElNS0_10empty_typeEbEEZZNS1_14partition_implILS5_5ELb0ES3_mN6hipcub16HIPCUB_304000_NS21CountingInputIteratorIllEEPS6_NSA_22TransformInputIteratorIbN2at6native12_GLOBAL__N_19NonZeroOpIbEEPKblEENS0_5tupleIJPlS6_EEENSN_IJSD_SD_EEES6_PiJS6_EEE10hipError_tPvRmT3_T4_T5_T6_T7_T9_mT8_P12ihipStream_tbDpT10_ENKUlT_T0_E_clISt17integral_constantIbLb1EES1B_EEDaS16_S17_EUlS16_E_NS1_11comp_targetILNS1_3genE3ELNS1_11target_archE908ELNS1_3gpuE7ELNS1_3repE0EEENS1_30default_config_static_selectorELNS0_4arch9wavefront6targetE0EEEvT1_.uses_vcc, 0
	.set _ZN7rocprim17ROCPRIM_400000_NS6detail17trampoline_kernelINS0_14default_configENS1_25partition_config_selectorILNS1_17partition_subalgoE5ElNS0_10empty_typeEbEEZZNS1_14partition_implILS5_5ELb0ES3_mN6hipcub16HIPCUB_304000_NS21CountingInputIteratorIllEEPS6_NSA_22TransformInputIteratorIbN2at6native12_GLOBAL__N_19NonZeroOpIbEEPKblEENS0_5tupleIJPlS6_EEENSN_IJSD_SD_EEES6_PiJS6_EEE10hipError_tPvRmT3_T4_T5_T6_T7_T9_mT8_P12ihipStream_tbDpT10_ENKUlT_T0_E_clISt17integral_constantIbLb1EES1B_EEDaS16_S17_EUlS16_E_NS1_11comp_targetILNS1_3genE3ELNS1_11target_archE908ELNS1_3gpuE7ELNS1_3repE0EEENS1_30default_config_static_selectorELNS0_4arch9wavefront6targetE0EEEvT1_.uses_flat_scratch, 0
	.set _ZN7rocprim17ROCPRIM_400000_NS6detail17trampoline_kernelINS0_14default_configENS1_25partition_config_selectorILNS1_17partition_subalgoE5ElNS0_10empty_typeEbEEZZNS1_14partition_implILS5_5ELb0ES3_mN6hipcub16HIPCUB_304000_NS21CountingInputIteratorIllEEPS6_NSA_22TransformInputIteratorIbN2at6native12_GLOBAL__N_19NonZeroOpIbEEPKblEENS0_5tupleIJPlS6_EEENSN_IJSD_SD_EEES6_PiJS6_EEE10hipError_tPvRmT3_T4_T5_T6_T7_T9_mT8_P12ihipStream_tbDpT10_ENKUlT_T0_E_clISt17integral_constantIbLb1EES1B_EEDaS16_S17_EUlS16_E_NS1_11comp_targetILNS1_3genE3ELNS1_11target_archE908ELNS1_3gpuE7ELNS1_3repE0EEENS1_30default_config_static_selectorELNS0_4arch9wavefront6targetE0EEEvT1_.has_dyn_sized_stack, 0
	.set _ZN7rocprim17ROCPRIM_400000_NS6detail17trampoline_kernelINS0_14default_configENS1_25partition_config_selectorILNS1_17partition_subalgoE5ElNS0_10empty_typeEbEEZZNS1_14partition_implILS5_5ELb0ES3_mN6hipcub16HIPCUB_304000_NS21CountingInputIteratorIllEEPS6_NSA_22TransformInputIteratorIbN2at6native12_GLOBAL__N_19NonZeroOpIbEEPKblEENS0_5tupleIJPlS6_EEENSN_IJSD_SD_EEES6_PiJS6_EEE10hipError_tPvRmT3_T4_T5_T6_T7_T9_mT8_P12ihipStream_tbDpT10_ENKUlT_T0_E_clISt17integral_constantIbLb1EES1B_EEDaS16_S17_EUlS16_E_NS1_11comp_targetILNS1_3genE3ELNS1_11target_archE908ELNS1_3gpuE7ELNS1_3repE0EEENS1_30default_config_static_selectorELNS0_4arch9wavefront6targetE0EEEvT1_.has_recursion, 0
	.set _ZN7rocprim17ROCPRIM_400000_NS6detail17trampoline_kernelINS0_14default_configENS1_25partition_config_selectorILNS1_17partition_subalgoE5ElNS0_10empty_typeEbEEZZNS1_14partition_implILS5_5ELb0ES3_mN6hipcub16HIPCUB_304000_NS21CountingInputIteratorIllEEPS6_NSA_22TransformInputIteratorIbN2at6native12_GLOBAL__N_19NonZeroOpIbEEPKblEENS0_5tupleIJPlS6_EEENSN_IJSD_SD_EEES6_PiJS6_EEE10hipError_tPvRmT3_T4_T5_T6_T7_T9_mT8_P12ihipStream_tbDpT10_ENKUlT_T0_E_clISt17integral_constantIbLb1EES1B_EEDaS16_S17_EUlS16_E_NS1_11comp_targetILNS1_3genE3ELNS1_11target_archE908ELNS1_3gpuE7ELNS1_3repE0EEENS1_30default_config_static_selectorELNS0_4arch9wavefront6targetE0EEEvT1_.has_indirect_call, 0
	.section	.AMDGPU.csdata,"",@progbits
; Kernel info:
; codeLenInByte = 0
; TotalNumSgprs: 0
; NumVgprs: 0
; ScratchSize: 0
; MemoryBound: 0
; FloatMode: 240
; IeeeMode: 1
; LDSByteSize: 0 bytes/workgroup (compile time only)
; SGPRBlocks: 0
; VGPRBlocks: 0
; NumSGPRsForWavesPerEU: 1
; NumVGPRsForWavesPerEU: 1
; Occupancy: 16
; WaveLimiterHint : 0
; COMPUTE_PGM_RSRC2:SCRATCH_EN: 0
; COMPUTE_PGM_RSRC2:USER_SGPR: 2
; COMPUTE_PGM_RSRC2:TRAP_HANDLER: 0
; COMPUTE_PGM_RSRC2:TGID_X_EN: 1
; COMPUTE_PGM_RSRC2:TGID_Y_EN: 0
; COMPUTE_PGM_RSRC2:TGID_Z_EN: 0
; COMPUTE_PGM_RSRC2:TIDIG_COMP_CNT: 0
	.section	.text._ZN7rocprim17ROCPRIM_400000_NS6detail17trampoline_kernelINS0_14default_configENS1_25partition_config_selectorILNS1_17partition_subalgoE5ElNS0_10empty_typeEbEEZZNS1_14partition_implILS5_5ELb0ES3_mN6hipcub16HIPCUB_304000_NS21CountingInputIteratorIllEEPS6_NSA_22TransformInputIteratorIbN2at6native12_GLOBAL__N_19NonZeroOpIbEEPKblEENS0_5tupleIJPlS6_EEENSN_IJSD_SD_EEES6_PiJS6_EEE10hipError_tPvRmT3_T4_T5_T6_T7_T9_mT8_P12ihipStream_tbDpT10_ENKUlT_T0_E_clISt17integral_constantIbLb1EES1B_EEDaS16_S17_EUlS16_E_NS1_11comp_targetILNS1_3genE2ELNS1_11target_archE906ELNS1_3gpuE6ELNS1_3repE0EEENS1_30default_config_static_selectorELNS0_4arch9wavefront6targetE0EEEvT1_,"axG",@progbits,_ZN7rocprim17ROCPRIM_400000_NS6detail17trampoline_kernelINS0_14default_configENS1_25partition_config_selectorILNS1_17partition_subalgoE5ElNS0_10empty_typeEbEEZZNS1_14partition_implILS5_5ELb0ES3_mN6hipcub16HIPCUB_304000_NS21CountingInputIteratorIllEEPS6_NSA_22TransformInputIteratorIbN2at6native12_GLOBAL__N_19NonZeroOpIbEEPKblEENS0_5tupleIJPlS6_EEENSN_IJSD_SD_EEES6_PiJS6_EEE10hipError_tPvRmT3_T4_T5_T6_T7_T9_mT8_P12ihipStream_tbDpT10_ENKUlT_T0_E_clISt17integral_constantIbLb1EES1B_EEDaS16_S17_EUlS16_E_NS1_11comp_targetILNS1_3genE2ELNS1_11target_archE906ELNS1_3gpuE6ELNS1_3repE0EEENS1_30default_config_static_selectorELNS0_4arch9wavefront6targetE0EEEvT1_,comdat
	.globl	_ZN7rocprim17ROCPRIM_400000_NS6detail17trampoline_kernelINS0_14default_configENS1_25partition_config_selectorILNS1_17partition_subalgoE5ElNS0_10empty_typeEbEEZZNS1_14partition_implILS5_5ELb0ES3_mN6hipcub16HIPCUB_304000_NS21CountingInputIteratorIllEEPS6_NSA_22TransformInputIteratorIbN2at6native12_GLOBAL__N_19NonZeroOpIbEEPKblEENS0_5tupleIJPlS6_EEENSN_IJSD_SD_EEES6_PiJS6_EEE10hipError_tPvRmT3_T4_T5_T6_T7_T9_mT8_P12ihipStream_tbDpT10_ENKUlT_T0_E_clISt17integral_constantIbLb1EES1B_EEDaS16_S17_EUlS16_E_NS1_11comp_targetILNS1_3genE2ELNS1_11target_archE906ELNS1_3gpuE6ELNS1_3repE0EEENS1_30default_config_static_selectorELNS0_4arch9wavefront6targetE0EEEvT1_ ; -- Begin function _ZN7rocprim17ROCPRIM_400000_NS6detail17trampoline_kernelINS0_14default_configENS1_25partition_config_selectorILNS1_17partition_subalgoE5ElNS0_10empty_typeEbEEZZNS1_14partition_implILS5_5ELb0ES3_mN6hipcub16HIPCUB_304000_NS21CountingInputIteratorIllEEPS6_NSA_22TransformInputIteratorIbN2at6native12_GLOBAL__N_19NonZeroOpIbEEPKblEENS0_5tupleIJPlS6_EEENSN_IJSD_SD_EEES6_PiJS6_EEE10hipError_tPvRmT3_T4_T5_T6_T7_T9_mT8_P12ihipStream_tbDpT10_ENKUlT_T0_E_clISt17integral_constantIbLb1EES1B_EEDaS16_S17_EUlS16_E_NS1_11comp_targetILNS1_3genE2ELNS1_11target_archE906ELNS1_3gpuE6ELNS1_3repE0EEENS1_30default_config_static_selectorELNS0_4arch9wavefront6targetE0EEEvT1_
	.p2align	8
	.type	_ZN7rocprim17ROCPRIM_400000_NS6detail17trampoline_kernelINS0_14default_configENS1_25partition_config_selectorILNS1_17partition_subalgoE5ElNS0_10empty_typeEbEEZZNS1_14partition_implILS5_5ELb0ES3_mN6hipcub16HIPCUB_304000_NS21CountingInputIteratorIllEEPS6_NSA_22TransformInputIteratorIbN2at6native12_GLOBAL__N_19NonZeroOpIbEEPKblEENS0_5tupleIJPlS6_EEENSN_IJSD_SD_EEES6_PiJS6_EEE10hipError_tPvRmT3_T4_T5_T6_T7_T9_mT8_P12ihipStream_tbDpT10_ENKUlT_T0_E_clISt17integral_constantIbLb1EES1B_EEDaS16_S17_EUlS16_E_NS1_11comp_targetILNS1_3genE2ELNS1_11target_archE906ELNS1_3gpuE6ELNS1_3repE0EEENS1_30default_config_static_selectorELNS0_4arch9wavefront6targetE0EEEvT1_,@function
_ZN7rocprim17ROCPRIM_400000_NS6detail17trampoline_kernelINS0_14default_configENS1_25partition_config_selectorILNS1_17partition_subalgoE5ElNS0_10empty_typeEbEEZZNS1_14partition_implILS5_5ELb0ES3_mN6hipcub16HIPCUB_304000_NS21CountingInputIteratorIllEEPS6_NSA_22TransformInputIteratorIbN2at6native12_GLOBAL__N_19NonZeroOpIbEEPKblEENS0_5tupleIJPlS6_EEENSN_IJSD_SD_EEES6_PiJS6_EEE10hipError_tPvRmT3_T4_T5_T6_T7_T9_mT8_P12ihipStream_tbDpT10_ENKUlT_T0_E_clISt17integral_constantIbLb1EES1B_EEDaS16_S17_EUlS16_E_NS1_11comp_targetILNS1_3genE2ELNS1_11target_archE906ELNS1_3gpuE6ELNS1_3repE0EEENS1_30default_config_static_selectorELNS0_4arch9wavefront6targetE0EEEvT1_: ; @_ZN7rocprim17ROCPRIM_400000_NS6detail17trampoline_kernelINS0_14default_configENS1_25partition_config_selectorILNS1_17partition_subalgoE5ElNS0_10empty_typeEbEEZZNS1_14partition_implILS5_5ELb0ES3_mN6hipcub16HIPCUB_304000_NS21CountingInputIteratorIllEEPS6_NSA_22TransformInputIteratorIbN2at6native12_GLOBAL__N_19NonZeroOpIbEEPKblEENS0_5tupleIJPlS6_EEENSN_IJSD_SD_EEES6_PiJS6_EEE10hipError_tPvRmT3_T4_T5_T6_T7_T9_mT8_P12ihipStream_tbDpT10_ENKUlT_T0_E_clISt17integral_constantIbLb1EES1B_EEDaS16_S17_EUlS16_E_NS1_11comp_targetILNS1_3genE2ELNS1_11target_archE906ELNS1_3gpuE6ELNS1_3repE0EEENS1_30default_config_static_selectorELNS0_4arch9wavefront6targetE0EEEvT1_
; %bb.0:
	.section	.rodata,"a",@progbits
	.p2align	6, 0x0
	.amdhsa_kernel _ZN7rocprim17ROCPRIM_400000_NS6detail17trampoline_kernelINS0_14default_configENS1_25partition_config_selectorILNS1_17partition_subalgoE5ElNS0_10empty_typeEbEEZZNS1_14partition_implILS5_5ELb0ES3_mN6hipcub16HIPCUB_304000_NS21CountingInputIteratorIllEEPS6_NSA_22TransformInputIteratorIbN2at6native12_GLOBAL__N_19NonZeroOpIbEEPKblEENS0_5tupleIJPlS6_EEENSN_IJSD_SD_EEES6_PiJS6_EEE10hipError_tPvRmT3_T4_T5_T6_T7_T9_mT8_P12ihipStream_tbDpT10_ENKUlT_T0_E_clISt17integral_constantIbLb1EES1B_EEDaS16_S17_EUlS16_E_NS1_11comp_targetILNS1_3genE2ELNS1_11target_archE906ELNS1_3gpuE6ELNS1_3repE0EEENS1_30default_config_static_selectorELNS0_4arch9wavefront6targetE0EEEvT1_
		.amdhsa_group_segment_fixed_size 0
		.amdhsa_private_segment_fixed_size 0
		.amdhsa_kernarg_size 136
		.amdhsa_user_sgpr_count 2
		.amdhsa_user_sgpr_dispatch_ptr 0
		.amdhsa_user_sgpr_queue_ptr 0
		.amdhsa_user_sgpr_kernarg_segment_ptr 1
		.amdhsa_user_sgpr_dispatch_id 0
		.amdhsa_user_sgpr_private_segment_size 0
		.amdhsa_wavefront_size32 1
		.amdhsa_uses_dynamic_stack 0
		.amdhsa_enable_private_segment 0
		.amdhsa_system_sgpr_workgroup_id_x 1
		.amdhsa_system_sgpr_workgroup_id_y 0
		.amdhsa_system_sgpr_workgroup_id_z 0
		.amdhsa_system_sgpr_workgroup_info 0
		.amdhsa_system_vgpr_workitem_id 0
		.amdhsa_next_free_vgpr 1
		.amdhsa_next_free_sgpr 1
		.amdhsa_reserve_vcc 0
		.amdhsa_float_round_mode_32 0
		.amdhsa_float_round_mode_16_64 0
		.amdhsa_float_denorm_mode_32 3
		.amdhsa_float_denorm_mode_16_64 3
		.amdhsa_fp16_overflow 0
		.amdhsa_workgroup_processor_mode 1
		.amdhsa_memory_ordered 1
		.amdhsa_forward_progress 1
		.amdhsa_inst_pref_size 0
		.amdhsa_round_robin_scheduling 0
		.amdhsa_exception_fp_ieee_invalid_op 0
		.amdhsa_exception_fp_denorm_src 0
		.amdhsa_exception_fp_ieee_div_zero 0
		.amdhsa_exception_fp_ieee_overflow 0
		.amdhsa_exception_fp_ieee_underflow 0
		.amdhsa_exception_fp_ieee_inexact 0
		.amdhsa_exception_int_div_zero 0
	.end_amdhsa_kernel
	.section	.text._ZN7rocprim17ROCPRIM_400000_NS6detail17trampoline_kernelINS0_14default_configENS1_25partition_config_selectorILNS1_17partition_subalgoE5ElNS0_10empty_typeEbEEZZNS1_14partition_implILS5_5ELb0ES3_mN6hipcub16HIPCUB_304000_NS21CountingInputIteratorIllEEPS6_NSA_22TransformInputIteratorIbN2at6native12_GLOBAL__N_19NonZeroOpIbEEPKblEENS0_5tupleIJPlS6_EEENSN_IJSD_SD_EEES6_PiJS6_EEE10hipError_tPvRmT3_T4_T5_T6_T7_T9_mT8_P12ihipStream_tbDpT10_ENKUlT_T0_E_clISt17integral_constantIbLb1EES1B_EEDaS16_S17_EUlS16_E_NS1_11comp_targetILNS1_3genE2ELNS1_11target_archE906ELNS1_3gpuE6ELNS1_3repE0EEENS1_30default_config_static_selectorELNS0_4arch9wavefront6targetE0EEEvT1_,"axG",@progbits,_ZN7rocprim17ROCPRIM_400000_NS6detail17trampoline_kernelINS0_14default_configENS1_25partition_config_selectorILNS1_17partition_subalgoE5ElNS0_10empty_typeEbEEZZNS1_14partition_implILS5_5ELb0ES3_mN6hipcub16HIPCUB_304000_NS21CountingInputIteratorIllEEPS6_NSA_22TransformInputIteratorIbN2at6native12_GLOBAL__N_19NonZeroOpIbEEPKblEENS0_5tupleIJPlS6_EEENSN_IJSD_SD_EEES6_PiJS6_EEE10hipError_tPvRmT3_T4_T5_T6_T7_T9_mT8_P12ihipStream_tbDpT10_ENKUlT_T0_E_clISt17integral_constantIbLb1EES1B_EEDaS16_S17_EUlS16_E_NS1_11comp_targetILNS1_3genE2ELNS1_11target_archE906ELNS1_3gpuE6ELNS1_3repE0EEENS1_30default_config_static_selectorELNS0_4arch9wavefront6targetE0EEEvT1_,comdat
.Lfunc_end742:
	.size	_ZN7rocprim17ROCPRIM_400000_NS6detail17trampoline_kernelINS0_14default_configENS1_25partition_config_selectorILNS1_17partition_subalgoE5ElNS0_10empty_typeEbEEZZNS1_14partition_implILS5_5ELb0ES3_mN6hipcub16HIPCUB_304000_NS21CountingInputIteratorIllEEPS6_NSA_22TransformInputIteratorIbN2at6native12_GLOBAL__N_19NonZeroOpIbEEPKblEENS0_5tupleIJPlS6_EEENSN_IJSD_SD_EEES6_PiJS6_EEE10hipError_tPvRmT3_T4_T5_T6_T7_T9_mT8_P12ihipStream_tbDpT10_ENKUlT_T0_E_clISt17integral_constantIbLb1EES1B_EEDaS16_S17_EUlS16_E_NS1_11comp_targetILNS1_3genE2ELNS1_11target_archE906ELNS1_3gpuE6ELNS1_3repE0EEENS1_30default_config_static_selectorELNS0_4arch9wavefront6targetE0EEEvT1_, .Lfunc_end742-_ZN7rocprim17ROCPRIM_400000_NS6detail17trampoline_kernelINS0_14default_configENS1_25partition_config_selectorILNS1_17partition_subalgoE5ElNS0_10empty_typeEbEEZZNS1_14partition_implILS5_5ELb0ES3_mN6hipcub16HIPCUB_304000_NS21CountingInputIteratorIllEEPS6_NSA_22TransformInputIteratorIbN2at6native12_GLOBAL__N_19NonZeroOpIbEEPKblEENS0_5tupleIJPlS6_EEENSN_IJSD_SD_EEES6_PiJS6_EEE10hipError_tPvRmT3_T4_T5_T6_T7_T9_mT8_P12ihipStream_tbDpT10_ENKUlT_T0_E_clISt17integral_constantIbLb1EES1B_EEDaS16_S17_EUlS16_E_NS1_11comp_targetILNS1_3genE2ELNS1_11target_archE906ELNS1_3gpuE6ELNS1_3repE0EEENS1_30default_config_static_selectorELNS0_4arch9wavefront6targetE0EEEvT1_
                                        ; -- End function
	.set _ZN7rocprim17ROCPRIM_400000_NS6detail17trampoline_kernelINS0_14default_configENS1_25partition_config_selectorILNS1_17partition_subalgoE5ElNS0_10empty_typeEbEEZZNS1_14partition_implILS5_5ELb0ES3_mN6hipcub16HIPCUB_304000_NS21CountingInputIteratorIllEEPS6_NSA_22TransformInputIteratorIbN2at6native12_GLOBAL__N_19NonZeroOpIbEEPKblEENS0_5tupleIJPlS6_EEENSN_IJSD_SD_EEES6_PiJS6_EEE10hipError_tPvRmT3_T4_T5_T6_T7_T9_mT8_P12ihipStream_tbDpT10_ENKUlT_T0_E_clISt17integral_constantIbLb1EES1B_EEDaS16_S17_EUlS16_E_NS1_11comp_targetILNS1_3genE2ELNS1_11target_archE906ELNS1_3gpuE6ELNS1_3repE0EEENS1_30default_config_static_selectorELNS0_4arch9wavefront6targetE0EEEvT1_.num_vgpr, 0
	.set _ZN7rocprim17ROCPRIM_400000_NS6detail17trampoline_kernelINS0_14default_configENS1_25partition_config_selectorILNS1_17partition_subalgoE5ElNS0_10empty_typeEbEEZZNS1_14partition_implILS5_5ELb0ES3_mN6hipcub16HIPCUB_304000_NS21CountingInputIteratorIllEEPS6_NSA_22TransformInputIteratorIbN2at6native12_GLOBAL__N_19NonZeroOpIbEEPKblEENS0_5tupleIJPlS6_EEENSN_IJSD_SD_EEES6_PiJS6_EEE10hipError_tPvRmT3_T4_T5_T6_T7_T9_mT8_P12ihipStream_tbDpT10_ENKUlT_T0_E_clISt17integral_constantIbLb1EES1B_EEDaS16_S17_EUlS16_E_NS1_11comp_targetILNS1_3genE2ELNS1_11target_archE906ELNS1_3gpuE6ELNS1_3repE0EEENS1_30default_config_static_selectorELNS0_4arch9wavefront6targetE0EEEvT1_.num_agpr, 0
	.set _ZN7rocprim17ROCPRIM_400000_NS6detail17trampoline_kernelINS0_14default_configENS1_25partition_config_selectorILNS1_17partition_subalgoE5ElNS0_10empty_typeEbEEZZNS1_14partition_implILS5_5ELb0ES3_mN6hipcub16HIPCUB_304000_NS21CountingInputIteratorIllEEPS6_NSA_22TransformInputIteratorIbN2at6native12_GLOBAL__N_19NonZeroOpIbEEPKblEENS0_5tupleIJPlS6_EEENSN_IJSD_SD_EEES6_PiJS6_EEE10hipError_tPvRmT3_T4_T5_T6_T7_T9_mT8_P12ihipStream_tbDpT10_ENKUlT_T0_E_clISt17integral_constantIbLb1EES1B_EEDaS16_S17_EUlS16_E_NS1_11comp_targetILNS1_3genE2ELNS1_11target_archE906ELNS1_3gpuE6ELNS1_3repE0EEENS1_30default_config_static_selectorELNS0_4arch9wavefront6targetE0EEEvT1_.numbered_sgpr, 0
	.set _ZN7rocprim17ROCPRIM_400000_NS6detail17trampoline_kernelINS0_14default_configENS1_25partition_config_selectorILNS1_17partition_subalgoE5ElNS0_10empty_typeEbEEZZNS1_14partition_implILS5_5ELb0ES3_mN6hipcub16HIPCUB_304000_NS21CountingInputIteratorIllEEPS6_NSA_22TransformInputIteratorIbN2at6native12_GLOBAL__N_19NonZeroOpIbEEPKblEENS0_5tupleIJPlS6_EEENSN_IJSD_SD_EEES6_PiJS6_EEE10hipError_tPvRmT3_T4_T5_T6_T7_T9_mT8_P12ihipStream_tbDpT10_ENKUlT_T0_E_clISt17integral_constantIbLb1EES1B_EEDaS16_S17_EUlS16_E_NS1_11comp_targetILNS1_3genE2ELNS1_11target_archE906ELNS1_3gpuE6ELNS1_3repE0EEENS1_30default_config_static_selectorELNS0_4arch9wavefront6targetE0EEEvT1_.num_named_barrier, 0
	.set _ZN7rocprim17ROCPRIM_400000_NS6detail17trampoline_kernelINS0_14default_configENS1_25partition_config_selectorILNS1_17partition_subalgoE5ElNS0_10empty_typeEbEEZZNS1_14partition_implILS5_5ELb0ES3_mN6hipcub16HIPCUB_304000_NS21CountingInputIteratorIllEEPS6_NSA_22TransformInputIteratorIbN2at6native12_GLOBAL__N_19NonZeroOpIbEEPKblEENS0_5tupleIJPlS6_EEENSN_IJSD_SD_EEES6_PiJS6_EEE10hipError_tPvRmT3_T4_T5_T6_T7_T9_mT8_P12ihipStream_tbDpT10_ENKUlT_T0_E_clISt17integral_constantIbLb1EES1B_EEDaS16_S17_EUlS16_E_NS1_11comp_targetILNS1_3genE2ELNS1_11target_archE906ELNS1_3gpuE6ELNS1_3repE0EEENS1_30default_config_static_selectorELNS0_4arch9wavefront6targetE0EEEvT1_.private_seg_size, 0
	.set _ZN7rocprim17ROCPRIM_400000_NS6detail17trampoline_kernelINS0_14default_configENS1_25partition_config_selectorILNS1_17partition_subalgoE5ElNS0_10empty_typeEbEEZZNS1_14partition_implILS5_5ELb0ES3_mN6hipcub16HIPCUB_304000_NS21CountingInputIteratorIllEEPS6_NSA_22TransformInputIteratorIbN2at6native12_GLOBAL__N_19NonZeroOpIbEEPKblEENS0_5tupleIJPlS6_EEENSN_IJSD_SD_EEES6_PiJS6_EEE10hipError_tPvRmT3_T4_T5_T6_T7_T9_mT8_P12ihipStream_tbDpT10_ENKUlT_T0_E_clISt17integral_constantIbLb1EES1B_EEDaS16_S17_EUlS16_E_NS1_11comp_targetILNS1_3genE2ELNS1_11target_archE906ELNS1_3gpuE6ELNS1_3repE0EEENS1_30default_config_static_selectorELNS0_4arch9wavefront6targetE0EEEvT1_.uses_vcc, 0
	.set _ZN7rocprim17ROCPRIM_400000_NS6detail17trampoline_kernelINS0_14default_configENS1_25partition_config_selectorILNS1_17partition_subalgoE5ElNS0_10empty_typeEbEEZZNS1_14partition_implILS5_5ELb0ES3_mN6hipcub16HIPCUB_304000_NS21CountingInputIteratorIllEEPS6_NSA_22TransformInputIteratorIbN2at6native12_GLOBAL__N_19NonZeroOpIbEEPKblEENS0_5tupleIJPlS6_EEENSN_IJSD_SD_EEES6_PiJS6_EEE10hipError_tPvRmT3_T4_T5_T6_T7_T9_mT8_P12ihipStream_tbDpT10_ENKUlT_T0_E_clISt17integral_constantIbLb1EES1B_EEDaS16_S17_EUlS16_E_NS1_11comp_targetILNS1_3genE2ELNS1_11target_archE906ELNS1_3gpuE6ELNS1_3repE0EEENS1_30default_config_static_selectorELNS0_4arch9wavefront6targetE0EEEvT1_.uses_flat_scratch, 0
	.set _ZN7rocprim17ROCPRIM_400000_NS6detail17trampoline_kernelINS0_14default_configENS1_25partition_config_selectorILNS1_17partition_subalgoE5ElNS0_10empty_typeEbEEZZNS1_14partition_implILS5_5ELb0ES3_mN6hipcub16HIPCUB_304000_NS21CountingInputIteratorIllEEPS6_NSA_22TransformInputIteratorIbN2at6native12_GLOBAL__N_19NonZeroOpIbEEPKblEENS0_5tupleIJPlS6_EEENSN_IJSD_SD_EEES6_PiJS6_EEE10hipError_tPvRmT3_T4_T5_T6_T7_T9_mT8_P12ihipStream_tbDpT10_ENKUlT_T0_E_clISt17integral_constantIbLb1EES1B_EEDaS16_S17_EUlS16_E_NS1_11comp_targetILNS1_3genE2ELNS1_11target_archE906ELNS1_3gpuE6ELNS1_3repE0EEENS1_30default_config_static_selectorELNS0_4arch9wavefront6targetE0EEEvT1_.has_dyn_sized_stack, 0
	.set _ZN7rocprim17ROCPRIM_400000_NS6detail17trampoline_kernelINS0_14default_configENS1_25partition_config_selectorILNS1_17partition_subalgoE5ElNS0_10empty_typeEbEEZZNS1_14partition_implILS5_5ELb0ES3_mN6hipcub16HIPCUB_304000_NS21CountingInputIteratorIllEEPS6_NSA_22TransformInputIteratorIbN2at6native12_GLOBAL__N_19NonZeroOpIbEEPKblEENS0_5tupleIJPlS6_EEENSN_IJSD_SD_EEES6_PiJS6_EEE10hipError_tPvRmT3_T4_T5_T6_T7_T9_mT8_P12ihipStream_tbDpT10_ENKUlT_T0_E_clISt17integral_constantIbLb1EES1B_EEDaS16_S17_EUlS16_E_NS1_11comp_targetILNS1_3genE2ELNS1_11target_archE906ELNS1_3gpuE6ELNS1_3repE0EEENS1_30default_config_static_selectorELNS0_4arch9wavefront6targetE0EEEvT1_.has_recursion, 0
	.set _ZN7rocprim17ROCPRIM_400000_NS6detail17trampoline_kernelINS0_14default_configENS1_25partition_config_selectorILNS1_17partition_subalgoE5ElNS0_10empty_typeEbEEZZNS1_14partition_implILS5_5ELb0ES3_mN6hipcub16HIPCUB_304000_NS21CountingInputIteratorIllEEPS6_NSA_22TransformInputIteratorIbN2at6native12_GLOBAL__N_19NonZeroOpIbEEPKblEENS0_5tupleIJPlS6_EEENSN_IJSD_SD_EEES6_PiJS6_EEE10hipError_tPvRmT3_T4_T5_T6_T7_T9_mT8_P12ihipStream_tbDpT10_ENKUlT_T0_E_clISt17integral_constantIbLb1EES1B_EEDaS16_S17_EUlS16_E_NS1_11comp_targetILNS1_3genE2ELNS1_11target_archE906ELNS1_3gpuE6ELNS1_3repE0EEENS1_30default_config_static_selectorELNS0_4arch9wavefront6targetE0EEEvT1_.has_indirect_call, 0
	.section	.AMDGPU.csdata,"",@progbits
; Kernel info:
; codeLenInByte = 0
; TotalNumSgprs: 0
; NumVgprs: 0
; ScratchSize: 0
; MemoryBound: 0
; FloatMode: 240
; IeeeMode: 1
; LDSByteSize: 0 bytes/workgroup (compile time only)
; SGPRBlocks: 0
; VGPRBlocks: 0
; NumSGPRsForWavesPerEU: 1
; NumVGPRsForWavesPerEU: 1
; Occupancy: 16
; WaveLimiterHint : 0
; COMPUTE_PGM_RSRC2:SCRATCH_EN: 0
; COMPUTE_PGM_RSRC2:USER_SGPR: 2
; COMPUTE_PGM_RSRC2:TRAP_HANDLER: 0
; COMPUTE_PGM_RSRC2:TGID_X_EN: 1
; COMPUTE_PGM_RSRC2:TGID_Y_EN: 0
; COMPUTE_PGM_RSRC2:TGID_Z_EN: 0
; COMPUTE_PGM_RSRC2:TIDIG_COMP_CNT: 0
	.section	.text._ZN7rocprim17ROCPRIM_400000_NS6detail17trampoline_kernelINS0_14default_configENS1_25partition_config_selectorILNS1_17partition_subalgoE5ElNS0_10empty_typeEbEEZZNS1_14partition_implILS5_5ELb0ES3_mN6hipcub16HIPCUB_304000_NS21CountingInputIteratorIllEEPS6_NSA_22TransformInputIteratorIbN2at6native12_GLOBAL__N_19NonZeroOpIbEEPKblEENS0_5tupleIJPlS6_EEENSN_IJSD_SD_EEES6_PiJS6_EEE10hipError_tPvRmT3_T4_T5_T6_T7_T9_mT8_P12ihipStream_tbDpT10_ENKUlT_T0_E_clISt17integral_constantIbLb1EES1B_EEDaS16_S17_EUlS16_E_NS1_11comp_targetILNS1_3genE10ELNS1_11target_archE1200ELNS1_3gpuE4ELNS1_3repE0EEENS1_30default_config_static_selectorELNS0_4arch9wavefront6targetE0EEEvT1_,"axG",@progbits,_ZN7rocprim17ROCPRIM_400000_NS6detail17trampoline_kernelINS0_14default_configENS1_25partition_config_selectorILNS1_17partition_subalgoE5ElNS0_10empty_typeEbEEZZNS1_14partition_implILS5_5ELb0ES3_mN6hipcub16HIPCUB_304000_NS21CountingInputIteratorIllEEPS6_NSA_22TransformInputIteratorIbN2at6native12_GLOBAL__N_19NonZeroOpIbEEPKblEENS0_5tupleIJPlS6_EEENSN_IJSD_SD_EEES6_PiJS6_EEE10hipError_tPvRmT3_T4_T5_T6_T7_T9_mT8_P12ihipStream_tbDpT10_ENKUlT_T0_E_clISt17integral_constantIbLb1EES1B_EEDaS16_S17_EUlS16_E_NS1_11comp_targetILNS1_3genE10ELNS1_11target_archE1200ELNS1_3gpuE4ELNS1_3repE0EEENS1_30default_config_static_selectorELNS0_4arch9wavefront6targetE0EEEvT1_,comdat
	.globl	_ZN7rocprim17ROCPRIM_400000_NS6detail17trampoline_kernelINS0_14default_configENS1_25partition_config_selectorILNS1_17partition_subalgoE5ElNS0_10empty_typeEbEEZZNS1_14partition_implILS5_5ELb0ES3_mN6hipcub16HIPCUB_304000_NS21CountingInputIteratorIllEEPS6_NSA_22TransformInputIteratorIbN2at6native12_GLOBAL__N_19NonZeroOpIbEEPKblEENS0_5tupleIJPlS6_EEENSN_IJSD_SD_EEES6_PiJS6_EEE10hipError_tPvRmT3_T4_T5_T6_T7_T9_mT8_P12ihipStream_tbDpT10_ENKUlT_T0_E_clISt17integral_constantIbLb1EES1B_EEDaS16_S17_EUlS16_E_NS1_11comp_targetILNS1_3genE10ELNS1_11target_archE1200ELNS1_3gpuE4ELNS1_3repE0EEENS1_30default_config_static_selectorELNS0_4arch9wavefront6targetE0EEEvT1_ ; -- Begin function _ZN7rocprim17ROCPRIM_400000_NS6detail17trampoline_kernelINS0_14default_configENS1_25partition_config_selectorILNS1_17partition_subalgoE5ElNS0_10empty_typeEbEEZZNS1_14partition_implILS5_5ELb0ES3_mN6hipcub16HIPCUB_304000_NS21CountingInputIteratorIllEEPS6_NSA_22TransformInputIteratorIbN2at6native12_GLOBAL__N_19NonZeroOpIbEEPKblEENS0_5tupleIJPlS6_EEENSN_IJSD_SD_EEES6_PiJS6_EEE10hipError_tPvRmT3_T4_T5_T6_T7_T9_mT8_P12ihipStream_tbDpT10_ENKUlT_T0_E_clISt17integral_constantIbLb1EES1B_EEDaS16_S17_EUlS16_E_NS1_11comp_targetILNS1_3genE10ELNS1_11target_archE1200ELNS1_3gpuE4ELNS1_3repE0EEENS1_30default_config_static_selectorELNS0_4arch9wavefront6targetE0EEEvT1_
	.p2align	8
	.type	_ZN7rocprim17ROCPRIM_400000_NS6detail17trampoline_kernelINS0_14default_configENS1_25partition_config_selectorILNS1_17partition_subalgoE5ElNS0_10empty_typeEbEEZZNS1_14partition_implILS5_5ELb0ES3_mN6hipcub16HIPCUB_304000_NS21CountingInputIteratorIllEEPS6_NSA_22TransformInputIteratorIbN2at6native12_GLOBAL__N_19NonZeroOpIbEEPKblEENS0_5tupleIJPlS6_EEENSN_IJSD_SD_EEES6_PiJS6_EEE10hipError_tPvRmT3_T4_T5_T6_T7_T9_mT8_P12ihipStream_tbDpT10_ENKUlT_T0_E_clISt17integral_constantIbLb1EES1B_EEDaS16_S17_EUlS16_E_NS1_11comp_targetILNS1_3genE10ELNS1_11target_archE1200ELNS1_3gpuE4ELNS1_3repE0EEENS1_30default_config_static_selectorELNS0_4arch9wavefront6targetE0EEEvT1_,@function
_ZN7rocprim17ROCPRIM_400000_NS6detail17trampoline_kernelINS0_14default_configENS1_25partition_config_selectorILNS1_17partition_subalgoE5ElNS0_10empty_typeEbEEZZNS1_14partition_implILS5_5ELb0ES3_mN6hipcub16HIPCUB_304000_NS21CountingInputIteratorIllEEPS6_NSA_22TransformInputIteratorIbN2at6native12_GLOBAL__N_19NonZeroOpIbEEPKblEENS0_5tupleIJPlS6_EEENSN_IJSD_SD_EEES6_PiJS6_EEE10hipError_tPvRmT3_T4_T5_T6_T7_T9_mT8_P12ihipStream_tbDpT10_ENKUlT_T0_E_clISt17integral_constantIbLb1EES1B_EEDaS16_S17_EUlS16_E_NS1_11comp_targetILNS1_3genE10ELNS1_11target_archE1200ELNS1_3gpuE4ELNS1_3repE0EEENS1_30default_config_static_selectorELNS0_4arch9wavefront6targetE0EEEvT1_: ; @_ZN7rocprim17ROCPRIM_400000_NS6detail17trampoline_kernelINS0_14default_configENS1_25partition_config_selectorILNS1_17partition_subalgoE5ElNS0_10empty_typeEbEEZZNS1_14partition_implILS5_5ELb0ES3_mN6hipcub16HIPCUB_304000_NS21CountingInputIteratorIllEEPS6_NSA_22TransformInputIteratorIbN2at6native12_GLOBAL__N_19NonZeroOpIbEEPKblEENS0_5tupleIJPlS6_EEENSN_IJSD_SD_EEES6_PiJS6_EEE10hipError_tPvRmT3_T4_T5_T6_T7_T9_mT8_P12ihipStream_tbDpT10_ENKUlT_T0_E_clISt17integral_constantIbLb1EES1B_EEDaS16_S17_EUlS16_E_NS1_11comp_targetILNS1_3genE10ELNS1_11target_archE1200ELNS1_3gpuE4ELNS1_3repE0EEENS1_30default_config_static_selectorELNS0_4arch9wavefront6targetE0EEEvT1_
; %bb.0:
	s_endpgm
	.section	.rodata,"a",@progbits
	.p2align	6, 0x0
	.amdhsa_kernel _ZN7rocprim17ROCPRIM_400000_NS6detail17trampoline_kernelINS0_14default_configENS1_25partition_config_selectorILNS1_17partition_subalgoE5ElNS0_10empty_typeEbEEZZNS1_14partition_implILS5_5ELb0ES3_mN6hipcub16HIPCUB_304000_NS21CountingInputIteratorIllEEPS6_NSA_22TransformInputIteratorIbN2at6native12_GLOBAL__N_19NonZeroOpIbEEPKblEENS0_5tupleIJPlS6_EEENSN_IJSD_SD_EEES6_PiJS6_EEE10hipError_tPvRmT3_T4_T5_T6_T7_T9_mT8_P12ihipStream_tbDpT10_ENKUlT_T0_E_clISt17integral_constantIbLb1EES1B_EEDaS16_S17_EUlS16_E_NS1_11comp_targetILNS1_3genE10ELNS1_11target_archE1200ELNS1_3gpuE4ELNS1_3repE0EEENS1_30default_config_static_selectorELNS0_4arch9wavefront6targetE0EEEvT1_
		.amdhsa_group_segment_fixed_size 0
		.amdhsa_private_segment_fixed_size 0
		.amdhsa_kernarg_size 136
		.amdhsa_user_sgpr_count 2
		.amdhsa_user_sgpr_dispatch_ptr 0
		.amdhsa_user_sgpr_queue_ptr 0
		.amdhsa_user_sgpr_kernarg_segment_ptr 1
		.amdhsa_user_sgpr_dispatch_id 0
		.amdhsa_user_sgpr_private_segment_size 0
		.amdhsa_wavefront_size32 1
		.amdhsa_uses_dynamic_stack 0
		.amdhsa_enable_private_segment 0
		.amdhsa_system_sgpr_workgroup_id_x 1
		.amdhsa_system_sgpr_workgroup_id_y 0
		.amdhsa_system_sgpr_workgroup_id_z 0
		.amdhsa_system_sgpr_workgroup_info 0
		.amdhsa_system_vgpr_workitem_id 0
		.amdhsa_next_free_vgpr 1
		.amdhsa_next_free_sgpr 1
		.amdhsa_reserve_vcc 0
		.amdhsa_float_round_mode_32 0
		.amdhsa_float_round_mode_16_64 0
		.amdhsa_float_denorm_mode_32 3
		.amdhsa_float_denorm_mode_16_64 3
		.amdhsa_fp16_overflow 0
		.amdhsa_workgroup_processor_mode 1
		.amdhsa_memory_ordered 1
		.amdhsa_forward_progress 1
		.amdhsa_inst_pref_size 1
		.amdhsa_round_robin_scheduling 0
		.amdhsa_exception_fp_ieee_invalid_op 0
		.amdhsa_exception_fp_denorm_src 0
		.amdhsa_exception_fp_ieee_div_zero 0
		.amdhsa_exception_fp_ieee_overflow 0
		.amdhsa_exception_fp_ieee_underflow 0
		.amdhsa_exception_fp_ieee_inexact 0
		.amdhsa_exception_int_div_zero 0
	.end_amdhsa_kernel
	.section	.text._ZN7rocprim17ROCPRIM_400000_NS6detail17trampoline_kernelINS0_14default_configENS1_25partition_config_selectorILNS1_17partition_subalgoE5ElNS0_10empty_typeEbEEZZNS1_14partition_implILS5_5ELb0ES3_mN6hipcub16HIPCUB_304000_NS21CountingInputIteratorIllEEPS6_NSA_22TransformInputIteratorIbN2at6native12_GLOBAL__N_19NonZeroOpIbEEPKblEENS0_5tupleIJPlS6_EEENSN_IJSD_SD_EEES6_PiJS6_EEE10hipError_tPvRmT3_T4_T5_T6_T7_T9_mT8_P12ihipStream_tbDpT10_ENKUlT_T0_E_clISt17integral_constantIbLb1EES1B_EEDaS16_S17_EUlS16_E_NS1_11comp_targetILNS1_3genE10ELNS1_11target_archE1200ELNS1_3gpuE4ELNS1_3repE0EEENS1_30default_config_static_selectorELNS0_4arch9wavefront6targetE0EEEvT1_,"axG",@progbits,_ZN7rocprim17ROCPRIM_400000_NS6detail17trampoline_kernelINS0_14default_configENS1_25partition_config_selectorILNS1_17partition_subalgoE5ElNS0_10empty_typeEbEEZZNS1_14partition_implILS5_5ELb0ES3_mN6hipcub16HIPCUB_304000_NS21CountingInputIteratorIllEEPS6_NSA_22TransformInputIteratorIbN2at6native12_GLOBAL__N_19NonZeroOpIbEEPKblEENS0_5tupleIJPlS6_EEENSN_IJSD_SD_EEES6_PiJS6_EEE10hipError_tPvRmT3_T4_T5_T6_T7_T9_mT8_P12ihipStream_tbDpT10_ENKUlT_T0_E_clISt17integral_constantIbLb1EES1B_EEDaS16_S17_EUlS16_E_NS1_11comp_targetILNS1_3genE10ELNS1_11target_archE1200ELNS1_3gpuE4ELNS1_3repE0EEENS1_30default_config_static_selectorELNS0_4arch9wavefront6targetE0EEEvT1_,comdat
.Lfunc_end743:
	.size	_ZN7rocprim17ROCPRIM_400000_NS6detail17trampoline_kernelINS0_14default_configENS1_25partition_config_selectorILNS1_17partition_subalgoE5ElNS0_10empty_typeEbEEZZNS1_14partition_implILS5_5ELb0ES3_mN6hipcub16HIPCUB_304000_NS21CountingInputIteratorIllEEPS6_NSA_22TransformInputIteratorIbN2at6native12_GLOBAL__N_19NonZeroOpIbEEPKblEENS0_5tupleIJPlS6_EEENSN_IJSD_SD_EEES6_PiJS6_EEE10hipError_tPvRmT3_T4_T5_T6_T7_T9_mT8_P12ihipStream_tbDpT10_ENKUlT_T0_E_clISt17integral_constantIbLb1EES1B_EEDaS16_S17_EUlS16_E_NS1_11comp_targetILNS1_3genE10ELNS1_11target_archE1200ELNS1_3gpuE4ELNS1_3repE0EEENS1_30default_config_static_selectorELNS0_4arch9wavefront6targetE0EEEvT1_, .Lfunc_end743-_ZN7rocprim17ROCPRIM_400000_NS6detail17trampoline_kernelINS0_14default_configENS1_25partition_config_selectorILNS1_17partition_subalgoE5ElNS0_10empty_typeEbEEZZNS1_14partition_implILS5_5ELb0ES3_mN6hipcub16HIPCUB_304000_NS21CountingInputIteratorIllEEPS6_NSA_22TransformInputIteratorIbN2at6native12_GLOBAL__N_19NonZeroOpIbEEPKblEENS0_5tupleIJPlS6_EEENSN_IJSD_SD_EEES6_PiJS6_EEE10hipError_tPvRmT3_T4_T5_T6_T7_T9_mT8_P12ihipStream_tbDpT10_ENKUlT_T0_E_clISt17integral_constantIbLb1EES1B_EEDaS16_S17_EUlS16_E_NS1_11comp_targetILNS1_3genE10ELNS1_11target_archE1200ELNS1_3gpuE4ELNS1_3repE0EEENS1_30default_config_static_selectorELNS0_4arch9wavefront6targetE0EEEvT1_
                                        ; -- End function
	.set _ZN7rocprim17ROCPRIM_400000_NS6detail17trampoline_kernelINS0_14default_configENS1_25partition_config_selectorILNS1_17partition_subalgoE5ElNS0_10empty_typeEbEEZZNS1_14partition_implILS5_5ELb0ES3_mN6hipcub16HIPCUB_304000_NS21CountingInputIteratorIllEEPS6_NSA_22TransformInputIteratorIbN2at6native12_GLOBAL__N_19NonZeroOpIbEEPKblEENS0_5tupleIJPlS6_EEENSN_IJSD_SD_EEES6_PiJS6_EEE10hipError_tPvRmT3_T4_T5_T6_T7_T9_mT8_P12ihipStream_tbDpT10_ENKUlT_T0_E_clISt17integral_constantIbLb1EES1B_EEDaS16_S17_EUlS16_E_NS1_11comp_targetILNS1_3genE10ELNS1_11target_archE1200ELNS1_3gpuE4ELNS1_3repE0EEENS1_30default_config_static_selectorELNS0_4arch9wavefront6targetE0EEEvT1_.num_vgpr, 0
	.set _ZN7rocprim17ROCPRIM_400000_NS6detail17trampoline_kernelINS0_14default_configENS1_25partition_config_selectorILNS1_17partition_subalgoE5ElNS0_10empty_typeEbEEZZNS1_14partition_implILS5_5ELb0ES3_mN6hipcub16HIPCUB_304000_NS21CountingInputIteratorIllEEPS6_NSA_22TransformInputIteratorIbN2at6native12_GLOBAL__N_19NonZeroOpIbEEPKblEENS0_5tupleIJPlS6_EEENSN_IJSD_SD_EEES6_PiJS6_EEE10hipError_tPvRmT3_T4_T5_T6_T7_T9_mT8_P12ihipStream_tbDpT10_ENKUlT_T0_E_clISt17integral_constantIbLb1EES1B_EEDaS16_S17_EUlS16_E_NS1_11comp_targetILNS1_3genE10ELNS1_11target_archE1200ELNS1_3gpuE4ELNS1_3repE0EEENS1_30default_config_static_selectorELNS0_4arch9wavefront6targetE0EEEvT1_.num_agpr, 0
	.set _ZN7rocprim17ROCPRIM_400000_NS6detail17trampoline_kernelINS0_14default_configENS1_25partition_config_selectorILNS1_17partition_subalgoE5ElNS0_10empty_typeEbEEZZNS1_14partition_implILS5_5ELb0ES3_mN6hipcub16HIPCUB_304000_NS21CountingInputIteratorIllEEPS6_NSA_22TransformInputIteratorIbN2at6native12_GLOBAL__N_19NonZeroOpIbEEPKblEENS0_5tupleIJPlS6_EEENSN_IJSD_SD_EEES6_PiJS6_EEE10hipError_tPvRmT3_T4_T5_T6_T7_T9_mT8_P12ihipStream_tbDpT10_ENKUlT_T0_E_clISt17integral_constantIbLb1EES1B_EEDaS16_S17_EUlS16_E_NS1_11comp_targetILNS1_3genE10ELNS1_11target_archE1200ELNS1_3gpuE4ELNS1_3repE0EEENS1_30default_config_static_selectorELNS0_4arch9wavefront6targetE0EEEvT1_.numbered_sgpr, 0
	.set _ZN7rocprim17ROCPRIM_400000_NS6detail17trampoline_kernelINS0_14default_configENS1_25partition_config_selectorILNS1_17partition_subalgoE5ElNS0_10empty_typeEbEEZZNS1_14partition_implILS5_5ELb0ES3_mN6hipcub16HIPCUB_304000_NS21CountingInputIteratorIllEEPS6_NSA_22TransformInputIteratorIbN2at6native12_GLOBAL__N_19NonZeroOpIbEEPKblEENS0_5tupleIJPlS6_EEENSN_IJSD_SD_EEES6_PiJS6_EEE10hipError_tPvRmT3_T4_T5_T6_T7_T9_mT8_P12ihipStream_tbDpT10_ENKUlT_T0_E_clISt17integral_constantIbLb1EES1B_EEDaS16_S17_EUlS16_E_NS1_11comp_targetILNS1_3genE10ELNS1_11target_archE1200ELNS1_3gpuE4ELNS1_3repE0EEENS1_30default_config_static_selectorELNS0_4arch9wavefront6targetE0EEEvT1_.num_named_barrier, 0
	.set _ZN7rocprim17ROCPRIM_400000_NS6detail17trampoline_kernelINS0_14default_configENS1_25partition_config_selectorILNS1_17partition_subalgoE5ElNS0_10empty_typeEbEEZZNS1_14partition_implILS5_5ELb0ES3_mN6hipcub16HIPCUB_304000_NS21CountingInputIteratorIllEEPS6_NSA_22TransformInputIteratorIbN2at6native12_GLOBAL__N_19NonZeroOpIbEEPKblEENS0_5tupleIJPlS6_EEENSN_IJSD_SD_EEES6_PiJS6_EEE10hipError_tPvRmT3_T4_T5_T6_T7_T9_mT8_P12ihipStream_tbDpT10_ENKUlT_T0_E_clISt17integral_constantIbLb1EES1B_EEDaS16_S17_EUlS16_E_NS1_11comp_targetILNS1_3genE10ELNS1_11target_archE1200ELNS1_3gpuE4ELNS1_3repE0EEENS1_30default_config_static_selectorELNS0_4arch9wavefront6targetE0EEEvT1_.private_seg_size, 0
	.set _ZN7rocprim17ROCPRIM_400000_NS6detail17trampoline_kernelINS0_14default_configENS1_25partition_config_selectorILNS1_17partition_subalgoE5ElNS0_10empty_typeEbEEZZNS1_14partition_implILS5_5ELb0ES3_mN6hipcub16HIPCUB_304000_NS21CountingInputIteratorIllEEPS6_NSA_22TransformInputIteratorIbN2at6native12_GLOBAL__N_19NonZeroOpIbEEPKblEENS0_5tupleIJPlS6_EEENSN_IJSD_SD_EEES6_PiJS6_EEE10hipError_tPvRmT3_T4_T5_T6_T7_T9_mT8_P12ihipStream_tbDpT10_ENKUlT_T0_E_clISt17integral_constantIbLb1EES1B_EEDaS16_S17_EUlS16_E_NS1_11comp_targetILNS1_3genE10ELNS1_11target_archE1200ELNS1_3gpuE4ELNS1_3repE0EEENS1_30default_config_static_selectorELNS0_4arch9wavefront6targetE0EEEvT1_.uses_vcc, 0
	.set _ZN7rocprim17ROCPRIM_400000_NS6detail17trampoline_kernelINS0_14default_configENS1_25partition_config_selectorILNS1_17partition_subalgoE5ElNS0_10empty_typeEbEEZZNS1_14partition_implILS5_5ELb0ES3_mN6hipcub16HIPCUB_304000_NS21CountingInputIteratorIllEEPS6_NSA_22TransformInputIteratorIbN2at6native12_GLOBAL__N_19NonZeroOpIbEEPKblEENS0_5tupleIJPlS6_EEENSN_IJSD_SD_EEES6_PiJS6_EEE10hipError_tPvRmT3_T4_T5_T6_T7_T9_mT8_P12ihipStream_tbDpT10_ENKUlT_T0_E_clISt17integral_constantIbLb1EES1B_EEDaS16_S17_EUlS16_E_NS1_11comp_targetILNS1_3genE10ELNS1_11target_archE1200ELNS1_3gpuE4ELNS1_3repE0EEENS1_30default_config_static_selectorELNS0_4arch9wavefront6targetE0EEEvT1_.uses_flat_scratch, 0
	.set _ZN7rocprim17ROCPRIM_400000_NS6detail17trampoline_kernelINS0_14default_configENS1_25partition_config_selectorILNS1_17partition_subalgoE5ElNS0_10empty_typeEbEEZZNS1_14partition_implILS5_5ELb0ES3_mN6hipcub16HIPCUB_304000_NS21CountingInputIteratorIllEEPS6_NSA_22TransformInputIteratorIbN2at6native12_GLOBAL__N_19NonZeroOpIbEEPKblEENS0_5tupleIJPlS6_EEENSN_IJSD_SD_EEES6_PiJS6_EEE10hipError_tPvRmT3_T4_T5_T6_T7_T9_mT8_P12ihipStream_tbDpT10_ENKUlT_T0_E_clISt17integral_constantIbLb1EES1B_EEDaS16_S17_EUlS16_E_NS1_11comp_targetILNS1_3genE10ELNS1_11target_archE1200ELNS1_3gpuE4ELNS1_3repE0EEENS1_30default_config_static_selectorELNS0_4arch9wavefront6targetE0EEEvT1_.has_dyn_sized_stack, 0
	.set _ZN7rocprim17ROCPRIM_400000_NS6detail17trampoline_kernelINS0_14default_configENS1_25partition_config_selectorILNS1_17partition_subalgoE5ElNS0_10empty_typeEbEEZZNS1_14partition_implILS5_5ELb0ES3_mN6hipcub16HIPCUB_304000_NS21CountingInputIteratorIllEEPS6_NSA_22TransformInputIteratorIbN2at6native12_GLOBAL__N_19NonZeroOpIbEEPKblEENS0_5tupleIJPlS6_EEENSN_IJSD_SD_EEES6_PiJS6_EEE10hipError_tPvRmT3_T4_T5_T6_T7_T9_mT8_P12ihipStream_tbDpT10_ENKUlT_T0_E_clISt17integral_constantIbLb1EES1B_EEDaS16_S17_EUlS16_E_NS1_11comp_targetILNS1_3genE10ELNS1_11target_archE1200ELNS1_3gpuE4ELNS1_3repE0EEENS1_30default_config_static_selectorELNS0_4arch9wavefront6targetE0EEEvT1_.has_recursion, 0
	.set _ZN7rocprim17ROCPRIM_400000_NS6detail17trampoline_kernelINS0_14default_configENS1_25partition_config_selectorILNS1_17partition_subalgoE5ElNS0_10empty_typeEbEEZZNS1_14partition_implILS5_5ELb0ES3_mN6hipcub16HIPCUB_304000_NS21CountingInputIteratorIllEEPS6_NSA_22TransformInputIteratorIbN2at6native12_GLOBAL__N_19NonZeroOpIbEEPKblEENS0_5tupleIJPlS6_EEENSN_IJSD_SD_EEES6_PiJS6_EEE10hipError_tPvRmT3_T4_T5_T6_T7_T9_mT8_P12ihipStream_tbDpT10_ENKUlT_T0_E_clISt17integral_constantIbLb1EES1B_EEDaS16_S17_EUlS16_E_NS1_11comp_targetILNS1_3genE10ELNS1_11target_archE1200ELNS1_3gpuE4ELNS1_3repE0EEENS1_30default_config_static_selectorELNS0_4arch9wavefront6targetE0EEEvT1_.has_indirect_call, 0
	.section	.AMDGPU.csdata,"",@progbits
; Kernel info:
; codeLenInByte = 4
; TotalNumSgprs: 0
; NumVgprs: 0
; ScratchSize: 0
; MemoryBound: 0
; FloatMode: 240
; IeeeMode: 1
; LDSByteSize: 0 bytes/workgroup (compile time only)
; SGPRBlocks: 0
; VGPRBlocks: 0
; NumSGPRsForWavesPerEU: 1
; NumVGPRsForWavesPerEU: 1
; Occupancy: 16
; WaveLimiterHint : 0
; COMPUTE_PGM_RSRC2:SCRATCH_EN: 0
; COMPUTE_PGM_RSRC2:USER_SGPR: 2
; COMPUTE_PGM_RSRC2:TRAP_HANDLER: 0
; COMPUTE_PGM_RSRC2:TGID_X_EN: 1
; COMPUTE_PGM_RSRC2:TGID_Y_EN: 0
; COMPUTE_PGM_RSRC2:TGID_Z_EN: 0
; COMPUTE_PGM_RSRC2:TIDIG_COMP_CNT: 0
	.section	.text._ZN7rocprim17ROCPRIM_400000_NS6detail17trampoline_kernelINS0_14default_configENS1_25partition_config_selectorILNS1_17partition_subalgoE5ElNS0_10empty_typeEbEEZZNS1_14partition_implILS5_5ELb0ES3_mN6hipcub16HIPCUB_304000_NS21CountingInputIteratorIllEEPS6_NSA_22TransformInputIteratorIbN2at6native12_GLOBAL__N_19NonZeroOpIbEEPKblEENS0_5tupleIJPlS6_EEENSN_IJSD_SD_EEES6_PiJS6_EEE10hipError_tPvRmT3_T4_T5_T6_T7_T9_mT8_P12ihipStream_tbDpT10_ENKUlT_T0_E_clISt17integral_constantIbLb1EES1B_EEDaS16_S17_EUlS16_E_NS1_11comp_targetILNS1_3genE9ELNS1_11target_archE1100ELNS1_3gpuE3ELNS1_3repE0EEENS1_30default_config_static_selectorELNS0_4arch9wavefront6targetE0EEEvT1_,"axG",@progbits,_ZN7rocprim17ROCPRIM_400000_NS6detail17trampoline_kernelINS0_14default_configENS1_25partition_config_selectorILNS1_17partition_subalgoE5ElNS0_10empty_typeEbEEZZNS1_14partition_implILS5_5ELb0ES3_mN6hipcub16HIPCUB_304000_NS21CountingInputIteratorIllEEPS6_NSA_22TransformInputIteratorIbN2at6native12_GLOBAL__N_19NonZeroOpIbEEPKblEENS0_5tupleIJPlS6_EEENSN_IJSD_SD_EEES6_PiJS6_EEE10hipError_tPvRmT3_T4_T5_T6_T7_T9_mT8_P12ihipStream_tbDpT10_ENKUlT_T0_E_clISt17integral_constantIbLb1EES1B_EEDaS16_S17_EUlS16_E_NS1_11comp_targetILNS1_3genE9ELNS1_11target_archE1100ELNS1_3gpuE3ELNS1_3repE0EEENS1_30default_config_static_selectorELNS0_4arch9wavefront6targetE0EEEvT1_,comdat
	.globl	_ZN7rocprim17ROCPRIM_400000_NS6detail17trampoline_kernelINS0_14default_configENS1_25partition_config_selectorILNS1_17partition_subalgoE5ElNS0_10empty_typeEbEEZZNS1_14partition_implILS5_5ELb0ES3_mN6hipcub16HIPCUB_304000_NS21CountingInputIteratorIllEEPS6_NSA_22TransformInputIteratorIbN2at6native12_GLOBAL__N_19NonZeroOpIbEEPKblEENS0_5tupleIJPlS6_EEENSN_IJSD_SD_EEES6_PiJS6_EEE10hipError_tPvRmT3_T4_T5_T6_T7_T9_mT8_P12ihipStream_tbDpT10_ENKUlT_T0_E_clISt17integral_constantIbLb1EES1B_EEDaS16_S17_EUlS16_E_NS1_11comp_targetILNS1_3genE9ELNS1_11target_archE1100ELNS1_3gpuE3ELNS1_3repE0EEENS1_30default_config_static_selectorELNS0_4arch9wavefront6targetE0EEEvT1_ ; -- Begin function _ZN7rocprim17ROCPRIM_400000_NS6detail17trampoline_kernelINS0_14default_configENS1_25partition_config_selectorILNS1_17partition_subalgoE5ElNS0_10empty_typeEbEEZZNS1_14partition_implILS5_5ELb0ES3_mN6hipcub16HIPCUB_304000_NS21CountingInputIteratorIllEEPS6_NSA_22TransformInputIteratorIbN2at6native12_GLOBAL__N_19NonZeroOpIbEEPKblEENS0_5tupleIJPlS6_EEENSN_IJSD_SD_EEES6_PiJS6_EEE10hipError_tPvRmT3_T4_T5_T6_T7_T9_mT8_P12ihipStream_tbDpT10_ENKUlT_T0_E_clISt17integral_constantIbLb1EES1B_EEDaS16_S17_EUlS16_E_NS1_11comp_targetILNS1_3genE9ELNS1_11target_archE1100ELNS1_3gpuE3ELNS1_3repE0EEENS1_30default_config_static_selectorELNS0_4arch9wavefront6targetE0EEEvT1_
	.p2align	8
	.type	_ZN7rocprim17ROCPRIM_400000_NS6detail17trampoline_kernelINS0_14default_configENS1_25partition_config_selectorILNS1_17partition_subalgoE5ElNS0_10empty_typeEbEEZZNS1_14partition_implILS5_5ELb0ES3_mN6hipcub16HIPCUB_304000_NS21CountingInputIteratorIllEEPS6_NSA_22TransformInputIteratorIbN2at6native12_GLOBAL__N_19NonZeroOpIbEEPKblEENS0_5tupleIJPlS6_EEENSN_IJSD_SD_EEES6_PiJS6_EEE10hipError_tPvRmT3_T4_T5_T6_T7_T9_mT8_P12ihipStream_tbDpT10_ENKUlT_T0_E_clISt17integral_constantIbLb1EES1B_EEDaS16_S17_EUlS16_E_NS1_11comp_targetILNS1_3genE9ELNS1_11target_archE1100ELNS1_3gpuE3ELNS1_3repE0EEENS1_30default_config_static_selectorELNS0_4arch9wavefront6targetE0EEEvT1_,@function
_ZN7rocprim17ROCPRIM_400000_NS6detail17trampoline_kernelINS0_14default_configENS1_25partition_config_selectorILNS1_17partition_subalgoE5ElNS0_10empty_typeEbEEZZNS1_14partition_implILS5_5ELb0ES3_mN6hipcub16HIPCUB_304000_NS21CountingInputIteratorIllEEPS6_NSA_22TransformInputIteratorIbN2at6native12_GLOBAL__N_19NonZeroOpIbEEPKblEENS0_5tupleIJPlS6_EEENSN_IJSD_SD_EEES6_PiJS6_EEE10hipError_tPvRmT3_T4_T5_T6_T7_T9_mT8_P12ihipStream_tbDpT10_ENKUlT_T0_E_clISt17integral_constantIbLb1EES1B_EEDaS16_S17_EUlS16_E_NS1_11comp_targetILNS1_3genE9ELNS1_11target_archE1100ELNS1_3gpuE3ELNS1_3repE0EEENS1_30default_config_static_selectorELNS0_4arch9wavefront6targetE0EEEvT1_: ; @_ZN7rocprim17ROCPRIM_400000_NS6detail17trampoline_kernelINS0_14default_configENS1_25partition_config_selectorILNS1_17partition_subalgoE5ElNS0_10empty_typeEbEEZZNS1_14partition_implILS5_5ELb0ES3_mN6hipcub16HIPCUB_304000_NS21CountingInputIteratorIllEEPS6_NSA_22TransformInputIteratorIbN2at6native12_GLOBAL__N_19NonZeroOpIbEEPKblEENS0_5tupleIJPlS6_EEENSN_IJSD_SD_EEES6_PiJS6_EEE10hipError_tPvRmT3_T4_T5_T6_T7_T9_mT8_P12ihipStream_tbDpT10_ENKUlT_T0_E_clISt17integral_constantIbLb1EES1B_EEDaS16_S17_EUlS16_E_NS1_11comp_targetILNS1_3genE9ELNS1_11target_archE1100ELNS1_3gpuE3ELNS1_3repE0EEENS1_30default_config_static_selectorELNS0_4arch9wavefront6targetE0EEEvT1_
; %bb.0:
	.section	.rodata,"a",@progbits
	.p2align	6, 0x0
	.amdhsa_kernel _ZN7rocprim17ROCPRIM_400000_NS6detail17trampoline_kernelINS0_14default_configENS1_25partition_config_selectorILNS1_17partition_subalgoE5ElNS0_10empty_typeEbEEZZNS1_14partition_implILS5_5ELb0ES3_mN6hipcub16HIPCUB_304000_NS21CountingInputIteratorIllEEPS6_NSA_22TransformInputIteratorIbN2at6native12_GLOBAL__N_19NonZeroOpIbEEPKblEENS0_5tupleIJPlS6_EEENSN_IJSD_SD_EEES6_PiJS6_EEE10hipError_tPvRmT3_T4_T5_T6_T7_T9_mT8_P12ihipStream_tbDpT10_ENKUlT_T0_E_clISt17integral_constantIbLb1EES1B_EEDaS16_S17_EUlS16_E_NS1_11comp_targetILNS1_3genE9ELNS1_11target_archE1100ELNS1_3gpuE3ELNS1_3repE0EEENS1_30default_config_static_selectorELNS0_4arch9wavefront6targetE0EEEvT1_
		.amdhsa_group_segment_fixed_size 0
		.amdhsa_private_segment_fixed_size 0
		.amdhsa_kernarg_size 136
		.amdhsa_user_sgpr_count 2
		.amdhsa_user_sgpr_dispatch_ptr 0
		.amdhsa_user_sgpr_queue_ptr 0
		.amdhsa_user_sgpr_kernarg_segment_ptr 1
		.amdhsa_user_sgpr_dispatch_id 0
		.amdhsa_user_sgpr_private_segment_size 0
		.amdhsa_wavefront_size32 1
		.amdhsa_uses_dynamic_stack 0
		.amdhsa_enable_private_segment 0
		.amdhsa_system_sgpr_workgroup_id_x 1
		.amdhsa_system_sgpr_workgroup_id_y 0
		.amdhsa_system_sgpr_workgroup_id_z 0
		.amdhsa_system_sgpr_workgroup_info 0
		.amdhsa_system_vgpr_workitem_id 0
		.amdhsa_next_free_vgpr 1
		.amdhsa_next_free_sgpr 1
		.amdhsa_reserve_vcc 0
		.amdhsa_float_round_mode_32 0
		.amdhsa_float_round_mode_16_64 0
		.amdhsa_float_denorm_mode_32 3
		.amdhsa_float_denorm_mode_16_64 3
		.amdhsa_fp16_overflow 0
		.amdhsa_workgroup_processor_mode 1
		.amdhsa_memory_ordered 1
		.amdhsa_forward_progress 1
		.amdhsa_inst_pref_size 0
		.amdhsa_round_robin_scheduling 0
		.amdhsa_exception_fp_ieee_invalid_op 0
		.amdhsa_exception_fp_denorm_src 0
		.amdhsa_exception_fp_ieee_div_zero 0
		.amdhsa_exception_fp_ieee_overflow 0
		.amdhsa_exception_fp_ieee_underflow 0
		.amdhsa_exception_fp_ieee_inexact 0
		.amdhsa_exception_int_div_zero 0
	.end_amdhsa_kernel
	.section	.text._ZN7rocprim17ROCPRIM_400000_NS6detail17trampoline_kernelINS0_14default_configENS1_25partition_config_selectorILNS1_17partition_subalgoE5ElNS0_10empty_typeEbEEZZNS1_14partition_implILS5_5ELb0ES3_mN6hipcub16HIPCUB_304000_NS21CountingInputIteratorIllEEPS6_NSA_22TransformInputIteratorIbN2at6native12_GLOBAL__N_19NonZeroOpIbEEPKblEENS0_5tupleIJPlS6_EEENSN_IJSD_SD_EEES6_PiJS6_EEE10hipError_tPvRmT3_T4_T5_T6_T7_T9_mT8_P12ihipStream_tbDpT10_ENKUlT_T0_E_clISt17integral_constantIbLb1EES1B_EEDaS16_S17_EUlS16_E_NS1_11comp_targetILNS1_3genE9ELNS1_11target_archE1100ELNS1_3gpuE3ELNS1_3repE0EEENS1_30default_config_static_selectorELNS0_4arch9wavefront6targetE0EEEvT1_,"axG",@progbits,_ZN7rocprim17ROCPRIM_400000_NS6detail17trampoline_kernelINS0_14default_configENS1_25partition_config_selectorILNS1_17partition_subalgoE5ElNS0_10empty_typeEbEEZZNS1_14partition_implILS5_5ELb0ES3_mN6hipcub16HIPCUB_304000_NS21CountingInputIteratorIllEEPS6_NSA_22TransformInputIteratorIbN2at6native12_GLOBAL__N_19NonZeroOpIbEEPKblEENS0_5tupleIJPlS6_EEENSN_IJSD_SD_EEES6_PiJS6_EEE10hipError_tPvRmT3_T4_T5_T6_T7_T9_mT8_P12ihipStream_tbDpT10_ENKUlT_T0_E_clISt17integral_constantIbLb1EES1B_EEDaS16_S17_EUlS16_E_NS1_11comp_targetILNS1_3genE9ELNS1_11target_archE1100ELNS1_3gpuE3ELNS1_3repE0EEENS1_30default_config_static_selectorELNS0_4arch9wavefront6targetE0EEEvT1_,comdat
.Lfunc_end744:
	.size	_ZN7rocprim17ROCPRIM_400000_NS6detail17trampoline_kernelINS0_14default_configENS1_25partition_config_selectorILNS1_17partition_subalgoE5ElNS0_10empty_typeEbEEZZNS1_14partition_implILS5_5ELb0ES3_mN6hipcub16HIPCUB_304000_NS21CountingInputIteratorIllEEPS6_NSA_22TransformInputIteratorIbN2at6native12_GLOBAL__N_19NonZeroOpIbEEPKblEENS0_5tupleIJPlS6_EEENSN_IJSD_SD_EEES6_PiJS6_EEE10hipError_tPvRmT3_T4_T5_T6_T7_T9_mT8_P12ihipStream_tbDpT10_ENKUlT_T0_E_clISt17integral_constantIbLb1EES1B_EEDaS16_S17_EUlS16_E_NS1_11comp_targetILNS1_3genE9ELNS1_11target_archE1100ELNS1_3gpuE3ELNS1_3repE0EEENS1_30default_config_static_selectorELNS0_4arch9wavefront6targetE0EEEvT1_, .Lfunc_end744-_ZN7rocprim17ROCPRIM_400000_NS6detail17trampoline_kernelINS0_14default_configENS1_25partition_config_selectorILNS1_17partition_subalgoE5ElNS0_10empty_typeEbEEZZNS1_14partition_implILS5_5ELb0ES3_mN6hipcub16HIPCUB_304000_NS21CountingInputIteratorIllEEPS6_NSA_22TransformInputIteratorIbN2at6native12_GLOBAL__N_19NonZeroOpIbEEPKblEENS0_5tupleIJPlS6_EEENSN_IJSD_SD_EEES6_PiJS6_EEE10hipError_tPvRmT3_T4_T5_T6_T7_T9_mT8_P12ihipStream_tbDpT10_ENKUlT_T0_E_clISt17integral_constantIbLb1EES1B_EEDaS16_S17_EUlS16_E_NS1_11comp_targetILNS1_3genE9ELNS1_11target_archE1100ELNS1_3gpuE3ELNS1_3repE0EEENS1_30default_config_static_selectorELNS0_4arch9wavefront6targetE0EEEvT1_
                                        ; -- End function
	.set _ZN7rocprim17ROCPRIM_400000_NS6detail17trampoline_kernelINS0_14default_configENS1_25partition_config_selectorILNS1_17partition_subalgoE5ElNS0_10empty_typeEbEEZZNS1_14partition_implILS5_5ELb0ES3_mN6hipcub16HIPCUB_304000_NS21CountingInputIteratorIllEEPS6_NSA_22TransformInputIteratorIbN2at6native12_GLOBAL__N_19NonZeroOpIbEEPKblEENS0_5tupleIJPlS6_EEENSN_IJSD_SD_EEES6_PiJS6_EEE10hipError_tPvRmT3_T4_T5_T6_T7_T9_mT8_P12ihipStream_tbDpT10_ENKUlT_T0_E_clISt17integral_constantIbLb1EES1B_EEDaS16_S17_EUlS16_E_NS1_11comp_targetILNS1_3genE9ELNS1_11target_archE1100ELNS1_3gpuE3ELNS1_3repE0EEENS1_30default_config_static_selectorELNS0_4arch9wavefront6targetE0EEEvT1_.num_vgpr, 0
	.set _ZN7rocprim17ROCPRIM_400000_NS6detail17trampoline_kernelINS0_14default_configENS1_25partition_config_selectorILNS1_17partition_subalgoE5ElNS0_10empty_typeEbEEZZNS1_14partition_implILS5_5ELb0ES3_mN6hipcub16HIPCUB_304000_NS21CountingInputIteratorIllEEPS6_NSA_22TransformInputIteratorIbN2at6native12_GLOBAL__N_19NonZeroOpIbEEPKblEENS0_5tupleIJPlS6_EEENSN_IJSD_SD_EEES6_PiJS6_EEE10hipError_tPvRmT3_T4_T5_T6_T7_T9_mT8_P12ihipStream_tbDpT10_ENKUlT_T0_E_clISt17integral_constantIbLb1EES1B_EEDaS16_S17_EUlS16_E_NS1_11comp_targetILNS1_3genE9ELNS1_11target_archE1100ELNS1_3gpuE3ELNS1_3repE0EEENS1_30default_config_static_selectorELNS0_4arch9wavefront6targetE0EEEvT1_.num_agpr, 0
	.set _ZN7rocprim17ROCPRIM_400000_NS6detail17trampoline_kernelINS0_14default_configENS1_25partition_config_selectorILNS1_17partition_subalgoE5ElNS0_10empty_typeEbEEZZNS1_14partition_implILS5_5ELb0ES3_mN6hipcub16HIPCUB_304000_NS21CountingInputIteratorIllEEPS6_NSA_22TransformInputIteratorIbN2at6native12_GLOBAL__N_19NonZeroOpIbEEPKblEENS0_5tupleIJPlS6_EEENSN_IJSD_SD_EEES6_PiJS6_EEE10hipError_tPvRmT3_T4_T5_T6_T7_T9_mT8_P12ihipStream_tbDpT10_ENKUlT_T0_E_clISt17integral_constantIbLb1EES1B_EEDaS16_S17_EUlS16_E_NS1_11comp_targetILNS1_3genE9ELNS1_11target_archE1100ELNS1_3gpuE3ELNS1_3repE0EEENS1_30default_config_static_selectorELNS0_4arch9wavefront6targetE0EEEvT1_.numbered_sgpr, 0
	.set _ZN7rocprim17ROCPRIM_400000_NS6detail17trampoline_kernelINS0_14default_configENS1_25partition_config_selectorILNS1_17partition_subalgoE5ElNS0_10empty_typeEbEEZZNS1_14partition_implILS5_5ELb0ES3_mN6hipcub16HIPCUB_304000_NS21CountingInputIteratorIllEEPS6_NSA_22TransformInputIteratorIbN2at6native12_GLOBAL__N_19NonZeroOpIbEEPKblEENS0_5tupleIJPlS6_EEENSN_IJSD_SD_EEES6_PiJS6_EEE10hipError_tPvRmT3_T4_T5_T6_T7_T9_mT8_P12ihipStream_tbDpT10_ENKUlT_T0_E_clISt17integral_constantIbLb1EES1B_EEDaS16_S17_EUlS16_E_NS1_11comp_targetILNS1_3genE9ELNS1_11target_archE1100ELNS1_3gpuE3ELNS1_3repE0EEENS1_30default_config_static_selectorELNS0_4arch9wavefront6targetE0EEEvT1_.num_named_barrier, 0
	.set _ZN7rocprim17ROCPRIM_400000_NS6detail17trampoline_kernelINS0_14default_configENS1_25partition_config_selectorILNS1_17partition_subalgoE5ElNS0_10empty_typeEbEEZZNS1_14partition_implILS5_5ELb0ES3_mN6hipcub16HIPCUB_304000_NS21CountingInputIteratorIllEEPS6_NSA_22TransformInputIteratorIbN2at6native12_GLOBAL__N_19NonZeroOpIbEEPKblEENS0_5tupleIJPlS6_EEENSN_IJSD_SD_EEES6_PiJS6_EEE10hipError_tPvRmT3_T4_T5_T6_T7_T9_mT8_P12ihipStream_tbDpT10_ENKUlT_T0_E_clISt17integral_constantIbLb1EES1B_EEDaS16_S17_EUlS16_E_NS1_11comp_targetILNS1_3genE9ELNS1_11target_archE1100ELNS1_3gpuE3ELNS1_3repE0EEENS1_30default_config_static_selectorELNS0_4arch9wavefront6targetE0EEEvT1_.private_seg_size, 0
	.set _ZN7rocprim17ROCPRIM_400000_NS6detail17trampoline_kernelINS0_14default_configENS1_25partition_config_selectorILNS1_17partition_subalgoE5ElNS0_10empty_typeEbEEZZNS1_14partition_implILS5_5ELb0ES3_mN6hipcub16HIPCUB_304000_NS21CountingInputIteratorIllEEPS6_NSA_22TransformInputIteratorIbN2at6native12_GLOBAL__N_19NonZeroOpIbEEPKblEENS0_5tupleIJPlS6_EEENSN_IJSD_SD_EEES6_PiJS6_EEE10hipError_tPvRmT3_T4_T5_T6_T7_T9_mT8_P12ihipStream_tbDpT10_ENKUlT_T0_E_clISt17integral_constantIbLb1EES1B_EEDaS16_S17_EUlS16_E_NS1_11comp_targetILNS1_3genE9ELNS1_11target_archE1100ELNS1_3gpuE3ELNS1_3repE0EEENS1_30default_config_static_selectorELNS0_4arch9wavefront6targetE0EEEvT1_.uses_vcc, 0
	.set _ZN7rocprim17ROCPRIM_400000_NS6detail17trampoline_kernelINS0_14default_configENS1_25partition_config_selectorILNS1_17partition_subalgoE5ElNS0_10empty_typeEbEEZZNS1_14partition_implILS5_5ELb0ES3_mN6hipcub16HIPCUB_304000_NS21CountingInputIteratorIllEEPS6_NSA_22TransformInputIteratorIbN2at6native12_GLOBAL__N_19NonZeroOpIbEEPKblEENS0_5tupleIJPlS6_EEENSN_IJSD_SD_EEES6_PiJS6_EEE10hipError_tPvRmT3_T4_T5_T6_T7_T9_mT8_P12ihipStream_tbDpT10_ENKUlT_T0_E_clISt17integral_constantIbLb1EES1B_EEDaS16_S17_EUlS16_E_NS1_11comp_targetILNS1_3genE9ELNS1_11target_archE1100ELNS1_3gpuE3ELNS1_3repE0EEENS1_30default_config_static_selectorELNS0_4arch9wavefront6targetE0EEEvT1_.uses_flat_scratch, 0
	.set _ZN7rocprim17ROCPRIM_400000_NS6detail17trampoline_kernelINS0_14default_configENS1_25partition_config_selectorILNS1_17partition_subalgoE5ElNS0_10empty_typeEbEEZZNS1_14partition_implILS5_5ELb0ES3_mN6hipcub16HIPCUB_304000_NS21CountingInputIteratorIllEEPS6_NSA_22TransformInputIteratorIbN2at6native12_GLOBAL__N_19NonZeroOpIbEEPKblEENS0_5tupleIJPlS6_EEENSN_IJSD_SD_EEES6_PiJS6_EEE10hipError_tPvRmT3_T4_T5_T6_T7_T9_mT8_P12ihipStream_tbDpT10_ENKUlT_T0_E_clISt17integral_constantIbLb1EES1B_EEDaS16_S17_EUlS16_E_NS1_11comp_targetILNS1_3genE9ELNS1_11target_archE1100ELNS1_3gpuE3ELNS1_3repE0EEENS1_30default_config_static_selectorELNS0_4arch9wavefront6targetE0EEEvT1_.has_dyn_sized_stack, 0
	.set _ZN7rocprim17ROCPRIM_400000_NS6detail17trampoline_kernelINS0_14default_configENS1_25partition_config_selectorILNS1_17partition_subalgoE5ElNS0_10empty_typeEbEEZZNS1_14partition_implILS5_5ELb0ES3_mN6hipcub16HIPCUB_304000_NS21CountingInputIteratorIllEEPS6_NSA_22TransformInputIteratorIbN2at6native12_GLOBAL__N_19NonZeroOpIbEEPKblEENS0_5tupleIJPlS6_EEENSN_IJSD_SD_EEES6_PiJS6_EEE10hipError_tPvRmT3_T4_T5_T6_T7_T9_mT8_P12ihipStream_tbDpT10_ENKUlT_T0_E_clISt17integral_constantIbLb1EES1B_EEDaS16_S17_EUlS16_E_NS1_11comp_targetILNS1_3genE9ELNS1_11target_archE1100ELNS1_3gpuE3ELNS1_3repE0EEENS1_30default_config_static_selectorELNS0_4arch9wavefront6targetE0EEEvT1_.has_recursion, 0
	.set _ZN7rocprim17ROCPRIM_400000_NS6detail17trampoline_kernelINS0_14default_configENS1_25partition_config_selectorILNS1_17partition_subalgoE5ElNS0_10empty_typeEbEEZZNS1_14partition_implILS5_5ELb0ES3_mN6hipcub16HIPCUB_304000_NS21CountingInputIteratorIllEEPS6_NSA_22TransformInputIteratorIbN2at6native12_GLOBAL__N_19NonZeroOpIbEEPKblEENS0_5tupleIJPlS6_EEENSN_IJSD_SD_EEES6_PiJS6_EEE10hipError_tPvRmT3_T4_T5_T6_T7_T9_mT8_P12ihipStream_tbDpT10_ENKUlT_T0_E_clISt17integral_constantIbLb1EES1B_EEDaS16_S17_EUlS16_E_NS1_11comp_targetILNS1_3genE9ELNS1_11target_archE1100ELNS1_3gpuE3ELNS1_3repE0EEENS1_30default_config_static_selectorELNS0_4arch9wavefront6targetE0EEEvT1_.has_indirect_call, 0
	.section	.AMDGPU.csdata,"",@progbits
; Kernel info:
; codeLenInByte = 0
; TotalNumSgprs: 0
; NumVgprs: 0
; ScratchSize: 0
; MemoryBound: 0
; FloatMode: 240
; IeeeMode: 1
; LDSByteSize: 0 bytes/workgroup (compile time only)
; SGPRBlocks: 0
; VGPRBlocks: 0
; NumSGPRsForWavesPerEU: 1
; NumVGPRsForWavesPerEU: 1
; Occupancy: 16
; WaveLimiterHint : 0
; COMPUTE_PGM_RSRC2:SCRATCH_EN: 0
; COMPUTE_PGM_RSRC2:USER_SGPR: 2
; COMPUTE_PGM_RSRC2:TRAP_HANDLER: 0
; COMPUTE_PGM_RSRC2:TGID_X_EN: 1
; COMPUTE_PGM_RSRC2:TGID_Y_EN: 0
; COMPUTE_PGM_RSRC2:TGID_Z_EN: 0
; COMPUTE_PGM_RSRC2:TIDIG_COMP_CNT: 0
	.section	.text._ZN7rocprim17ROCPRIM_400000_NS6detail17trampoline_kernelINS0_14default_configENS1_25partition_config_selectorILNS1_17partition_subalgoE5ElNS0_10empty_typeEbEEZZNS1_14partition_implILS5_5ELb0ES3_mN6hipcub16HIPCUB_304000_NS21CountingInputIteratorIllEEPS6_NSA_22TransformInputIteratorIbN2at6native12_GLOBAL__N_19NonZeroOpIbEEPKblEENS0_5tupleIJPlS6_EEENSN_IJSD_SD_EEES6_PiJS6_EEE10hipError_tPvRmT3_T4_T5_T6_T7_T9_mT8_P12ihipStream_tbDpT10_ENKUlT_T0_E_clISt17integral_constantIbLb1EES1B_EEDaS16_S17_EUlS16_E_NS1_11comp_targetILNS1_3genE8ELNS1_11target_archE1030ELNS1_3gpuE2ELNS1_3repE0EEENS1_30default_config_static_selectorELNS0_4arch9wavefront6targetE0EEEvT1_,"axG",@progbits,_ZN7rocprim17ROCPRIM_400000_NS6detail17trampoline_kernelINS0_14default_configENS1_25partition_config_selectorILNS1_17partition_subalgoE5ElNS0_10empty_typeEbEEZZNS1_14partition_implILS5_5ELb0ES3_mN6hipcub16HIPCUB_304000_NS21CountingInputIteratorIllEEPS6_NSA_22TransformInputIteratorIbN2at6native12_GLOBAL__N_19NonZeroOpIbEEPKblEENS0_5tupleIJPlS6_EEENSN_IJSD_SD_EEES6_PiJS6_EEE10hipError_tPvRmT3_T4_T5_T6_T7_T9_mT8_P12ihipStream_tbDpT10_ENKUlT_T0_E_clISt17integral_constantIbLb1EES1B_EEDaS16_S17_EUlS16_E_NS1_11comp_targetILNS1_3genE8ELNS1_11target_archE1030ELNS1_3gpuE2ELNS1_3repE0EEENS1_30default_config_static_selectorELNS0_4arch9wavefront6targetE0EEEvT1_,comdat
	.globl	_ZN7rocprim17ROCPRIM_400000_NS6detail17trampoline_kernelINS0_14default_configENS1_25partition_config_selectorILNS1_17partition_subalgoE5ElNS0_10empty_typeEbEEZZNS1_14partition_implILS5_5ELb0ES3_mN6hipcub16HIPCUB_304000_NS21CountingInputIteratorIllEEPS6_NSA_22TransformInputIteratorIbN2at6native12_GLOBAL__N_19NonZeroOpIbEEPKblEENS0_5tupleIJPlS6_EEENSN_IJSD_SD_EEES6_PiJS6_EEE10hipError_tPvRmT3_T4_T5_T6_T7_T9_mT8_P12ihipStream_tbDpT10_ENKUlT_T0_E_clISt17integral_constantIbLb1EES1B_EEDaS16_S17_EUlS16_E_NS1_11comp_targetILNS1_3genE8ELNS1_11target_archE1030ELNS1_3gpuE2ELNS1_3repE0EEENS1_30default_config_static_selectorELNS0_4arch9wavefront6targetE0EEEvT1_ ; -- Begin function _ZN7rocprim17ROCPRIM_400000_NS6detail17trampoline_kernelINS0_14default_configENS1_25partition_config_selectorILNS1_17partition_subalgoE5ElNS0_10empty_typeEbEEZZNS1_14partition_implILS5_5ELb0ES3_mN6hipcub16HIPCUB_304000_NS21CountingInputIteratorIllEEPS6_NSA_22TransformInputIteratorIbN2at6native12_GLOBAL__N_19NonZeroOpIbEEPKblEENS0_5tupleIJPlS6_EEENSN_IJSD_SD_EEES6_PiJS6_EEE10hipError_tPvRmT3_T4_T5_T6_T7_T9_mT8_P12ihipStream_tbDpT10_ENKUlT_T0_E_clISt17integral_constantIbLb1EES1B_EEDaS16_S17_EUlS16_E_NS1_11comp_targetILNS1_3genE8ELNS1_11target_archE1030ELNS1_3gpuE2ELNS1_3repE0EEENS1_30default_config_static_selectorELNS0_4arch9wavefront6targetE0EEEvT1_
	.p2align	8
	.type	_ZN7rocprim17ROCPRIM_400000_NS6detail17trampoline_kernelINS0_14default_configENS1_25partition_config_selectorILNS1_17partition_subalgoE5ElNS0_10empty_typeEbEEZZNS1_14partition_implILS5_5ELb0ES3_mN6hipcub16HIPCUB_304000_NS21CountingInputIteratorIllEEPS6_NSA_22TransformInputIteratorIbN2at6native12_GLOBAL__N_19NonZeroOpIbEEPKblEENS0_5tupleIJPlS6_EEENSN_IJSD_SD_EEES6_PiJS6_EEE10hipError_tPvRmT3_T4_T5_T6_T7_T9_mT8_P12ihipStream_tbDpT10_ENKUlT_T0_E_clISt17integral_constantIbLb1EES1B_EEDaS16_S17_EUlS16_E_NS1_11comp_targetILNS1_3genE8ELNS1_11target_archE1030ELNS1_3gpuE2ELNS1_3repE0EEENS1_30default_config_static_selectorELNS0_4arch9wavefront6targetE0EEEvT1_,@function
_ZN7rocprim17ROCPRIM_400000_NS6detail17trampoline_kernelINS0_14default_configENS1_25partition_config_selectorILNS1_17partition_subalgoE5ElNS0_10empty_typeEbEEZZNS1_14partition_implILS5_5ELb0ES3_mN6hipcub16HIPCUB_304000_NS21CountingInputIteratorIllEEPS6_NSA_22TransformInputIteratorIbN2at6native12_GLOBAL__N_19NonZeroOpIbEEPKblEENS0_5tupleIJPlS6_EEENSN_IJSD_SD_EEES6_PiJS6_EEE10hipError_tPvRmT3_T4_T5_T6_T7_T9_mT8_P12ihipStream_tbDpT10_ENKUlT_T0_E_clISt17integral_constantIbLb1EES1B_EEDaS16_S17_EUlS16_E_NS1_11comp_targetILNS1_3genE8ELNS1_11target_archE1030ELNS1_3gpuE2ELNS1_3repE0EEENS1_30default_config_static_selectorELNS0_4arch9wavefront6targetE0EEEvT1_: ; @_ZN7rocprim17ROCPRIM_400000_NS6detail17trampoline_kernelINS0_14default_configENS1_25partition_config_selectorILNS1_17partition_subalgoE5ElNS0_10empty_typeEbEEZZNS1_14partition_implILS5_5ELb0ES3_mN6hipcub16HIPCUB_304000_NS21CountingInputIteratorIllEEPS6_NSA_22TransformInputIteratorIbN2at6native12_GLOBAL__N_19NonZeroOpIbEEPKblEENS0_5tupleIJPlS6_EEENSN_IJSD_SD_EEES6_PiJS6_EEE10hipError_tPvRmT3_T4_T5_T6_T7_T9_mT8_P12ihipStream_tbDpT10_ENKUlT_T0_E_clISt17integral_constantIbLb1EES1B_EEDaS16_S17_EUlS16_E_NS1_11comp_targetILNS1_3genE8ELNS1_11target_archE1030ELNS1_3gpuE2ELNS1_3repE0EEENS1_30default_config_static_selectorELNS0_4arch9wavefront6targetE0EEEvT1_
; %bb.0:
	.section	.rodata,"a",@progbits
	.p2align	6, 0x0
	.amdhsa_kernel _ZN7rocprim17ROCPRIM_400000_NS6detail17trampoline_kernelINS0_14default_configENS1_25partition_config_selectorILNS1_17partition_subalgoE5ElNS0_10empty_typeEbEEZZNS1_14partition_implILS5_5ELb0ES3_mN6hipcub16HIPCUB_304000_NS21CountingInputIteratorIllEEPS6_NSA_22TransformInputIteratorIbN2at6native12_GLOBAL__N_19NonZeroOpIbEEPKblEENS0_5tupleIJPlS6_EEENSN_IJSD_SD_EEES6_PiJS6_EEE10hipError_tPvRmT3_T4_T5_T6_T7_T9_mT8_P12ihipStream_tbDpT10_ENKUlT_T0_E_clISt17integral_constantIbLb1EES1B_EEDaS16_S17_EUlS16_E_NS1_11comp_targetILNS1_3genE8ELNS1_11target_archE1030ELNS1_3gpuE2ELNS1_3repE0EEENS1_30default_config_static_selectorELNS0_4arch9wavefront6targetE0EEEvT1_
		.amdhsa_group_segment_fixed_size 0
		.amdhsa_private_segment_fixed_size 0
		.amdhsa_kernarg_size 136
		.amdhsa_user_sgpr_count 2
		.amdhsa_user_sgpr_dispatch_ptr 0
		.amdhsa_user_sgpr_queue_ptr 0
		.amdhsa_user_sgpr_kernarg_segment_ptr 1
		.amdhsa_user_sgpr_dispatch_id 0
		.amdhsa_user_sgpr_private_segment_size 0
		.amdhsa_wavefront_size32 1
		.amdhsa_uses_dynamic_stack 0
		.amdhsa_enable_private_segment 0
		.amdhsa_system_sgpr_workgroup_id_x 1
		.amdhsa_system_sgpr_workgroup_id_y 0
		.amdhsa_system_sgpr_workgroup_id_z 0
		.amdhsa_system_sgpr_workgroup_info 0
		.amdhsa_system_vgpr_workitem_id 0
		.amdhsa_next_free_vgpr 1
		.amdhsa_next_free_sgpr 1
		.amdhsa_reserve_vcc 0
		.amdhsa_float_round_mode_32 0
		.amdhsa_float_round_mode_16_64 0
		.amdhsa_float_denorm_mode_32 3
		.amdhsa_float_denorm_mode_16_64 3
		.amdhsa_fp16_overflow 0
		.amdhsa_workgroup_processor_mode 1
		.amdhsa_memory_ordered 1
		.amdhsa_forward_progress 1
		.amdhsa_inst_pref_size 0
		.amdhsa_round_robin_scheduling 0
		.amdhsa_exception_fp_ieee_invalid_op 0
		.amdhsa_exception_fp_denorm_src 0
		.amdhsa_exception_fp_ieee_div_zero 0
		.amdhsa_exception_fp_ieee_overflow 0
		.amdhsa_exception_fp_ieee_underflow 0
		.amdhsa_exception_fp_ieee_inexact 0
		.amdhsa_exception_int_div_zero 0
	.end_amdhsa_kernel
	.section	.text._ZN7rocprim17ROCPRIM_400000_NS6detail17trampoline_kernelINS0_14default_configENS1_25partition_config_selectorILNS1_17partition_subalgoE5ElNS0_10empty_typeEbEEZZNS1_14partition_implILS5_5ELb0ES3_mN6hipcub16HIPCUB_304000_NS21CountingInputIteratorIllEEPS6_NSA_22TransformInputIteratorIbN2at6native12_GLOBAL__N_19NonZeroOpIbEEPKblEENS0_5tupleIJPlS6_EEENSN_IJSD_SD_EEES6_PiJS6_EEE10hipError_tPvRmT3_T4_T5_T6_T7_T9_mT8_P12ihipStream_tbDpT10_ENKUlT_T0_E_clISt17integral_constantIbLb1EES1B_EEDaS16_S17_EUlS16_E_NS1_11comp_targetILNS1_3genE8ELNS1_11target_archE1030ELNS1_3gpuE2ELNS1_3repE0EEENS1_30default_config_static_selectorELNS0_4arch9wavefront6targetE0EEEvT1_,"axG",@progbits,_ZN7rocprim17ROCPRIM_400000_NS6detail17trampoline_kernelINS0_14default_configENS1_25partition_config_selectorILNS1_17partition_subalgoE5ElNS0_10empty_typeEbEEZZNS1_14partition_implILS5_5ELb0ES3_mN6hipcub16HIPCUB_304000_NS21CountingInputIteratorIllEEPS6_NSA_22TransformInputIteratorIbN2at6native12_GLOBAL__N_19NonZeroOpIbEEPKblEENS0_5tupleIJPlS6_EEENSN_IJSD_SD_EEES6_PiJS6_EEE10hipError_tPvRmT3_T4_T5_T6_T7_T9_mT8_P12ihipStream_tbDpT10_ENKUlT_T0_E_clISt17integral_constantIbLb1EES1B_EEDaS16_S17_EUlS16_E_NS1_11comp_targetILNS1_3genE8ELNS1_11target_archE1030ELNS1_3gpuE2ELNS1_3repE0EEENS1_30default_config_static_selectorELNS0_4arch9wavefront6targetE0EEEvT1_,comdat
.Lfunc_end745:
	.size	_ZN7rocprim17ROCPRIM_400000_NS6detail17trampoline_kernelINS0_14default_configENS1_25partition_config_selectorILNS1_17partition_subalgoE5ElNS0_10empty_typeEbEEZZNS1_14partition_implILS5_5ELb0ES3_mN6hipcub16HIPCUB_304000_NS21CountingInputIteratorIllEEPS6_NSA_22TransformInputIteratorIbN2at6native12_GLOBAL__N_19NonZeroOpIbEEPKblEENS0_5tupleIJPlS6_EEENSN_IJSD_SD_EEES6_PiJS6_EEE10hipError_tPvRmT3_T4_T5_T6_T7_T9_mT8_P12ihipStream_tbDpT10_ENKUlT_T0_E_clISt17integral_constantIbLb1EES1B_EEDaS16_S17_EUlS16_E_NS1_11comp_targetILNS1_3genE8ELNS1_11target_archE1030ELNS1_3gpuE2ELNS1_3repE0EEENS1_30default_config_static_selectorELNS0_4arch9wavefront6targetE0EEEvT1_, .Lfunc_end745-_ZN7rocprim17ROCPRIM_400000_NS6detail17trampoline_kernelINS0_14default_configENS1_25partition_config_selectorILNS1_17partition_subalgoE5ElNS0_10empty_typeEbEEZZNS1_14partition_implILS5_5ELb0ES3_mN6hipcub16HIPCUB_304000_NS21CountingInputIteratorIllEEPS6_NSA_22TransformInputIteratorIbN2at6native12_GLOBAL__N_19NonZeroOpIbEEPKblEENS0_5tupleIJPlS6_EEENSN_IJSD_SD_EEES6_PiJS6_EEE10hipError_tPvRmT3_T4_T5_T6_T7_T9_mT8_P12ihipStream_tbDpT10_ENKUlT_T0_E_clISt17integral_constantIbLb1EES1B_EEDaS16_S17_EUlS16_E_NS1_11comp_targetILNS1_3genE8ELNS1_11target_archE1030ELNS1_3gpuE2ELNS1_3repE0EEENS1_30default_config_static_selectorELNS0_4arch9wavefront6targetE0EEEvT1_
                                        ; -- End function
	.set _ZN7rocprim17ROCPRIM_400000_NS6detail17trampoline_kernelINS0_14default_configENS1_25partition_config_selectorILNS1_17partition_subalgoE5ElNS0_10empty_typeEbEEZZNS1_14partition_implILS5_5ELb0ES3_mN6hipcub16HIPCUB_304000_NS21CountingInputIteratorIllEEPS6_NSA_22TransformInputIteratorIbN2at6native12_GLOBAL__N_19NonZeroOpIbEEPKblEENS0_5tupleIJPlS6_EEENSN_IJSD_SD_EEES6_PiJS6_EEE10hipError_tPvRmT3_T4_T5_T6_T7_T9_mT8_P12ihipStream_tbDpT10_ENKUlT_T0_E_clISt17integral_constantIbLb1EES1B_EEDaS16_S17_EUlS16_E_NS1_11comp_targetILNS1_3genE8ELNS1_11target_archE1030ELNS1_3gpuE2ELNS1_3repE0EEENS1_30default_config_static_selectorELNS0_4arch9wavefront6targetE0EEEvT1_.num_vgpr, 0
	.set _ZN7rocprim17ROCPRIM_400000_NS6detail17trampoline_kernelINS0_14default_configENS1_25partition_config_selectorILNS1_17partition_subalgoE5ElNS0_10empty_typeEbEEZZNS1_14partition_implILS5_5ELb0ES3_mN6hipcub16HIPCUB_304000_NS21CountingInputIteratorIllEEPS6_NSA_22TransformInputIteratorIbN2at6native12_GLOBAL__N_19NonZeroOpIbEEPKblEENS0_5tupleIJPlS6_EEENSN_IJSD_SD_EEES6_PiJS6_EEE10hipError_tPvRmT3_T4_T5_T6_T7_T9_mT8_P12ihipStream_tbDpT10_ENKUlT_T0_E_clISt17integral_constantIbLb1EES1B_EEDaS16_S17_EUlS16_E_NS1_11comp_targetILNS1_3genE8ELNS1_11target_archE1030ELNS1_3gpuE2ELNS1_3repE0EEENS1_30default_config_static_selectorELNS0_4arch9wavefront6targetE0EEEvT1_.num_agpr, 0
	.set _ZN7rocprim17ROCPRIM_400000_NS6detail17trampoline_kernelINS0_14default_configENS1_25partition_config_selectorILNS1_17partition_subalgoE5ElNS0_10empty_typeEbEEZZNS1_14partition_implILS5_5ELb0ES3_mN6hipcub16HIPCUB_304000_NS21CountingInputIteratorIllEEPS6_NSA_22TransformInputIteratorIbN2at6native12_GLOBAL__N_19NonZeroOpIbEEPKblEENS0_5tupleIJPlS6_EEENSN_IJSD_SD_EEES6_PiJS6_EEE10hipError_tPvRmT3_T4_T5_T6_T7_T9_mT8_P12ihipStream_tbDpT10_ENKUlT_T0_E_clISt17integral_constantIbLb1EES1B_EEDaS16_S17_EUlS16_E_NS1_11comp_targetILNS1_3genE8ELNS1_11target_archE1030ELNS1_3gpuE2ELNS1_3repE0EEENS1_30default_config_static_selectorELNS0_4arch9wavefront6targetE0EEEvT1_.numbered_sgpr, 0
	.set _ZN7rocprim17ROCPRIM_400000_NS6detail17trampoline_kernelINS0_14default_configENS1_25partition_config_selectorILNS1_17partition_subalgoE5ElNS0_10empty_typeEbEEZZNS1_14partition_implILS5_5ELb0ES3_mN6hipcub16HIPCUB_304000_NS21CountingInputIteratorIllEEPS6_NSA_22TransformInputIteratorIbN2at6native12_GLOBAL__N_19NonZeroOpIbEEPKblEENS0_5tupleIJPlS6_EEENSN_IJSD_SD_EEES6_PiJS6_EEE10hipError_tPvRmT3_T4_T5_T6_T7_T9_mT8_P12ihipStream_tbDpT10_ENKUlT_T0_E_clISt17integral_constantIbLb1EES1B_EEDaS16_S17_EUlS16_E_NS1_11comp_targetILNS1_3genE8ELNS1_11target_archE1030ELNS1_3gpuE2ELNS1_3repE0EEENS1_30default_config_static_selectorELNS0_4arch9wavefront6targetE0EEEvT1_.num_named_barrier, 0
	.set _ZN7rocprim17ROCPRIM_400000_NS6detail17trampoline_kernelINS0_14default_configENS1_25partition_config_selectorILNS1_17partition_subalgoE5ElNS0_10empty_typeEbEEZZNS1_14partition_implILS5_5ELb0ES3_mN6hipcub16HIPCUB_304000_NS21CountingInputIteratorIllEEPS6_NSA_22TransformInputIteratorIbN2at6native12_GLOBAL__N_19NonZeroOpIbEEPKblEENS0_5tupleIJPlS6_EEENSN_IJSD_SD_EEES6_PiJS6_EEE10hipError_tPvRmT3_T4_T5_T6_T7_T9_mT8_P12ihipStream_tbDpT10_ENKUlT_T0_E_clISt17integral_constantIbLb1EES1B_EEDaS16_S17_EUlS16_E_NS1_11comp_targetILNS1_3genE8ELNS1_11target_archE1030ELNS1_3gpuE2ELNS1_3repE0EEENS1_30default_config_static_selectorELNS0_4arch9wavefront6targetE0EEEvT1_.private_seg_size, 0
	.set _ZN7rocprim17ROCPRIM_400000_NS6detail17trampoline_kernelINS0_14default_configENS1_25partition_config_selectorILNS1_17partition_subalgoE5ElNS0_10empty_typeEbEEZZNS1_14partition_implILS5_5ELb0ES3_mN6hipcub16HIPCUB_304000_NS21CountingInputIteratorIllEEPS6_NSA_22TransformInputIteratorIbN2at6native12_GLOBAL__N_19NonZeroOpIbEEPKblEENS0_5tupleIJPlS6_EEENSN_IJSD_SD_EEES6_PiJS6_EEE10hipError_tPvRmT3_T4_T5_T6_T7_T9_mT8_P12ihipStream_tbDpT10_ENKUlT_T0_E_clISt17integral_constantIbLb1EES1B_EEDaS16_S17_EUlS16_E_NS1_11comp_targetILNS1_3genE8ELNS1_11target_archE1030ELNS1_3gpuE2ELNS1_3repE0EEENS1_30default_config_static_selectorELNS0_4arch9wavefront6targetE0EEEvT1_.uses_vcc, 0
	.set _ZN7rocprim17ROCPRIM_400000_NS6detail17trampoline_kernelINS0_14default_configENS1_25partition_config_selectorILNS1_17partition_subalgoE5ElNS0_10empty_typeEbEEZZNS1_14partition_implILS5_5ELb0ES3_mN6hipcub16HIPCUB_304000_NS21CountingInputIteratorIllEEPS6_NSA_22TransformInputIteratorIbN2at6native12_GLOBAL__N_19NonZeroOpIbEEPKblEENS0_5tupleIJPlS6_EEENSN_IJSD_SD_EEES6_PiJS6_EEE10hipError_tPvRmT3_T4_T5_T6_T7_T9_mT8_P12ihipStream_tbDpT10_ENKUlT_T0_E_clISt17integral_constantIbLb1EES1B_EEDaS16_S17_EUlS16_E_NS1_11comp_targetILNS1_3genE8ELNS1_11target_archE1030ELNS1_3gpuE2ELNS1_3repE0EEENS1_30default_config_static_selectorELNS0_4arch9wavefront6targetE0EEEvT1_.uses_flat_scratch, 0
	.set _ZN7rocprim17ROCPRIM_400000_NS6detail17trampoline_kernelINS0_14default_configENS1_25partition_config_selectorILNS1_17partition_subalgoE5ElNS0_10empty_typeEbEEZZNS1_14partition_implILS5_5ELb0ES3_mN6hipcub16HIPCUB_304000_NS21CountingInputIteratorIllEEPS6_NSA_22TransformInputIteratorIbN2at6native12_GLOBAL__N_19NonZeroOpIbEEPKblEENS0_5tupleIJPlS6_EEENSN_IJSD_SD_EEES6_PiJS6_EEE10hipError_tPvRmT3_T4_T5_T6_T7_T9_mT8_P12ihipStream_tbDpT10_ENKUlT_T0_E_clISt17integral_constantIbLb1EES1B_EEDaS16_S17_EUlS16_E_NS1_11comp_targetILNS1_3genE8ELNS1_11target_archE1030ELNS1_3gpuE2ELNS1_3repE0EEENS1_30default_config_static_selectorELNS0_4arch9wavefront6targetE0EEEvT1_.has_dyn_sized_stack, 0
	.set _ZN7rocprim17ROCPRIM_400000_NS6detail17trampoline_kernelINS0_14default_configENS1_25partition_config_selectorILNS1_17partition_subalgoE5ElNS0_10empty_typeEbEEZZNS1_14partition_implILS5_5ELb0ES3_mN6hipcub16HIPCUB_304000_NS21CountingInputIteratorIllEEPS6_NSA_22TransformInputIteratorIbN2at6native12_GLOBAL__N_19NonZeroOpIbEEPKblEENS0_5tupleIJPlS6_EEENSN_IJSD_SD_EEES6_PiJS6_EEE10hipError_tPvRmT3_T4_T5_T6_T7_T9_mT8_P12ihipStream_tbDpT10_ENKUlT_T0_E_clISt17integral_constantIbLb1EES1B_EEDaS16_S17_EUlS16_E_NS1_11comp_targetILNS1_3genE8ELNS1_11target_archE1030ELNS1_3gpuE2ELNS1_3repE0EEENS1_30default_config_static_selectorELNS0_4arch9wavefront6targetE0EEEvT1_.has_recursion, 0
	.set _ZN7rocprim17ROCPRIM_400000_NS6detail17trampoline_kernelINS0_14default_configENS1_25partition_config_selectorILNS1_17partition_subalgoE5ElNS0_10empty_typeEbEEZZNS1_14partition_implILS5_5ELb0ES3_mN6hipcub16HIPCUB_304000_NS21CountingInputIteratorIllEEPS6_NSA_22TransformInputIteratorIbN2at6native12_GLOBAL__N_19NonZeroOpIbEEPKblEENS0_5tupleIJPlS6_EEENSN_IJSD_SD_EEES6_PiJS6_EEE10hipError_tPvRmT3_T4_T5_T6_T7_T9_mT8_P12ihipStream_tbDpT10_ENKUlT_T0_E_clISt17integral_constantIbLb1EES1B_EEDaS16_S17_EUlS16_E_NS1_11comp_targetILNS1_3genE8ELNS1_11target_archE1030ELNS1_3gpuE2ELNS1_3repE0EEENS1_30default_config_static_selectorELNS0_4arch9wavefront6targetE0EEEvT1_.has_indirect_call, 0
	.section	.AMDGPU.csdata,"",@progbits
; Kernel info:
; codeLenInByte = 0
; TotalNumSgprs: 0
; NumVgprs: 0
; ScratchSize: 0
; MemoryBound: 0
; FloatMode: 240
; IeeeMode: 1
; LDSByteSize: 0 bytes/workgroup (compile time only)
; SGPRBlocks: 0
; VGPRBlocks: 0
; NumSGPRsForWavesPerEU: 1
; NumVGPRsForWavesPerEU: 1
; Occupancy: 16
; WaveLimiterHint : 0
; COMPUTE_PGM_RSRC2:SCRATCH_EN: 0
; COMPUTE_PGM_RSRC2:USER_SGPR: 2
; COMPUTE_PGM_RSRC2:TRAP_HANDLER: 0
; COMPUTE_PGM_RSRC2:TGID_X_EN: 1
; COMPUTE_PGM_RSRC2:TGID_Y_EN: 0
; COMPUTE_PGM_RSRC2:TGID_Z_EN: 0
; COMPUTE_PGM_RSRC2:TIDIG_COMP_CNT: 0
	.section	.text._ZN7rocprim17ROCPRIM_400000_NS6detail17trampoline_kernelINS0_14default_configENS1_25partition_config_selectorILNS1_17partition_subalgoE5ElNS0_10empty_typeEbEEZZNS1_14partition_implILS5_5ELb0ES3_mN6hipcub16HIPCUB_304000_NS21CountingInputIteratorIllEEPS6_NSA_22TransformInputIteratorIbN2at6native12_GLOBAL__N_19NonZeroOpIbEEPKblEENS0_5tupleIJPlS6_EEENSN_IJSD_SD_EEES6_PiJS6_EEE10hipError_tPvRmT3_T4_T5_T6_T7_T9_mT8_P12ihipStream_tbDpT10_ENKUlT_T0_E_clISt17integral_constantIbLb1EES1A_IbLb0EEEEDaS16_S17_EUlS16_E_NS1_11comp_targetILNS1_3genE0ELNS1_11target_archE4294967295ELNS1_3gpuE0ELNS1_3repE0EEENS1_30default_config_static_selectorELNS0_4arch9wavefront6targetE0EEEvT1_,"axG",@progbits,_ZN7rocprim17ROCPRIM_400000_NS6detail17trampoline_kernelINS0_14default_configENS1_25partition_config_selectorILNS1_17partition_subalgoE5ElNS0_10empty_typeEbEEZZNS1_14partition_implILS5_5ELb0ES3_mN6hipcub16HIPCUB_304000_NS21CountingInputIteratorIllEEPS6_NSA_22TransformInputIteratorIbN2at6native12_GLOBAL__N_19NonZeroOpIbEEPKblEENS0_5tupleIJPlS6_EEENSN_IJSD_SD_EEES6_PiJS6_EEE10hipError_tPvRmT3_T4_T5_T6_T7_T9_mT8_P12ihipStream_tbDpT10_ENKUlT_T0_E_clISt17integral_constantIbLb1EES1A_IbLb0EEEEDaS16_S17_EUlS16_E_NS1_11comp_targetILNS1_3genE0ELNS1_11target_archE4294967295ELNS1_3gpuE0ELNS1_3repE0EEENS1_30default_config_static_selectorELNS0_4arch9wavefront6targetE0EEEvT1_,comdat
	.globl	_ZN7rocprim17ROCPRIM_400000_NS6detail17trampoline_kernelINS0_14default_configENS1_25partition_config_selectorILNS1_17partition_subalgoE5ElNS0_10empty_typeEbEEZZNS1_14partition_implILS5_5ELb0ES3_mN6hipcub16HIPCUB_304000_NS21CountingInputIteratorIllEEPS6_NSA_22TransformInputIteratorIbN2at6native12_GLOBAL__N_19NonZeroOpIbEEPKblEENS0_5tupleIJPlS6_EEENSN_IJSD_SD_EEES6_PiJS6_EEE10hipError_tPvRmT3_T4_T5_T6_T7_T9_mT8_P12ihipStream_tbDpT10_ENKUlT_T0_E_clISt17integral_constantIbLb1EES1A_IbLb0EEEEDaS16_S17_EUlS16_E_NS1_11comp_targetILNS1_3genE0ELNS1_11target_archE4294967295ELNS1_3gpuE0ELNS1_3repE0EEENS1_30default_config_static_selectorELNS0_4arch9wavefront6targetE0EEEvT1_ ; -- Begin function _ZN7rocprim17ROCPRIM_400000_NS6detail17trampoline_kernelINS0_14default_configENS1_25partition_config_selectorILNS1_17partition_subalgoE5ElNS0_10empty_typeEbEEZZNS1_14partition_implILS5_5ELb0ES3_mN6hipcub16HIPCUB_304000_NS21CountingInputIteratorIllEEPS6_NSA_22TransformInputIteratorIbN2at6native12_GLOBAL__N_19NonZeroOpIbEEPKblEENS0_5tupleIJPlS6_EEENSN_IJSD_SD_EEES6_PiJS6_EEE10hipError_tPvRmT3_T4_T5_T6_T7_T9_mT8_P12ihipStream_tbDpT10_ENKUlT_T0_E_clISt17integral_constantIbLb1EES1A_IbLb0EEEEDaS16_S17_EUlS16_E_NS1_11comp_targetILNS1_3genE0ELNS1_11target_archE4294967295ELNS1_3gpuE0ELNS1_3repE0EEENS1_30default_config_static_selectorELNS0_4arch9wavefront6targetE0EEEvT1_
	.p2align	8
	.type	_ZN7rocprim17ROCPRIM_400000_NS6detail17trampoline_kernelINS0_14default_configENS1_25partition_config_selectorILNS1_17partition_subalgoE5ElNS0_10empty_typeEbEEZZNS1_14partition_implILS5_5ELb0ES3_mN6hipcub16HIPCUB_304000_NS21CountingInputIteratorIllEEPS6_NSA_22TransformInputIteratorIbN2at6native12_GLOBAL__N_19NonZeroOpIbEEPKblEENS0_5tupleIJPlS6_EEENSN_IJSD_SD_EEES6_PiJS6_EEE10hipError_tPvRmT3_T4_T5_T6_T7_T9_mT8_P12ihipStream_tbDpT10_ENKUlT_T0_E_clISt17integral_constantIbLb1EES1A_IbLb0EEEEDaS16_S17_EUlS16_E_NS1_11comp_targetILNS1_3genE0ELNS1_11target_archE4294967295ELNS1_3gpuE0ELNS1_3repE0EEENS1_30default_config_static_selectorELNS0_4arch9wavefront6targetE0EEEvT1_,@function
_ZN7rocprim17ROCPRIM_400000_NS6detail17trampoline_kernelINS0_14default_configENS1_25partition_config_selectorILNS1_17partition_subalgoE5ElNS0_10empty_typeEbEEZZNS1_14partition_implILS5_5ELb0ES3_mN6hipcub16HIPCUB_304000_NS21CountingInputIteratorIllEEPS6_NSA_22TransformInputIteratorIbN2at6native12_GLOBAL__N_19NonZeroOpIbEEPKblEENS0_5tupleIJPlS6_EEENSN_IJSD_SD_EEES6_PiJS6_EEE10hipError_tPvRmT3_T4_T5_T6_T7_T9_mT8_P12ihipStream_tbDpT10_ENKUlT_T0_E_clISt17integral_constantIbLb1EES1A_IbLb0EEEEDaS16_S17_EUlS16_E_NS1_11comp_targetILNS1_3genE0ELNS1_11target_archE4294967295ELNS1_3gpuE0ELNS1_3repE0EEENS1_30default_config_static_selectorELNS0_4arch9wavefront6targetE0EEEvT1_: ; @_ZN7rocprim17ROCPRIM_400000_NS6detail17trampoline_kernelINS0_14default_configENS1_25partition_config_selectorILNS1_17partition_subalgoE5ElNS0_10empty_typeEbEEZZNS1_14partition_implILS5_5ELb0ES3_mN6hipcub16HIPCUB_304000_NS21CountingInputIteratorIllEEPS6_NSA_22TransformInputIteratorIbN2at6native12_GLOBAL__N_19NonZeroOpIbEEPKblEENS0_5tupleIJPlS6_EEENSN_IJSD_SD_EEES6_PiJS6_EEE10hipError_tPvRmT3_T4_T5_T6_T7_T9_mT8_P12ihipStream_tbDpT10_ENKUlT_T0_E_clISt17integral_constantIbLb1EES1A_IbLb0EEEEDaS16_S17_EUlS16_E_NS1_11comp_targetILNS1_3genE0ELNS1_11target_archE4294967295ELNS1_3gpuE0ELNS1_3repE0EEENS1_30default_config_static_selectorELNS0_4arch9wavefront6targetE0EEEvT1_
; %bb.0:
	.section	.rodata,"a",@progbits
	.p2align	6, 0x0
	.amdhsa_kernel _ZN7rocprim17ROCPRIM_400000_NS6detail17trampoline_kernelINS0_14default_configENS1_25partition_config_selectorILNS1_17partition_subalgoE5ElNS0_10empty_typeEbEEZZNS1_14partition_implILS5_5ELb0ES3_mN6hipcub16HIPCUB_304000_NS21CountingInputIteratorIllEEPS6_NSA_22TransformInputIteratorIbN2at6native12_GLOBAL__N_19NonZeroOpIbEEPKblEENS0_5tupleIJPlS6_EEENSN_IJSD_SD_EEES6_PiJS6_EEE10hipError_tPvRmT3_T4_T5_T6_T7_T9_mT8_P12ihipStream_tbDpT10_ENKUlT_T0_E_clISt17integral_constantIbLb1EES1A_IbLb0EEEEDaS16_S17_EUlS16_E_NS1_11comp_targetILNS1_3genE0ELNS1_11target_archE4294967295ELNS1_3gpuE0ELNS1_3repE0EEENS1_30default_config_static_selectorELNS0_4arch9wavefront6targetE0EEEvT1_
		.amdhsa_group_segment_fixed_size 0
		.amdhsa_private_segment_fixed_size 0
		.amdhsa_kernarg_size 120
		.amdhsa_user_sgpr_count 2
		.amdhsa_user_sgpr_dispatch_ptr 0
		.amdhsa_user_sgpr_queue_ptr 0
		.amdhsa_user_sgpr_kernarg_segment_ptr 1
		.amdhsa_user_sgpr_dispatch_id 0
		.amdhsa_user_sgpr_private_segment_size 0
		.amdhsa_wavefront_size32 1
		.amdhsa_uses_dynamic_stack 0
		.amdhsa_enable_private_segment 0
		.amdhsa_system_sgpr_workgroup_id_x 1
		.amdhsa_system_sgpr_workgroup_id_y 0
		.amdhsa_system_sgpr_workgroup_id_z 0
		.amdhsa_system_sgpr_workgroup_info 0
		.amdhsa_system_vgpr_workitem_id 0
		.amdhsa_next_free_vgpr 1
		.amdhsa_next_free_sgpr 1
		.amdhsa_reserve_vcc 0
		.amdhsa_float_round_mode_32 0
		.amdhsa_float_round_mode_16_64 0
		.amdhsa_float_denorm_mode_32 3
		.amdhsa_float_denorm_mode_16_64 3
		.amdhsa_fp16_overflow 0
		.amdhsa_workgroup_processor_mode 1
		.amdhsa_memory_ordered 1
		.amdhsa_forward_progress 1
		.amdhsa_inst_pref_size 0
		.amdhsa_round_robin_scheduling 0
		.amdhsa_exception_fp_ieee_invalid_op 0
		.amdhsa_exception_fp_denorm_src 0
		.amdhsa_exception_fp_ieee_div_zero 0
		.amdhsa_exception_fp_ieee_overflow 0
		.amdhsa_exception_fp_ieee_underflow 0
		.amdhsa_exception_fp_ieee_inexact 0
		.amdhsa_exception_int_div_zero 0
	.end_amdhsa_kernel
	.section	.text._ZN7rocprim17ROCPRIM_400000_NS6detail17trampoline_kernelINS0_14default_configENS1_25partition_config_selectorILNS1_17partition_subalgoE5ElNS0_10empty_typeEbEEZZNS1_14partition_implILS5_5ELb0ES3_mN6hipcub16HIPCUB_304000_NS21CountingInputIteratorIllEEPS6_NSA_22TransformInputIteratorIbN2at6native12_GLOBAL__N_19NonZeroOpIbEEPKblEENS0_5tupleIJPlS6_EEENSN_IJSD_SD_EEES6_PiJS6_EEE10hipError_tPvRmT3_T4_T5_T6_T7_T9_mT8_P12ihipStream_tbDpT10_ENKUlT_T0_E_clISt17integral_constantIbLb1EES1A_IbLb0EEEEDaS16_S17_EUlS16_E_NS1_11comp_targetILNS1_3genE0ELNS1_11target_archE4294967295ELNS1_3gpuE0ELNS1_3repE0EEENS1_30default_config_static_selectorELNS0_4arch9wavefront6targetE0EEEvT1_,"axG",@progbits,_ZN7rocprim17ROCPRIM_400000_NS6detail17trampoline_kernelINS0_14default_configENS1_25partition_config_selectorILNS1_17partition_subalgoE5ElNS0_10empty_typeEbEEZZNS1_14partition_implILS5_5ELb0ES3_mN6hipcub16HIPCUB_304000_NS21CountingInputIteratorIllEEPS6_NSA_22TransformInputIteratorIbN2at6native12_GLOBAL__N_19NonZeroOpIbEEPKblEENS0_5tupleIJPlS6_EEENSN_IJSD_SD_EEES6_PiJS6_EEE10hipError_tPvRmT3_T4_T5_T6_T7_T9_mT8_P12ihipStream_tbDpT10_ENKUlT_T0_E_clISt17integral_constantIbLb1EES1A_IbLb0EEEEDaS16_S17_EUlS16_E_NS1_11comp_targetILNS1_3genE0ELNS1_11target_archE4294967295ELNS1_3gpuE0ELNS1_3repE0EEENS1_30default_config_static_selectorELNS0_4arch9wavefront6targetE0EEEvT1_,comdat
.Lfunc_end746:
	.size	_ZN7rocprim17ROCPRIM_400000_NS6detail17trampoline_kernelINS0_14default_configENS1_25partition_config_selectorILNS1_17partition_subalgoE5ElNS0_10empty_typeEbEEZZNS1_14partition_implILS5_5ELb0ES3_mN6hipcub16HIPCUB_304000_NS21CountingInputIteratorIllEEPS6_NSA_22TransformInputIteratorIbN2at6native12_GLOBAL__N_19NonZeroOpIbEEPKblEENS0_5tupleIJPlS6_EEENSN_IJSD_SD_EEES6_PiJS6_EEE10hipError_tPvRmT3_T4_T5_T6_T7_T9_mT8_P12ihipStream_tbDpT10_ENKUlT_T0_E_clISt17integral_constantIbLb1EES1A_IbLb0EEEEDaS16_S17_EUlS16_E_NS1_11comp_targetILNS1_3genE0ELNS1_11target_archE4294967295ELNS1_3gpuE0ELNS1_3repE0EEENS1_30default_config_static_selectorELNS0_4arch9wavefront6targetE0EEEvT1_, .Lfunc_end746-_ZN7rocprim17ROCPRIM_400000_NS6detail17trampoline_kernelINS0_14default_configENS1_25partition_config_selectorILNS1_17partition_subalgoE5ElNS0_10empty_typeEbEEZZNS1_14partition_implILS5_5ELb0ES3_mN6hipcub16HIPCUB_304000_NS21CountingInputIteratorIllEEPS6_NSA_22TransformInputIteratorIbN2at6native12_GLOBAL__N_19NonZeroOpIbEEPKblEENS0_5tupleIJPlS6_EEENSN_IJSD_SD_EEES6_PiJS6_EEE10hipError_tPvRmT3_T4_T5_T6_T7_T9_mT8_P12ihipStream_tbDpT10_ENKUlT_T0_E_clISt17integral_constantIbLb1EES1A_IbLb0EEEEDaS16_S17_EUlS16_E_NS1_11comp_targetILNS1_3genE0ELNS1_11target_archE4294967295ELNS1_3gpuE0ELNS1_3repE0EEENS1_30default_config_static_selectorELNS0_4arch9wavefront6targetE0EEEvT1_
                                        ; -- End function
	.set _ZN7rocprim17ROCPRIM_400000_NS6detail17trampoline_kernelINS0_14default_configENS1_25partition_config_selectorILNS1_17partition_subalgoE5ElNS0_10empty_typeEbEEZZNS1_14partition_implILS5_5ELb0ES3_mN6hipcub16HIPCUB_304000_NS21CountingInputIteratorIllEEPS6_NSA_22TransformInputIteratorIbN2at6native12_GLOBAL__N_19NonZeroOpIbEEPKblEENS0_5tupleIJPlS6_EEENSN_IJSD_SD_EEES6_PiJS6_EEE10hipError_tPvRmT3_T4_T5_T6_T7_T9_mT8_P12ihipStream_tbDpT10_ENKUlT_T0_E_clISt17integral_constantIbLb1EES1A_IbLb0EEEEDaS16_S17_EUlS16_E_NS1_11comp_targetILNS1_3genE0ELNS1_11target_archE4294967295ELNS1_3gpuE0ELNS1_3repE0EEENS1_30default_config_static_selectorELNS0_4arch9wavefront6targetE0EEEvT1_.num_vgpr, 0
	.set _ZN7rocprim17ROCPRIM_400000_NS6detail17trampoline_kernelINS0_14default_configENS1_25partition_config_selectorILNS1_17partition_subalgoE5ElNS0_10empty_typeEbEEZZNS1_14partition_implILS5_5ELb0ES3_mN6hipcub16HIPCUB_304000_NS21CountingInputIteratorIllEEPS6_NSA_22TransformInputIteratorIbN2at6native12_GLOBAL__N_19NonZeroOpIbEEPKblEENS0_5tupleIJPlS6_EEENSN_IJSD_SD_EEES6_PiJS6_EEE10hipError_tPvRmT3_T4_T5_T6_T7_T9_mT8_P12ihipStream_tbDpT10_ENKUlT_T0_E_clISt17integral_constantIbLb1EES1A_IbLb0EEEEDaS16_S17_EUlS16_E_NS1_11comp_targetILNS1_3genE0ELNS1_11target_archE4294967295ELNS1_3gpuE0ELNS1_3repE0EEENS1_30default_config_static_selectorELNS0_4arch9wavefront6targetE0EEEvT1_.num_agpr, 0
	.set _ZN7rocprim17ROCPRIM_400000_NS6detail17trampoline_kernelINS0_14default_configENS1_25partition_config_selectorILNS1_17partition_subalgoE5ElNS0_10empty_typeEbEEZZNS1_14partition_implILS5_5ELb0ES3_mN6hipcub16HIPCUB_304000_NS21CountingInputIteratorIllEEPS6_NSA_22TransformInputIteratorIbN2at6native12_GLOBAL__N_19NonZeroOpIbEEPKblEENS0_5tupleIJPlS6_EEENSN_IJSD_SD_EEES6_PiJS6_EEE10hipError_tPvRmT3_T4_T5_T6_T7_T9_mT8_P12ihipStream_tbDpT10_ENKUlT_T0_E_clISt17integral_constantIbLb1EES1A_IbLb0EEEEDaS16_S17_EUlS16_E_NS1_11comp_targetILNS1_3genE0ELNS1_11target_archE4294967295ELNS1_3gpuE0ELNS1_3repE0EEENS1_30default_config_static_selectorELNS0_4arch9wavefront6targetE0EEEvT1_.numbered_sgpr, 0
	.set _ZN7rocprim17ROCPRIM_400000_NS6detail17trampoline_kernelINS0_14default_configENS1_25partition_config_selectorILNS1_17partition_subalgoE5ElNS0_10empty_typeEbEEZZNS1_14partition_implILS5_5ELb0ES3_mN6hipcub16HIPCUB_304000_NS21CountingInputIteratorIllEEPS6_NSA_22TransformInputIteratorIbN2at6native12_GLOBAL__N_19NonZeroOpIbEEPKblEENS0_5tupleIJPlS6_EEENSN_IJSD_SD_EEES6_PiJS6_EEE10hipError_tPvRmT3_T4_T5_T6_T7_T9_mT8_P12ihipStream_tbDpT10_ENKUlT_T0_E_clISt17integral_constantIbLb1EES1A_IbLb0EEEEDaS16_S17_EUlS16_E_NS1_11comp_targetILNS1_3genE0ELNS1_11target_archE4294967295ELNS1_3gpuE0ELNS1_3repE0EEENS1_30default_config_static_selectorELNS0_4arch9wavefront6targetE0EEEvT1_.num_named_barrier, 0
	.set _ZN7rocprim17ROCPRIM_400000_NS6detail17trampoline_kernelINS0_14default_configENS1_25partition_config_selectorILNS1_17partition_subalgoE5ElNS0_10empty_typeEbEEZZNS1_14partition_implILS5_5ELb0ES3_mN6hipcub16HIPCUB_304000_NS21CountingInputIteratorIllEEPS6_NSA_22TransformInputIteratorIbN2at6native12_GLOBAL__N_19NonZeroOpIbEEPKblEENS0_5tupleIJPlS6_EEENSN_IJSD_SD_EEES6_PiJS6_EEE10hipError_tPvRmT3_T4_T5_T6_T7_T9_mT8_P12ihipStream_tbDpT10_ENKUlT_T0_E_clISt17integral_constantIbLb1EES1A_IbLb0EEEEDaS16_S17_EUlS16_E_NS1_11comp_targetILNS1_3genE0ELNS1_11target_archE4294967295ELNS1_3gpuE0ELNS1_3repE0EEENS1_30default_config_static_selectorELNS0_4arch9wavefront6targetE0EEEvT1_.private_seg_size, 0
	.set _ZN7rocprim17ROCPRIM_400000_NS6detail17trampoline_kernelINS0_14default_configENS1_25partition_config_selectorILNS1_17partition_subalgoE5ElNS0_10empty_typeEbEEZZNS1_14partition_implILS5_5ELb0ES3_mN6hipcub16HIPCUB_304000_NS21CountingInputIteratorIllEEPS6_NSA_22TransformInputIteratorIbN2at6native12_GLOBAL__N_19NonZeroOpIbEEPKblEENS0_5tupleIJPlS6_EEENSN_IJSD_SD_EEES6_PiJS6_EEE10hipError_tPvRmT3_T4_T5_T6_T7_T9_mT8_P12ihipStream_tbDpT10_ENKUlT_T0_E_clISt17integral_constantIbLb1EES1A_IbLb0EEEEDaS16_S17_EUlS16_E_NS1_11comp_targetILNS1_3genE0ELNS1_11target_archE4294967295ELNS1_3gpuE0ELNS1_3repE0EEENS1_30default_config_static_selectorELNS0_4arch9wavefront6targetE0EEEvT1_.uses_vcc, 0
	.set _ZN7rocprim17ROCPRIM_400000_NS6detail17trampoline_kernelINS0_14default_configENS1_25partition_config_selectorILNS1_17partition_subalgoE5ElNS0_10empty_typeEbEEZZNS1_14partition_implILS5_5ELb0ES3_mN6hipcub16HIPCUB_304000_NS21CountingInputIteratorIllEEPS6_NSA_22TransformInputIteratorIbN2at6native12_GLOBAL__N_19NonZeroOpIbEEPKblEENS0_5tupleIJPlS6_EEENSN_IJSD_SD_EEES6_PiJS6_EEE10hipError_tPvRmT3_T4_T5_T6_T7_T9_mT8_P12ihipStream_tbDpT10_ENKUlT_T0_E_clISt17integral_constantIbLb1EES1A_IbLb0EEEEDaS16_S17_EUlS16_E_NS1_11comp_targetILNS1_3genE0ELNS1_11target_archE4294967295ELNS1_3gpuE0ELNS1_3repE0EEENS1_30default_config_static_selectorELNS0_4arch9wavefront6targetE0EEEvT1_.uses_flat_scratch, 0
	.set _ZN7rocprim17ROCPRIM_400000_NS6detail17trampoline_kernelINS0_14default_configENS1_25partition_config_selectorILNS1_17partition_subalgoE5ElNS0_10empty_typeEbEEZZNS1_14partition_implILS5_5ELb0ES3_mN6hipcub16HIPCUB_304000_NS21CountingInputIteratorIllEEPS6_NSA_22TransformInputIteratorIbN2at6native12_GLOBAL__N_19NonZeroOpIbEEPKblEENS0_5tupleIJPlS6_EEENSN_IJSD_SD_EEES6_PiJS6_EEE10hipError_tPvRmT3_T4_T5_T6_T7_T9_mT8_P12ihipStream_tbDpT10_ENKUlT_T0_E_clISt17integral_constantIbLb1EES1A_IbLb0EEEEDaS16_S17_EUlS16_E_NS1_11comp_targetILNS1_3genE0ELNS1_11target_archE4294967295ELNS1_3gpuE0ELNS1_3repE0EEENS1_30default_config_static_selectorELNS0_4arch9wavefront6targetE0EEEvT1_.has_dyn_sized_stack, 0
	.set _ZN7rocprim17ROCPRIM_400000_NS6detail17trampoline_kernelINS0_14default_configENS1_25partition_config_selectorILNS1_17partition_subalgoE5ElNS0_10empty_typeEbEEZZNS1_14partition_implILS5_5ELb0ES3_mN6hipcub16HIPCUB_304000_NS21CountingInputIteratorIllEEPS6_NSA_22TransformInputIteratorIbN2at6native12_GLOBAL__N_19NonZeroOpIbEEPKblEENS0_5tupleIJPlS6_EEENSN_IJSD_SD_EEES6_PiJS6_EEE10hipError_tPvRmT3_T4_T5_T6_T7_T9_mT8_P12ihipStream_tbDpT10_ENKUlT_T0_E_clISt17integral_constantIbLb1EES1A_IbLb0EEEEDaS16_S17_EUlS16_E_NS1_11comp_targetILNS1_3genE0ELNS1_11target_archE4294967295ELNS1_3gpuE0ELNS1_3repE0EEENS1_30default_config_static_selectorELNS0_4arch9wavefront6targetE0EEEvT1_.has_recursion, 0
	.set _ZN7rocprim17ROCPRIM_400000_NS6detail17trampoline_kernelINS0_14default_configENS1_25partition_config_selectorILNS1_17partition_subalgoE5ElNS0_10empty_typeEbEEZZNS1_14partition_implILS5_5ELb0ES3_mN6hipcub16HIPCUB_304000_NS21CountingInputIteratorIllEEPS6_NSA_22TransformInputIteratorIbN2at6native12_GLOBAL__N_19NonZeroOpIbEEPKblEENS0_5tupleIJPlS6_EEENSN_IJSD_SD_EEES6_PiJS6_EEE10hipError_tPvRmT3_T4_T5_T6_T7_T9_mT8_P12ihipStream_tbDpT10_ENKUlT_T0_E_clISt17integral_constantIbLb1EES1A_IbLb0EEEEDaS16_S17_EUlS16_E_NS1_11comp_targetILNS1_3genE0ELNS1_11target_archE4294967295ELNS1_3gpuE0ELNS1_3repE0EEENS1_30default_config_static_selectorELNS0_4arch9wavefront6targetE0EEEvT1_.has_indirect_call, 0
	.section	.AMDGPU.csdata,"",@progbits
; Kernel info:
; codeLenInByte = 0
; TotalNumSgprs: 0
; NumVgprs: 0
; ScratchSize: 0
; MemoryBound: 0
; FloatMode: 240
; IeeeMode: 1
; LDSByteSize: 0 bytes/workgroup (compile time only)
; SGPRBlocks: 0
; VGPRBlocks: 0
; NumSGPRsForWavesPerEU: 1
; NumVGPRsForWavesPerEU: 1
; Occupancy: 16
; WaveLimiterHint : 0
; COMPUTE_PGM_RSRC2:SCRATCH_EN: 0
; COMPUTE_PGM_RSRC2:USER_SGPR: 2
; COMPUTE_PGM_RSRC2:TRAP_HANDLER: 0
; COMPUTE_PGM_RSRC2:TGID_X_EN: 1
; COMPUTE_PGM_RSRC2:TGID_Y_EN: 0
; COMPUTE_PGM_RSRC2:TGID_Z_EN: 0
; COMPUTE_PGM_RSRC2:TIDIG_COMP_CNT: 0
	.section	.text._ZN7rocprim17ROCPRIM_400000_NS6detail17trampoline_kernelINS0_14default_configENS1_25partition_config_selectorILNS1_17partition_subalgoE5ElNS0_10empty_typeEbEEZZNS1_14partition_implILS5_5ELb0ES3_mN6hipcub16HIPCUB_304000_NS21CountingInputIteratorIllEEPS6_NSA_22TransformInputIteratorIbN2at6native12_GLOBAL__N_19NonZeroOpIbEEPKblEENS0_5tupleIJPlS6_EEENSN_IJSD_SD_EEES6_PiJS6_EEE10hipError_tPvRmT3_T4_T5_T6_T7_T9_mT8_P12ihipStream_tbDpT10_ENKUlT_T0_E_clISt17integral_constantIbLb1EES1A_IbLb0EEEEDaS16_S17_EUlS16_E_NS1_11comp_targetILNS1_3genE5ELNS1_11target_archE942ELNS1_3gpuE9ELNS1_3repE0EEENS1_30default_config_static_selectorELNS0_4arch9wavefront6targetE0EEEvT1_,"axG",@progbits,_ZN7rocprim17ROCPRIM_400000_NS6detail17trampoline_kernelINS0_14default_configENS1_25partition_config_selectorILNS1_17partition_subalgoE5ElNS0_10empty_typeEbEEZZNS1_14partition_implILS5_5ELb0ES3_mN6hipcub16HIPCUB_304000_NS21CountingInputIteratorIllEEPS6_NSA_22TransformInputIteratorIbN2at6native12_GLOBAL__N_19NonZeroOpIbEEPKblEENS0_5tupleIJPlS6_EEENSN_IJSD_SD_EEES6_PiJS6_EEE10hipError_tPvRmT3_T4_T5_T6_T7_T9_mT8_P12ihipStream_tbDpT10_ENKUlT_T0_E_clISt17integral_constantIbLb1EES1A_IbLb0EEEEDaS16_S17_EUlS16_E_NS1_11comp_targetILNS1_3genE5ELNS1_11target_archE942ELNS1_3gpuE9ELNS1_3repE0EEENS1_30default_config_static_selectorELNS0_4arch9wavefront6targetE0EEEvT1_,comdat
	.globl	_ZN7rocprim17ROCPRIM_400000_NS6detail17trampoline_kernelINS0_14default_configENS1_25partition_config_selectorILNS1_17partition_subalgoE5ElNS0_10empty_typeEbEEZZNS1_14partition_implILS5_5ELb0ES3_mN6hipcub16HIPCUB_304000_NS21CountingInputIteratorIllEEPS6_NSA_22TransformInputIteratorIbN2at6native12_GLOBAL__N_19NonZeroOpIbEEPKblEENS0_5tupleIJPlS6_EEENSN_IJSD_SD_EEES6_PiJS6_EEE10hipError_tPvRmT3_T4_T5_T6_T7_T9_mT8_P12ihipStream_tbDpT10_ENKUlT_T0_E_clISt17integral_constantIbLb1EES1A_IbLb0EEEEDaS16_S17_EUlS16_E_NS1_11comp_targetILNS1_3genE5ELNS1_11target_archE942ELNS1_3gpuE9ELNS1_3repE0EEENS1_30default_config_static_selectorELNS0_4arch9wavefront6targetE0EEEvT1_ ; -- Begin function _ZN7rocprim17ROCPRIM_400000_NS6detail17trampoline_kernelINS0_14default_configENS1_25partition_config_selectorILNS1_17partition_subalgoE5ElNS0_10empty_typeEbEEZZNS1_14partition_implILS5_5ELb0ES3_mN6hipcub16HIPCUB_304000_NS21CountingInputIteratorIllEEPS6_NSA_22TransformInputIteratorIbN2at6native12_GLOBAL__N_19NonZeroOpIbEEPKblEENS0_5tupleIJPlS6_EEENSN_IJSD_SD_EEES6_PiJS6_EEE10hipError_tPvRmT3_T4_T5_T6_T7_T9_mT8_P12ihipStream_tbDpT10_ENKUlT_T0_E_clISt17integral_constantIbLb1EES1A_IbLb0EEEEDaS16_S17_EUlS16_E_NS1_11comp_targetILNS1_3genE5ELNS1_11target_archE942ELNS1_3gpuE9ELNS1_3repE0EEENS1_30default_config_static_selectorELNS0_4arch9wavefront6targetE0EEEvT1_
	.p2align	8
	.type	_ZN7rocprim17ROCPRIM_400000_NS6detail17trampoline_kernelINS0_14default_configENS1_25partition_config_selectorILNS1_17partition_subalgoE5ElNS0_10empty_typeEbEEZZNS1_14partition_implILS5_5ELb0ES3_mN6hipcub16HIPCUB_304000_NS21CountingInputIteratorIllEEPS6_NSA_22TransformInputIteratorIbN2at6native12_GLOBAL__N_19NonZeroOpIbEEPKblEENS0_5tupleIJPlS6_EEENSN_IJSD_SD_EEES6_PiJS6_EEE10hipError_tPvRmT3_T4_T5_T6_T7_T9_mT8_P12ihipStream_tbDpT10_ENKUlT_T0_E_clISt17integral_constantIbLb1EES1A_IbLb0EEEEDaS16_S17_EUlS16_E_NS1_11comp_targetILNS1_3genE5ELNS1_11target_archE942ELNS1_3gpuE9ELNS1_3repE0EEENS1_30default_config_static_selectorELNS0_4arch9wavefront6targetE0EEEvT1_,@function
_ZN7rocprim17ROCPRIM_400000_NS6detail17trampoline_kernelINS0_14default_configENS1_25partition_config_selectorILNS1_17partition_subalgoE5ElNS0_10empty_typeEbEEZZNS1_14partition_implILS5_5ELb0ES3_mN6hipcub16HIPCUB_304000_NS21CountingInputIteratorIllEEPS6_NSA_22TransformInputIteratorIbN2at6native12_GLOBAL__N_19NonZeroOpIbEEPKblEENS0_5tupleIJPlS6_EEENSN_IJSD_SD_EEES6_PiJS6_EEE10hipError_tPvRmT3_T4_T5_T6_T7_T9_mT8_P12ihipStream_tbDpT10_ENKUlT_T0_E_clISt17integral_constantIbLb1EES1A_IbLb0EEEEDaS16_S17_EUlS16_E_NS1_11comp_targetILNS1_3genE5ELNS1_11target_archE942ELNS1_3gpuE9ELNS1_3repE0EEENS1_30default_config_static_selectorELNS0_4arch9wavefront6targetE0EEEvT1_: ; @_ZN7rocprim17ROCPRIM_400000_NS6detail17trampoline_kernelINS0_14default_configENS1_25partition_config_selectorILNS1_17partition_subalgoE5ElNS0_10empty_typeEbEEZZNS1_14partition_implILS5_5ELb0ES3_mN6hipcub16HIPCUB_304000_NS21CountingInputIteratorIllEEPS6_NSA_22TransformInputIteratorIbN2at6native12_GLOBAL__N_19NonZeroOpIbEEPKblEENS0_5tupleIJPlS6_EEENSN_IJSD_SD_EEES6_PiJS6_EEE10hipError_tPvRmT3_T4_T5_T6_T7_T9_mT8_P12ihipStream_tbDpT10_ENKUlT_T0_E_clISt17integral_constantIbLb1EES1A_IbLb0EEEEDaS16_S17_EUlS16_E_NS1_11comp_targetILNS1_3genE5ELNS1_11target_archE942ELNS1_3gpuE9ELNS1_3repE0EEENS1_30default_config_static_selectorELNS0_4arch9wavefront6targetE0EEEvT1_
; %bb.0:
	.section	.rodata,"a",@progbits
	.p2align	6, 0x0
	.amdhsa_kernel _ZN7rocprim17ROCPRIM_400000_NS6detail17trampoline_kernelINS0_14default_configENS1_25partition_config_selectorILNS1_17partition_subalgoE5ElNS0_10empty_typeEbEEZZNS1_14partition_implILS5_5ELb0ES3_mN6hipcub16HIPCUB_304000_NS21CountingInputIteratorIllEEPS6_NSA_22TransformInputIteratorIbN2at6native12_GLOBAL__N_19NonZeroOpIbEEPKblEENS0_5tupleIJPlS6_EEENSN_IJSD_SD_EEES6_PiJS6_EEE10hipError_tPvRmT3_T4_T5_T6_T7_T9_mT8_P12ihipStream_tbDpT10_ENKUlT_T0_E_clISt17integral_constantIbLb1EES1A_IbLb0EEEEDaS16_S17_EUlS16_E_NS1_11comp_targetILNS1_3genE5ELNS1_11target_archE942ELNS1_3gpuE9ELNS1_3repE0EEENS1_30default_config_static_selectorELNS0_4arch9wavefront6targetE0EEEvT1_
		.amdhsa_group_segment_fixed_size 0
		.amdhsa_private_segment_fixed_size 0
		.amdhsa_kernarg_size 120
		.amdhsa_user_sgpr_count 2
		.amdhsa_user_sgpr_dispatch_ptr 0
		.amdhsa_user_sgpr_queue_ptr 0
		.amdhsa_user_sgpr_kernarg_segment_ptr 1
		.amdhsa_user_sgpr_dispatch_id 0
		.amdhsa_user_sgpr_private_segment_size 0
		.amdhsa_wavefront_size32 1
		.amdhsa_uses_dynamic_stack 0
		.amdhsa_enable_private_segment 0
		.amdhsa_system_sgpr_workgroup_id_x 1
		.amdhsa_system_sgpr_workgroup_id_y 0
		.amdhsa_system_sgpr_workgroup_id_z 0
		.amdhsa_system_sgpr_workgroup_info 0
		.amdhsa_system_vgpr_workitem_id 0
		.amdhsa_next_free_vgpr 1
		.amdhsa_next_free_sgpr 1
		.amdhsa_reserve_vcc 0
		.amdhsa_float_round_mode_32 0
		.amdhsa_float_round_mode_16_64 0
		.amdhsa_float_denorm_mode_32 3
		.amdhsa_float_denorm_mode_16_64 3
		.amdhsa_fp16_overflow 0
		.amdhsa_workgroup_processor_mode 1
		.amdhsa_memory_ordered 1
		.amdhsa_forward_progress 1
		.amdhsa_inst_pref_size 0
		.amdhsa_round_robin_scheduling 0
		.amdhsa_exception_fp_ieee_invalid_op 0
		.amdhsa_exception_fp_denorm_src 0
		.amdhsa_exception_fp_ieee_div_zero 0
		.amdhsa_exception_fp_ieee_overflow 0
		.amdhsa_exception_fp_ieee_underflow 0
		.amdhsa_exception_fp_ieee_inexact 0
		.amdhsa_exception_int_div_zero 0
	.end_amdhsa_kernel
	.section	.text._ZN7rocprim17ROCPRIM_400000_NS6detail17trampoline_kernelINS0_14default_configENS1_25partition_config_selectorILNS1_17partition_subalgoE5ElNS0_10empty_typeEbEEZZNS1_14partition_implILS5_5ELb0ES3_mN6hipcub16HIPCUB_304000_NS21CountingInputIteratorIllEEPS6_NSA_22TransformInputIteratorIbN2at6native12_GLOBAL__N_19NonZeroOpIbEEPKblEENS0_5tupleIJPlS6_EEENSN_IJSD_SD_EEES6_PiJS6_EEE10hipError_tPvRmT3_T4_T5_T6_T7_T9_mT8_P12ihipStream_tbDpT10_ENKUlT_T0_E_clISt17integral_constantIbLb1EES1A_IbLb0EEEEDaS16_S17_EUlS16_E_NS1_11comp_targetILNS1_3genE5ELNS1_11target_archE942ELNS1_3gpuE9ELNS1_3repE0EEENS1_30default_config_static_selectorELNS0_4arch9wavefront6targetE0EEEvT1_,"axG",@progbits,_ZN7rocprim17ROCPRIM_400000_NS6detail17trampoline_kernelINS0_14default_configENS1_25partition_config_selectorILNS1_17partition_subalgoE5ElNS0_10empty_typeEbEEZZNS1_14partition_implILS5_5ELb0ES3_mN6hipcub16HIPCUB_304000_NS21CountingInputIteratorIllEEPS6_NSA_22TransformInputIteratorIbN2at6native12_GLOBAL__N_19NonZeroOpIbEEPKblEENS0_5tupleIJPlS6_EEENSN_IJSD_SD_EEES6_PiJS6_EEE10hipError_tPvRmT3_T4_T5_T6_T7_T9_mT8_P12ihipStream_tbDpT10_ENKUlT_T0_E_clISt17integral_constantIbLb1EES1A_IbLb0EEEEDaS16_S17_EUlS16_E_NS1_11comp_targetILNS1_3genE5ELNS1_11target_archE942ELNS1_3gpuE9ELNS1_3repE0EEENS1_30default_config_static_selectorELNS0_4arch9wavefront6targetE0EEEvT1_,comdat
.Lfunc_end747:
	.size	_ZN7rocprim17ROCPRIM_400000_NS6detail17trampoline_kernelINS0_14default_configENS1_25partition_config_selectorILNS1_17partition_subalgoE5ElNS0_10empty_typeEbEEZZNS1_14partition_implILS5_5ELb0ES3_mN6hipcub16HIPCUB_304000_NS21CountingInputIteratorIllEEPS6_NSA_22TransformInputIteratorIbN2at6native12_GLOBAL__N_19NonZeroOpIbEEPKblEENS0_5tupleIJPlS6_EEENSN_IJSD_SD_EEES6_PiJS6_EEE10hipError_tPvRmT3_T4_T5_T6_T7_T9_mT8_P12ihipStream_tbDpT10_ENKUlT_T0_E_clISt17integral_constantIbLb1EES1A_IbLb0EEEEDaS16_S17_EUlS16_E_NS1_11comp_targetILNS1_3genE5ELNS1_11target_archE942ELNS1_3gpuE9ELNS1_3repE0EEENS1_30default_config_static_selectorELNS0_4arch9wavefront6targetE0EEEvT1_, .Lfunc_end747-_ZN7rocprim17ROCPRIM_400000_NS6detail17trampoline_kernelINS0_14default_configENS1_25partition_config_selectorILNS1_17partition_subalgoE5ElNS0_10empty_typeEbEEZZNS1_14partition_implILS5_5ELb0ES3_mN6hipcub16HIPCUB_304000_NS21CountingInputIteratorIllEEPS6_NSA_22TransformInputIteratorIbN2at6native12_GLOBAL__N_19NonZeroOpIbEEPKblEENS0_5tupleIJPlS6_EEENSN_IJSD_SD_EEES6_PiJS6_EEE10hipError_tPvRmT3_T4_T5_T6_T7_T9_mT8_P12ihipStream_tbDpT10_ENKUlT_T0_E_clISt17integral_constantIbLb1EES1A_IbLb0EEEEDaS16_S17_EUlS16_E_NS1_11comp_targetILNS1_3genE5ELNS1_11target_archE942ELNS1_3gpuE9ELNS1_3repE0EEENS1_30default_config_static_selectorELNS0_4arch9wavefront6targetE0EEEvT1_
                                        ; -- End function
	.set _ZN7rocprim17ROCPRIM_400000_NS6detail17trampoline_kernelINS0_14default_configENS1_25partition_config_selectorILNS1_17partition_subalgoE5ElNS0_10empty_typeEbEEZZNS1_14partition_implILS5_5ELb0ES3_mN6hipcub16HIPCUB_304000_NS21CountingInputIteratorIllEEPS6_NSA_22TransformInputIteratorIbN2at6native12_GLOBAL__N_19NonZeroOpIbEEPKblEENS0_5tupleIJPlS6_EEENSN_IJSD_SD_EEES6_PiJS6_EEE10hipError_tPvRmT3_T4_T5_T6_T7_T9_mT8_P12ihipStream_tbDpT10_ENKUlT_T0_E_clISt17integral_constantIbLb1EES1A_IbLb0EEEEDaS16_S17_EUlS16_E_NS1_11comp_targetILNS1_3genE5ELNS1_11target_archE942ELNS1_3gpuE9ELNS1_3repE0EEENS1_30default_config_static_selectorELNS0_4arch9wavefront6targetE0EEEvT1_.num_vgpr, 0
	.set _ZN7rocprim17ROCPRIM_400000_NS6detail17trampoline_kernelINS0_14default_configENS1_25partition_config_selectorILNS1_17partition_subalgoE5ElNS0_10empty_typeEbEEZZNS1_14partition_implILS5_5ELb0ES3_mN6hipcub16HIPCUB_304000_NS21CountingInputIteratorIllEEPS6_NSA_22TransformInputIteratorIbN2at6native12_GLOBAL__N_19NonZeroOpIbEEPKblEENS0_5tupleIJPlS6_EEENSN_IJSD_SD_EEES6_PiJS6_EEE10hipError_tPvRmT3_T4_T5_T6_T7_T9_mT8_P12ihipStream_tbDpT10_ENKUlT_T0_E_clISt17integral_constantIbLb1EES1A_IbLb0EEEEDaS16_S17_EUlS16_E_NS1_11comp_targetILNS1_3genE5ELNS1_11target_archE942ELNS1_3gpuE9ELNS1_3repE0EEENS1_30default_config_static_selectorELNS0_4arch9wavefront6targetE0EEEvT1_.num_agpr, 0
	.set _ZN7rocprim17ROCPRIM_400000_NS6detail17trampoline_kernelINS0_14default_configENS1_25partition_config_selectorILNS1_17partition_subalgoE5ElNS0_10empty_typeEbEEZZNS1_14partition_implILS5_5ELb0ES3_mN6hipcub16HIPCUB_304000_NS21CountingInputIteratorIllEEPS6_NSA_22TransformInputIteratorIbN2at6native12_GLOBAL__N_19NonZeroOpIbEEPKblEENS0_5tupleIJPlS6_EEENSN_IJSD_SD_EEES6_PiJS6_EEE10hipError_tPvRmT3_T4_T5_T6_T7_T9_mT8_P12ihipStream_tbDpT10_ENKUlT_T0_E_clISt17integral_constantIbLb1EES1A_IbLb0EEEEDaS16_S17_EUlS16_E_NS1_11comp_targetILNS1_3genE5ELNS1_11target_archE942ELNS1_3gpuE9ELNS1_3repE0EEENS1_30default_config_static_selectorELNS0_4arch9wavefront6targetE0EEEvT1_.numbered_sgpr, 0
	.set _ZN7rocprim17ROCPRIM_400000_NS6detail17trampoline_kernelINS0_14default_configENS1_25partition_config_selectorILNS1_17partition_subalgoE5ElNS0_10empty_typeEbEEZZNS1_14partition_implILS5_5ELb0ES3_mN6hipcub16HIPCUB_304000_NS21CountingInputIteratorIllEEPS6_NSA_22TransformInputIteratorIbN2at6native12_GLOBAL__N_19NonZeroOpIbEEPKblEENS0_5tupleIJPlS6_EEENSN_IJSD_SD_EEES6_PiJS6_EEE10hipError_tPvRmT3_T4_T5_T6_T7_T9_mT8_P12ihipStream_tbDpT10_ENKUlT_T0_E_clISt17integral_constantIbLb1EES1A_IbLb0EEEEDaS16_S17_EUlS16_E_NS1_11comp_targetILNS1_3genE5ELNS1_11target_archE942ELNS1_3gpuE9ELNS1_3repE0EEENS1_30default_config_static_selectorELNS0_4arch9wavefront6targetE0EEEvT1_.num_named_barrier, 0
	.set _ZN7rocprim17ROCPRIM_400000_NS6detail17trampoline_kernelINS0_14default_configENS1_25partition_config_selectorILNS1_17partition_subalgoE5ElNS0_10empty_typeEbEEZZNS1_14partition_implILS5_5ELb0ES3_mN6hipcub16HIPCUB_304000_NS21CountingInputIteratorIllEEPS6_NSA_22TransformInputIteratorIbN2at6native12_GLOBAL__N_19NonZeroOpIbEEPKblEENS0_5tupleIJPlS6_EEENSN_IJSD_SD_EEES6_PiJS6_EEE10hipError_tPvRmT3_T4_T5_T6_T7_T9_mT8_P12ihipStream_tbDpT10_ENKUlT_T0_E_clISt17integral_constantIbLb1EES1A_IbLb0EEEEDaS16_S17_EUlS16_E_NS1_11comp_targetILNS1_3genE5ELNS1_11target_archE942ELNS1_3gpuE9ELNS1_3repE0EEENS1_30default_config_static_selectorELNS0_4arch9wavefront6targetE0EEEvT1_.private_seg_size, 0
	.set _ZN7rocprim17ROCPRIM_400000_NS6detail17trampoline_kernelINS0_14default_configENS1_25partition_config_selectorILNS1_17partition_subalgoE5ElNS0_10empty_typeEbEEZZNS1_14partition_implILS5_5ELb0ES3_mN6hipcub16HIPCUB_304000_NS21CountingInputIteratorIllEEPS6_NSA_22TransformInputIteratorIbN2at6native12_GLOBAL__N_19NonZeroOpIbEEPKblEENS0_5tupleIJPlS6_EEENSN_IJSD_SD_EEES6_PiJS6_EEE10hipError_tPvRmT3_T4_T5_T6_T7_T9_mT8_P12ihipStream_tbDpT10_ENKUlT_T0_E_clISt17integral_constantIbLb1EES1A_IbLb0EEEEDaS16_S17_EUlS16_E_NS1_11comp_targetILNS1_3genE5ELNS1_11target_archE942ELNS1_3gpuE9ELNS1_3repE0EEENS1_30default_config_static_selectorELNS0_4arch9wavefront6targetE0EEEvT1_.uses_vcc, 0
	.set _ZN7rocprim17ROCPRIM_400000_NS6detail17trampoline_kernelINS0_14default_configENS1_25partition_config_selectorILNS1_17partition_subalgoE5ElNS0_10empty_typeEbEEZZNS1_14partition_implILS5_5ELb0ES3_mN6hipcub16HIPCUB_304000_NS21CountingInputIteratorIllEEPS6_NSA_22TransformInputIteratorIbN2at6native12_GLOBAL__N_19NonZeroOpIbEEPKblEENS0_5tupleIJPlS6_EEENSN_IJSD_SD_EEES6_PiJS6_EEE10hipError_tPvRmT3_T4_T5_T6_T7_T9_mT8_P12ihipStream_tbDpT10_ENKUlT_T0_E_clISt17integral_constantIbLb1EES1A_IbLb0EEEEDaS16_S17_EUlS16_E_NS1_11comp_targetILNS1_3genE5ELNS1_11target_archE942ELNS1_3gpuE9ELNS1_3repE0EEENS1_30default_config_static_selectorELNS0_4arch9wavefront6targetE0EEEvT1_.uses_flat_scratch, 0
	.set _ZN7rocprim17ROCPRIM_400000_NS6detail17trampoline_kernelINS0_14default_configENS1_25partition_config_selectorILNS1_17partition_subalgoE5ElNS0_10empty_typeEbEEZZNS1_14partition_implILS5_5ELb0ES3_mN6hipcub16HIPCUB_304000_NS21CountingInputIteratorIllEEPS6_NSA_22TransformInputIteratorIbN2at6native12_GLOBAL__N_19NonZeroOpIbEEPKblEENS0_5tupleIJPlS6_EEENSN_IJSD_SD_EEES6_PiJS6_EEE10hipError_tPvRmT3_T4_T5_T6_T7_T9_mT8_P12ihipStream_tbDpT10_ENKUlT_T0_E_clISt17integral_constantIbLb1EES1A_IbLb0EEEEDaS16_S17_EUlS16_E_NS1_11comp_targetILNS1_3genE5ELNS1_11target_archE942ELNS1_3gpuE9ELNS1_3repE0EEENS1_30default_config_static_selectorELNS0_4arch9wavefront6targetE0EEEvT1_.has_dyn_sized_stack, 0
	.set _ZN7rocprim17ROCPRIM_400000_NS6detail17trampoline_kernelINS0_14default_configENS1_25partition_config_selectorILNS1_17partition_subalgoE5ElNS0_10empty_typeEbEEZZNS1_14partition_implILS5_5ELb0ES3_mN6hipcub16HIPCUB_304000_NS21CountingInputIteratorIllEEPS6_NSA_22TransformInputIteratorIbN2at6native12_GLOBAL__N_19NonZeroOpIbEEPKblEENS0_5tupleIJPlS6_EEENSN_IJSD_SD_EEES6_PiJS6_EEE10hipError_tPvRmT3_T4_T5_T6_T7_T9_mT8_P12ihipStream_tbDpT10_ENKUlT_T0_E_clISt17integral_constantIbLb1EES1A_IbLb0EEEEDaS16_S17_EUlS16_E_NS1_11comp_targetILNS1_3genE5ELNS1_11target_archE942ELNS1_3gpuE9ELNS1_3repE0EEENS1_30default_config_static_selectorELNS0_4arch9wavefront6targetE0EEEvT1_.has_recursion, 0
	.set _ZN7rocprim17ROCPRIM_400000_NS6detail17trampoline_kernelINS0_14default_configENS1_25partition_config_selectorILNS1_17partition_subalgoE5ElNS0_10empty_typeEbEEZZNS1_14partition_implILS5_5ELb0ES3_mN6hipcub16HIPCUB_304000_NS21CountingInputIteratorIllEEPS6_NSA_22TransformInputIteratorIbN2at6native12_GLOBAL__N_19NonZeroOpIbEEPKblEENS0_5tupleIJPlS6_EEENSN_IJSD_SD_EEES6_PiJS6_EEE10hipError_tPvRmT3_T4_T5_T6_T7_T9_mT8_P12ihipStream_tbDpT10_ENKUlT_T0_E_clISt17integral_constantIbLb1EES1A_IbLb0EEEEDaS16_S17_EUlS16_E_NS1_11comp_targetILNS1_3genE5ELNS1_11target_archE942ELNS1_3gpuE9ELNS1_3repE0EEENS1_30default_config_static_selectorELNS0_4arch9wavefront6targetE0EEEvT1_.has_indirect_call, 0
	.section	.AMDGPU.csdata,"",@progbits
; Kernel info:
; codeLenInByte = 0
; TotalNumSgprs: 0
; NumVgprs: 0
; ScratchSize: 0
; MemoryBound: 0
; FloatMode: 240
; IeeeMode: 1
; LDSByteSize: 0 bytes/workgroup (compile time only)
; SGPRBlocks: 0
; VGPRBlocks: 0
; NumSGPRsForWavesPerEU: 1
; NumVGPRsForWavesPerEU: 1
; Occupancy: 16
; WaveLimiterHint : 0
; COMPUTE_PGM_RSRC2:SCRATCH_EN: 0
; COMPUTE_PGM_RSRC2:USER_SGPR: 2
; COMPUTE_PGM_RSRC2:TRAP_HANDLER: 0
; COMPUTE_PGM_RSRC2:TGID_X_EN: 1
; COMPUTE_PGM_RSRC2:TGID_Y_EN: 0
; COMPUTE_PGM_RSRC2:TGID_Z_EN: 0
; COMPUTE_PGM_RSRC2:TIDIG_COMP_CNT: 0
	.section	.text._ZN7rocprim17ROCPRIM_400000_NS6detail17trampoline_kernelINS0_14default_configENS1_25partition_config_selectorILNS1_17partition_subalgoE5ElNS0_10empty_typeEbEEZZNS1_14partition_implILS5_5ELb0ES3_mN6hipcub16HIPCUB_304000_NS21CountingInputIteratorIllEEPS6_NSA_22TransformInputIteratorIbN2at6native12_GLOBAL__N_19NonZeroOpIbEEPKblEENS0_5tupleIJPlS6_EEENSN_IJSD_SD_EEES6_PiJS6_EEE10hipError_tPvRmT3_T4_T5_T6_T7_T9_mT8_P12ihipStream_tbDpT10_ENKUlT_T0_E_clISt17integral_constantIbLb1EES1A_IbLb0EEEEDaS16_S17_EUlS16_E_NS1_11comp_targetILNS1_3genE4ELNS1_11target_archE910ELNS1_3gpuE8ELNS1_3repE0EEENS1_30default_config_static_selectorELNS0_4arch9wavefront6targetE0EEEvT1_,"axG",@progbits,_ZN7rocprim17ROCPRIM_400000_NS6detail17trampoline_kernelINS0_14default_configENS1_25partition_config_selectorILNS1_17partition_subalgoE5ElNS0_10empty_typeEbEEZZNS1_14partition_implILS5_5ELb0ES3_mN6hipcub16HIPCUB_304000_NS21CountingInputIteratorIllEEPS6_NSA_22TransformInputIteratorIbN2at6native12_GLOBAL__N_19NonZeroOpIbEEPKblEENS0_5tupleIJPlS6_EEENSN_IJSD_SD_EEES6_PiJS6_EEE10hipError_tPvRmT3_T4_T5_T6_T7_T9_mT8_P12ihipStream_tbDpT10_ENKUlT_T0_E_clISt17integral_constantIbLb1EES1A_IbLb0EEEEDaS16_S17_EUlS16_E_NS1_11comp_targetILNS1_3genE4ELNS1_11target_archE910ELNS1_3gpuE8ELNS1_3repE0EEENS1_30default_config_static_selectorELNS0_4arch9wavefront6targetE0EEEvT1_,comdat
	.globl	_ZN7rocprim17ROCPRIM_400000_NS6detail17trampoline_kernelINS0_14default_configENS1_25partition_config_selectorILNS1_17partition_subalgoE5ElNS0_10empty_typeEbEEZZNS1_14partition_implILS5_5ELb0ES3_mN6hipcub16HIPCUB_304000_NS21CountingInputIteratorIllEEPS6_NSA_22TransformInputIteratorIbN2at6native12_GLOBAL__N_19NonZeroOpIbEEPKblEENS0_5tupleIJPlS6_EEENSN_IJSD_SD_EEES6_PiJS6_EEE10hipError_tPvRmT3_T4_T5_T6_T7_T9_mT8_P12ihipStream_tbDpT10_ENKUlT_T0_E_clISt17integral_constantIbLb1EES1A_IbLb0EEEEDaS16_S17_EUlS16_E_NS1_11comp_targetILNS1_3genE4ELNS1_11target_archE910ELNS1_3gpuE8ELNS1_3repE0EEENS1_30default_config_static_selectorELNS0_4arch9wavefront6targetE0EEEvT1_ ; -- Begin function _ZN7rocprim17ROCPRIM_400000_NS6detail17trampoline_kernelINS0_14default_configENS1_25partition_config_selectorILNS1_17partition_subalgoE5ElNS0_10empty_typeEbEEZZNS1_14partition_implILS5_5ELb0ES3_mN6hipcub16HIPCUB_304000_NS21CountingInputIteratorIllEEPS6_NSA_22TransformInputIteratorIbN2at6native12_GLOBAL__N_19NonZeroOpIbEEPKblEENS0_5tupleIJPlS6_EEENSN_IJSD_SD_EEES6_PiJS6_EEE10hipError_tPvRmT3_T4_T5_T6_T7_T9_mT8_P12ihipStream_tbDpT10_ENKUlT_T0_E_clISt17integral_constantIbLb1EES1A_IbLb0EEEEDaS16_S17_EUlS16_E_NS1_11comp_targetILNS1_3genE4ELNS1_11target_archE910ELNS1_3gpuE8ELNS1_3repE0EEENS1_30default_config_static_selectorELNS0_4arch9wavefront6targetE0EEEvT1_
	.p2align	8
	.type	_ZN7rocprim17ROCPRIM_400000_NS6detail17trampoline_kernelINS0_14default_configENS1_25partition_config_selectorILNS1_17partition_subalgoE5ElNS0_10empty_typeEbEEZZNS1_14partition_implILS5_5ELb0ES3_mN6hipcub16HIPCUB_304000_NS21CountingInputIteratorIllEEPS6_NSA_22TransformInputIteratorIbN2at6native12_GLOBAL__N_19NonZeroOpIbEEPKblEENS0_5tupleIJPlS6_EEENSN_IJSD_SD_EEES6_PiJS6_EEE10hipError_tPvRmT3_T4_T5_T6_T7_T9_mT8_P12ihipStream_tbDpT10_ENKUlT_T0_E_clISt17integral_constantIbLb1EES1A_IbLb0EEEEDaS16_S17_EUlS16_E_NS1_11comp_targetILNS1_3genE4ELNS1_11target_archE910ELNS1_3gpuE8ELNS1_3repE0EEENS1_30default_config_static_selectorELNS0_4arch9wavefront6targetE0EEEvT1_,@function
_ZN7rocprim17ROCPRIM_400000_NS6detail17trampoline_kernelINS0_14default_configENS1_25partition_config_selectorILNS1_17partition_subalgoE5ElNS0_10empty_typeEbEEZZNS1_14partition_implILS5_5ELb0ES3_mN6hipcub16HIPCUB_304000_NS21CountingInputIteratorIllEEPS6_NSA_22TransformInputIteratorIbN2at6native12_GLOBAL__N_19NonZeroOpIbEEPKblEENS0_5tupleIJPlS6_EEENSN_IJSD_SD_EEES6_PiJS6_EEE10hipError_tPvRmT3_T4_T5_T6_T7_T9_mT8_P12ihipStream_tbDpT10_ENKUlT_T0_E_clISt17integral_constantIbLb1EES1A_IbLb0EEEEDaS16_S17_EUlS16_E_NS1_11comp_targetILNS1_3genE4ELNS1_11target_archE910ELNS1_3gpuE8ELNS1_3repE0EEENS1_30default_config_static_selectorELNS0_4arch9wavefront6targetE0EEEvT1_: ; @_ZN7rocprim17ROCPRIM_400000_NS6detail17trampoline_kernelINS0_14default_configENS1_25partition_config_selectorILNS1_17partition_subalgoE5ElNS0_10empty_typeEbEEZZNS1_14partition_implILS5_5ELb0ES3_mN6hipcub16HIPCUB_304000_NS21CountingInputIteratorIllEEPS6_NSA_22TransformInputIteratorIbN2at6native12_GLOBAL__N_19NonZeroOpIbEEPKblEENS0_5tupleIJPlS6_EEENSN_IJSD_SD_EEES6_PiJS6_EEE10hipError_tPvRmT3_T4_T5_T6_T7_T9_mT8_P12ihipStream_tbDpT10_ENKUlT_T0_E_clISt17integral_constantIbLb1EES1A_IbLb0EEEEDaS16_S17_EUlS16_E_NS1_11comp_targetILNS1_3genE4ELNS1_11target_archE910ELNS1_3gpuE8ELNS1_3repE0EEENS1_30default_config_static_selectorELNS0_4arch9wavefront6targetE0EEEvT1_
; %bb.0:
	.section	.rodata,"a",@progbits
	.p2align	6, 0x0
	.amdhsa_kernel _ZN7rocprim17ROCPRIM_400000_NS6detail17trampoline_kernelINS0_14default_configENS1_25partition_config_selectorILNS1_17partition_subalgoE5ElNS0_10empty_typeEbEEZZNS1_14partition_implILS5_5ELb0ES3_mN6hipcub16HIPCUB_304000_NS21CountingInputIteratorIllEEPS6_NSA_22TransformInputIteratorIbN2at6native12_GLOBAL__N_19NonZeroOpIbEEPKblEENS0_5tupleIJPlS6_EEENSN_IJSD_SD_EEES6_PiJS6_EEE10hipError_tPvRmT3_T4_T5_T6_T7_T9_mT8_P12ihipStream_tbDpT10_ENKUlT_T0_E_clISt17integral_constantIbLb1EES1A_IbLb0EEEEDaS16_S17_EUlS16_E_NS1_11comp_targetILNS1_3genE4ELNS1_11target_archE910ELNS1_3gpuE8ELNS1_3repE0EEENS1_30default_config_static_selectorELNS0_4arch9wavefront6targetE0EEEvT1_
		.amdhsa_group_segment_fixed_size 0
		.amdhsa_private_segment_fixed_size 0
		.amdhsa_kernarg_size 120
		.amdhsa_user_sgpr_count 2
		.amdhsa_user_sgpr_dispatch_ptr 0
		.amdhsa_user_sgpr_queue_ptr 0
		.amdhsa_user_sgpr_kernarg_segment_ptr 1
		.amdhsa_user_sgpr_dispatch_id 0
		.amdhsa_user_sgpr_private_segment_size 0
		.amdhsa_wavefront_size32 1
		.amdhsa_uses_dynamic_stack 0
		.amdhsa_enable_private_segment 0
		.amdhsa_system_sgpr_workgroup_id_x 1
		.amdhsa_system_sgpr_workgroup_id_y 0
		.amdhsa_system_sgpr_workgroup_id_z 0
		.amdhsa_system_sgpr_workgroup_info 0
		.amdhsa_system_vgpr_workitem_id 0
		.amdhsa_next_free_vgpr 1
		.amdhsa_next_free_sgpr 1
		.amdhsa_reserve_vcc 0
		.amdhsa_float_round_mode_32 0
		.amdhsa_float_round_mode_16_64 0
		.amdhsa_float_denorm_mode_32 3
		.amdhsa_float_denorm_mode_16_64 3
		.amdhsa_fp16_overflow 0
		.amdhsa_workgroup_processor_mode 1
		.amdhsa_memory_ordered 1
		.amdhsa_forward_progress 1
		.amdhsa_inst_pref_size 0
		.amdhsa_round_robin_scheduling 0
		.amdhsa_exception_fp_ieee_invalid_op 0
		.amdhsa_exception_fp_denorm_src 0
		.amdhsa_exception_fp_ieee_div_zero 0
		.amdhsa_exception_fp_ieee_overflow 0
		.amdhsa_exception_fp_ieee_underflow 0
		.amdhsa_exception_fp_ieee_inexact 0
		.amdhsa_exception_int_div_zero 0
	.end_amdhsa_kernel
	.section	.text._ZN7rocprim17ROCPRIM_400000_NS6detail17trampoline_kernelINS0_14default_configENS1_25partition_config_selectorILNS1_17partition_subalgoE5ElNS0_10empty_typeEbEEZZNS1_14partition_implILS5_5ELb0ES3_mN6hipcub16HIPCUB_304000_NS21CountingInputIteratorIllEEPS6_NSA_22TransformInputIteratorIbN2at6native12_GLOBAL__N_19NonZeroOpIbEEPKblEENS0_5tupleIJPlS6_EEENSN_IJSD_SD_EEES6_PiJS6_EEE10hipError_tPvRmT3_T4_T5_T6_T7_T9_mT8_P12ihipStream_tbDpT10_ENKUlT_T0_E_clISt17integral_constantIbLb1EES1A_IbLb0EEEEDaS16_S17_EUlS16_E_NS1_11comp_targetILNS1_3genE4ELNS1_11target_archE910ELNS1_3gpuE8ELNS1_3repE0EEENS1_30default_config_static_selectorELNS0_4arch9wavefront6targetE0EEEvT1_,"axG",@progbits,_ZN7rocprim17ROCPRIM_400000_NS6detail17trampoline_kernelINS0_14default_configENS1_25partition_config_selectorILNS1_17partition_subalgoE5ElNS0_10empty_typeEbEEZZNS1_14partition_implILS5_5ELb0ES3_mN6hipcub16HIPCUB_304000_NS21CountingInputIteratorIllEEPS6_NSA_22TransformInputIteratorIbN2at6native12_GLOBAL__N_19NonZeroOpIbEEPKblEENS0_5tupleIJPlS6_EEENSN_IJSD_SD_EEES6_PiJS6_EEE10hipError_tPvRmT3_T4_T5_T6_T7_T9_mT8_P12ihipStream_tbDpT10_ENKUlT_T0_E_clISt17integral_constantIbLb1EES1A_IbLb0EEEEDaS16_S17_EUlS16_E_NS1_11comp_targetILNS1_3genE4ELNS1_11target_archE910ELNS1_3gpuE8ELNS1_3repE0EEENS1_30default_config_static_selectorELNS0_4arch9wavefront6targetE0EEEvT1_,comdat
.Lfunc_end748:
	.size	_ZN7rocprim17ROCPRIM_400000_NS6detail17trampoline_kernelINS0_14default_configENS1_25partition_config_selectorILNS1_17partition_subalgoE5ElNS0_10empty_typeEbEEZZNS1_14partition_implILS5_5ELb0ES3_mN6hipcub16HIPCUB_304000_NS21CountingInputIteratorIllEEPS6_NSA_22TransformInputIteratorIbN2at6native12_GLOBAL__N_19NonZeroOpIbEEPKblEENS0_5tupleIJPlS6_EEENSN_IJSD_SD_EEES6_PiJS6_EEE10hipError_tPvRmT3_T4_T5_T6_T7_T9_mT8_P12ihipStream_tbDpT10_ENKUlT_T0_E_clISt17integral_constantIbLb1EES1A_IbLb0EEEEDaS16_S17_EUlS16_E_NS1_11comp_targetILNS1_3genE4ELNS1_11target_archE910ELNS1_3gpuE8ELNS1_3repE0EEENS1_30default_config_static_selectorELNS0_4arch9wavefront6targetE0EEEvT1_, .Lfunc_end748-_ZN7rocprim17ROCPRIM_400000_NS6detail17trampoline_kernelINS0_14default_configENS1_25partition_config_selectorILNS1_17partition_subalgoE5ElNS0_10empty_typeEbEEZZNS1_14partition_implILS5_5ELb0ES3_mN6hipcub16HIPCUB_304000_NS21CountingInputIteratorIllEEPS6_NSA_22TransformInputIteratorIbN2at6native12_GLOBAL__N_19NonZeroOpIbEEPKblEENS0_5tupleIJPlS6_EEENSN_IJSD_SD_EEES6_PiJS6_EEE10hipError_tPvRmT3_T4_T5_T6_T7_T9_mT8_P12ihipStream_tbDpT10_ENKUlT_T0_E_clISt17integral_constantIbLb1EES1A_IbLb0EEEEDaS16_S17_EUlS16_E_NS1_11comp_targetILNS1_3genE4ELNS1_11target_archE910ELNS1_3gpuE8ELNS1_3repE0EEENS1_30default_config_static_selectorELNS0_4arch9wavefront6targetE0EEEvT1_
                                        ; -- End function
	.set _ZN7rocprim17ROCPRIM_400000_NS6detail17trampoline_kernelINS0_14default_configENS1_25partition_config_selectorILNS1_17partition_subalgoE5ElNS0_10empty_typeEbEEZZNS1_14partition_implILS5_5ELb0ES3_mN6hipcub16HIPCUB_304000_NS21CountingInputIteratorIllEEPS6_NSA_22TransformInputIteratorIbN2at6native12_GLOBAL__N_19NonZeroOpIbEEPKblEENS0_5tupleIJPlS6_EEENSN_IJSD_SD_EEES6_PiJS6_EEE10hipError_tPvRmT3_T4_T5_T6_T7_T9_mT8_P12ihipStream_tbDpT10_ENKUlT_T0_E_clISt17integral_constantIbLb1EES1A_IbLb0EEEEDaS16_S17_EUlS16_E_NS1_11comp_targetILNS1_3genE4ELNS1_11target_archE910ELNS1_3gpuE8ELNS1_3repE0EEENS1_30default_config_static_selectorELNS0_4arch9wavefront6targetE0EEEvT1_.num_vgpr, 0
	.set _ZN7rocprim17ROCPRIM_400000_NS6detail17trampoline_kernelINS0_14default_configENS1_25partition_config_selectorILNS1_17partition_subalgoE5ElNS0_10empty_typeEbEEZZNS1_14partition_implILS5_5ELb0ES3_mN6hipcub16HIPCUB_304000_NS21CountingInputIteratorIllEEPS6_NSA_22TransformInputIteratorIbN2at6native12_GLOBAL__N_19NonZeroOpIbEEPKblEENS0_5tupleIJPlS6_EEENSN_IJSD_SD_EEES6_PiJS6_EEE10hipError_tPvRmT3_T4_T5_T6_T7_T9_mT8_P12ihipStream_tbDpT10_ENKUlT_T0_E_clISt17integral_constantIbLb1EES1A_IbLb0EEEEDaS16_S17_EUlS16_E_NS1_11comp_targetILNS1_3genE4ELNS1_11target_archE910ELNS1_3gpuE8ELNS1_3repE0EEENS1_30default_config_static_selectorELNS0_4arch9wavefront6targetE0EEEvT1_.num_agpr, 0
	.set _ZN7rocprim17ROCPRIM_400000_NS6detail17trampoline_kernelINS0_14default_configENS1_25partition_config_selectorILNS1_17partition_subalgoE5ElNS0_10empty_typeEbEEZZNS1_14partition_implILS5_5ELb0ES3_mN6hipcub16HIPCUB_304000_NS21CountingInputIteratorIllEEPS6_NSA_22TransformInputIteratorIbN2at6native12_GLOBAL__N_19NonZeroOpIbEEPKblEENS0_5tupleIJPlS6_EEENSN_IJSD_SD_EEES6_PiJS6_EEE10hipError_tPvRmT3_T4_T5_T6_T7_T9_mT8_P12ihipStream_tbDpT10_ENKUlT_T0_E_clISt17integral_constantIbLb1EES1A_IbLb0EEEEDaS16_S17_EUlS16_E_NS1_11comp_targetILNS1_3genE4ELNS1_11target_archE910ELNS1_3gpuE8ELNS1_3repE0EEENS1_30default_config_static_selectorELNS0_4arch9wavefront6targetE0EEEvT1_.numbered_sgpr, 0
	.set _ZN7rocprim17ROCPRIM_400000_NS6detail17trampoline_kernelINS0_14default_configENS1_25partition_config_selectorILNS1_17partition_subalgoE5ElNS0_10empty_typeEbEEZZNS1_14partition_implILS5_5ELb0ES3_mN6hipcub16HIPCUB_304000_NS21CountingInputIteratorIllEEPS6_NSA_22TransformInputIteratorIbN2at6native12_GLOBAL__N_19NonZeroOpIbEEPKblEENS0_5tupleIJPlS6_EEENSN_IJSD_SD_EEES6_PiJS6_EEE10hipError_tPvRmT3_T4_T5_T6_T7_T9_mT8_P12ihipStream_tbDpT10_ENKUlT_T0_E_clISt17integral_constantIbLb1EES1A_IbLb0EEEEDaS16_S17_EUlS16_E_NS1_11comp_targetILNS1_3genE4ELNS1_11target_archE910ELNS1_3gpuE8ELNS1_3repE0EEENS1_30default_config_static_selectorELNS0_4arch9wavefront6targetE0EEEvT1_.num_named_barrier, 0
	.set _ZN7rocprim17ROCPRIM_400000_NS6detail17trampoline_kernelINS0_14default_configENS1_25partition_config_selectorILNS1_17partition_subalgoE5ElNS0_10empty_typeEbEEZZNS1_14partition_implILS5_5ELb0ES3_mN6hipcub16HIPCUB_304000_NS21CountingInputIteratorIllEEPS6_NSA_22TransformInputIteratorIbN2at6native12_GLOBAL__N_19NonZeroOpIbEEPKblEENS0_5tupleIJPlS6_EEENSN_IJSD_SD_EEES6_PiJS6_EEE10hipError_tPvRmT3_T4_T5_T6_T7_T9_mT8_P12ihipStream_tbDpT10_ENKUlT_T0_E_clISt17integral_constantIbLb1EES1A_IbLb0EEEEDaS16_S17_EUlS16_E_NS1_11comp_targetILNS1_3genE4ELNS1_11target_archE910ELNS1_3gpuE8ELNS1_3repE0EEENS1_30default_config_static_selectorELNS0_4arch9wavefront6targetE0EEEvT1_.private_seg_size, 0
	.set _ZN7rocprim17ROCPRIM_400000_NS6detail17trampoline_kernelINS0_14default_configENS1_25partition_config_selectorILNS1_17partition_subalgoE5ElNS0_10empty_typeEbEEZZNS1_14partition_implILS5_5ELb0ES3_mN6hipcub16HIPCUB_304000_NS21CountingInputIteratorIllEEPS6_NSA_22TransformInputIteratorIbN2at6native12_GLOBAL__N_19NonZeroOpIbEEPKblEENS0_5tupleIJPlS6_EEENSN_IJSD_SD_EEES6_PiJS6_EEE10hipError_tPvRmT3_T4_T5_T6_T7_T9_mT8_P12ihipStream_tbDpT10_ENKUlT_T0_E_clISt17integral_constantIbLb1EES1A_IbLb0EEEEDaS16_S17_EUlS16_E_NS1_11comp_targetILNS1_3genE4ELNS1_11target_archE910ELNS1_3gpuE8ELNS1_3repE0EEENS1_30default_config_static_selectorELNS0_4arch9wavefront6targetE0EEEvT1_.uses_vcc, 0
	.set _ZN7rocprim17ROCPRIM_400000_NS6detail17trampoline_kernelINS0_14default_configENS1_25partition_config_selectorILNS1_17partition_subalgoE5ElNS0_10empty_typeEbEEZZNS1_14partition_implILS5_5ELb0ES3_mN6hipcub16HIPCUB_304000_NS21CountingInputIteratorIllEEPS6_NSA_22TransformInputIteratorIbN2at6native12_GLOBAL__N_19NonZeroOpIbEEPKblEENS0_5tupleIJPlS6_EEENSN_IJSD_SD_EEES6_PiJS6_EEE10hipError_tPvRmT3_T4_T5_T6_T7_T9_mT8_P12ihipStream_tbDpT10_ENKUlT_T0_E_clISt17integral_constantIbLb1EES1A_IbLb0EEEEDaS16_S17_EUlS16_E_NS1_11comp_targetILNS1_3genE4ELNS1_11target_archE910ELNS1_3gpuE8ELNS1_3repE0EEENS1_30default_config_static_selectorELNS0_4arch9wavefront6targetE0EEEvT1_.uses_flat_scratch, 0
	.set _ZN7rocprim17ROCPRIM_400000_NS6detail17trampoline_kernelINS0_14default_configENS1_25partition_config_selectorILNS1_17partition_subalgoE5ElNS0_10empty_typeEbEEZZNS1_14partition_implILS5_5ELb0ES3_mN6hipcub16HIPCUB_304000_NS21CountingInputIteratorIllEEPS6_NSA_22TransformInputIteratorIbN2at6native12_GLOBAL__N_19NonZeroOpIbEEPKblEENS0_5tupleIJPlS6_EEENSN_IJSD_SD_EEES6_PiJS6_EEE10hipError_tPvRmT3_T4_T5_T6_T7_T9_mT8_P12ihipStream_tbDpT10_ENKUlT_T0_E_clISt17integral_constantIbLb1EES1A_IbLb0EEEEDaS16_S17_EUlS16_E_NS1_11comp_targetILNS1_3genE4ELNS1_11target_archE910ELNS1_3gpuE8ELNS1_3repE0EEENS1_30default_config_static_selectorELNS0_4arch9wavefront6targetE0EEEvT1_.has_dyn_sized_stack, 0
	.set _ZN7rocprim17ROCPRIM_400000_NS6detail17trampoline_kernelINS0_14default_configENS1_25partition_config_selectorILNS1_17partition_subalgoE5ElNS0_10empty_typeEbEEZZNS1_14partition_implILS5_5ELb0ES3_mN6hipcub16HIPCUB_304000_NS21CountingInputIteratorIllEEPS6_NSA_22TransformInputIteratorIbN2at6native12_GLOBAL__N_19NonZeroOpIbEEPKblEENS0_5tupleIJPlS6_EEENSN_IJSD_SD_EEES6_PiJS6_EEE10hipError_tPvRmT3_T4_T5_T6_T7_T9_mT8_P12ihipStream_tbDpT10_ENKUlT_T0_E_clISt17integral_constantIbLb1EES1A_IbLb0EEEEDaS16_S17_EUlS16_E_NS1_11comp_targetILNS1_3genE4ELNS1_11target_archE910ELNS1_3gpuE8ELNS1_3repE0EEENS1_30default_config_static_selectorELNS0_4arch9wavefront6targetE0EEEvT1_.has_recursion, 0
	.set _ZN7rocprim17ROCPRIM_400000_NS6detail17trampoline_kernelINS0_14default_configENS1_25partition_config_selectorILNS1_17partition_subalgoE5ElNS0_10empty_typeEbEEZZNS1_14partition_implILS5_5ELb0ES3_mN6hipcub16HIPCUB_304000_NS21CountingInputIteratorIllEEPS6_NSA_22TransformInputIteratorIbN2at6native12_GLOBAL__N_19NonZeroOpIbEEPKblEENS0_5tupleIJPlS6_EEENSN_IJSD_SD_EEES6_PiJS6_EEE10hipError_tPvRmT3_T4_T5_T6_T7_T9_mT8_P12ihipStream_tbDpT10_ENKUlT_T0_E_clISt17integral_constantIbLb1EES1A_IbLb0EEEEDaS16_S17_EUlS16_E_NS1_11comp_targetILNS1_3genE4ELNS1_11target_archE910ELNS1_3gpuE8ELNS1_3repE0EEENS1_30default_config_static_selectorELNS0_4arch9wavefront6targetE0EEEvT1_.has_indirect_call, 0
	.section	.AMDGPU.csdata,"",@progbits
; Kernel info:
; codeLenInByte = 0
; TotalNumSgprs: 0
; NumVgprs: 0
; ScratchSize: 0
; MemoryBound: 0
; FloatMode: 240
; IeeeMode: 1
; LDSByteSize: 0 bytes/workgroup (compile time only)
; SGPRBlocks: 0
; VGPRBlocks: 0
; NumSGPRsForWavesPerEU: 1
; NumVGPRsForWavesPerEU: 1
; Occupancy: 16
; WaveLimiterHint : 0
; COMPUTE_PGM_RSRC2:SCRATCH_EN: 0
; COMPUTE_PGM_RSRC2:USER_SGPR: 2
; COMPUTE_PGM_RSRC2:TRAP_HANDLER: 0
; COMPUTE_PGM_RSRC2:TGID_X_EN: 1
; COMPUTE_PGM_RSRC2:TGID_Y_EN: 0
; COMPUTE_PGM_RSRC2:TGID_Z_EN: 0
; COMPUTE_PGM_RSRC2:TIDIG_COMP_CNT: 0
	.section	.text._ZN7rocprim17ROCPRIM_400000_NS6detail17trampoline_kernelINS0_14default_configENS1_25partition_config_selectorILNS1_17partition_subalgoE5ElNS0_10empty_typeEbEEZZNS1_14partition_implILS5_5ELb0ES3_mN6hipcub16HIPCUB_304000_NS21CountingInputIteratorIllEEPS6_NSA_22TransformInputIteratorIbN2at6native12_GLOBAL__N_19NonZeroOpIbEEPKblEENS0_5tupleIJPlS6_EEENSN_IJSD_SD_EEES6_PiJS6_EEE10hipError_tPvRmT3_T4_T5_T6_T7_T9_mT8_P12ihipStream_tbDpT10_ENKUlT_T0_E_clISt17integral_constantIbLb1EES1A_IbLb0EEEEDaS16_S17_EUlS16_E_NS1_11comp_targetILNS1_3genE3ELNS1_11target_archE908ELNS1_3gpuE7ELNS1_3repE0EEENS1_30default_config_static_selectorELNS0_4arch9wavefront6targetE0EEEvT1_,"axG",@progbits,_ZN7rocprim17ROCPRIM_400000_NS6detail17trampoline_kernelINS0_14default_configENS1_25partition_config_selectorILNS1_17partition_subalgoE5ElNS0_10empty_typeEbEEZZNS1_14partition_implILS5_5ELb0ES3_mN6hipcub16HIPCUB_304000_NS21CountingInputIteratorIllEEPS6_NSA_22TransformInputIteratorIbN2at6native12_GLOBAL__N_19NonZeroOpIbEEPKblEENS0_5tupleIJPlS6_EEENSN_IJSD_SD_EEES6_PiJS6_EEE10hipError_tPvRmT3_T4_T5_T6_T7_T9_mT8_P12ihipStream_tbDpT10_ENKUlT_T0_E_clISt17integral_constantIbLb1EES1A_IbLb0EEEEDaS16_S17_EUlS16_E_NS1_11comp_targetILNS1_3genE3ELNS1_11target_archE908ELNS1_3gpuE7ELNS1_3repE0EEENS1_30default_config_static_selectorELNS0_4arch9wavefront6targetE0EEEvT1_,comdat
	.globl	_ZN7rocprim17ROCPRIM_400000_NS6detail17trampoline_kernelINS0_14default_configENS1_25partition_config_selectorILNS1_17partition_subalgoE5ElNS0_10empty_typeEbEEZZNS1_14partition_implILS5_5ELb0ES3_mN6hipcub16HIPCUB_304000_NS21CountingInputIteratorIllEEPS6_NSA_22TransformInputIteratorIbN2at6native12_GLOBAL__N_19NonZeroOpIbEEPKblEENS0_5tupleIJPlS6_EEENSN_IJSD_SD_EEES6_PiJS6_EEE10hipError_tPvRmT3_T4_T5_T6_T7_T9_mT8_P12ihipStream_tbDpT10_ENKUlT_T0_E_clISt17integral_constantIbLb1EES1A_IbLb0EEEEDaS16_S17_EUlS16_E_NS1_11comp_targetILNS1_3genE3ELNS1_11target_archE908ELNS1_3gpuE7ELNS1_3repE0EEENS1_30default_config_static_selectorELNS0_4arch9wavefront6targetE0EEEvT1_ ; -- Begin function _ZN7rocprim17ROCPRIM_400000_NS6detail17trampoline_kernelINS0_14default_configENS1_25partition_config_selectorILNS1_17partition_subalgoE5ElNS0_10empty_typeEbEEZZNS1_14partition_implILS5_5ELb0ES3_mN6hipcub16HIPCUB_304000_NS21CountingInputIteratorIllEEPS6_NSA_22TransformInputIteratorIbN2at6native12_GLOBAL__N_19NonZeroOpIbEEPKblEENS0_5tupleIJPlS6_EEENSN_IJSD_SD_EEES6_PiJS6_EEE10hipError_tPvRmT3_T4_T5_T6_T7_T9_mT8_P12ihipStream_tbDpT10_ENKUlT_T0_E_clISt17integral_constantIbLb1EES1A_IbLb0EEEEDaS16_S17_EUlS16_E_NS1_11comp_targetILNS1_3genE3ELNS1_11target_archE908ELNS1_3gpuE7ELNS1_3repE0EEENS1_30default_config_static_selectorELNS0_4arch9wavefront6targetE0EEEvT1_
	.p2align	8
	.type	_ZN7rocprim17ROCPRIM_400000_NS6detail17trampoline_kernelINS0_14default_configENS1_25partition_config_selectorILNS1_17partition_subalgoE5ElNS0_10empty_typeEbEEZZNS1_14partition_implILS5_5ELb0ES3_mN6hipcub16HIPCUB_304000_NS21CountingInputIteratorIllEEPS6_NSA_22TransformInputIteratorIbN2at6native12_GLOBAL__N_19NonZeroOpIbEEPKblEENS0_5tupleIJPlS6_EEENSN_IJSD_SD_EEES6_PiJS6_EEE10hipError_tPvRmT3_T4_T5_T6_T7_T9_mT8_P12ihipStream_tbDpT10_ENKUlT_T0_E_clISt17integral_constantIbLb1EES1A_IbLb0EEEEDaS16_S17_EUlS16_E_NS1_11comp_targetILNS1_3genE3ELNS1_11target_archE908ELNS1_3gpuE7ELNS1_3repE0EEENS1_30default_config_static_selectorELNS0_4arch9wavefront6targetE0EEEvT1_,@function
_ZN7rocprim17ROCPRIM_400000_NS6detail17trampoline_kernelINS0_14default_configENS1_25partition_config_selectorILNS1_17partition_subalgoE5ElNS0_10empty_typeEbEEZZNS1_14partition_implILS5_5ELb0ES3_mN6hipcub16HIPCUB_304000_NS21CountingInputIteratorIllEEPS6_NSA_22TransformInputIteratorIbN2at6native12_GLOBAL__N_19NonZeroOpIbEEPKblEENS0_5tupleIJPlS6_EEENSN_IJSD_SD_EEES6_PiJS6_EEE10hipError_tPvRmT3_T4_T5_T6_T7_T9_mT8_P12ihipStream_tbDpT10_ENKUlT_T0_E_clISt17integral_constantIbLb1EES1A_IbLb0EEEEDaS16_S17_EUlS16_E_NS1_11comp_targetILNS1_3genE3ELNS1_11target_archE908ELNS1_3gpuE7ELNS1_3repE0EEENS1_30default_config_static_selectorELNS0_4arch9wavefront6targetE0EEEvT1_: ; @_ZN7rocprim17ROCPRIM_400000_NS6detail17trampoline_kernelINS0_14default_configENS1_25partition_config_selectorILNS1_17partition_subalgoE5ElNS0_10empty_typeEbEEZZNS1_14partition_implILS5_5ELb0ES3_mN6hipcub16HIPCUB_304000_NS21CountingInputIteratorIllEEPS6_NSA_22TransformInputIteratorIbN2at6native12_GLOBAL__N_19NonZeroOpIbEEPKblEENS0_5tupleIJPlS6_EEENSN_IJSD_SD_EEES6_PiJS6_EEE10hipError_tPvRmT3_T4_T5_T6_T7_T9_mT8_P12ihipStream_tbDpT10_ENKUlT_T0_E_clISt17integral_constantIbLb1EES1A_IbLb0EEEEDaS16_S17_EUlS16_E_NS1_11comp_targetILNS1_3genE3ELNS1_11target_archE908ELNS1_3gpuE7ELNS1_3repE0EEENS1_30default_config_static_selectorELNS0_4arch9wavefront6targetE0EEEvT1_
; %bb.0:
	.section	.rodata,"a",@progbits
	.p2align	6, 0x0
	.amdhsa_kernel _ZN7rocprim17ROCPRIM_400000_NS6detail17trampoline_kernelINS0_14default_configENS1_25partition_config_selectorILNS1_17partition_subalgoE5ElNS0_10empty_typeEbEEZZNS1_14partition_implILS5_5ELb0ES3_mN6hipcub16HIPCUB_304000_NS21CountingInputIteratorIllEEPS6_NSA_22TransformInputIteratorIbN2at6native12_GLOBAL__N_19NonZeroOpIbEEPKblEENS0_5tupleIJPlS6_EEENSN_IJSD_SD_EEES6_PiJS6_EEE10hipError_tPvRmT3_T4_T5_T6_T7_T9_mT8_P12ihipStream_tbDpT10_ENKUlT_T0_E_clISt17integral_constantIbLb1EES1A_IbLb0EEEEDaS16_S17_EUlS16_E_NS1_11comp_targetILNS1_3genE3ELNS1_11target_archE908ELNS1_3gpuE7ELNS1_3repE0EEENS1_30default_config_static_selectorELNS0_4arch9wavefront6targetE0EEEvT1_
		.amdhsa_group_segment_fixed_size 0
		.amdhsa_private_segment_fixed_size 0
		.amdhsa_kernarg_size 120
		.amdhsa_user_sgpr_count 2
		.amdhsa_user_sgpr_dispatch_ptr 0
		.amdhsa_user_sgpr_queue_ptr 0
		.amdhsa_user_sgpr_kernarg_segment_ptr 1
		.amdhsa_user_sgpr_dispatch_id 0
		.amdhsa_user_sgpr_private_segment_size 0
		.amdhsa_wavefront_size32 1
		.amdhsa_uses_dynamic_stack 0
		.amdhsa_enable_private_segment 0
		.amdhsa_system_sgpr_workgroup_id_x 1
		.amdhsa_system_sgpr_workgroup_id_y 0
		.amdhsa_system_sgpr_workgroup_id_z 0
		.amdhsa_system_sgpr_workgroup_info 0
		.amdhsa_system_vgpr_workitem_id 0
		.amdhsa_next_free_vgpr 1
		.amdhsa_next_free_sgpr 1
		.amdhsa_reserve_vcc 0
		.amdhsa_float_round_mode_32 0
		.amdhsa_float_round_mode_16_64 0
		.amdhsa_float_denorm_mode_32 3
		.amdhsa_float_denorm_mode_16_64 3
		.amdhsa_fp16_overflow 0
		.amdhsa_workgroup_processor_mode 1
		.amdhsa_memory_ordered 1
		.amdhsa_forward_progress 1
		.amdhsa_inst_pref_size 0
		.amdhsa_round_robin_scheduling 0
		.amdhsa_exception_fp_ieee_invalid_op 0
		.amdhsa_exception_fp_denorm_src 0
		.amdhsa_exception_fp_ieee_div_zero 0
		.amdhsa_exception_fp_ieee_overflow 0
		.amdhsa_exception_fp_ieee_underflow 0
		.amdhsa_exception_fp_ieee_inexact 0
		.amdhsa_exception_int_div_zero 0
	.end_amdhsa_kernel
	.section	.text._ZN7rocprim17ROCPRIM_400000_NS6detail17trampoline_kernelINS0_14default_configENS1_25partition_config_selectorILNS1_17partition_subalgoE5ElNS0_10empty_typeEbEEZZNS1_14partition_implILS5_5ELb0ES3_mN6hipcub16HIPCUB_304000_NS21CountingInputIteratorIllEEPS6_NSA_22TransformInputIteratorIbN2at6native12_GLOBAL__N_19NonZeroOpIbEEPKblEENS0_5tupleIJPlS6_EEENSN_IJSD_SD_EEES6_PiJS6_EEE10hipError_tPvRmT3_T4_T5_T6_T7_T9_mT8_P12ihipStream_tbDpT10_ENKUlT_T0_E_clISt17integral_constantIbLb1EES1A_IbLb0EEEEDaS16_S17_EUlS16_E_NS1_11comp_targetILNS1_3genE3ELNS1_11target_archE908ELNS1_3gpuE7ELNS1_3repE0EEENS1_30default_config_static_selectorELNS0_4arch9wavefront6targetE0EEEvT1_,"axG",@progbits,_ZN7rocprim17ROCPRIM_400000_NS6detail17trampoline_kernelINS0_14default_configENS1_25partition_config_selectorILNS1_17partition_subalgoE5ElNS0_10empty_typeEbEEZZNS1_14partition_implILS5_5ELb0ES3_mN6hipcub16HIPCUB_304000_NS21CountingInputIteratorIllEEPS6_NSA_22TransformInputIteratorIbN2at6native12_GLOBAL__N_19NonZeroOpIbEEPKblEENS0_5tupleIJPlS6_EEENSN_IJSD_SD_EEES6_PiJS6_EEE10hipError_tPvRmT3_T4_T5_T6_T7_T9_mT8_P12ihipStream_tbDpT10_ENKUlT_T0_E_clISt17integral_constantIbLb1EES1A_IbLb0EEEEDaS16_S17_EUlS16_E_NS1_11comp_targetILNS1_3genE3ELNS1_11target_archE908ELNS1_3gpuE7ELNS1_3repE0EEENS1_30default_config_static_selectorELNS0_4arch9wavefront6targetE0EEEvT1_,comdat
.Lfunc_end749:
	.size	_ZN7rocprim17ROCPRIM_400000_NS6detail17trampoline_kernelINS0_14default_configENS1_25partition_config_selectorILNS1_17partition_subalgoE5ElNS0_10empty_typeEbEEZZNS1_14partition_implILS5_5ELb0ES3_mN6hipcub16HIPCUB_304000_NS21CountingInputIteratorIllEEPS6_NSA_22TransformInputIteratorIbN2at6native12_GLOBAL__N_19NonZeroOpIbEEPKblEENS0_5tupleIJPlS6_EEENSN_IJSD_SD_EEES6_PiJS6_EEE10hipError_tPvRmT3_T4_T5_T6_T7_T9_mT8_P12ihipStream_tbDpT10_ENKUlT_T0_E_clISt17integral_constantIbLb1EES1A_IbLb0EEEEDaS16_S17_EUlS16_E_NS1_11comp_targetILNS1_3genE3ELNS1_11target_archE908ELNS1_3gpuE7ELNS1_3repE0EEENS1_30default_config_static_selectorELNS0_4arch9wavefront6targetE0EEEvT1_, .Lfunc_end749-_ZN7rocprim17ROCPRIM_400000_NS6detail17trampoline_kernelINS0_14default_configENS1_25partition_config_selectorILNS1_17partition_subalgoE5ElNS0_10empty_typeEbEEZZNS1_14partition_implILS5_5ELb0ES3_mN6hipcub16HIPCUB_304000_NS21CountingInputIteratorIllEEPS6_NSA_22TransformInputIteratorIbN2at6native12_GLOBAL__N_19NonZeroOpIbEEPKblEENS0_5tupleIJPlS6_EEENSN_IJSD_SD_EEES6_PiJS6_EEE10hipError_tPvRmT3_T4_T5_T6_T7_T9_mT8_P12ihipStream_tbDpT10_ENKUlT_T0_E_clISt17integral_constantIbLb1EES1A_IbLb0EEEEDaS16_S17_EUlS16_E_NS1_11comp_targetILNS1_3genE3ELNS1_11target_archE908ELNS1_3gpuE7ELNS1_3repE0EEENS1_30default_config_static_selectorELNS0_4arch9wavefront6targetE0EEEvT1_
                                        ; -- End function
	.set _ZN7rocprim17ROCPRIM_400000_NS6detail17trampoline_kernelINS0_14default_configENS1_25partition_config_selectorILNS1_17partition_subalgoE5ElNS0_10empty_typeEbEEZZNS1_14partition_implILS5_5ELb0ES3_mN6hipcub16HIPCUB_304000_NS21CountingInputIteratorIllEEPS6_NSA_22TransformInputIteratorIbN2at6native12_GLOBAL__N_19NonZeroOpIbEEPKblEENS0_5tupleIJPlS6_EEENSN_IJSD_SD_EEES6_PiJS6_EEE10hipError_tPvRmT3_T4_T5_T6_T7_T9_mT8_P12ihipStream_tbDpT10_ENKUlT_T0_E_clISt17integral_constantIbLb1EES1A_IbLb0EEEEDaS16_S17_EUlS16_E_NS1_11comp_targetILNS1_3genE3ELNS1_11target_archE908ELNS1_3gpuE7ELNS1_3repE0EEENS1_30default_config_static_selectorELNS0_4arch9wavefront6targetE0EEEvT1_.num_vgpr, 0
	.set _ZN7rocprim17ROCPRIM_400000_NS6detail17trampoline_kernelINS0_14default_configENS1_25partition_config_selectorILNS1_17partition_subalgoE5ElNS0_10empty_typeEbEEZZNS1_14partition_implILS5_5ELb0ES3_mN6hipcub16HIPCUB_304000_NS21CountingInputIteratorIllEEPS6_NSA_22TransformInputIteratorIbN2at6native12_GLOBAL__N_19NonZeroOpIbEEPKblEENS0_5tupleIJPlS6_EEENSN_IJSD_SD_EEES6_PiJS6_EEE10hipError_tPvRmT3_T4_T5_T6_T7_T9_mT8_P12ihipStream_tbDpT10_ENKUlT_T0_E_clISt17integral_constantIbLb1EES1A_IbLb0EEEEDaS16_S17_EUlS16_E_NS1_11comp_targetILNS1_3genE3ELNS1_11target_archE908ELNS1_3gpuE7ELNS1_3repE0EEENS1_30default_config_static_selectorELNS0_4arch9wavefront6targetE0EEEvT1_.num_agpr, 0
	.set _ZN7rocprim17ROCPRIM_400000_NS6detail17trampoline_kernelINS0_14default_configENS1_25partition_config_selectorILNS1_17partition_subalgoE5ElNS0_10empty_typeEbEEZZNS1_14partition_implILS5_5ELb0ES3_mN6hipcub16HIPCUB_304000_NS21CountingInputIteratorIllEEPS6_NSA_22TransformInputIteratorIbN2at6native12_GLOBAL__N_19NonZeroOpIbEEPKblEENS0_5tupleIJPlS6_EEENSN_IJSD_SD_EEES6_PiJS6_EEE10hipError_tPvRmT3_T4_T5_T6_T7_T9_mT8_P12ihipStream_tbDpT10_ENKUlT_T0_E_clISt17integral_constantIbLb1EES1A_IbLb0EEEEDaS16_S17_EUlS16_E_NS1_11comp_targetILNS1_3genE3ELNS1_11target_archE908ELNS1_3gpuE7ELNS1_3repE0EEENS1_30default_config_static_selectorELNS0_4arch9wavefront6targetE0EEEvT1_.numbered_sgpr, 0
	.set _ZN7rocprim17ROCPRIM_400000_NS6detail17trampoline_kernelINS0_14default_configENS1_25partition_config_selectorILNS1_17partition_subalgoE5ElNS0_10empty_typeEbEEZZNS1_14partition_implILS5_5ELb0ES3_mN6hipcub16HIPCUB_304000_NS21CountingInputIteratorIllEEPS6_NSA_22TransformInputIteratorIbN2at6native12_GLOBAL__N_19NonZeroOpIbEEPKblEENS0_5tupleIJPlS6_EEENSN_IJSD_SD_EEES6_PiJS6_EEE10hipError_tPvRmT3_T4_T5_T6_T7_T9_mT8_P12ihipStream_tbDpT10_ENKUlT_T0_E_clISt17integral_constantIbLb1EES1A_IbLb0EEEEDaS16_S17_EUlS16_E_NS1_11comp_targetILNS1_3genE3ELNS1_11target_archE908ELNS1_3gpuE7ELNS1_3repE0EEENS1_30default_config_static_selectorELNS0_4arch9wavefront6targetE0EEEvT1_.num_named_barrier, 0
	.set _ZN7rocprim17ROCPRIM_400000_NS6detail17trampoline_kernelINS0_14default_configENS1_25partition_config_selectorILNS1_17partition_subalgoE5ElNS0_10empty_typeEbEEZZNS1_14partition_implILS5_5ELb0ES3_mN6hipcub16HIPCUB_304000_NS21CountingInputIteratorIllEEPS6_NSA_22TransformInputIteratorIbN2at6native12_GLOBAL__N_19NonZeroOpIbEEPKblEENS0_5tupleIJPlS6_EEENSN_IJSD_SD_EEES6_PiJS6_EEE10hipError_tPvRmT3_T4_T5_T6_T7_T9_mT8_P12ihipStream_tbDpT10_ENKUlT_T0_E_clISt17integral_constantIbLb1EES1A_IbLb0EEEEDaS16_S17_EUlS16_E_NS1_11comp_targetILNS1_3genE3ELNS1_11target_archE908ELNS1_3gpuE7ELNS1_3repE0EEENS1_30default_config_static_selectorELNS0_4arch9wavefront6targetE0EEEvT1_.private_seg_size, 0
	.set _ZN7rocprim17ROCPRIM_400000_NS6detail17trampoline_kernelINS0_14default_configENS1_25partition_config_selectorILNS1_17partition_subalgoE5ElNS0_10empty_typeEbEEZZNS1_14partition_implILS5_5ELb0ES3_mN6hipcub16HIPCUB_304000_NS21CountingInputIteratorIllEEPS6_NSA_22TransformInputIteratorIbN2at6native12_GLOBAL__N_19NonZeroOpIbEEPKblEENS0_5tupleIJPlS6_EEENSN_IJSD_SD_EEES6_PiJS6_EEE10hipError_tPvRmT3_T4_T5_T6_T7_T9_mT8_P12ihipStream_tbDpT10_ENKUlT_T0_E_clISt17integral_constantIbLb1EES1A_IbLb0EEEEDaS16_S17_EUlS16_E_NS1_11comp_targetILNS1_3genE3ELNS1_11target_archE908ELNS1_3gpuE7ELNS1_3repE0EEENS1_30default_config_static_selectorELNS0_4arch9wavefront6targetE0EEEvT1_.uses_vcc, 0
	.set _ZN7rocprim17ROCPRIM_400000_NS6detail17trampoline_kernelINS0_14default_configENS1_25partition_config_selectorILNS1_17partition_subalgoE5ElNS0_10empty_typeEbEEZZNS1_14partition_implILS5_5ELb0ES3_mN6hipcub16HIPCUB_304000_NS21CountingInputIteratorIllEEPS6_NSA_22TransformInputIteratorIbN2at6native12_GLOBAL__N_19NonZeroOpIbEEPKblEENS0_5tupleIJPlS6_EEENSN_IJSD_SD_EEES6_PiJS6_EEE10hipError_tPvRmT3_T4_T5_T6_T7_T9_mT8_P12ihipStream_tbDpT10_ENKUlT_T0_E_clISt17integral_constantIbLb1EES1A_IbLb0EEEEDaS16_S17_EUlS16_E_NS1_11comp_targetILNS1_3genE3ELNS1_11target_archE908ELNS1_3gpuE7ELNS1_3repE0EEENS1_30default_config_static_selectorELNS0_4arch9wavefront6targetE0EEEvT1_.uses_flat_scratch, 0
	.set _ZN7rocprim17ROCPRIM_400000_NS6detail17trampoline_kernelINS0_14default_configENS1_25partition_config_selectorILNS1_17partition_subalgoE5ElNS0_10empty_typeEbEEZZNS1_14partition_implILS5_5ELb0ES3_mN6hipcub16HIPCUB_304000_NS21CountingInputIteratorIllEEPS6_NSA_22TransformInputIteratorIbN2at6native12_GLOBAL__N_19NonZeroOpIbEEPKblEENS0_5tupleIJPlS6_EEENSN_IJSD_SD_EEES6_PiJS6_EEE10hipError_tPvRmT3_T4_T5_T6_T7_T9_mT8_P12ihipStream_tbDpT10_ENKUlT_T0_E_clISt17integral_constantIbLb1EES1A_IbLb0EEEEDaS16_S17_EUlS16_E_NS1_11comp_targetILNS1_3genE3ELNS1_11target_archE908ELNS1_3gpuE7ELNS1_3repE0EEENS1_30default_config_static_selectorELNS0_4arch9wavefront6targetE0EEEvT1_.has_dyn_sized_stack, 0
	.set _ZN7rocprim17ROCPRIM_400000_NS6detail17trampoline_kernelINS0_14default_configENS1_25partition_config_selectorILNS1_17partition_subalgoE5ElNS0_10empty_typeEbEEZZNS1_14partition_implILS5_5ELb0ES3_mN6hipcub16HIPCUB_304000_NS21CountingInputIteratorIllEEPS6_NSA_22TransformInputIteratorIbN2at6native12_GLOBAL__N_19NonZeroOpIbEEPKblEENS0_5tupleIJPlS6_EEENSN_IJSD_SD_EEES6_PiJS6_EEE10hipError_tPvRmT3_T4_T5_T6_T7_T9_mT8_P12ihipStream_tbDpT10_ENKUlT_T0_E_clISt17integral_constantIbLb1EES1A_IbLb0EEEEDaS16_S17_EUlS16_E_NS1_11comp_targetILNS1_3genE3ELNS1_11target_archE908ELNS1_3gpuE7ELNS1_3repE0EEENS1_30default_config_static_selectorELNS0_4arch9wavefront6targetE0EEEvT1_.has_recursion, 0
	.set _ZN7rocprim17ROCPRIM_400000_NS6detail17trampoline_kernelINS0_14default_configENS1_25partition_config_selectorILNS1_17partition_subalgoE5ElNS0_10empty_typeEbEEZZNS1_14partition_implILS5_5ELb0ES3_mN6hipcub16HIPCUB_304000_NS21CountingInputIteratorIllEEPS6_NSA_22TransformInputIteratorIbN2at6native12_GLOBAL__N_19NonZeroOpIbEEPKblEENS0_5tupleIJPlS6_EEENSN_IJSD_SD_EEES6_PiJS6_EEE10hipError_tPvRmT3_T4_T5_T6_T7_T9_mT8_P12ihipStream_tbDpT10_ENKUlT_T0_E_clISt17integral_constantIbLb1EES1A_IbLb0EEEEDaS16_S17_EUlS16_E_NS1_11comp_targetILNS1_3genE3ELNS1_11target_archE908ELNS1_3gpuE7ELNS1_3repE0EEENS1_30default_config_static_selectorELNS0_4arch9wavefront6targetE0EEEvT1_.has_indirect_call, 0
	.section	.AMDGPU.csdata,"",@progbits
; Kernel info:
; codeLenInByte = 0
; TotalNumSgprs: 0
; NumVgprs: 0
; ScratchSize: 0
; MemoryBound: 0
; FloatMode: 240
; IeeeMode: 1
; LDSByteSize: 0 bytes/workgroup (compile time only)
; SGPRBlocks: 0
; VGPRBlocks: 0
; NumSGPRsForWavesPerEU: 1
; NumVGPRsForWavesPerEU: 1
; Occupancy: 16
; WaveLimiterHint : 0
; COMPUTE_PGM_RSRC2:SCRATCH_EN: 0
; COMPUTE_PGM_RSRC2:USER_SGPR: 2
; COMPUTE_PGM_RSRC2:TRAP_HANDLER: 0
; COMPUTE_PGM_RSRC2:TGID_X_EN: 1
; COMPUTE_PGM_RSRC2:TGID_Y_EN: 0
; COMPUTE_PGM_RSRC2:TGID_Z_EN: 0
; COMPUTE_PGM_RSRC2:TIDIG_COMP_CNT: 0
	.section	.text._ZN7rocprim17ROCPRIM_400000_NS6detail17trampoline_kernelINS0_14default_configENS1_25partition_config_selectorILNS1_17partition_subalgoE5ElNS0_10empty_typeEbEEZZNS1_14partition_implILS5_5ELb0ES3_mN6hipcub16HIPCUB_304000_NS21CountingInputIteratorIllEEPS6_NSA_22TransformInputIteratorIbN2at6native12_GLOBAL__N_19NonZeroOpIbEEPKblEENS0_5tupleIJPlS6_EEENSN_IJSD_SD_EEES6_PiJS6_EEE10hipError_tPvRmT3_T4_T5_T6_T7_T9_mT8_P12ihipStream_tbDpT10_ENKUlT_T0_E_clISt17integral_constantIbLb1EES1A_IbLb0EEEEDaS16_S17_EUlS16_E_NS1_11comp_targetILNS1_3genE2ELNS1_11target_archE906ELNS1_3gpuE6ELNS1_3repE0EEENS1_30default_config_static_selectorELNS0_4arch9wavefront6targetE0EEEvT1_,"axG",@progbits,_ZN7rocprim17ROCPRIM_400000_NS6detail17trampoline_kernelINS0_14default_configENS1_25partition_config_selectorILNS1_17partition_subalgoE5ElNS0_10empty_typeEbEEZZNS1_14partition_implILS5_5ELb0ES3_mN6hipcub16HIPCUB_304000_NS21CountingInputIteratorIllEEPS6_NSA_22TransformInputIteratorIbN2at6native12_GLOBAL__N_19NonZeroOpIbEEPKblEENS0_5tupleIJPlS6_EEENSN_IJSD_SD_EEES6_PiJS6_EEE10hipError_tPvRmT3_T4_T5_T6_T7_T9_mT8_P12ihipStream_tbDpT10_ENKUlT_T0_E_clISt17integral_constantIbLb1EES1A_IbLb0EEEEDaS16_S17_EUlS16_E_NS1_11comp_targetILNS1_3genE2ELNS1_11target_archE906ELNS1_3gpuE6ELNS1_3repE0EEENS1_30default_config_static_selectorELNS0_4arch9wavefront6targetE0EEEvT1_,comdat
	.globl	_ZN7rocprim17ROCPRIM_400000_NS6detail17trampoline_kernelINS0_14default_configENS1_25partition_config_selectorILNS1_17partition_subalgoE5ElNS0_10empty_typeEbEEZZNS1_14partition_implILS5_5ELb0ES3_mN6hipcub16HIPCUB_304000_NS21CountingInputIteratorIllEEPS6_NSA_22TransformInputIteratorIbN2at6native12_GLOBAL__N_19NonZeroOpIbEEPKblEENS0_5tupleIJPlS6_EEENSN_IJSD_SD_EEES6_PiJS6_EEE10hipError_tPvRmT3_T4_T5_T6_T7_T9_mT8_P12ihipStream_tbDpT10_ENKUlT_T0_E_clISt17integral_constantIbLb1EES1A_IbLb0EEEEDaS16_S17_EUlS16_E_NS1_11comp_targetILNS1_3genE2ELNS1_11target_archE906ELNS1_3gpuE6ELNS1_3repE0EEENS1_30default_config_static_selectorELNS0_4arch9wavefront6targetE0EEEvT1_ ; -- Begin function _ZN7rocprim17ROCPRIM_400000_NS6detail17trampoline_kernelINS0_14default_configENS1_25partition_config_selectorILNS1_17partition_subalgoE5ElNS0_10empty_typeEbEEZZNS1_14partition_implILS5_5ELb0ES3_mN6hipcub16HIPCUB_304000_NS21CountingInputIteratorIllEEPS6_NSA_22TransformInputIteratorIbN2at6native12_GLOBAL__N_19NonZeroOpIbEEPKblEENS0_5tupleIJPlS6_EEENSN_IJSD_SD_EEES6_PiJS6_EEE10hipError_tPvRmT3_T4_T5_T6_T7_T9_mT8_P12ihipStream_tbDpT10_ENKUlT_T0_E_clISt17integral_constantIbLb1EES1A_IbLb0EEEEDaS16_S17_EUlS16_E_NS1_11comp_targetILNS1_3genE2ELNS1_11target_archE906ELNS1_3gpuE6ELNS1_3repE0EEENS1_30default_config_static_selectorELNS0_4arch9wavefront6targetE0EEEvT1_
	.p2align	8
	.type	_ZN7rocprim17ROCPRIM_400000_NS6detail17trampoline_kernelINS0_14default_configENS1_25partition_config_selectorILNS1_17partition_subalgoE5ElNS0_10empty_typeEbEEZZNS1_14partition_implILS5_5ELb0ES3_mN6hipcub16HIPCUB_304000_NS21CountingInputIteratorIllEEPS6_NSA_22TransformInputIteratorIbN2at6native12_GLOBAL__N_19NonZeroOpIbEEPKblEENS0_5tupleIJPlS6_EEENSN_IJSD_SD_EEES6_PiJS6_EEE10hipError_tPvRmT3_T4_T5_T6_T7_T9_mT8_P12ihipStream_tbDpT10_ENKUlT_T0_E_clISt17integral_constantIbLb1EES1A_IbLb0EEEEDaS16_S17_EUlS16_E_NS1_11comp_targetILNS1_3genE2ELNS1_11target_archE906ELNS1_3gpuE6ELNS1_3repE0EEENS1_30default_config_static_selectorELNS0_4arch9wavefront6targetE0EEEvT1_,@function
_ZN7rocprim17ROCPRIM_400000_NS6detail17trampoline_kernelINS0_14default_configENS1_25partition_config_selectorILNS1_17partition_subalgoE5ElNS0_10empty_typeEbEEZZNS1_14partition_implILS5_5ELb0ES3_mN6hipcub16HIPCUB_304000_NS21CountingInputIteratorIllEEPS6_NSA_22TransformInputIteratorIbN2at6native12_GLOBAL__N_19NonZeroOpIbEEPKblEENS0_5tupleIJPlS6_EEENSN_IJSD_SD_EEES6_PiJS6_EEE10hipError_tPvRmT3_T4_T5_T6_T7_T9_mT8_P12ihipStream_tbDpT10_ENKUlT_T0_E_clISt17integral_constantIbLb1EES1A_IbLb0EEEEDaS16_S17_EUlS16_E_NS1_11comp_targetILNS1_3genE2ELNS1_11target_archE906ELNS1_3gpuE6ELNS1_3repE0EEENS1_30default_config_static_selectorELNS0_4arch9wavefront6targetE0EEEvT1_: ; @_ZN7rocprim17ROCPRIM_400000_NS6detail17trampoline_kernelINS0_14default_configENS1_25partition_config_selectorILNS1_17partition_subalgoE5ElNS0_10empty_typeEbEEZZNS1_14partition_implILS5_5ELb0ES3_mN6hipcub16HIPCUB_304000_NS21CountingInputIteratorIllEEPS6_NSA_22TransformInputIteratorIbN2at6native12_GLOBAL__N_19NonZeroOpIbEEPKblEENS0_5tupleIJPlS6_EEENSN_IJSD_SD_EEES6_PiJS6_EEE10hipError_tPvRmT3_T4_T5_T6_T7_T9_mT8_P12ihipStream_tbDpT10_ENKUlT_T0_E_clISt17integral_constantIbLb1EES1A_IbLb0EEEEDaS16_S17_EUlS16_E_NS1_11comp_targetILNS1_3genE2ELNS1_11target_archE906ELNS1_3gpuE6ELNS1_3repE0EEENS1_30default_config_static_selectorELNS0_4arch9wavefront6targetE0EEEvT1_
; %bb.0:
	.section	.rodata,"a",@progbits
	.p2align	6, 0x0
	.amdhsa_kernel _ZN7rocprim17ROCPRIM_400000_NS6detail17trampoline_kernelINS0_14default_configENS1_25partition_config_selectorILNS1_17partition_subalgoE5ElNS0_10empty_typeEbEEZZNS1_14partition_implILS5_5ELb0ES3_mN6hipcub16HIPCUB_304000_NS21CountingInputIteratorIllEEPS6_NSA_22TransformInputIteratorIbN2at6native12_GLOBAL__N_19NonZeroOpIbEEPKblEENS0_5tupleIJPlS6_EEENSN_IJSD_SD_EEES6_PiJS6_EEE10hipError_tPvRmT3_T4_T5_T6_T7_T9_mT8_P12ihipStream_tbDpT10_ENKUlT_T0_E_clISt17integral_constantIbLb1EES1A_IbLb0EEEEDaS16_S17_EUlS16_E_NS1_11comp_targetILNS1_3genE2ELNS1_11target_archE906ELNS1_3gpuE6ELNS1_3repE0EEENS1_30default_config_static_selectorELNS0_4arch9wavefront6targetE0EEEvT1_
		.amdhsa_group_segment_fixed_size 0
		.amdhsa_private_segment_fixed_size 0
		.amdhsa_kernarg_size 120
		.amdhsa_user_sgpr_count 2
		.amdhsa_user_sgpr_dispatch_ptr 0
		.amdhsa_user_sgpr_queue_ptr 0
		.amdhsa_user_sgpr_kernarg_segment_ptr 1
		.amdhsa_user_sgpr_dispatch_id 0
		.amdhsa_user_sgpr_private_segment_size 0
		.amdhsa_wavefront_size32 1
		.amdhsa_uses_dynamic_stack 0
		.amdhsa_enable_private_segment 0
		.amdhsa_system_sgpr_workgroup_id_x 1
		.amdhsa_system_sgpr_workgroup_id_y 0
		.amdhsa_system_sgpr_workgroup_id_z 0
		.amdhsa_system_sgpr_workgroup_info 0
		.amdhsa_system_vgpr_workitem_id 0
		.amdhsa_next_free_vgpr 1
		.amdhsa_next_free_sgpr 1
		.amdhsa_reserve_vcc 0
		.amdhsa_float_round_mode_32 0
		.amdhsa_float_round_mode_16_64 0
		.amdhsa_float_denorm_mode_32 3
		.amdhsa_float_denorm_mode_16_64 3
		.amdhsa_fp16_overflow 0
		.amdhsa_workgroup_processor_mode 1
		.amdhsa_memory_ordered 1
		.amdhsa_forward_progress 1
		.amdhsa_inst_pref_size 0
		.amdhsa_round_robin_scheduling 0
		.amdhsa_exception_fp_ieee_invalid_op 0
		.amdhsa_exception_fp_denorm_src 0
		.amdhsa_exception_fp_ieee_div_zero 0
		.amdhsa_exception_fp_ieee_overflow 0
		.amdhsa_exception_fp_ieee_underflow 0
		.amdhsa_exception_fp_ieee_inexact 0
		.amdhsa_exception_int_div_zero 0
	.end_amdhsa_kernel
	.section	.text._ZN7rocprim17ROCPRIM_400000_NS6detail17trampoline_kernelINS0_14default_configENS1_25partition_config_selectorILNS1_17partition_subalgoE5ElNS0_10empty_typeEbEEZZNS1_14partition_implILS5_5ELb0ES3_mN6hipcub16HIPCUB_304000_NS21CountingInputIteratorIllEEPS6_NSA_22TransformInputIteratorIbN2at6native12_GLOBAL__N_19NonZeroOpIbEEPKblEENS0_5tupleIJPlS6_EEENSN_IJSD_SD_EEES6_PiJS6_EEE10hipError_tPvRmT3_T4_T5_T6_T7_T9_mT8_P12ihipStream_tbDpT10_ENKUlT_T0_E_clISt17integral_constantIbLb1EES1A_IbLb0EEEEDaS16_S17_EUlS16_E_NS1_11comp_targetILNS1_3genE2ELNS1_11target_archE906ELNS1_3gpuE6ELNS1_3repE0EEENS1_30default_config_static_selectorELNS0_4arch9wavefront6targetE0EEEvT1_,"axG",@progbits,_ZN7rocprim17ROCPRIM_400000_NS6detail17trampoline_kernelINS0_14default_configENS1_25partition_config_selectorILNS1_17partition_subalgoE5ElNS0_10empty_typeEbEEZZNS1_14partition_implILS5_5ELb0ES3_mN6hipcub16HIPCUB_304000_NS21CountingInputIteratorIllEEPS6_NSA_22TransformInputIteratorIbN2at6native12_GLOBAL__N_19NonZeroOpIbEEPKblEENS0_5tupleIJPlS6_EEENSN_IJSD_SD_EEES6_PiJS6_EEE10hipError_tPvRmT3_T4_T5_T6_T7_T9_mT8_P12ihipStream_tbDpT10_ENKUlT_T0_E_clISt17integral_constantIbLb1EES1A_IbLb0EEEEDaS16_S17_EUlS16_E_NS1_11comp_targetILNS1_3genE2ELNS1_11target_archE906ELNS1_3gpuE6ELNS1_3repE0EEENS1_30default_config_static_selectorELNS0_4arch9wavefront6targetE0EEEvT1_,comdat
.Lfunc_end750:
	.size	_ZN7rocprim17ROCPRIM_400000_NS6detail17trampoline_kernelINS0_14default_configENS1_25partition_config_selectorILNS1_17partition_subalgoE5ElNS0_10empty_typeEbEEZZNS1_14partition_implILS5_5ELb0ES3_mN6hipcub16HIPCUB_304000_NS21CountingInputIteratorIllEEPS6_NSA_22TransformInputIteratorIbN2at6native12_GLOBAL__N_19NonZeroOpIbEEPKblEENS0_5tupleIJPlS6_EEENSN_IJSD_SD_EEES6_PiJS6_EEE10hipError_tPvRmT3_T4_T5_T6_T7_T9_mT8_P12ihipStream_tbDpT10_ENKUlT_T0_E_clISt17integral_constantIbLb1EES1A_IbLb0EEEEDaS16_S17_EUlS16_E_NS1_11comp_targetILNS1_3genE2ELNS1_11target_archE906ELNS1_3gpuE6ELNS1_3repE0EEENS1_30default_config_static_selectorELNS0_4arch9wavefront6targetE0EEEvT1_, .Lfunc_end750-_ZN7rocprim17ROCPRIM_400000_NS6detail17trampoline_kernelINS0_14default_configENS1_25partition_config_selectorILNS1_17partition_subalgoE5ElNS0_10empty_typeEbEEZZNS1_14partition_implILS5_5ELb0ES3_mN6hipcub16HIPCUB_304000_NS21CountingInputIteratorIllEEPS6_NSA_22TransformInputIteratorIbN2at6native12_GLOBAL__N_19NonZeroOpIbEEPKblEENS0_5tupleIJPlS6_EEENSN_IJSD_SD_EEES6_PiJS6_EEE10hipError_tPvRmT3_T4_T5_T6_T7_T9_mT8_P12ihipStream_tbDpT10_ENKUlT_T0_E_clISt17integral_constantIbLb1EES1A_IbLb0EEEEDaS16_S17_EUlS16_E_NS1_11comp_targetILNS1_3genE2ELNS1_11target_archE906ELNS1_3gpuE6ELNS1_3repE0EEENS1_30default_config_static_selectorELNS0_4arch9wavefront6targetE0EEEvT1_
                                        ; -- End function
	.set _ZN7rocprim17ROCPRIM_400000_NS6detail17trampoline_kernelINS0_14default_configENS1_25partition_config_selectorILNS1_17partition_subalgoE5ElNS0_10empty_typeEbEEZZNS1_14partition_implILS5_5ELb0ES3_mN6hipcub16HIPCUB_304000_NS21CountingInputIteratorIllEEPS6_NSA_22TransformInputIteratorIbN2at6native12_GLOBAL__N_19NonZeroOpIbEEPKblEENS0_5tupleIJPlS6_EEENSN_IJSD_SD_EEES6_PiJS6_EEE10hipError_tPvRmT3_T4_T5_T6_T7_T9_mT8_P12ihipStream_tbDpT10_ENKUlT_T0_E_clISt17integral_constantIbLb1EES1A_IbLb0EEEEDaS16_S17_EUlS16_E_NS1_11comp_targetILNS1_3genE2ELNS1_11target_archE906ELNS1_3gpuE6ELNS1_3repE0EEENS1_30default_config_static_selectorELNS0_4arch9wavefront6targetE0EEEvT1_.num_vgpr, 0
	.set _ZN7rocprim17ROCPRIM_400000_NS6detail17trampoline_kernelINS0_14default_configENS1_25partition_config_selectorILNS1_17partition_subalgoE5ElNS0_10empty_typeEbEEZZNS1_14partition_implILS5_5ELb0ES3_mN6hipcub16HIPCUB_304000_NS21CountingInputIteratorIllEEPS6_NSA_22TransformInputIteratorIbN2at6native12_GLOBAL__N_19NonZeroOpIbEEPKblEENS0_5tupleIJPlS6_EEENSN_IJSD_SD_EEES6_PiJS6_EEE10hipError_tPvRmT3_T4_T5_T6_T7_T9_mT8_P12ihipStream_tbDpT10_ENKUlT_T0_E_clISt17integral_constantIbLb1EES1A_IbLb0EEEEDaS16_S17_EUlS16_E_NS1_11comp_targetILNS1_3genE2ELNS1_11target_archE906ELNS1_3gpuE6ELNS1_3repE0EEENS1_30default_config_static_selectorELNS0_4arch9wavefront6targetE0EEEvT1_.num_agpr, 0
	.set _ZN7rocprim17ROCPRIM_400000_NS6detail17trampoline_kernelINS0_14default_configENS1_25partition_config_selectorILNS1_17partition_subalgoE5ElNS0_10empty_typeEbEEZZNS1_14partition_implILS5_5ELb0ES3_mN6hipcub16HIPCUB_304000_NS21CountingInputIteratorIllEEPS6_NSA_22TransformInputIteratorIbN2at6native12_GLOBAL__N_19NonZeroOpIbEEPKblEENS0_5tupleIJPlS6_EEENSN_IJSD_SD_EEES6_PiJS6_EEE10hipError_tPvRmT3_T4_T5_T6_T7_T9_mT8_P12ihipStream_tbDpT10_ENKUlT_T0_E_clISt17integral_constantIbLb1EES1A_IbLb0EEEEDaS16_S17_EUlS16_E_NS1_11comp_targetILNS1_3genE2ELNS1_11target_archE906ELNS1_3gpuE6ELNS1_3repE0EEENS1_30default_config_static_selectorELNS0_4arch9wavefront6targetE0EEEvT1_.numbered_sgpr, 0
	.set _ZN7rocprim17ROCPRIM_400000_NS6detail17trampoline_kernelINS0_14default_configENS1_25partition_config_selectorILNS1_17partition_subalgoE5ElNS0_10empty_typeEbEEZZNS1_14partition_implILS5_5ELb0ES3_mN6hipcub16HIPCUB_304000_NS21CountingInputIteratorIllEEPS6_NSA_22TransformInputIteratorIbN2at6native12_GLOBAL__N_19NonZeroOpIbEEPKblEENS0_5tupleIJPlS6_EEENSN_IJSD_SD_EEES6_PiJS6_EEE10hipError_tPvRmT3_T4_T5_T6_T7_T9_mT8_P12ihipStream_tbDpT10_ENKUlT_T0_E_clISt17integral_constantIbLb1EES1A_IbLb0EEEEDaS16_S17_EUlS16_E_NS1_11comp_targetILNS1_3genE2ELNS1_11target_archE906ELNS1_3gpuE6ELNS1_3repE0EEENS1_30default_config_static_selectorELNS0_4arch9wavefront6targetE0EEEvT1_.num_named_barrier, 0
	.set _ZN7rocprim17ROCPRIM_400000_NS6detail17trampoline_kernelINS0_14default_configENS1_25partition_config_selectorILNS1_17partition_subalgoE5ElNS0_10empty_typeEbEEZZNS1_14partition_implILS5_5ELb0ES3_mN6hipcub16HIPCUB_304000_NS21CountingInputIteratorIllEEPS6_NSA_22TransformInputIteratorIbN2at6native12_GLOBAL__N_19NonZeroOpIbEEPKblEENS0_5tupleIJPlS6_EEENSN_IJSD_SD_EEES6_PiJS6_EEE10hipError_tPvRmT3_T4_T5_T6_T7_T9_mT8_P12ihipStream_tbDpT10_ENKUlT_T0_E_clISt17integral_constantIbLb1EES1A_IbLb0EEEEDaS16_S17_EUlS16_E_NS1_11comp_targetILNS1_3genE2ELNS1_11target_archE906ELNS1_3gpuE6ELNS1_3repE0EEENS1_30default_config_static_selectorELNS0_4arch9wavefront6targetE0EEEvT1_.private_seg_size, 0
	.set _ZN7rocprim17ROCPRIM_400000_NS6detail17trampoline_kernelINS0_14default_configENS1_25partition_config_selectorILNS1_17partition_subalgoE5ElNS0_10empty_typeEbEEZZNS1_14partition_implILS5_5ELb0ES3_mN6hipcub16HIPCUB_304000_NS21CountingInputIteratorIllEEPS6_NSA_22TransformInputIteratorIbN2at6native12_GLOBAL__N_19NonZeroOpIbEEPKblEENS0_5tupleIJPlS6_EEENSN_IJSD_SD_EEES6_PiJS6_EEE10hipError_tPvRmT3_T4_T5_T6_T7_T9_mT8_P12ihipStream_tbDpT10_ENKUlT_T0_E_clISt17integral_constantIbLb1EES1A_IbLb0EEEEDaS16_S17_EUlS16_E_NS1_11comp_targetILNS1_3genE2ELNS1_11target_archE906ELNS1_3gpuE6ELNS1_3repE0EEENS1_30default_config_static_selectorELNS0_4arch9wavefront6targetE0EEEvT1_.uses_vcc, 0
	.set _ZN7rocprim17ROCPRIM_400000_NS6detail17trampoline_kernelINS0_14default_configENS1_25partition_config_selectorILNS1_17partition_subalgoE5ElNS0_10empty_typeEbEEZZNS1_14partition_implILS5_5ELb0ES3_mN6hipcub16HIPCUB_304000_NS21CountingInputIteratorIllEEPS6_NSA_22TransformInputIteratorIbN2at6native12_GLOBAL__N_19NonZeroOpIbEEPKblEENS0_5tupleIJPlS6_EEENSN_IJSD_SD_EEES6_PiJS6_EEE10hipError_tPvRmT3_T4_T5_T6_T7_T9_mT8_P12ihipStream_tbDpT10_ENKUlT_T0_E_clISt17integral_constantIbLb1EES1A_IbLb0EEEEDaS16_S17_EUlS16_E_NS1_11comp_targetILNS1_3genE2ELNS1_11target_archE906ELNS1_3gpuE6ELNS1_3repE0EEENS1_30default_config_static_selectorELNS0_4arch9wavefront6targetE0EEEvT1_.uses_flat_scratch, 0
	.set _ZN7rocprim17ROCPRIM_400000_NS6detail17trampoline_kernelINS0_14default_configENS1_25partition_config_selectorILNS1_17partition_subalgoE5ElNS0_10empty_typeEbEEZZNS1_14partition_implILS5_5ELb0ES3_mN6hipcub16HIPCUB_304000_NS21CountingInputIteratorIllEEPS6_NSA_22TransformInputIteratorIbN2at6native12_GLOBAL__N_19NonZeroOpIbEEPKblEENS0_5tupleIJPlS6_EEENSN_IJSD_SD_EEES6_PiJS6_EEE10hipError_tPvRmT3_T4_T5_T6_T7_T9_mT8_P12ihipStream_tbDpT10_ENKUlT_T0_E_clISt17integral_constantIbLb1EES1A_IbLb0EEEEDaS16_S17_EUlS16_E_NS1_11comp_targetILNS1_3genE2ELNS1_11target_archE906ELNS1_3gpuE6ELNS1_3repE0EEENS1_30default_config_static_selectorELNS0_4arch9wavefront6targetE0EEEvT1_.has_dyn_sized_stack, 0
	.set _ZN7rocprim17ROCPRIM_400000_NS6detail17trampoline_kernelINS0_14default_configENS1_25partition_config_selectorILNS1_17partition_subalgoE5ElNS0_10empty_typeEbEEZZNS1_14partition_implILS5_5ELb0ES3_mN6hipcub16HIPCUB_304000_NS21CountingInputIteratorIllEEPS6_NSA_22TransformInputIteratorIbN2at6native12_GLOBAL__N_19NonZeroOpIbEEPKblEENS0_5tupleIJPlS6_EEENSN_IJSD_SD_EEES6_PiJS6_EEE10hipError_tPvRmT3_T4_T5_T6_T7_T9_mT8_P12ihipStream_tbDpT10_ENKUlT_T0_E_clISt17integral_constantIbLb1EES1A_IbLb0EEEEDaS16_S17_EUlS16_E_NS1_11comp_targetILNS1_3genE2ELNS1_11target_archE906ELNS1_3gpuE6ELNS1_3repE0EEENS1_30default_config_static_selectorELNS0_4arch9wavefront6targetE0EEEvT1_.has_recursion, 0
	.set _ZN7rocprim17ROCPRIM_400000_NS6detail17trampoline_kernelINS0_14default_configENS1_25partition_config_selectorILNS1_17partition_subalgoE5ElNS0_10empty_typeEbEEZZNS1_14partition_implILS5_5ELb0ES3_mN6hipcub16HIPCUB_304000_NS21CountingInputIteratorIllEEPS6_NSA_22TransformInputIteratorIbN2at6native12_GLOBAL__N_19NonZeroOpIbEEPKblEENS0_5tupleIJPlS6_EEENSN_IJSD_SD_EEES6_PiJS6_EEE10hipError_tPvRmT3_T4_T5_T6_T7_T9_mT8_P12ihipStream_tbDpT10_ENKUlT_T0_E_clISt17integral_constantIbLb1EES1A_IbLb0EEEEDaS16_S17_EUlS16_E_NS1_11comp_targetILNS1_3genE2ELNS1_11target_archE906ELNS1_3gpuE6ELNS1_3repE0EEENS1_30default_config_static_selectorELNS0_4arch9wavefront6targetE0EEEvT1_.has_indirect_call, 0
	.section	.AMDGPU.csdata,"",@progbits
; Kernel info:
; codeLenInByte = 0
; TotalNumSgprs: 0
; NumVgprs: 0
; ScratchSize: 0
; MemoryBound: 0
; FloatMode: 240
; IeeeMode: 1
; LDSByteSize: 0 bytes/workgroup (compile time only)
; SGPRBlocks: 0
; VGPRBlocks: 0
; NumSGPRsForWavesPerEU: 1
; NumVGPRsForWavesPerEU: 1
; Occupancy: 16
; WaveLimiterHint : 0
; COMPUTE_PGM_RSRC2:SCRATCH_EN: 0
; COMPUTE_PGM_RSRC2:USER_SGPR: 2
; COMPUTE_PGM_RSRC2:TRAP_HANDLER: 0
; COMPUTE_PGM_RSRC2:TGID_X_EN: 1
; COMPUTE_PGM_RSRC2:TGID_Y_EN: 0
; COMPUTE_PGM_RSRC2:TGID_Z_EN: 0
; COMPUTE_PGM_RSRC2:TIDIG_COMP_CNT: 0
	.section	.text._ZN7rocprim17ROCPRIM_400000_NS6detail17trampoline_kernelINS0_14default_configENS1_25partition_config_selectorILNS1_17partition_subalgoE5ElNS0_10empty_typeEbEEZZNS1_14partition_implILS5_5ELb0ES3_mN6hipcub16HIPCUB_304000_NS21CountingInputIteratorIllEEPS6_NSA_22TransformInputIteratorIbN2at6native12_GLOBAL__N_19NonZeroOpIbEEPKblEENS0_5tupleIJPlS6_EEENSN_IJSD_SD_EEES6_PiJS6_EEE10hipError_tPvRmT3_T4_T5_T6_T7_T9_mT8_P12ihipStream_tbDpT10_ENKUlT_T0_E_clISt17integral_constantIbLb1EES1A_IbLb0EEEEDaS16_S17_EUlS16_E_NS1_11comp_targetILNS1_3genE10ELNS1_11target_archE1200ELNS1_3gpuE4ELNS1_3repE0EEENS1_30default_config_static_selectorELNS0_4arch9wavefront6targetE0EEEvT1_,"axG",@progbits,_ZN7rocprim17ROCPRIM_400000_NS6detail17trampoline_kernelINS0_14default_configENS1_25partition_config_selectorILNS1_17partition_subalgoE5ElNS0_10empty_typeEbEEZZNS1_14partition_implILS5_5ELb0ES3_mN6hipcub16HIPCUB_304000_NS21CountingInputIteratorIllEEPS6_NSA_22TransformInputIteratorIbN2at6native12_GLOBAL__N_19NonZeroOpIbEEPKblEENS0_5tupleIJPlS6_EEENSN_IJSD_SD_EEES6_PiJS6_EEE10hipError_tPvRmT3_T4_T5_T6_T7_T9_mT8_P12ihipStream_tbDpT10_ENKUlT_T0_E_clISt17integral_constantIbLb1EES1A_IbLb0EEEEDaS16_S17_EUlS16_E_NS1_11comp_targetILNS1_3genE10ELNS1_11target_archE1200ELNS1_3gpuE4ELNS1_3repE0EEENS1_30default_config_static_selectorELNS0_4arch9wavefront6targetE0EEEvT1_,comdat
	.globl	_ZN7rocprim17ROCPRIM_400000_NS6detail17trampoline_kernelINS0_14default_configENS1_25partition_config_selectorILNS1_17partition_subalgoE5ElNS0_10empty_typeEbEEZZNS1_14partition_implILS5_5ELb0ES3_mN6hipcub16HIPCUB_304000_NS21CountingInputIteratorIllEEPS6_NSA_22TransformInputIteratorIbN2at6native12_GLOBAL__N_19NonZeroOpIbEEPKblEENS0_5tupleIJPlS6_EEENSN_IJSD_SD_EEES6_PiJS6_EEE10hipError_tPvRmT3_T4_T5_T6_T7_T9_mT8_P12ihipStream_tbDpT10_ENKUlT_T0_E_clISt17integral_constantIbLb1EES1A_IbLb0EEEEDaS16_S17_EUlS16_E_NS1_11comp_targetILNS1_3genE10ELNS1_11target_archE1200ELNS1_3gpuE4ELNS1_3repE0EEENS1_30default_config_static_selectorELNS0_4arch9wavefront6targetE0EEEvT1_ ; -- Begin function _ZN7rocprim17ROCPRIM_400000_NS6detail17trampoline_kernelINS0_14default_configENS1_25partition_config_selectorILNS1_17partition_subalgoE5ElNS0_10empty_typeEbEEZZNS1_14partition_implILS5_5ELb0ES3_mN6hipcub16HIPCUB_304000_NS21CountingInputIteratorIllEEPS6_NSA_22TransformInputIteratorIbN2at6native12_GLOBAL__N_19NonZeroOpIbEEPKblEENS0_5tupleIJPlS6_EEENSN_IJSD_SD_EEES6_PiJS6_EEE10hipError_tPvRmT3_T4_T5_T6_T7_T9_mT8_P12ihipStream_tbDpT10_ENKUlT_T0_E_clISt17integral_constantIbLb1EES1A_IbLb0EEEEDaS16_S17_EUlS16_E_NS1_11comp_targetILNS1_3genE10ELNS1_11target_archE1200ELNS1_3gpuE4ELNS1_3repE0EEENS1_30default_config_static_selectorELNS0_4arch9wavefront6targetE0EEEvT1_
	.p2align	8
	.type	_ZN7rocprim17ROCPRIM_400000_NS6detail17trampoline_kernelINS0_14default_configENS1_25partition_config_selectorILNS1_17partition_subalgoE5ElNS0_10empty_typeEbEEZZNS1_14partition_implILS5_5ELb0ES3_mN6hipcub16HIPCUB_304000_NS21CountingInputIteratorIllEEPS6_NSA_22TransformInputIteratorIbN2at6native12_GLOBAL__N_19NonZeroOpIbEEPKblEENS0_5tupleIJPlS6_EEENSN_IJSD_SD_EEES6_PiJS6_EEE10hipError_tPvRmT3_T4_T5_T6_T7_T9_mT8_P12ihipStream_tbDpT10_ENKUlT_T0_E_clISt17integral_constantIbLb1EES1A_IbLb0EEEEDaS16_S17_EUlS16_E_NS1_11comp_targetILNS1_3genE10ELNS1_11target_archE1200ELNS1_3gpuE4ELNS1_3repE0EEENS1_30default_config_static_selectorELNS0_4arch9wavefront6targetE0EEEvT1_,@function
_ZN7rocprim17ROCPRIM_400000_NS6detail17trampoline_kernelINS0_14default_configENS1_25partition_config_selectorILNS1_17partition_subalgoE5ElNS0_10empty_typeEbEEZZNS1_14partition_implILS5_5ELb0ES3_mN6hipcub16HIPCUB_304000_NS21CountingInputIteratorIllEEPS6_NSA_22TransformInputIteratorIbN2at6native12_GLOBAL__N_19NonZeroOpIbEEPKblEENS0_5tupleIJPlS6_EEENSN_IJSD_SD_EEES6_PiJS6_EEE10hipError_tPvRmT3_T4_T5_T6_T7_T9_mT8_P12ihipStream_tbDpT10_ENKUlT_T0_E_clISt17integral_constantIbLb1EES1A_IbLb0EEEEDaS16_S17_EUlS16_E_NS1_11comp_targetILNS1_3genE10ELNS1_11target_archE1200ELNS1_3gpuE4ELNS1_3repE0EEENS1_30default_config_static_selectorELNS0_4arch9wavefront6targetE0EEEvT1_: ; @_ZN7rocprim17ROCPRIM_400000_NS6detail17trampoline_kernelINS0_14default_configENS1_25partition_config_selectorILNS1_17partition_subalgoE5ElNS0_10empty_typeEbEEZZNS1_14partition_implILS5_5ELb0ES3_mN6hipcub16HIPCUB_304000_NS21CountingInputIteratorIllEEPS6_NSA_22TransformInputIteratorIbN2at6native12_GLOBAL__N_19NonZeroOpIbEEPKblEENS0_5tupleIJPlS6_EEENSN_IJSD_SD_EEES6_PiJS6_EEE10hipError_tPvRmT3_T4_T5_T6_T7_T9_mT8_P12ihipStream_tbDpT10_ENKUlT_T0_E_clISt17integral_constantIbLb1EES1A_IbLb0EEEEDaS16_S17_EUlS16_E_NS1_11comp_targetILNS1_3genE10ELNS1_11target_archE1200ELNS1_3gpuE4ELNS1_3repE0EEENS1_30default_config_static_selectorELNS0_4arch9wavefront6targetE0EEEvT1_
; %bb.0:
	s_endpgm
	.section	.rodata,"a",@progbits
	.p2align	6, 0x0
	.amdhsa_kernel _ZN7rocprim17ROCPRIM_400000_NS6detail17trampoline_kernelINS0_14default_configENS1_25partition_config_selectorILNS1_17partition_subalgoE5ElNS0_10empty_typeEbEEZZNS1_14partition_implILS5_5ELb0ES3_mN6hipcub16HIPCUB_304000_NS21CountingInputIteratorIllEEPS6_NSA_22TransformInputIteratorIbN2at6native12_GLOBAL__N_19NonZeroOpIbEEPKblEENS0_5tupleIJPlS6_EEENSN_IJSD_SD_EEES6_PiJS6_EEE10hipError_tPvRmT3_T4_T5_T6_T7_T9_mT8_P12ihipStream_tbDpT10_ENKUlT_T0_E_clISt17integral_constantIbLb1EES1A_IbLb0EEEEDaS16_S17_EUlS16_E_NS1_11comp_targetILNS1_3genE10ELNS1_11target_archE1200ELNS1_3gpuE4ELNS1_3repE0EEENS1_30default_config_static_selectorELNS0_4arch9wavefront6targetE0EEEvT1_
		.amdhsa_group_segment_fixed_size 0
		.amdhsa_private_segment_fixed_size 0
		.amdhsa_kernarg_size 120
		.amdhsa_user_sgpr_count 2
		.amdhsa_user_sgpr_dispatch_ptr 0
		.amdhsa_user_sgpr_queue_ptr 0
		.amdhsa_user_sgpr_kernarg_segment_ptr 1
		.amdhsa_user_sgpr_dispatch_id 0
		.amdhsa_user_sgpr_private_segment_size 0
		.amdhsa_wavefront_size32 1
		.amdhsa_uses_dynamic_stack 0
		.amdhsa_enable_private_segment 0
		.amdhsa_system_sgpr_workgroup_id_x 1
		.amdhsa_system_sgpr_workgroup_id_y 0
		.amdhsa_system_sgpr_workgroup_id_z 0
		.amdhsa_system_sgpr_workgroup_info 0
		.amdhsa_system_vgpr_workitem_id 0
		.amdhsa_next_free_vgpr 1
		.amdhsa_next_free_sgpr 1
		.amdhsa_reserve_vcc 0
		.amdhsa_float_round_mode_32 0
		.amdhsa_float_round_mode_16_64 0
		.amdhsa_float_denorm_mode_32 3
		.amdhsa_float_denorm_mode_16_64 3
		.amdhsa_fp16_overflow 0
		.amdhsa_workgroup_processor_mode 1
		.amdhsa_memory_ordered 1
		.amdhsa_forward_progress 1
		.amdhsa_inst_pref_size 1
		.amdhsa_round_robin_scheduling 0
		.amdhsa_exception_fp_ieee_invalid_op 0
		.amdhsa_exception_fp_denorm_src 0
		.amdhsa_exception_fp_ieee_div_zero 0
		.amdhsa_exception_fp_ieee_overflow 0
		.amdhsa_exception_fp_ieee_underflow 0
		.amdhsa_exception_fp_ieee_inexact 0
		.amdhsa_exception_int_div_zero 0
	.end_amdhsa_kernel
	.section	.text._ZN7rocprim17ROCPRIM_400000_NS6detail17trampoline_kernelINS0_14default_configENS1_25partition_config_selectorILNS1_17partition_subalgoE5ElNS0_10empty_typeEbEEZZNS1_14partition_implILS5_5ELb0ES3_mN6hipcub16HIPCUB_304000_NS21CountingInputIteratorIllEEPS6_NSA_22TransformInputIteratorIbN2at6native12_GLOBAL__N_19NonZeroOpIbEEPKblEENS0_5tupleIJPlS6_EEENSN_IJSD_SD_EEES6_PiJS6_EEE10hipError_tPvRmT3_T4_T5_T6_T7_T9_mT8_P12ihipStream_tbDpT10_ENKUlT_T0_E_clISt17integral_constantIbLb1EES1A_IbLb0EEEEDaS16_S17_EUlS16_E_NS1_11comp_targetILNS1_3genE10ELNS1_11target_archE1200ELNS1_3gpuE4ELNS1_3repE0EEENS1_30default_config_static_selectorELNS0_4arch9wavefront6targetE0EEEvT1_,"axG",@progbits,_ZN7rocprim17ROCPRIM_400000_NS6detail17trampoline_kernelINS0_14default_configENS1_25partition_config_selectorILNS1_17partition_subalgoE5ElNS0_10empty_typeEbEEZZNS1_14partition_implILS5_5ELb0ES3_mN6hipcub16HIPCUB_304000_NS21CountingInputIteratorIllEEPS6_NSA_22TransformInputIteratorIbN2at6native12_GLOBAL__N_19NonZeroOpIbEEPKblEENS0_5tupleIJPlS6_EEENSN_IJSD_SD_EEES6_PiJS6_EEE10hipError_tPvRmT3_T4_T5_T6_T7_T9_mT8_P12ihipStream_tbDpT10_ENKUlT_T0_E_clISt17integral_constantIbLb1EES1A_IbLb0EEEEDaS16_S17_EUlS16_E_NS1_11comp_targetILNS1_3genE10ELNS1_11target_archE1200ELNS1_3gpuE4ELNS1_3repE0EEENS1_30default_config_static_selectorELNS0_4arch9wavefront6targetE0EEEvT1_,comdat
.Lfunc_end751:
	.size	_ZN7rocprim17ROCPRIM_400000_NS6detail17trampoline_kernelINS0_14default_configENS1_25partition_config_selectorILNS1_17partition_subalgoE5ElNS0_10empty_typeEbEEZZNS1_14partition_implILS5_5ELb0ES3_mN6hipcub16HIPCUB_304000_NS21CountingInputIteratorIllEEPS6_NSA_22TransformInputIteratorIbN2at6native12_GLOBAL__N_19NonZeroOpIbEEPKblEENS0_5tupleIJPlS6_EEENSN_IJSD_SD_EEES6_PiJS6_EEE10hipError_tPvRmT3_T4_T5_T6_T7_T9_mT8_P12ihipStream_tbDpT10_ENKUlT_T0_E_clISt17integral_constantIbLb1EES1A_IbLb0EEEEDaS16_S17_EUlS16_E_NS1_11comp_targetILNS1_3genE10ELNS1_11target_archE1200ELNS1_3gpuE4ELNS1_3repE0EEENS1_30default_config_static_selectorELNS0_4arch9wavefront6targetE0EEEvT1_, .Lfunc_end751-_ZN7rocprim17ROCPRIM_400000_NS6detail17trampoline_kernelINS0_14default_configENS1_25partition_config_selectorILNS1_17partition_subalgoE5ElNS0_10empty_typeEbEEZZNS1_14partition_implILS5_5ELb0ES3_mN6hipcub16HIPCUB_304000_NS21CountingInputIteratorIllEEPS6_NSA_22TransformInputIteratorIbN2at6native12_GLOBAL__N_19NonZeroOpIbEEPKblEENS0_5tupleIJPlS6_EEENSN_IJSD_SD_EEES6_PiJS6_EEE10hipError_tPvRmT3_T4_T5_T6_T7_T9_mT8_P12ihipStream_tbDpT10_ENKUlT_T0_E_clISt17integral_constantIbLb1EES1A_IbLb0EEEEDaS16_S17_EUlS16_E_NS1_11comp_targetILNS1_3genE10ELNS1_11target_archE1200ELNS1_3gpuE4ELNS1_3repE0EEENS1_30default_config_static_selectorELNS0_4arch9wavefront6targetE0EEEvT1_
                                        ; -- End function
	.set _ZN7rocprim17ROCPRIM_400000_NS6detail17trampoline_kernelINS0_14default_configENS1_25partition_config_selectorILNS1_17partition_subalgoE5ElNS0_10empty_typeEbEEZZNS1_14partition_implILS5_5ELb0ES3_mN6hipcub16HIPCUB_304000_NS21CountingInputIteratorIllEEPS6_NSA_22TransformInputIteratorIbN2at6native12_GLOBAL__N_19NonZeroOpIbEEPKblEENS0_5tupleIJPlS6_EEENSN_IJSD_SD_EEES6_PiJS6_EEE10hipError_tPvRmT3_T4_T5_T6_T7_T9_mT8_P12ihipStream_tbDpT10_ENKUlT_T0_E_clISt17integral_constantIbLb1EES1A_IbLb0EEEEDaS16_S17_EUlS16_E_NS1_11comp_targetILNS1_3genE10ELNS1_11target_archE1200ELNS1_3gpuE4ELNS1_3repE0EEENS1_30default_config_static_selectorELNS0_4arch9wavefront6targetE0EEEvT1_.num_vgpr, 0
	.set _ZN7rocprim17ROCPRIM_400000_NS6detail17trampoline_kernelINS0_14default_configENS1_25partition_config_selectorILNS1_17partition_subalgoE5ElNS0_10empty_typeEbEEZZNS1_14partition_implILS5_5ELb0ES3_mN6hipcub16HIPCUB_304000_NS21CountingInputIteratorIllEEPS6_NSA_22TransformInputIteratorIbN2at6native12_GLOBAL__N_19NonZeroOpIbEEPKblEENS0_5tupleIJPlS6_EEENSN_IJSD_SD_EEES6_PiJS6_EEE10hipError_tPvRmT3_T4_T5_T6_T7_T9_mT8_P12ihipStream_tbDpT10_ENKUlT_T0_E_clISt17integral_constantIbLb1EES1A_IbLb0EEEEDaS16_S17_EUlS16_E_NS1_11comp_targetILNS1_3genE10ELNS1_11target_archE1200ELNS1_3gpuE4ELNS1_3repE0EEENS1_30default_config_static_selectorELNS0_4arch9wavefront6targetE0EEEvT1_.num_agpr, 0
	.set _ZN7rocprim17ROCPRIM_400000_NS6detail17trampoline_kernelINS0_14default_configENS1_25partition_config_selectorILNS1_17partition_subalgoE5ElNS0_10empty_typeEbEEZZNS1_14partition_implILS5_5ELb0ES3_mN6hipcub16HIPCUB_304000_NS21CountingInputIteratorIllEEPS6_NSA_22TransformInputIteratorIbN2at6native12_GLOBAL__N_19NonZeroOpIbEEPKblEENS0_5tupleIJPlS6_EEENSN_IJSD_SD_EEES6_PiJS6_EEE10hipError_tPvRmT3_T4_T5_T6_T7_T9_mT8_P12ihipStream_tbDpT10_ENKUlT_T0_E_clISt17integral_constantIbLb1EES1A_IbLb0EEEEDaS16_S17_EUlS16_E_NS1_11comp_targetILNS1_3genE10ELNS1_11target_archE1200ELNS1_3gpuE4ELNS1_3repE0EEENS1_30default_config_static_selectorELNS0_4arch9wavefront6targetE0EEEvT1_.numbered_sgpr, 0
	.set _ZN7rocprim17ROCPRIM_400000_NS6detail17trampoline_kernelINS0_14default_configENS1_25partition_config_selectorILNS1_17partition_subalgoE5ElNS0_10empty_typeEbEEZZNS1_14partition_implILS5_5ELb0ES3_mN6hipcub16HIPCUB_304000_NS21CountingInputIteratorIllEEPS6_NSA_22TransformInputIteratorIbN2at6native12_GLOBAL__N_19NonZeroOpIbEEPKblEENS0_5tupleIJPlS6_EEENSN_IJSD_SD_EEES6_PiJS6_EEE10hipError_tPvRmT3_T4_T5_T6_T7_T9_mT8_P12ihipStream_tbDpT10_ENKUlT_T0_E_clISt17integral_constantIbLb1EES1A_IbLb0EEEEDaS16_S17_EUlS16_E_NS1_11comp_targetILNS1_3genE10ELNS1_11target_archE1200ELNS1_3gpuE4ELNS1_3repE0EEENS1_30default_config_static_selectorELNS0_4arch9wavefront6targetE0EEEvT1_.num_named_barrier, 0
	.set _ZN7rocprim17ROCPRIM_400000_NS6detail17trampoline_kernelINS0_14default_configENS1_25partition_config_selectorILNS1_17partition_subalgoE5ElNS0_10empty_typeEbEEZZNS1_14partition_implILS5_5ELb0ES3_mN6hipcub16HIPCUB_304000_NS21CountingInputIteratorIllEEPS6_NSA_22TransformInputIteratorIbN2at6native12_GLOBAL__N_19NonZeroOpIbEEPKblEENS0_5tupleIJPlS6_EEENSN_IJSD_SD_EEES6_PiJS6_EEE10hipError_tPvRmT3_T4_T5_T6_T7_T9_mT8_P12ihipStream_tbDpT10_ENKUlT_T0_E_clISt17integral_constantIbLb1EES1A_IbLb0EEEEDaS16_S17_EUlS16_E_NS1_11comp_targetILNS1_3genE10ELNS1_11target_archE1200ELNS1_3gpuE4ELNS1_3repE0EEENS1_30default_config_static_selectorELNS0_4arch9wavefront6targetE0EEEvT1_.private_seg_size, 0
	.set _ZN7rocprim17ROCPRIM_400000_NS6detail17trampoline_kernelINS0_14default_configENS1_25partition_config_selectorILNS1_17partition_subalgoE5ElNS0_10empty_typeEbEEZZNS1_14partition_implILS5_5ELb0ES3_mN6hipcub16HIPCUB_304000_NS21CountingInputIteratorIllEEPS6_NSA_22TransformInputIteratorIbN2at6native12_GLOBAL__N_19NonZeroOpIbEEPKblEENS0_5tupleIJPlS6_EEENSN_IJSD_SD_EEES6_PiJS6_EEE10hipError_tPvRmT3_T4_T5_T6_T7_T9_mT8_P12ihipStream_tbDpT10_ENKUlT_T0_E_clISt17integral_constantIbLb1EES1A_IbLb0EEEEDaS16_S17_EUlS16_E_NS1_11comp_targetILNS1_3genE10ELNS1_11target_archE1200ELNS1_3gpuE4ELNS1_3repE0EEENS1_30default_config_static_selectorELNS0_4arch9wavefront6targetE0EEEvT1_.uses_vcc, 0
	.set _ZN7rocprim17ROCPRIM_400000_NS6detail17trampoline_kernelINS0_14default_configENS1_25partition_config_selectorILNS1_17partition_subalgoE5ElNS0_10empty_typeEbEEZZNS1_14partition_implILS5_5ELb0ES3_mN6hipcub16HIPCUB_304000_NS21CountingInputIteratorIllEEPS6_NSA_22TransformInputIteratorIbN2at6native12_GLOBAL__N_19NonZeroOpIbEEPKblEENS0_5tupleIJPlS6_EEENSN_IJSD_SD_EEES6_PiJS6_EEE10hipError_tPvRmT3_T4_T5_T6_T7_T9_mT8_P12ihipStream_tbDpT10_ENKUlT_T0_E_clISt17integral_constantIbLb1EES1A_IbLb0EEEEDaS16_S17_EUlS16_E_NS1_11comp_targetILNS1_3genE10ELNS1_11target_archE1200ELNS1_3gpuE4ELNS1_3repE0EEENS1_30default_config_static_selectorELNS0_4arch9wavefront6targetE0EEEvT1_.uses_flat_scratch, 0
	.set _ZN7rocprim17ROCPRIM_400000_NS6detail17trampoline_kernelINS0_14default_configENS1_25partition_config_selectorILNS1_17partition_subalgoE5ElNS0_10empty_typeEbEEZZNS1_14partition_implILS5_5ELb0ES3_mN6hipcub16HIPCUB_304000_NS21CountingInputIteratorIllEEPS6_NSA_22TransformInputIteratorIbN2at6native12_GLOBAL__N_19NonZeroOpIbEEPKblEENS0_5tupleIJPlS6_EEENSN_IJSD_SD_EEES6_PiJS6_EEE10hipError_tPvRmT3_T4_T5_T6_T7_T9_mT8_P12ihipStream_tbDpT10_ENKUlT_T0_E_clISt17integral_constantIbLb1EES1A_IbLb0EEEEDaS16_S17_EUlS16_E_NS1_11comp_targetILNS1_3genE10ELNS1_11target_archE1200ELNS1_3gpuE4ELNS1_3repE0EEENS1_30default_config_static_selectorELNS0_4arch9wavefront6targetE0EEEvT1_.has_dyn_sized_stack, 0
	.set _ZN7rocprim17ROCPRIM_400000_NS6detail17trampoline_kernelINS0_14default_configENS1_25partition_config_selectorILNS1_17partition_subalgoE5ElNS0_10empty_typeEbEEZZNS1_14partition_implILS5_5ELb0ES3_mN6hipcub16HIPCUB_304000_NS21CountingInputIteratorIllEEPS6_NSA_22TransformInputIteratorIbN2at6native12_GLOBAL__N_19NonZeroOpIbEEPKblEENS0_5tupleIJPlS6_EEENSN_IJSD_SD_EEES6_PiJS6_EEE10hipError_tPvRmT3_T4_T5_T6_T7_T9_mT8_P12ihipStream_tbDpT10_ENKUlT_T0_E_clISt17integral_constantIbLb1EES1A_IbLb0EEEEDaS16_S17_EUlS16_E_NS1_11comp_targetILNS1_3genE10ELNS1_11target_archE1200ELNS1_3gpuE4ELNS1_3repE0EEENS1_30default_config_static_selectorELNS0_4arch9wavefront6targetE0EEEvT1_.has_recursion, 0
	.set _ZN7rocprim17ROCPRIM_400000_NS6detail17trampoline_kernelINS0_14default_configENS1_25partition_config_selectorILNS1_17partition_subalgoE5ElNS0_10empty_typeEbEEZZNS1_14partition_implILS5_5ELb0ES3_mN6hipcub16HIPCUB_304000_NS21CountingInputIteratorIllEEPS6_NSA_22TransformInputIteratorIbN2at6native12_GLOBAL__N_19NonZeroOpIbEEPKblEENS0_5tupleIJPlS6_EEENSN_IJSD_SD_EEES6_PiJS6_EEE10hipError_tPvRmT3_T4_T5_T6_T7_T9_mT8_P12ihipStream_tbDpT10_ENKUlT_T0_E_clISt17integral_constantIbLb1EES1A_IbLb0EEEEDaS16_S17_EUlS16_E_NS1_11comp_targetILNS1_3genE10ELNS1_11target_archE1200ELNS1_3gpuE4ELNS1_3repE0EEENS1_30default_config_static_selectorELNS0_4arch9wavefront6targetE0EEEvT1_.has_indirect_call, 0
	.section	.AMDGPU.csdata,"",@progbits
; Kernel info:
; codeLenInByte = 4
; TotalNumSgprs: 0
; NumVgprs: 0
; ScratchSize: 0
; MemoryBound: 0
; FloatMode: 240
; IeeeMode: 1
; LDSByteSize: 0 bytes/workgroup (compile time only)
; SGPRBlocks: 0
; VGPRBlocks: 0
; NumSGPRsForWavesPerEU: 1
; NumVGPRsForWavesPerEU: 1
; Occupancy: 16
; WaveLimiterHint : 0
; COMPUTE_PGM_RSRC2:SCRATCH_EN: 0
; COMPUTE_PGM_RSRC2:USER_SGPR: 2
; COMPUTE_PGM_RSRC2:TRAP_HANDLER: 0
; COMPUTE_PGM_RSRC2:TGID_X_EN: 1
; COMPUTE_PGM_RSRC2:TGID_Y_EN: 0
; COMPUTE_PGM_RSRC2:TGID_Z_EN: 0
; COMPUTE_PGM_RSRC2:TIDIG_COMP_CNT: 0
	.section	.text._ZN7rocprim17ROCPRIM_400000_NS6detail17trampoline_kernelINS0_14default_configENS1_25partition_config_selectorILNS1_17partition_subalgoE5ElNS0_10empty_typeEbEEZZNS1_14partition_implILS5_5ELb0ES3_mN6hipcub16HIPCUB_304000_NS21CountingInputIteratorIllEEPS6_NSA_22TransformInputIteratorIbN2at6native12_GLOBAL__N_19NonZeroOpIbEEPKblEENS0_5tupleIJPlS6_EEENSN_IJSD_SD_EEES6_PiJS6_EEE10hipError_tPvRmT3_T4_T5_T6_T7_T9_mT8_P12ihipStream_tbDpT10_ENKUlT_T0_E_clISt17integral_constantIbLb1EES1A_IbLb0EEEEDaS16_S17_EUlS16_E_NS1_11comp_targetILNS1_3genE9ELNS1_11target_archE1100ELNS1_3gpuE3ELNS1_3repE0EEENS1_30default_config_static_selectorELNS0_4arch9wavefront6targetE0EEEvT1_,"axG",@progbits,_ZN7rocprim17ROCPRIM_400000_NS6detail17trampoline_kernelINS0_14default_configENS1_25partition_config_selectorILNS1_17partition_subalgoE5ElNS0_10empty_typeEbEEZZNS1_14partition_implILS5_5ELb0ES3_mN6hipcub16HIPCUB_304000_NS21CountingInputIteratorIllEEPS6_NSA_22TransformInputIteratorIbN2at6native12_GLOBAL__N_19NonZeroOpIbEEPKblEENS0_5tupleIJPlS6_EEENSN_IJSD_SD_EEES6_PiJS6_EEE10hipError_tPvRmT3_T4_T5_T6_T7_T9_mT8_P12ihipStream_tbDpT10_ENKUlT_T0_E_clISt17integral_constantIbLb1EES1A_IbLb0EEEEDaS16_S17_EUlS16_E_NS1_11comp_targetILNS1_3genE9ELNS1_11target_archE1100ELNS1_3gpuE3ELNS1_3repE0EEENS1_30default_config_static_selectorELNS0_4arch9wavefront6targetE0EEEvT1_,comdat
	.globl	_ZN7rocprim17ROCPRIM_400000_NS6detail17trampoline_kernelINS0_14default_configENS1_25partition_config_selectorILNS1_17partition_subalgoE5ElNS0_10empty_typeEbEEZZNS1_14partition_implILS5_5ELb0ES3_mN6hipcub16HIPCUB_304000_NS21CountingInputIteratorIllEEPS6_NSA_22TransformInputIteratorIbN2at6native12_GLOBAL__N_19NonZeroOpIbEEPKblEENS0_5tupleIJPlS6_EEENSN_IJSD_SD_EEES6_PiJS6_EEE10hipError_tPvRmT3_T4_T5_T6_T7_T9_mT8_P12ihipStream_tbDpT10_ENKUlT_T0_E_clISt17integral_constantIbLb1EES1A_IbLb0EEEEDaS16_S17_EUlS16_E_NS1_11comp_targetILNS1_3genE9ELNS1_11target_archE1100ELNS1_3gpuE3ELNS1_3repE0EEENS1_30default_config_static_selectorELNS0_4arch9wavefront6targetE0EEEvT1_ ; -- Begin function _ZN7rocprim17ROCPRIM_400000_NS6detail17trampoline_kernelINS0_14default_configENS1_25partition_config_selectorILNS1_17partition_subalgoE5ElNS0_10empty_typeEbEEZZNS1_14partition_implILS5_5ELb0ES3_mN6hipcub16HIPCUB_304000_NS21CountingInputIteratorIllEEPS6_NSA_22TransformInputIteratorIbN2at6native12_GLOBAL__N_19NonZeroOpIbEEPKblEENS0_5tupleIJPlS6_EEENSN_IJSD_SD_EEES6_PiJS6_EEE10hipError_tPvRmT3_T4_T5_T6_T7_T9_mT8_P12ihipStream_tbDpT10_ENKUlT_T0_E_clISt17integral_constantIbLb1EES1A_IbLb0EEEEDaS16_S17_EUlS16_E_NS1_11comp_targetILNS1_3genE9ELNS1_11target_archE1100ELNS1_3gpuE3ELNS1_3repE0EEENS1_30default_config_static_selectorELNS0_4arch9wavefront6targetE0EEEvT1_
	.p2align	8
	.type	_ZN7rocprim17ROCPRIM_400000_NS6detail17trampoline_kernelINS0_14default_configENS1_25partition_config_selectorILNS1_17partition_subalgoE5ElNS0_10empty_typeEbEEZZNS1_14partition_implILS5_5ELb0ES3_mN6hipcub16HIPCUB_304000_NS21CountingInputIteratorIllEEPS6_NSA_22TransformInputIteratorIbN2at6native12_GLOBAL__N_19NonZeroOpIbEEPKblEENS0_5tupleIJPlS6_EEENSN_IJSD_SD_EEES6_PiJS6_EEE10hipError_tPvRmT3_T4_T5_T6_T7_T9_mT8_P12ihipStream_tbDpT10_ENKUlT_T0_E_clISt17integral_constantIbLb1EES1A_IbLb0EEEEDaS16_S17_EUlS16_E_NS1_11comp_targetILNS1_3genE9ELNS1_11target_archE1100ELNS1_3gpuE3ELNS1_3repE0EEENS1_30default_config_static_selectorELNS0_4arch9wavefront6targetE0EEEvT1_,@function
_ZN7rocprim17ROCPRIM_400000_NS6detail17trampoline_kernelINS0_14default_configENS1_25partition_config_selectorILNS1_17partition_subalgoE5ElNS0_10empty_typeEbEEZZNS1_14partition_implILS5_5ELb0ES3_mN6hipcub16HIPCUB_304000_NS21CountingInputIteratorIllEEPS6_NSA_22TransformInputIteratorIbN2at6native12_GLOBAL__N_19NonZeroOpIbEEPKblEENS0_5tupleIJPlS6_EEENSN_IJSD_SD_EEES6_PiJS6_EEE10hipError_tPvRmT3_T4_T5_T6_T7_T9_mT8_P12ihipStream_tbDpT10_ENKUlT_T0_E_clISt17integral_constantIbLb1EES1A_IbLb0EEEEDaS16_S17_EUlS16_E_NS1_11comp_targetILNS1_3genE9ELNS1_11target_archE1100ELNS1_3gpuE3ELNS1_3repE0EEENS1_30default_config_static_selectorELNS0_4arch9wavefront6targetE0EEEvT1_: ; @_ZN7rocprim17ROCPRIM_400000_NS6detail17trampoline_kernelINS0_14default_configENS1_25partition_config_selectorILNS1_17partition_subalgoE5ElNS0_10empty_typeEbEEZZNS1_14partition_implILS5_5ELb0ES3_mN6hipcub16HIPCUB_304000_NS21CountingInputIteratorIllEEPS6_NSA_22TransformInputIteratorIbN2at6native12_GLOBAL__N_19NonZeroOpIbEEPKblEENS0_5tupleIJPlS6_EEENSN_IJSD_SD_EEES6_PiJS6_EEE10hipError_tPvRmT3_T4_T5_T6_T7_T9_mT8_P12ihipStream_tbDpT10_ENKUlT_T0_E_clISt17integral_constantIbLb1EES1A_IbLb0EEEEDaS16_S17_EUlS16_E_NS1_11comp_targetILNS1_3genE9ELNS1_11target_archE1100ELNS1_3gpuE3ELNS1_3repE0EEENS1_30default_config_static_selectorELNS0_4arch9wavefront6targetE0EEEvT1_
; %bb.0:
	.section	.rodata,"a",@progbits
	.p2align	6, 0x0
	.amdhsa_kernel _ZN7rocprim17ROCPRIM_400000_NS6detail17trampoline_kernelINS0_14default_configENS1_25partition_config_selectorILNS1_17partition_subalgoE5ElNS0_10empty_typeEbEEZZNS1_14partition_implILS5_5ELb0ES3_mN6hipcub16HIPCUB_304000_NS21CountingInputIteratorIllEEPS6_NSA_22TransformInputIteratorIbN2at6native12_GLOBAL__N_19NonZeroOpIbEEPKblEENS0_5tupleIJPlS6_EEENSN_IJSD_SD_EEES6_PiJS6_EEE10hipError_tPvRmT3_T4_T5_T6_T7_T9_mT8_P12ihipStream_tbDpT10_ENKUlT_T0_E_clISt17integral_constantIbLb1EES1A_IbLb0EEEEDaS16_S17_EUlS16_E_NS1_11comp_targetILNS1_3genE9ELNS1_11target_archE1100ELNS1_3gpuE3ELNS1_3repE0EEENS1_30default_config_static_selectorELNS0_4arch9wavefront6targetE0EEEvT1_
		.amdhsa_group_segment_fixed_size 0
		.amdhsa_private_segment_fixed_size 0
		.amdhsa_kernarg_size 120
		.amdhsa_user_sgpr_count 2
		.amdhsa_user_sgpr_dispatch_ptr 0
		.amdhsa_user_sgpr_queue_ptr 0
		.amdhsa_user_sgpr_kernarg_segment_ptr 1
		.amdhsa_user_sgpr_dispatch_id 0
		.amdhsa_user_sgpr_private_segment_size 0
		.amdhsa_wavefront_size32 1
		.amdhsa_uses_dynamic_stack 0
		.amdhsa_enable_private_segment 0
		.amdhsa_system_sgpr_workgroup_id_x 1
		.amdhsa_system_sgpr_workgroup_id_y 0
		.amdhsa_system_sgpr_workgroup_id_z 0
		.amdhsa_system_sgpr_workgroup_info 0
		.amdhsa_system_vgpr_workitem_id 0
		.amdhsa_next_free_vgpr 1
		.amdhsa_next_free_sgpr 1
		.amdhsa_reserve_vcc 0
		.amdhsa_float_round_mode_32 0
		.amdhsa_float_round_mode_16_64 0
		.amdhsa_float_denorm_mode_32 3
		.amdhsa_float_denorm_mode_16_64 3
		.amdhsa_fp16_overflow 0
		.amdhsa_workgroup_processor_mode 1
		.amdhsa_memory_ordered 1
		.amdhsa_forward_progress 1
		.amdhsa_inst_pref_size 0
		.amdhsa_round_robin_scheduling 0
		.amdhsa_exception_fp_ieee_invalid_op 0
		.amdhsa_exception_fp_denorm_src 0
		.amdhsa_exception_fp_ieee_div_zero 0
		.amdhsa_exception_fp_ieee_overflow 0
		.amdhsa_exception_fp_ieee_underflow 0
		.amdhsa_exception_fp_ieee_inexact 0
		.amdhsa_exception_int_div_zero 0
	.end_amdhsa_kernel
	.section	.text._ZN7rocprim17ROCPRIM_400000_NS6detail17trampoline_kernelINS0_14default_configENS1_25partition_config_selectorILNS1_17partition_subalgoE5ElNS0_10empty_typeEbEEZZNS1_14partition_implILS5_5ELb0ES3_mN6hipcub16HIPCUB_304000_NS21CountingInputIteratorIllEEPS6_NSA_22TransformInputIteratorIbN2at6native12_GLOBAL__N_19NonZeroOpIbEEPKblEENS0_5tupleIJPlS6_EEENSN_IJSD_SD_EEES6_PiJS6_EEE10hipError_tPvRmT3_T4_T5_T6_T7_T9_mT8_P12ihipStream_tbDpT10_ENKUlT_T0_E_clISt17integral_constantIbLb1EES1A_IbLb0EEEEDaS16_S17_EUlS16_E_NS1_11comp_targetILNS1_3genE9ELNS1_11target_archE1100ELNS1_3gpuE3ELNS1_3repE0EEENS1_30default_config_static_selectorELNS0_4arch9wavefront6targetE0EEEvT1_,"axG",@progbits,_ZN7rocprim17ROCPRIM_400000_NS6detail17trampoline_kernelINS0_14default_configENS1_25partition_config_selectorILNS1_17partition_subalgoE5ElNS0_10empty_typeEbEEZZNS1_14partition_implILS5_5ELb0ES3_mN6hipcub16HIPCUB_304000_NS21CountingInputIteratorIllEEPS6_NSA_22TransformInputIteratorIbN2at6native12_GLOBAL__N_19NonZeroOpIbEEPKblEENS0_5tupleIJPlS6_EEENSN_IJSD_SD_EEES6_PiJS6_EEE10hipError_tPvRmT3_T4_T5_T6_T7_T9_mT8_P12ihipStream_tbDpT10_ENKUlT_T0_E_clISt17integral_constantIbLb1EES1A_IbLb0EEEEDaS16_S17_EUlS16_E_NS1_11comp_targetILNS1_3genE9ELNS1_11target_archE1100ELNS1_3gpuE3ELNS1_3repE0EEENS1_30default_config_static_selectorELNS0_4arch9wavefront6targetE0EEEvT1_,comdat
.Lfunc_end752:
	.size	_ZN7rocprim17ROCPRIM_400000_NS6detail17trampoline_kernelINS0_14default_configENS1_25partition_config_selectorILNS1_17partition_subalgoE5ElNS0_10empty_typeEbEEZZNS1_14partition_implILS5_5ELb0ES3_mN6hipcub16HIPCUB_304000_NS21CountingInputIteratorIllEEPS6_NSA_22TransformInputIteratorIbN2at6native12_GLOBAL__N_19NonZeroOpIbEEPKblEENS0_5tupleIJPlS6_EEENSN_IJSD_SD_EEES6_PiJS6_EEE10hipError_tPvRmT3_T4_T5_T6_T7_T9_mT8_P12ihipStream_tbDpT10_ENKUlT_T0_E_clISt17integral_constantIbLb1EES1A_IbLb0EEEEDaS16_S17_EUlS16_E_NS1_11comp_targetILNS1_3genE9ELNS1_11target_archE1100ELNS1_3gpuE3ELNS1_3repE0EEENS1_30default_config_static_selectorELNS0_4arch9wavefront6targetE0EEEvT1_, .Lfunc_end752-_ZN7rocprim17ROCPRIM_400000_NS6detail17trampoline_kernelINS0_14default_configENS1_25partition_config_selectorILNS1_17partition_subalgoE5ElNS0_10empty_typeEbEEZZNS1_14partition_implILS5_5ELb0ES3_mN6hipcub16HIPCUB_304000_NS21CountingInputIteratorIllEEPS6_NSA_22TransformInputIteratorIbN2at6native12_GLOBAL__N_19NonZeroOpIbEEPKblEENS0_5tupleIJPlS6_EEENSN_IJSD_SD_EEES6_PiJS6_EEE10hipError_tPvRmT3_T4_T5_T6_T7_T9_mT8_P12ihipStream_tbDpT10_ENKUlT_T0_E_clISt17integral_constantIbLb1EES1A_IbLb0EEEEDaS16_S17_EUlS16_E_NS1_11comp_targetILNS1_3genE9ELNS1_11target_archE1100ELNS1_3gpuE3ELNS1_3repE0EEENS1_30default_config_static_selectorELNS0_4arch9wavefront6targetE0EEEvT1_
                                        ; -- End function
	.set _ZN7rocprim17ROCPRIM_400000_NS6detail17trampoline_kernelINS0_14default_configENS1_25partition_config_selectorILNS1_17partition_subalgoE5ElNS0_10empty_typeEbEEZZNS1_14partition_implILS5_5ELb0ES3_mN6hipcub16HIPCUB_304000_NS21CountingInputIteratorIllEEPS6_NSA_22TransformInputIteratorIbN2at6native12_GLOBAL__N_19NonZeroOpIbEEPKblEENS0_5tupleIJPlS6_EEENSN_IJSD_SD_EEES6_PiJS6_EEE10hipError_tPvRmT3_T4_T5_T6_T7_T9_mT8_P12ihipStream_tbDpT10_ENKUlT_T0_E_clISt17integral_constantIbLb1EES1A_IbLb0EEEEDaS16_S17_EUlS16_E_NS1_11comp_targetILNS1_3genE9ELNS1_11target_archE1100ELNS1_3gpuE3ELNS1_3repE0EEENS1_30default_config_static_selectorELNS0_4arch9wavefront6targetE0EEEvT1_.num_vgpr, 0
	.set _ZN7rocprim17ROCPRIM_400000_NS6detail17trampoline_kernelINS0_14default_configENS1_25partition_config_selectorILNS1_17partition_subalgoE5ElNS0_10empty_typeEbEEZZNS1_14partition_implILS5_5ELb0ES3_mN6hipcub16HIPCUB_304000_NS21CountingInputIteratorIllEEPS6_NSA_22TransformInputIteratorIbN2at6native12_GLOBAL__N_19NonZeroOpIbEEPKblEENS0_5tupleIJPlS6_EEENSN_IJSD_SD_EEES6_PiJS6_EEE10hipError_tPvRmT3_T4_T5_T6_T7_T9_mT8_P12ihipStream_tbDpT10_ENKUlT_T0_E_clISt17integral_constantIbLb1EES1A_IbLb0EEEEDaS16_S17_EUlS16_E_NS1_11comp_targetILNS1_3genE9ELNS1_11target_archE1100ELNS1_3gpuE3ELNS1_3repE0EEENS1_30default_config_static_selectorELNS0_4arch9wavefront6targetE0EEEvT1_.num_agpr, 0
	.set _ZN7rocprim17ROCPRIM_400000_NS6detail17trampoline_kernelINS0_14default_configENS1_25partition_config_selectorILNS1_17partition_subalgoE5ElNS0_10empty_typeEbEEZZNS1_14partition_implILS5_5ELb0ES3_mN6hipcub16HIPCUB_304000_NS21CountingInputIteratorIllEEPS6_NSA_22TransformInputIteratorIbN2at6native12_GLOBAL__N_19NonZeroOpIbEEPKblEENS0_5tupleIJPlS6_EEENSN_IJSD_SD_EEES6_PiJS6_EEE10hipError_tPvRmT3_T4_T5_T6_T7_T9_mT8_P12ihipStream_tbDpT10_ENKUlT_T0_E_clISt17integral_constantIbLb1EES1A_IbLb0EEEEDaS16_S17_EUlS16_E_NS1_11comp_targetILNS1_3genE9ELNS1_11target_archE1100ELNS1_3gpuE3ELNS1_3repE0EEENS1_30default_config_static_selectorELNS0_4arch9wavefront6targetE0EEEvT1_.numbered_sgpr, 0
	.set _ZN7rocprim17ROCPRIM_400000_NS6detail17trampoline_kernelINS0_14default_configENS1_25partition_config_selectorILNS1_17partition_subalgoE5ElNS0_10empty_typeEbEEZZNS1_14partition_implILS5_5ELb0ES3_mN6hipcub16HIPCUB_304000_NS21CountingInputIteratorIllEEPS6_NSA_22TransformInputIteratorIbN2at6native12_GLOBAL__N_19NonZeroOpIbEEPKblEENS0_5tupleIJPlS6_EEENSN_IJSD_SD_EEES6_PiJS6_EEE10hipError_tPvRmT3_T4_T5_T6_T7_T9_mT8_P12ihipStream_tbDpT10_ENKUlT_T0_E_clISt17integral_constantIbLb1EES1A_IbLb0EEEEDaS16_S17_EUlS16_E_NS1_11comp_targetILNS1_3genE9ELNS1_11target_archE1100ELNS1_3gpuE3ELNS1_3repE0EEENS1_30default_config_static_selectorELNS0_4arch9wavefront6targetE0EEEvT1_.num_named_barrier, 0
	.set _ZN7rocprim17ROCPRIM_400000_NS6detail17trampoline_kernelINS0_14default_configENS1_25partition_config_selectorILNS1_17partition_subalgoE5ElNS0_10empty_typeEbEEZZNS1_14partition_implILS5_5ELb0ES3_mN6hipcub16HIPCUB_304000_NS21CountingInputIteratorIllEEPS6_NSA_22TransformInputIteratorIbN2at6native12_GLOBAL__N_19NonZeroOpIbEEPKblEENS0_5tupleIJPlS6_EEENSN_IJSD_SD_EEES6_PiJS6_EEE10hipError_tPvRmT3_T4_T5_T6_T7_T9_mT8_P12ihipStream_tbDpT10_ENKUlT_T0_E_clISt17integral_constantIbLb1EES1A_IbLb0EEEEDaS16_S17_EUlS16_E_NS1_11comp_targetILNS1_3genE9ELNS1_11target_archE1100ELNS1_3gpuE3ELNS1_3repE0EEENS1_30default_config_static_selectorELNS0_4arch9wavefront6targetE0EEEvT1_.private_seg_size, 0
	.set _ZN7rocprim17ROCPRIM_400000_NS6detail17trampoline_kernelINS0_14default_configENS1_25partition_config_selectorILNS1_17partition_subalgoE5ElNS0_10empty_typeEbEEZZNS1_14partition_implILS5_5ELb0ES3_mN6hipcub16HIPCUB_304000_NS21CountingInputIteratorIllEEPS6_NSA_22TransformInputIteratorIbN2at6native12_GLOBAL__N_19NonZeroOpIbEEPKblEENS0_5tupleIJPlS6_EEENSN_IJSD_SD_EEES6_PiJS6_EEE10hipError_tPvRmT3_T4_T5_T6_T7_T9_mT8_P12ihipStream_tbDpT10_ENKUlT_T0_E_clISt17integral_constantIbLb1EES1A_IbLb0EEEEDaS16_S17_EUlS16_E_NS1_11comp_targetILNS1_3genE9ELNS1_11target_archE1100ELNS1_3gpuE3ELNS1_3repE0EEENS1_30default_config_static_selectorELNS0_4arch9wavefront6targetE0EEEvT1_.uses_vcc, 0
	.set _ZN7rocprim17ROCPRIM_400000_NS6detail17trampoline_kernelINS0_14default_configENS1_25partition_config_selectorILNS1_17partition_subalgoE5ElNS0_10empty_typeEbEEZZNS1_14partition_implILS5_5ELb0ES3_mN6hipcub16HIPCUB_304000_NS21CountingInputIteratorIllEEPS6_NSA_22TransformInputIteratorIbN2at6native12_GLOBAL__N_19NonZeroOpIbEEPKblEENS0_5tupleIJPlS6_EEENSN_IJSD_SD_EEES6_PiJS6_EEE10hipError_tPvRmT3_T4_T5_T6_T7_T9_mT8_P12ihipStream_tbDpT10_ENKUlT_T0_E_clISt17integral_constantIbLb1EES1A_IbLb0EEEEDaS16_S17_EUlS16_E_NS1_11comp_targetILNS1_3genE9ELNS1_11target_archE1100ELNS1_3gpuE3ELNS1_3repE0EEENS1_30default_config_static_selectorELNS0_4arch9wavefront6targetE0EEEvT1_.uses_flat_scratch, 0
	.set _ZN7rocprim17ROCPRIM_400000_NS6detail17trampoline_kernelINS0_14default_configENS1_25partition_config_selectorILNS1_17partition_subalgoE5ElNS0_10empty_typeEbEEZZNS1_14partition_implILS5_5ELb0ES3_mN6hipcub16HIPCUB_304000_NS21CountingInputIteratorIllEEPS6_NSA_22TransformInputIteratorIbN2at6native12_GLOBAL__N_19NonZeroOpIbEEPKblEENS0_5tupleIJPlS6_EEENSN_IJSD_SD_EEES6_PiJS6_EEE10hipError_tPvRmT3_T4_T5_T6_T7_T9_mT8_P12ihipStream_tbDpT10_ENKUlT_T0_E_clISt17integral_constantIbLb1EES1A_IbLb0EEEEDaS16_S17_EUlS16_E_NS1_11comp_targetILNS1_3genE9ELNS1_11target_archE1100ELNS1_3gpuE3ELNS1_3repE0EEENS1_30default_config_static_selectorELNS0_4arch9wavefront6targetE0EEEvT1_.has_dyn_sized_stack, 0
	.set _ZN7rocprim17ROCPRIM_400000_NS6detail17trampoline_kernelINS0_14default_configENS1_25partition_config_selectorILNS1_17partition_subalgoE5ElNS0_10empty_typeEbEEZZNS1_14partition_implILS5_5ELb0ES3_mN6hipcub16HIPCUB_304000_NS21CountingInputIteratorIllEEPS6_NSA_22TransformInputIteratorIbN2at6native12_GLOBAL__N_19NonZeroOpIbEEPKblEENS0_5tupleIJPlS6_EEENSN_IJSD_SD_EEES6_PiJS6_EEE10hipError_tPvRmT3_T4_T5_T6_T7_T9_mT8_P12ihipStream_tbDpT10_ENKUlT_T0_E_clISt17integral_constantIbLb1EES1A_IbLb0EEEEDaS16_S17_EUlS16_E_NS1_11comp_targetILNS1_3genE9ELNS1_11target_archE1100ELNS1_3gpuE3ELNS1_3repE0EEENS1_30default_config_static_selectorELNS0_4arch9wavefront6targetE0EEEvT1_.has_recursion, 0
	.set _ZN7rocprim17ROCPRIM_400000_NS6detail17trampoline_kernelINS0_14default_configENS1_25partition_config_selectorILNS1_17partition_subalgoE5ElNS0_10empty_typeEbEEZZNS1_14partition_implILS5_5ELb0ES3_mN6hipcub16HIPCUB_304000_NS21CountingInputIteratorIllEEPS6_NSA_22TransformInputIteratorIbN2at6native12_GLOBAL__N_19NonZeroOpIbEEPKblEENS0_5tupleIJPlS6_EEENSN_IJSD_SD_EEES6_PiJS6_EEE10hipError_tPvRmT3_T4_T5_T6_T7_T9_mT8_P12ihipStream_tbDpT10_ENKUlT_T0_E_clISt17integral_constantIbLb1EES1A_IbLb0EEEEDaS16_S17_EUlS16_E_NS1_11comp_targetILNS1_3genE9ELNS1_11target_archE1100ELNS1_3gpuE3ELNS1_3repE0EEENS1_30default_config_static_selectorELNS0_4arch9wavefront6targetE0EEEvT1_.has_indirect_call, 0
	.section	.AMDGPU.csdata,"",@progbits
; Kernel info:
; codeLenInByte = 0
; TotalNumSgprs: 0
; NumVgprs: 0
; ScratchSize: 0
; MemoryBound: 0
; FloatMode: 240
; IeeeMode: 1
; LDSByteSize: 0 bytes/workgroup (compile time only)
; SGPRBlocks: 0
; VGPRBlocks: 0
; NumSGPRsForWavesPerEU: 1
; NumVGPRsForWavesPerEU: 1
; Occupancy: 16
; WaveLimiterHint : 0
; COMPUTE_PGM_RSRC2:SCRATCH_EN: 0
; COMPUTE_PGM_RSRC2:USER_SGPR: 2
; COMPUTE_PGM_RSRC2:TRAP_HANDLER: 0
; COMPUTE_PGM_RSRC2:TGID_X_EN: 1
; COMPUTE_PGM_RSRC2:TGID_Y_EN: 0
; COMPUTE_PGM_RSRC2:TGID_Z_EN: 0
; COMPUTE_PGM_RSRC2:TIDIG_COMP_CNT: 0
	.section	.text._ZN7rocprim17ROCPRIM_400000_NS6detail17trampoline_kernelINS0_14default_configENS1_25partition_config_selectorILNS1_17partition_subalgoE5ElNS0_10empty_typeEbEEZZNS1_14partition_implILS5_5ELb0ES3_mN6hipcub16HIPCUB_304000_NS21CountingInputIteratorIllEEPS6_NSA_22TransformInputIteratorIbN2at6native12_GLOBAL__N_19NonZeroOpIbEEPKblEENS0_5tupleIJPlS6_EEENSN_IJSD_SD_EEES6_PiJS6_EEE10hipError_tPvRmT3_T4_T5_T6_T7_T9_mT8_P12ihipStream_tbDpT10_ENKUlT_T0_E_clISt17integral_constantIbLb1EES1A_IbLb0EEEEDaS16_S17_EUlS16_E_NS1_11comp_targetILNS1_3genE8ELNS1_11target_archE1030ELNS1_3gpuE2ELNS1_3repE0EEENS1_30default_config_static_selectorELNS0_4arch9wavefront6targetE0EEEvT1_,"axG",@progbits,_ZN7rocprim17ROCPRIM_400000_NS6detail17trampoline_kernelINS0_14default_configENS1_25partition_config_selectorILNS1_17partition_subalgoE5ElNS0_10empty_typeEbEEZZNS1_14partition_implILS5_5ELb0ES3_mN6hipcub16HIPCUB_304000_NS21CountingInputIteratorIllEEPS6_NSA_22TransformInputIteratorIbN2at6native12_GLOBAL__N_19NonZeroOpIbEEPKblEENS0_5tupleIJPlS6_EEENSN_IJSD_SD_EEES6_PiJS6_EEE10hipError_tPvRmT3_T4_T5_T6_T7_T9_mT8_P12ihipStream_tbDpT10_ENKUlT_T0_E_clISt17integral_constantIbLb1EES1A_IbLb0EEEEDaS16_S17_EUlS16_E_NS1_11comp_targetILNS1_3genE8ELNS1_11target_archE1030ELNS1_3gpuE2ELNS1_3repE0EEENS1_30default_config_static_selectorELNS0_4arch9wavefront6targetE0EEEvT1_,comdat
	.globl	_ZN7rocprim17ROCPRIM_400000_NS6detail17trampoline_kernelINS0_14default_configENS1_25partition_config_selectorILNS1_17partition_subalgoE5ElNS0_10empty_typeEbEEZZNS1_14partition_implILS5_5ELb0ES3_mN6hipcub16HIPCUB_304000_NS21CountingInputIteratorIllEEPS6_NSA_22TransformInputIteratorIbN2at6native12_GLOBAL__N_19NonZeroOpIbEEPKblEENS0_5tupleIJPlS6_EEENSN_IJSD_SD_EEES6_PiJS6_EEE10hipError_tPvRmT3_T4_T5_T6_T7_T9_mT8_P12ihipStream_tbDpT10_ENKUlT_T0_E_clISt17integral_constantIbLb1EES1A_IbLb0EEEEDaS16_S17_EUlS16_E_NS1_11comp_targetILNS1_3genE8ELNS1_11target_archE1030ELNS1_3gpuE2ELNS1_3repE0EEENS1_30default_config_static_selectorELNS0_4arch9wavefront6targetE0EEEvT1_ ; -- Begin function _ZN7rocprim17ROCPRIM_400000_NS6detail17trampoline_kernelINS0_14default_configENS1_25partition_config_selectorILNS1_17partition_subalgoE5ElNS0_10empty_typeEbEEZZNS1_14partition_implILS5_5ELb0ES3_mN6hipcub16HIPCUB_304000_NS21CountingInputIteratorIllEEPS6_NSA_22TransformInputIteratorIbN2at6native12_GLOBAL__N_19NonZeroOpIbEEPKblEENS0_5tupleIJPlS6_EEENSN_IJSD_SD_EEES6_PiJS6_EEE10hipError_tPvRmT3_T4_T5_T6_T7_T9_mT8_P12ihipStream_tbDpT10_ENKUlT_T0_E_clISt17integral_constantIbLb1EES1A_IbLb0EEEEDaS16_S17_EUlS16_E_NS1_11comp_targetILNS1_3genE8ELNS1_11target_archE1030ELNS1_3gpuE2ELNS1_3repE0EEENS1_30default_config_static_selectorELNS0_4arch9wavefront6targetE0EEEvT1_
	.p2align	8
	.type	_ZN7rocprim17ROCPRIM_400000_NS6detail17trampoline_kernelINS0_14default_configENS1_25partition_config_selectorILNS1_17partition_subalgoE5ElNS0_10empty_typeEbEEZZNS1_14partition_implILS5_5ELb0ES3_mN6hipcub16HIPCUB_304000_NS21CountingInputIteratorIllEEPS6_NSA_22TransformInputIteratorIbN2at6native12_GLOBAL__N_19NonZeroOpIbEEPKblEENS0_5tupleIJPlS6_EEENSN_IJSD_SD_EEES6_PiJS6_EEE10hipError_tPvRmT3_T4_T5_T6_T7_T9_mT8_P12ihipStream_tbDpT10_ENKUlT_T0_E_clISt17integral_constantIbLb1EES1A_IbLb0EEEEDaS16_S17_EUlS16_E_NS1_11comp_targetILNS1_3genE8ELNS1_11target_archE1030ELNS1_3gpuE2ELNS1_3repE0EEENS1_30default_config_static_selectorELNS0_4arch9wavefront6targetE0EEEvT1_,@function
_ZN7rocprim17ROCPRIM_400000_NS6detail17trampoline_kernelINS0_14default_configENS1_25partition_config_selectorILNS1_17partition_subalgoE5ElNS0_10empty_typeEbEEZZNS1_14partition_implILS5_5ELb0ES3_mN6hipcub16HIPCUB_304000_NS21CountingInputIteratorIllEEPS6_NSA_22TransformInputIteratorIbN2at6native12_GLOBAL__N_19NonZeroOpIbEEPKblEENS0_5tupleIJPlS6_EEENSN_IJSD_SD_EEES6_PiJS6_EEE10hipError_tPvRmT3_T4_T5_T6_T7_T9_mT8_P12ihipStream_tbDpT10_ENKUlT_T0_E_clISt17integral_constantIbLb1EES1A_IbLb0EEEEDaS16_S17_EUlS16_E_NS1_11comp_targetILNS1_3genE8ELNS1_11target_archE1030ELNS1_3gpuE2ELNS1_3repE0EEENS1_30default_config_static_selectorELNS0_4arch9wavefront6targetE0EEEvT1_: ; @_ZN7rocprim17ROCPRIM_400000_NS6detail17trampoline_kernelINS0_14default_configENS1_25partition_config_selectorILNS1_17partition_subalgoE5ElNS0_10empty_typeEbEEZZNS1_14partition_implILS5_5ELb0ES3_mN6hipcub16HIPCUB_304000_NS21CountingInputIteratorIllEEPS6_NSA_22TransformInputIteratorIbN2at6native12_GLOBAL__N_19NonZeroOpIbEEPKblEENS0_5tupleIJPlS6_EEENSN_IJSD_SD_EEES6_PiJS6_EEE10hipError_tPvRmT3_T4_T5_T6_T7_T9_mT8_P12ihipStream_tbDpT10_ENKUlT_T0_E_clISt17integral_constantIbLb1EES1A_IbLb0EEEEDaS16_S17_EUlS16_E_NS1_11comp_targetILNS1_3genE8ELNS1_11target_archE1030ELNS1_3gpuE2ELNS1_3repE0EEENS1_30default_config_static_selectorELNS0_4arch9wavefront6targetE0EEEvT1_
; %bb.0:
	.section	.rodata,"a",@progbits
	.p2align	6, 0x0
	.amdhsa_kernel _ZN7rocprim17ROCPRIM_400000_NS6detail17trampoline_kernelINS0_14default_configENS1_25partition_config_selectorILNS1_17partition_subalgoE5ElNS0_10empty_typeEbEEZZNS1_14partition_implILS5_5ELb0ES3_mN6hipcub16HIPCUB_304000_NS21CountingInputIteratorIllEEPS6_NSA_22TransformInputIteratorIbN2at6native12_GLOBAL__N_19NonZeroOpIbEEPKblEENS0_5tupleIJPlS6_EEENSN_IJSD_SD_EEES6_PiJS6_EEE10hipError_tPvRmT3_T4_T5_T6_T7_T9_mT8_P12ihipStream_tbDpT10_ENKUlT_T0_E_clISt17integral_constantIbLb1EES1A_IbLb0EEEEDaS16_S17_EUlS16_E_NS1_11comp_targetILNS1_3genE8ELNS1_11target_archE1030ELNS1_3gpuE2ELNS1_3repE0EEENS1_30default_config_static_selectorELNS0_4arch9wavefront6targetE0EEEvT1_
		.amdhsa_group_segment_fixed_size 0
		.amdhsa_private_segment_fixed_size 0
		.amdhsa_kernarg_size 120
		.amdhsa_user_sgpr_count 2
		.amdhsa_user_sgpr_dispatch_ptr 0
		.amdhsa_user_sgpr_queue_ptr 0
		.amdhsa_user_sgpr_kernarg_segment_ptr 1
		.amdhsa_user_sgpr_dispatch_id 0
		.amdhsa_user_sgpr_private_segment_size 0
		.amdhsa_wavefront_size32 1
		.amdhsa_uses_dynamic_stack 0
		.amdhsa_enable_private_segment 0
		.amdhsa_system_sgpr_workgroup_id_x 1
		.amdhsa_system_sgpr_workgroup_id_y 0
		.amdhsa_system_sgpr_workgroup_id_z 0
		.amdhsa_system_sgpr_workgroup_info 0
		.amdhsa_system_vgpr_workitem_id 0
		.amdhsa_next_free_vgpr 1
		.amdhsa_next_free_sgpr 1
		.amdhsa_reserve_vcc 0
		.amdhsa_float_round_mode_32 0
		.amdhsa_float_round_mode_16_64 0
		.amdhsa_float_denorm_mode_32 3
		.amdhsa_float_denorm_mode_16_64 3
		.amdhsa_fp16_overflow 0
		.amdhsa_workgroup_processor_mode 1
		.amdhsa_memory_ordered 1
		.amdhsa_forward_progress 1
		.amdhsa_inst_pref_size 0
		.amdhsa_round_robin_scheduling 0
		.amdhsa_exception_fp_ieee_invalid_op 0
		.amdhsa_exception_fp_denorm_src 0
		.amdhsa_exception_fp_ieee_div_zero 0
		.amdhsa_exception_fp_ieee_overflow 0
		.amdhsa_exception_fp_ieee_underflow 0
		.amdhsa_exception_fp_ieee_inexact 0
		.amdhsa_exception_int_div_zero 0
	.end_amdhsa_kernel
	.section	.text._ZN7rocprim17ROCPRIM_400000_NS6detail17trampoline_kernelINS0_14default_configENS1_25partition_config_selectorILNS1_17partition_subalgoE5ElNS0_10empty_typeEbEEZZNS1_14partition_implILS5_5ELb0ES3_mN6hipcub16HIPCUB_304000_NS21CountingInputIteratorIllEEPS6_NSA_22TransformInputIteratorIbN2at6native12_GLOBAL__N_19NonZeroOpIbEEPKblEENS0_5tupleIJPlS6_EEENSN_IJSD_SD_EEES6_PiJS6_EEE10hipError_tPvRmT3_T4_T5_T6_T7_T9_mT8_P12ihipStream_tbDpT10_ENKUlT_T0_E_clISt17integral_constantIbLb1EES1A_IbLb0EEEEDaS16_S17_EUlS16_E_NS1_11comp_targetILNS1_3genE8ELNS1_11target_archE1030ELNS1_3gpuE2ELNS1_3repE0EEENS1_30default_config_static_selectorELNS0_4arch9wavefront6targetE0EEEvT1_,"axG",@progbits,_ZN7rocprim17ROCPRIM_400000_NS6detail17trampoline_kernelINS0_14default_configENS1_25partition_config_selectorILNS1_17partition_subalgoE5ElNS0_10empty_typeEbEEZZNS1_14partition_implILS5_5ELb0ES3_mN6hipcub16HIPCUB_304000_NS21CountingInputIteratorIllEEPS6_NSA_22TransformInputIteratorIbN2at6native12_GLOBAL__N_19NonZeroOpIbEEPKblEENS0_5tupleIJPlS6_EEENSN_IJSD_SD_EEES6_PiJS6_EEE10hipError_tPvRmT3_T4_T5_T6_T7_T9_mT8_P12ihipStream_tbDpT10_ENKUlT_T0_E_clISt17integral_constantIbLb1EES1A_IbLb0EEEEDaS16_S17_EUlS16_E_NS1_11comp_targetILNS1_3genE8ELNS1_11target_archE1030ELNS1_3gpuE2ELNS1_3repE0EEENS1_30default_config_static_selectorELNS0_4arch9wavefront6targetE0EEEvT1_,comdat
.Lfunc_end753:
	.size	_ZN7rocprim17ROCPRIM_400000_NS6detail17trampoline_kernelINS0_14default_configENS1_25partition_config_selectorILNS1_17partition_subalgoE5ElNS0_10empty_typeEbEEZZNS1_14partition_implILS5_5ELb0ES3_mN6hipcub16HIPCUB_304000_NS21CountingInputIteratorIllEEPS6_NSA_22TransformInputIteratorIbN2at6native12_GLOBAL__N_19NonZeroOpIbEEPKblEENS0_5tupleIJPlS6_EEENSN_IJSD_SD_EEES6_PiJS6_EEE10hipError_tPvRmT3_T4_T5_T6_T7_T9_mT8_P12ihipStream_tbDpT10_ENKUlT_T0_E_clISt17integral_constantIbLb1EES1A_IbLb0EEEEDaS16_S17_EUlS16_E_NS1_11comp_targetILNS1_3genE8ELNS1_11target_archE1030ELNS1_3gpuE2ELNS1_3repE0EEENS1_30default_config_static_selectorELNS0_4arch9wavefront6targetE0EEEvT1_, .Lfunc_end753-_ZN7rocprim17ROCPRIM_400000_NS6detail17trampoline_kernelINS0_14default_configENS1_25partition_config_selectorILNS1_17partition_subalgoE5ElNS0_10empty_typeEbEEZZNS1_14partition_implILS5_5ELb0ES3_mN6hipcub16HIPCUB_304000_NS21CountingInputIteratorIllEEPS6_NSA_22TransformInputIteratorIbN2at6native12_GLOBAL__N_19NonZeroOpIbEEPKblEENS0_5tupleIJPlS6_EEENSN_IJSD_SD_EEES6_PiJS6_EEE10hipError_tPvRmT3_T4_T5_T6_T7_T9_mT8_P12ihipStream_tbDpT10_ENKUlT_T0_E_clISt17integral_constantIbLb1EES1A_IbLb0EEEEDaS16_S17_EUlS16_E_NS1_11comp_targetILNS1_3genE8ELNS1_11target_archE1030ELNS1_3gpuE2ELNS1_3repE0EEENS1_30default_config_static_selectorELNS0_4arch9wavefront6targetE0EEEvT1_
                                        ; -- End function
	.set _ZN7rocprim17ROCPRIM_400000_NS6detail17trampoline_kernelINS0_14default_configENS1_25partition_config_selectorILNS1_17partition_subalgoE5ElNS0_10empty_typeEbEEZZNS1_14partition_implILS5_5ELb0ES3_mN6hipcub16HIPCUB_304000_NS21CountingInputIteratorIllEEPS6_NSA_22TransformInputIteratorIbN2at6native12_GLOBAL__N_19NonZeroOpIbEEPKblEENS0_5tupleIJPlS6_EEENSN_IJSD_SD_EEES6_PiJS6_EEE10hipError_tPvRmT3_T4_T5_T6_T7_T9_mT8_P12ihipStream_tbDpT10_ENKUlT_T0_E_clISt17integral_constantIbLb1EES1A_IbLb0EEEEDaS16_S17_EUlS16_E_NS1_11comp_targetILNS1_3genE8ELNS1_11target_archE1030ELNS1_3gpuE2ELNS1_3repE0EEENS1_30default_config_static_selectorELNS0_4arch9wavefront6targetE0EEEvT1_.num_vgpr, 0
	.set _ZN7rocprim17ROCPRIM_400000_NS6detail17trampoline_kernelINS0_14default_configENS1_25partition_config_selectorILNS1_17partition_subalgoE5ElNS0_10empty_typeEbEEZZNS1_14partition_implILS5_5ELb0ES3_mN6hipcub16HIPCUB_304000_NS21CountingInputIteratorIllEEPS6_NSA_22TransformInputIteratorIbN2at6native12_GLOBAL__N_19NonZeroOpIbEEPKblEENS0_5tupleIJPlS6_EEENSN_IJSD_SD_EEES6_PiJS6_EEE10hipError_tPvRmT3_T4_T5_T6_T7_T9_mT8_P12ihipStream_tbDpT10_ENKUlT_T0_E_clISt17integral_constantIbLb1EES1A_IbLb0EEEEDaS16_S17_EUlS16_E_NS1_11comp_targetILNS1_3genE8ELNS1_11target_archE1030ELNS1_3gpuE2ELNS1_3repE0EEENS1_30default_config_static_selectorELNS0_4arch9wavefront6targetE0EEEvT1_.num_agpr, 0
	.set _ZN7rocprim17ROCPRIM_400000_NS6detail17trampoline_kernelINS0_14default_configENS1_25partition_config_selectorILNS1_17partition_subalgoE5ElNS0_10empty_typeEbEEZZNS1_14partition_implILS5_5ELb0ES3_mN6hipcub16HIPCUB_304000_NS21CountingInputIteratorIllEEPS6_NSA_22TransformInputIteratorIbN2at6native12_GLOBAL__N_19NonZeroOpIbEEPKblEENS0_5tupleIJPlS6_EEENSN_IJSD_SD_EEES6_PiJS6_EEE10hipError_tPvRmT3_T4_T5_T6_T7_T9_mT8_P12ihipStream_tbDpT10_ENKUlT_T0_E_clISt17integral_constantIbLb1EES1A_IbLb0EEEEDaS16_S17_EUlS16_E_NS1_11comp_targetILNS1_3genE8ELNS1_11target_archE1030ELNS1_3gpuE2ELNS1_3repE0EEENS1_30default_config_static_selectorELNS0_4arch9wavefront6targetE0EEEvT1_.numbered_sgpr, 0
	.set _ZN7rocprim17ROCPRIM_400000_NS6detail17trampoline_kernelINS0_14default_configENS1_25partition_config_selectorILNS1_17partition_subalgoE5ElNS0_10empty_typeEbEEZZNS1_14partition_implILS5_5ELb0ES3_mN6hipcub16HIPCUB_304000_NS21CountingInputIteratorIllEEPS6_NSA_22TransformInputIteratorIbN2at6native12_GLOBAL__N_19NonZeroOpIbEEPKblEENS0_5tupleIJPlS6_EEENSN_IJSD_SD_EEES6_PiJS6_EEE10hipError_tPvRmT3_T4_T5_T6_T7_T9_mT8_P12ihipStream_tbDpT10_ENKUlT_T0_E_clISt17integral_constantIbLb1EES1A_IbLb0EEEEDaS16_S17_EUlS16_E_NS1_11comp_targetILNS1_3genE8ELNS1_11target_archE1030ELNS1_3gpuE2ELNS1_3repE0EEENS1_30default_config_static_selectorELNS0_4arch9wavefront6targetE0EEEvT1_.num_named_barrier, 0
	.set _ZN7rocprim17ROCPRIM_400000_NS6detail17trampoline_kernelINS0_14default_configENS1_25partition_config_selectorILNS1_17partition_subalgoE5ElNS0_10empty_typeEbEEZZNS1_14partition_implILS5_5ELb0ES3_mN6hipcub16HIPCUB_304000_NS21CountingInputIteratorIllEEPS6_NSA_22TransformInputIteratorIbN2at6native12_GLOBAL__N_19NonZeroOpIbEEPKblEENS0_5tupleIJPlS6_EEENSN_IJSD_SD_EEES6_PiJS6_EEE10hipError_tPvRmT3_T4_T5_T6_T7_T9_mT8_P12ihipStream_tbDpT10_ENKUlT_T0_E_clISt17integral_constantIbLb1EES1A_IbLb0EEEEDaS16_S17_EUlS16_E_NS1_11comp_targetILNS1_3genE8ELNS1_11target_archE1030ELNS1_3gpuE2ELNS1_3repE0EEENS1_30default_config_static_selectorELNS0_4arch9wavefront6targetE0EEEvT1_.private_seg_size, 0
	.set _ZN7rocprim17ROCPRIM_400000_NS6detail17trampoline_kernelINS0_14default_configENS1_25partition_config_selectorILNS1_17partition_subalgoE5ElNS0_10empty_typeEbEEZZNS1_14partition_implILS5_5ELb0ES3_mN6hipcub16HIPCUB_304000_NS21CountingInputIteratorIllEEPS6_NSA_22TransformInputIteratorIbN2at6native12_GLOBAL__N_19NonZeroOpIbEEPKblEENS0_5tupleIJPlS6_EEENSN_IJSD_SD_EEES6_PiJS6_EEE10hipError_tPvRmT3_T4_T5_T6_T7_T9_mT8_P12ihipStream_tbDpT10_ENKUlT_T0_E_clISt17integral_constantIbLb1EES1A_IbLb0EEEEDaS16_S17_EUlS16_E_NS1_11comp_targetILNS1_3genE8ELNS1_11target_archE1030ELNS1_3gpuE2ELNS1_3repE0EEENS1_30default_config_static_selectorELNS0_4arch9wavefront6targetE0EEEvT1_.uses_vcc, 0
	.set _ZN7rocprim17ROCPRIM_400000_NS6detail17trampoline_kernelINS0_14default_configENS1_25partition_config_selectorILNS1_17partition_subalgoE5ElNS0_10empty_typeEbEEZZNS1_14partition_implILS5_5ELb0ES3_mN6hipcub16HIPCUB_304000_NS21CountingInputIteratorIllEEPS6_NSA_22TransformInputIteratorIbN2at6native12_GLOBAL__N_19NonZeroOpIbEEPKblEENS0_5tupleIJPlS6_EEENSN_IJSD_SD_EEES6_PiJS6_EEE10hipError_tPvRmT3_T4_T5_T6_T7_T9_mT8_P12ihipStream_tbDpT10_ENKUlT_T0_E_clISt17integral_constantIbLb1EES1A_IbLb0EEEEDaS16_S17_EUlS16_E_NS1_11comp_targetILNS1_3genE8ELNS1_11target_archE1030ELNS1_3gpuE2ELNS1_3repE0EEENS1_30default_config_static_selectorELNS0_4arch9wavefront6targetE0EEEvT1_.uses_flat_scratch, 0
	.set _ZN7rocprim17ROCPRIM_400000_NS6detail17trampoline_kernelINS0_14default_configENS1_25partition_config_selectorILNS1_17partition_subalgoE5ElNS0_10empty_typeEbEEZZNS1_14partition_implILS5_5ELb0ES3_mN6hipcub16HIPCUB_304000_NS21CountingInputIteratorIllEEPS6_NSA_22TransformInputIteratorIbN2at6native12_GLOBAL__N_19NonZeroOpIbEEPKblEENS0_5tupleIJPlS6_EEENSN_IJSD_SD_EEES6_PiJS6_EEE10hipError_tPvRmT3_T4_T5_T6_T7_T9_mT8_P12ihipStream_tbDpT10_ENKUlT_T0_E_clISt17integral_constantIbLb1EES1A_IbLb0EEEEDaS16_S17_EUlS16_E_NS1_11comp_targetILNS1_3genE8ELNS1_11target_archE1030ELNS1_3gpuE2ELNS1_3repE0EEENS1_30default_config_static_selectorELNS0_4arch9wavefront6targetE0EEEvT1_.has_dyn_sized_stack, 0
	.set _ZN7rocprim17ROCPRIM_400000_NS6detail17trampoline_kernelINS0_14default_configENS1_25partition_config_selectorILNS1_17partition_subalgoE5ElNS0_10empty_typeEbEEZZNS1_14partition_implILS5_5ELb0ES3_mN6hipcub16HIPCUB_304000_NS21CountingInputIteratorIllEEPS6_NSA_22TransformInputIteratorIbN2at6native12_GLOBAL__N_19NonZeroOpIbEEPKblEENS0_5tupleIJPlS6_EEENSN_IJSD_SD_EEES6_PiJS6_EEE10hipError_tPvRmT3_T4_T5_T6_T7_T9_mT8_P12ihipStream_tbDpT10_ENKUlT_T0_E_clISt17integral_constantIbLb1EES1A_IbLb0EEEEDaS16_S17_EUlS16_E_NS1_11comp_targetILNS1_3genE8ELNS1_11target_archE1030ELNS1_3gpuE2ELNS1_3repE0EEENS1_30default_config_static_selectorELNS0_4arch9wavefront6targetE0EEEvT1_.has_recursion, 0
	.set _ZN7rocprim17ROCPRIM_400000_NS6detail17trampoline_kernelINS0_14default_configENS1_25partition_config_selectorILNS1_17partition_subalgoE5ElNS0_10empty_typeEbEEZZNS1_14partition_implILS5_5ELb0ES3_mN6hipcub16HIPCUB_304000_NS21CountingInputIteratorIllEEPS6_NSA_22TransformInputIteratorIbN2at6native12_GLOBAL__N_19NonZeroOpIbEEPKblEENS0_5tupleIJPlS6_EEENSN_IJSD_SD_EEES6_PiJS6_EEE10hipError_tPvRmT3_T4_T5_T6_T7_T9_mT8_P12ihipStream_tbDpT10_ENKUlT_T0_E_clISt17integral_constantIbLb1EES1A_IbLb0EEEEDaS16_S17_EUlS16_E_NS1_11comp_targetILNS1_3genE8ELNS1_11target_archE1030ELNS1_3gpuE2ELNS1_3repE0EEENS1_30default_config_static_selectorELNS0_4arch9wavefront6targetE0EEEvT1_.has_indirect_call, 0
	.section	.AMDGPU.csdata,"",@progbits
; Kernel info:
; codeLenInByte = 0
; TotalNumSgprs: 0
; NumVgprs: 0
; ScratchSize: 0
; MemoryBound: 0
; FloatMode: 240
; IeeeMode: 1
; LDSByteSize: 0 bytes/workgroup (compile time only)
; SGPRBlocks: 0
; VGPRBlocks: 0
; NumSGPRsForWavesPerEU: 1
; NumVGPRsForWavesPerEU: 1
; Occupancy: 16
; WaveLimiterHint : 0
; COMPUTE_PGM_RSRC2:SCRATCH_EN: 0
; COMPUTE_PGM_RSRC2:USER_SGPR: 2
; COMPUTE_PGM_RSRC2:TRAP_HANDLER: 0
; COMPUTE_PGM_RSRC2:TGID_X_EN: 1
; COMPUTE_PGM_RSRC2:TGID_Y_EN: 0
; COMPUTE_PGM_RSRC2:TGID_Z_EN: 0
; COMPUTE_PGM_RSRC2:TIDIG_COMP_CNT: 0
	.section	.text._ZN7rocprim17ROCPRIM_400000_NS6detail17trampoline_kernelINS0_14default_configENS1_25partition_config_selectorILNS1_17partition_subalgoE5ElNS0_10empty_typeEbEEZZNS1_14partition_implILS5_5ELb0ES3_mN6hipcub16HIPCUB_304000_NS21CountingInputIteratorIllEEPS6_NSA_22TransformInputIteratorIbN2at6native12_GLOBAL__N_19NonZeroOpIbEEPKblEENS0_5tupleIJPlS6_EEENSN_IJSD_SD_EEES6_PiJS6_EEE10hipError_tPvRmT3_T4_T5_T6_T7_T9_mT8_P12ihipStream_tbDpT10_ENKUlT_T0_E_clISt17integral_constantIbLb0EES1A_IbLb1EEEEDaS16_S17_EUlS16_E_NS1_11comp_targetILNS1_3genE0ELNS1_11target_archE4294967295ELNS1_3gpuE0ELNS1_3repE0EEENS1_30default_config_static_selectorELNS0_4arch9wavefront6targetE0EEEvT1_,"axG",@progbits,_ZN7rocprim17ROCPRIM_400000_NS6detail17trampoline_kernelINS0_14default_configENS1_25partition_config_selectorILNS1_17partition_subalgoE5ElNS0_10empty_typeEbEEZZNS1_14partition_implILS5_5ELb0ES3_mN6hipcub16HIPCUB_304000_NS21CountingInputIteratorIllEEPS6_NSA_22TransformInputIteratorIbN2at6native12_GLOBAL__N_19NonZeroOpIbEEPKblEENS0_5tupleIJPlS6_EEENSN_IJSD_SD_EEES6_PiJS6_EEE10hipError_tPvRmT3_T4_T5_T6_T7_T9_mT8_P12ihipStream_tbDpT10_ENKUlT_T0_E_clISt17integral_constantIbLb0EES1A_IbLb1EEEEDaS16_S17_EUlS16_E_NS1_11comp_targetILNS1_3genE0ELNS1_11target_archE4294967295ELNS1_3gpuE0ELNS1_3repE0EEENS1_30default_config_static_selectorELNS0_4arch9wavefront6targetE0EEEvT1_,comdat
	.globl	_ZN7rocprim17ROCPRIM_400000_NS6detail17trampoline_kernelINS0_14default_configENS1_25partition_config_selectorILNS1_17partition_subalgoE5ElNS0_10empty_typeEbEEZZNS1_14partition_implILS5_5ELb0ES3_mN6hipcub16HIPCUB_304000_NS21CountingInputIteratorIllEEPS6_NSA_22TransformInputIteratorIbN2at6native12_GLOBAL__N_19NonZeroOpIbEEPKblEENS0_5tupleIJPlS6_EEENSN_IJSD_SD_EEES6_PiJS6_EEE10hipError_tPvRmT3_T4_T5_T6_T7_T9_mT8_P12ihipStream_tbDpT10_ENKUlT_T0_E_clISt17integral_constantIbLb0EES1A_IbLb1EEEEDaS16_S17_EUlS16_E_NS1_11comp_targetILNS1_3genE0ELNS1_11target_archE4294967295ELNS1_3gpuE0ELNS1_3repE0EEENS1_30default_config_static_selectorELNS0_4arch9wavefront6targetE0EEEvT1_ ; -- Begin function _ZN7rocprim17ROCPRIM_400000_NS6detail17trampoline_kernelINS0_14default_configENS1_25partition_config_selectorILNS1_17partition_subalgoE5ElNS0_10empty_typeEbEEZZNS1_14partition_implILS5_5ELb0ES3_mN6hipcub16HIPCUB_304000_NS21CountingInputIteratorIllEEPS6_NSA_22TransformInputIteratorIbN2at6native12_GLOBAL__N_19NonZeroOpIbEEPKblEENS0_5tupleIJPlS6_EEENSN_IJSD_SD_EEES6_PiJS6_EEE10hipError_tPvRmT3_T4_T5_T6_T7_T9_mT8_P12ihipStream_tbDpT10_ENKUlT_T0_E_clISt17integral_constantIbLb0EES1A_IbLb1EEEEDaS16_S17_EUlS16_E_NS1_11comp_targetILNS1_3genE0ELNS1_11target_archE4294967295ELNS1_3gpuE0ELNS1_3repE0EEENS1_30default_config_static_selectorELNS0_4arch9wavefront6targetE0EEEvT1_
	.p2align	8
	.type	_ZN7rocprim17ROCPRIM_400000_NS6detail17trampoline_kernelINS0_14default_configENS1_25partition_config_selectorILNS1_17partition_subalgoE5ElNS0_10empty_typeEbEEZZNS1_14partition_implILS5_5ELb0ES3_mN6hipcub16HIPCUB_304000_NS21CountingInputIteratorIllEEPS6_NSA_22TransformInputIteratorIbN2at6native12_GLOBAL__N_19NonZeroOpIbEEPKblEENS0_5tupleIJPlS6_EEENSN_IJSD_SD_EEES6_PiJS6_EEE10hipError_tPvRmT3_T4_T5_T6_T7_T9_mT8_P12ihipStream_tbDpT10_ENKUlT_T0_E_clISt17integral_constantIbLb0EES1A_IbLb1EEEEDaS16_S17_EUlS16_E_NS1_11comp_targetILNS1_3genE0ELNS1_11target_archE4294967295ELNS1_3gpuE0ELNS1_3repE0EEENS1_30default_config_static_selectorELNS0_4arch9wavefront6targetE0EEEvT1_,@function
_ZN7rocprim17ROCPRIM_400000_NS6detail17trampoline_kernelINS0_14default_configENS1_25partition_config_selectorILNS1_17partition_subalgoE5ElNS0_10empty_typeEbEEZZNS1_14partition_implILS5_5ELb0ES3_mN6hipcub16HIPCUB_304000_NS21CountingInputIteratorIllEEPS6_NSA_22TransformInputIteratorIbN2at6native12_GLOBAL__N_19NonZeroOpIbEEPKblEENS0_5tupleIJPlS6_EEENSN_IJSD_SD_EEES6_PiJS6_EEE10hipError_tPvRmT3_T4_T5_T6_T7_T9_mT8_P12ihipStream_tbDpT10_ENKUlT_T0_E_clISt17integral_constantIbLb0EES1A_IbLb1EEEEDaS16_S17_EUlS16_E_NS1_11comp_targetILNS1_3genE0ELNS1_11target_archE4294967295ELNS1_3gpuE0ELNS1_3repE0EEENS1_30default_config_static_selectorELNS0_4arch9wavefront6targetE0EEEvT1_: ; @_ZN7rocprim17ROCPRIM_400000_NS6detail17trampoline_kernelINS0_14default_configENS1_25partition_config_selectorILNS1_17partition_subalgoE5ElNS0_10empty_typeEbEEZZNS1_14partition_implILS5_5ELb0ES3_mN6hipcub16HIPCUB_304000_NS21CountingInputIteratorIllEEPS6_NSA_22TransformInputIteratorIbN2at6native12_GLOBAL__N_19NonZeroOpIbEEPKblEENS0_5tupleIJPlS6_EEENSN_IJSD_SD_EEES6_PiJS6_EEE10hipError_tPvRmT3_T4_T5_T6_T7_T9_mT8_P12ihipStream_tbDpT10_ENKUlT_T0_E_clISt17integral_constantIbLb0EES1A_IbLb1EEEEDaS16_S17_EUlS16_E_NS1_11comp_targetILNS1_3genE0ELNS1_11target_archE4294967295ELNS1_3gpuE0ELNS1_3repE0EEENS1_30default_config_static_selectorELNS0_4arch9wavefront6targetE0EEEvT1_
; %bb.0:
	.section	.rodata,"a",@progbits
	.p2align	6, 0x0
	.amdhsa_kernel _ZN7rocprim17ROCPRIM_400000_NS6detail17trampoline_kernelINS0_14default_configENS1_25partition_config_selectorILNS1_17partition_subalgoE5ElNS0_10empty_typeEbEEZZNS1_14partition_implILS5_5ELb0ES3_mN6hipcub16HIPCUB_304000_NS21CountingInputIteratorIllEEPS6_NSA_22TransformInputIteratorIbN2at6native12_GLOBAL__N_19NonZeroOpIbEEPKblEENS0_5tupleIJPlS6_EEENSN_IJSD_SD_EEES6_PiJS6_EEE10hipError_tPvRmT3_T4_T5_T6_T7_T9_mT8_P12ihipStream_tbDpT10_ENKUlT_T0_E_clISt17integral_constantIbLb0EES1A_IbLb1EEEEDaS16_S17_EUlS16_E_NS1_11comp_targetILNS1_3genE0ELNS1_11target_archE4294967295ELNS1_3gpuE0ELNS1_3repE0EEENS1_30default_config_static_selectorELNS0_4arch9wavefront6targetE0EEEvT1_
		.amdhsa_group_segment_fixed_size 0
		.amdhsa_private_segment_fixed_size 0
		.amdhsa_kernarg_size 136
		.amdhsa_user_sgpr_count 2
		.amdhsa_user_sgpr_dispatch_ptr 0
		.amdhsa_user_sgpr_queue_ptr 0
		.amdhsa_user_sgpr_kernarg_segment_ptr 1
		.amdhsa_user_sgpr_dispatch_id 0
		.amdhsa_user_sgpr_private_segment_size 0
		.amdhsa_wavefront_size32 1
		.amdhsa_uses_dynamic_stack 0
		.amdhsa_enable_private_segment 0
		.amdhsa_system_sgpr_workgroup_id_x 1
		.amdhsa_system_sgpr_workgroup_id_y 0
		.amdhsa_system_sgpr_workgroup_id_z 0
		.amdhsa_system_sgpr_workgroup_info 0
		.amdhsa_system_vgpr_workitem_id 0
		.amdhsa_next_free_vgpr 1
		.amdhsa_next_free_sgpr 1
		.amdhsa_reserve_vcc 0
		.amdhsa_float_round_mode_32 0
		.amdhsa_float_round_mode_16_64 0
		.amdhsa_float_denorm_mode_32 3
		.amdhsa_float_denorm_mode_16_64 3
		.amdhsa_fp16_overflow 0
		.amdhsa_workgroup_processor_mode 1
		.amdhsa_memory_ordered 1
		.amdhsa_forward_progress 1
		.amdhsa_inst_pref_size 0
		.amdhsa_round_robin_scheduling 0
		.amdhsa_exception_fp_ieee_invalid_op 0
		.amdhsa_exception_fp_denorm_src 0
		.amdhsa_exception_fp_ieee_div_zero 0
		.amdhsa_exception_fp_ieee_overflow 0
		.amdhsa_exception_fp_ieee_underflow 0
		.amdhsa_exception_fp_ieee_inexact 0
		.amdhsa_exception_int_div_zero 0
	.end_amdhsa_kernel
	.section	.text._ZN7rocprim17ROCPRIM_400000_NS6detail17trampoline_kernelINS0_14default_configENS1_25partition_config_selectorILNS1_17partition_subalgoE5ElNS0_10empty_typeEbEEZZNS1_14partition_implILS5_5ELb0ES3_mN6hipcub16HIPCUB_304000_NS21CountingInputIteratorIllEEPS6_NSA_22TransformInputIteratorIbN2at6native12_GLOBAL__N_19NonZeroOpIbEEPKblEENS0_5tupleIJPlS6_EEENSN_IJSD_SD_EEES6_PiJS6_EEE10hipError_tPvRmT3_T4_T5_T6_T7_T9_mT8_P12ihipStream_tbDpT10_ENKUlT_T0_E_clISt17integral_constantIbLb0EES1A_IbLb1EEEEDaS16_S17_EUlS16_E_NS1_11comp_targetILNS1_3genE0ELNS1_11target_archE4294967295ELNS1_3gpuE0ELNS1_3repE0EEENS1_30default_config_static_selectorELNS0_4arch9wavefront6targetE0EEEvT1_,"axG",@progbits,_ZN7rocprim17ROCPRIM_400000_NS6detail17trampoline_kernelINS0_14default_configENS1_25partition_config_selectorILNS1_17partition_subalgoE5ElNS0_10empty_typeEbEEZZNS1_14partition_implILS5_5ELb0ES3_mN6hipcub16HIPCUB_304000_NS21CountingInputIteratorIllEEPS6_NSA_22TransformInputIteratorIbN2at6native12_GLOBAL__N_19NonZeroOpIbEEPKblEENS0_5tupleIJPlS6_EEENSN_IJSD_SD_EEES6_PiJS6_EEE10hipError_tPvRmT3_T4_T5_T6_T7_T9_mT8_P12ihipStream_tbDpT10_ENKUlT_T0_E_clISt17integral_constantIbLb0EES1A_IbLb1EEEEDaS16_S17_EUlS16_E_NS1_11comp_targetILNS1_3genE0ELNS1_11target_archE4294967295ELNS1_3gpuE0ELNS1_3repE0EEENS1_30default_config_static_selectorELNS0_4arch9wavefront6targetE0EEEvT1_,comdat
.Lfunc_end754:
	.size	_ZN7rocprim17ROCPRIM_400000_NS6detail17trampoline_kernelINS0_14default_configENS1_25partition_config_selectorILNS1_17partition_subalgoE5ElNS0_10empty_typeEbEEZZNS1_14partition_implILS5_5ELb0ES3_mN6hipcub16HIPCUB_304000_NS21CountingInputIteratorIllEEPS6_NSA_22TransformInputIteratorIbN2at6native12_GLOBAL__N_19NonZeroOpIbEEPKblEENS0_5tupleIJPlS6_EEENSN_IJSD_SD_EEES6_PiJS6_EEE10hipError_tPvRmT3_T4_T5_T6_T7_T9_mT8_P12ihipStream_tbDpT10_ENKUlT_T0_E_clISt17integral_constantIbLb0EES1A_IbLb1EEEEDaS16_S17_EUlS16_E_NS1_11comp_targetILNS1_3genE0ELNS1_11target_archE4294967295ELNS1_3gpuE0ELNS1_3repE0EEENS1_30default_config_static_selectorELNS0_4arch9wavefront6targetE0EEEvT1_, .Lfunc_end754-_ZN7rocprim17ROCPRIM_400000_NS6detail17trampoline_kernelINS0_14default_configENS1_25partition_config_selectorILNS1_17partition_subalgoE5ElNS0_10empty_typeEbEEZZNS1_14partition_implILS5_5ELb0ES3_mN6hipcub16HIPCUB_304000_NS21CountingInputIteratorIllEEPS6_NSA_22TransformInputIteratorIbN2at6native12_GLOBAL__N_19NonZeroOpIbEEPKblEENS0_5tupleIJPlS6_EEENSN_IJSD_SD_EEES6_PiJS6_EEE10hipError_tPvRmT3_T4_T5_T6_T7_T9_mT8_P12ihipStream_tbDpT10_ENKUlT_T0_E_clISt17integral_constantIbLb0EES1A_IbLb1EEEEDaS16_S17_EUlS16_E_NS1_11comp_targetILNS1_3genE0ELNS1_11target_archE4294967295ELNS1_3gpuE0ELNS1_3repE0EEENS1_30default_config_static_selectorELNS0_4arch9wavefront6targetE0EEEvT1_
                                        ; -- End function
	.set _ZN7rocprim17ROCPRIM_400000_NS6detail17trampoline_kernelINS0_14default_configENS1_25partition_config_selectorILNS1_17partition_subalgoE5ElNS0_10empty_typeEbEEZZNS1_14partition_implILS5_5ELb0ES3_mN6hipcub16HIPCUB_304000_NS21CountingInputIteratorIllEEPS6_NSA_22TransformInputIteratorIbN2at6native12_GLOBAL__N_19NonZeroOpIbEEPKblEENS0_5tupleIJPlS6_EEENSN_IJSD_SD_EEES6_PiJS6_EEE10hipError_tPvRmT3_T4_T5_T6_T7_T9_mT8_P12ihipStream_tbDpT10_ENKUlT_T0_E_clISt17integral_constantIbLb0EES1A_IbLb1EEEEDaS16_S17_EUlS16_E_NS1_11comp_targetILNS1_3genE0ELNS1_11target_archE4294967295ELNS1_3gpuE0ELNS1_3repE0EEENS1_30default_config_static_selectorELNS0_4arch9wavefront6targetE0EEEvT1_.num_vgpr, 0
	.set _ZN7rocprim17ROCPRIM_400000_NS6detail17trampoline_kernelINS0_14default_configENS1_25partition_config_selectorILNS1_17partition_subalgoE5ElNS0_10empty_typeEbEEZZNS1_14partition_implILS5_5ELb0ES3_mN6hipcub16HIPCUB_304000_NS21CountingInputIteratorIllEEPS6_NSA_22TransformInputIteratorIbN2at6native12_GLOBAL__N_19NonZeroOpIbEEPKblEENS0_5tupleIJPlS6_EEENSN_IJSD_SD_EEES6_PiJS6_EEE10hipError_tPvRmT3_T4_T5_T6_T7_T9_mT8_P12ihipStream_tbDpT10_ENKUlT_T0_E_clISt17integral_constantIbLb0EES1A_IbLb1EEEEDaS16_S17_EUlS16_E_NS1_11comp_targetILNS1_3genE0ELNS1_11target_archE4294967295ELNS1_3gpuE0ELNS1_3repE0EEENS1_30default_config_static_selectorELNS0_4arch9wavefront6targetE0EEEvT1_.num_agpr, 0
	.set _ZN7rocprim17ROCPRIM_400000_NS6detail17trampoline_kernelINS0_14default_configENS1_25partition_config_selectorILNS1_17partition_subalgoE5ElNS0_10empty_typeEbEEZZNS1_14partition_implILS5_5ELb0ES3_mN6hipcub16HIPCUB_304000_NS21CountingInputIteratorIllEEPS6_NSA_22TransformInputIteratorIbN2at6native12_GLOBAL__N_19NonZeroOpIbEEPKblEENS0_5tupleIJPlS6_EEENSN_IJSD_SD_EEES6_PiJS6_EEE10hipError_tPvRmT3_T4_T5_T6_T7_T9_mT8_P12ihipStream_tbDpT10_ENKUlT_T0_E_clISt17integral_constantIbLb0EES1A_IbLb1EEEEDaS16_S17_EUlS16_E_NS1_11comp_targetILNS1_3genE0ELNS1_11target_archE4294967295ELNS1_3gpuE0ELNS1_3repE0EEENS1_30default_config_static_selectorELNS0_4arch9wavefront6targetE0EEEvT1_.numbered_sgpr, 0
	.set _ZN7rocprim17ROCPRIM_400000_NS6detail17trampoline_kernelINS0_14default_configENS1_25partition_config_selectorILNS1_17partition_subalgoE5ElNS0_10empty_typeEbEEZZNS1_14partition_implILS5_5ELb0ES3_mN6hipcub16HIPCUB_304000_NS21CountingInputIteratorIllEEPS6_NSA_22TransformInputIteratorIbN2at6native12_GLOBAL__N_19NonZeroOpIbEEPKblEENS0_5tupleIJPlS6_EEENSN_IJSD_SD_EEES6_PiJS6_EEE10hipError_tPvRmT3_T4_T5_T6_T7_T9_mT8_P12ihipStream_tbDpT10_ENKUlT_T0_E_clISt17integral_constantIbLb0EES1A_IbLb1EEEEDaS16_S17_EUlS16_E_NS1_11comp_targetILNS1_3genE0ELNS1_11target_archE4294967295ELNS1_3gpuE0ELNS1_3repE0EEENS1_30default_config_static_selectorELNS0_4arch9wavefront6targetE0EEEvT1_.num_named_barrier, 0
	.set _ZN7rocprim17ROCPRIM_400000_NS6detail17trampoline_kernelINS0_14default_configENS1_25partition_config_selectorILNS1_17partition_subalgoE5ElNS0_10empty_typeEbEEZZNS1_14partition_implILS5_5ELb0ES3_mN6hipcub16HIPCUB_304000_NS21CountingInputIteratorIllEEPS6_NSA_22TransformInputIteratorIbN2at6native12_GLOBAL__N_19NonZeroOpIbEEPKblEENS0_5tupleIJPlS6_EEENSN_IJSD_SD_EEES6_PiJS6_EEE10hipError_tPvRmT3_T4_T5_T6_T7_T9_mT8_P12ihipStream_tbDpT10_ENKUlT_T0_E_clISt17integral_constantIbLb0EES1A_IbLb1EEEEDaS16_S17_EUlS16_E_NS1_11comp_targetILNS1_3genE0ELNS1_11target_archE4294967295ELNS1_3gpuE0ELNS1_3repE0EEENS1_30default_config_static_selectorELNS0_4arch9wavefront6targetE0EEEvT1_.private_seg_size, 0
	.set _ZN7rocprim17ROCPRIM_400000_NS6detail17trampoline_kernelINS0_14default_configENS1_25partition_config_selectorILNS1_17partition_subalgoE5ElNS0_10empty_typeEbEEZZNS1_14partition_implILS5_5ELb0ES3_mN6hipcub16HIPCUB_304000_NS21CountingInputIteratorIllEEPS6_NSA_22TransformInputIteratorIbN2at6native12_GLOBAL__N_19NonZeroOpIbEEPKblEENS0_5tupleIJPlS6_EEENSN_IJSD_SD_EEES6_PiJS6_EEE10hipError_tPvRmT3_T4_T5_T6_T7_T9_mT8_P12ihipStream_tbDpT10_ENKUlT_T0_E_clISt17integral_constantIbLb0EES1A_IbLb1EEEEDaS16_S17_EUlS16_E_NS1_11comp_targetILNS1_3genE0ELNS1_11target_archE4294967295ELNS1_3gpuE0ELNS1_3repE0EEENS1_30default_config_static_selectorELNS0_4arch9wavefront6targetE0EEEvT1_.uses_vcc, 0
	.set _ZN7rocprim17ROCPRIM_400000_NS6detail17trampoline_kernelINS0_14default_configENS1_25partition_config_selectorILNS1_17partition_subalgoE5ElNS0_10empty_typeEbEEZZNS1_14partition_implILS5_5ELb0ES3_mN6hipcub16HIPCUB_304000_NS21CountingInputIteratorIllEEPS6_NSA_22TransformInputIteratorIbN2at6native12_GLOBAL__N_19NonZeroOpIbEEPKblEENS0_5tupleIJPlS6_EEENSN_IJSD_SD_EEES6_PiJS6_EEE10hipError_tPvRmT3_T4_T5_T6_T7_T9_mT8_P12ihipStream_tbDpT10_ENKUlT_T0_E_clISt17integral_constantIbLb0EES1A_IbLb1EEEEDaS16_S17_EUlS16_E_NS1_11comp_targetILNS1_3genE0ELNS1_11target_archE4294967295ELNS1_3gpuE0ELNS1_3repE0EEENS1_30default_config_static_selectorELNS0_4arch9wavefront6targetE0EEEvT1_.uses_flat_scratch, 0
	.set _ZN7rocprim17ROCPRIM_400000_NS6detail17trampoline_kernelINS0_14default_configENS1_25partition_config_selectorILNS1_17partition_subalgoE5ElNS0_10empty_typeEbEEZZNS1_14partition_implILS5_5ELb0ES3_mN6hipcub16HIPCUB_304000_NS21CountingInputIteratorIllEEPS6_NSA_22TransformInputIteratorIbN2at6native12_GLOBAL__N_19NonZeroOpIbEEPKblEENS0_5tupleIJPlS6_EEENSN_IJSD_SD_EEES6_PiJS6_EEE10hipError_tPvRmT3_T4_T5_T6_T7_T9_mT8_P12ihipStream_tbDpT10_ENKUlT_T0_E_clISt17integral_constantIbLb0EES1A_IbLb1EEEEDaS16_S17_EUlS16_E_NS1_11comp_targetILNS1_3genE0ELNS1_11target_archE4294967295ELNS1_3gpuE0ELNS1_3repE0EEENS1_30default_config_static_selectorELNS0_4arch9wavefront6targetE0EEEvT1_.has_dyn_sized_stack, 0
	.set _ZN7rocprim17ROCPRIM_400000_NS6detail17trampoline_kernelINS0_14default_configENS1_25partition_config_selectorILNS1_17partition_subalgoE5ElNS0_10empty_typeEbEEZZNS1_14partition_implILS5_5ELb0ES3_mN6hipcub16HIPCUB_304000_NS21CountingInputIteratorIllEEPS6_NSA_22TransformInputIteratorIbN2at6native12_GLOBAL__N_19NonZeroOpIbEEPKblEENS0_5tupleIJPlS6_EEENSN_IJSD_SD_EEES6_PiJS6_EEE10hipError_tPvRmT3_T4_T5_T6_T7_T9_mT8_P12ihipStream_tbDpT10_ENKUlT_T0_E_clISt17integral_constantIbLb0EES1A_IbLb1EEEEDaS16_S17_EUlS16_E_NS1_11comp_targetILNS1_3genE0ELNS1_11target_archE4294967295ELNS1_3gpuE0ELNS1_3repE0EEENS1_30default_config_static_selectorELNS0_4arch9wavefront6targetE0EEEvT1_.has_recursion, 0
	.set _ZN7rocprim17ROCPRIM_400000_NS6detail17trampoline_kernelINS0_14default_configENS1_25partition_config_selectorILNS1_17partition_subalgoE5ElNS0_10empty_typeEbEEZZNS1_14partition_implILS5_5ELb0ES3_mN6hipcub16HIPCUB_304000_NS21CountingInputIteratorIllEEPS6_NSA_22TransformInputIteratorIbN2at6native12_GLOBAL__N_19NonZeroOpIbEEPKblEENS0_5tupleIJPlS6_EEENSN_IJSD_SD_EEES6_PiJS6_EEE10hipError_tPvRmT3_T4_T5_T6_T7_T9_mT8_P12ihipStream_tbDpT10_ENKUlT_T0_E_clISt17integral_constantIbLb0EES1A_IbLb1EEEEDaS16_S17_EUlS16_E_NS1_11comp_targetILNS1_3genE0ELNS1_11target_archE4294967295ELNS1_3gpuE0ELNS1_3repE0EEENS1_30default_config_static_selectorELNS0_4arch9wavefront6targetE0EEEvT1_.has_indirect_call, 0
	.section	.AMDGPU.csdata,"",@progbits
; Kernel info:
; codeLenInByte = 0
; TotalNumSgprs: 0
; NumVgprs: 0
; ScratchSize: 0
; MemoryBound: 0
; FloatMode: 240
; IeeeMode: 1
; LDSByteSize: 0 bytes/workgroup (compile time only)
; SGPRBlocks: 0
; VGPRBlocks: 0
; NumSGPRsForWavesPerEU: 1
; NumVGPRsForWavesPerEU: 1
; Occupancy: 16
; WaveLimiterHint : 0
; COMPUTE_PGM_RSRC2:SCRATCH_EN: 0
; COMPUTE_PGM_RSRC2:USER_SGPR: 2
; COMPUTE_PGM_RSRC2:TRAP_HANDLER: 0
; COMPUTE_PGM_RSRC2:TGID_X_EN: 1
; COMPUTE_PGM_RSRC2:TGID_Y_EN: 0
; COMPUTE_PGM_RSRC2:TGID_Z_EN: 0
; COMPUTE_PGM_RSRC2:TIDIG_COMP_CNT: 0
	.section	.text._ZN7rocprim17ROCPRIM_400000_NS6detail17trampoline_kernelINS0_14default_configENS1_25partition_config_selectorILNS1_17partition_subalgoE5ElNS0_10empty_typeEbEEZZNS1_14partition_implILS5_5ELb0ES3_mN6hipcub16HIPCUB_304000_NS21CountingInputIteratorIllEEPS6_NSA_22TransformInputIteratorIbN2at6native12_GLOBAL__N_19NonZeroOpIbEEPKblEENS0_5tupleIJPlS6_EEENSN_IJSD_SD_EEES6_PiJS6_EEE10hipError_tPvRmT3_T4_T5_T6_T7_T9_mT8_P12ihipStream_tbDpT10_ENKUlT_T0_E_clISt17integral_constantIbLb0EES1A_IbLb1EEEEDaS16_S17_EUlS16_E_NS1_11comp_targetILNS1_3genE5ELNS1_11target_archE942ELNS1_3gpuE9ELNS1_3repE0EEENS1_30default_config_static_selectorELNS0_4arch9wavefront6targetE0EEEvT1_,"axG",@progbits,_ZN7rocprim17ROCPRIM_400000_NS6detail17trampoline_kernelINS0_14default_configENS1_25partition_config_selectorILNS1_17partition_subalgoE5ElNS0_10empty_typeEbEEZZNS1_14partition_implILS5_5ELb0ES3_mN6hipcub16HIPCUB_304000_NS21CountingInputIteratorIllEEPS6_NSA_22TransformInputIteratorIbN2at6native12_GLOBAL__N_19NonZeroOpIbEEPKblEENS0_5tupleIJPlS6_EEENSN_IJSD_SD_EEES6_PiJS6_EEE10hipError_tPvRmT3_T4_T5_T6_T7_T9_mT8_P12ihipStream_tbDpT10_ENKUlT_T0_E_clISt17integral_constantIbLb0EES1A_IbLb1EEEEDaS16_S17_EUlS16_E_NS1_11comp_targetILNS1_3genE5ELNS1_11target_archE942ELNS1_3gpuE9ELNS1_3repE0EEENS1_30default_config_static_selectorELNS0_4arch9wavefront6targetE0EEEvT1_,comdat
	.globl	_ZN7rocprim17ROCPRIM_400000_NS6detail17trampoline_kernelINS0_14default_configENS1_25partition_config_selectorILNS1_17partition_subalgoE5ElNS0_10empty_typeEbEEZZNS1_14partition_implILS5_5ELb0ES3_mN6hipcub16HIPCUB_304000_NS21CountingInputIteratorIllEEPS6_NSA_22TransformInputIteratorIbN2at6native12_GLOBAL__N_19NonZeroOpIbEEPKblEENS0_5tupleIJPlS6_EEENSN_IJSD_SD_EEES6_PiJS6_EEE10hipError_tPvRmT3_T4_T5_T6_T7_T9_mT8_P12ihipStream_tbDpT10_ENKUlT_T0_E_clISt17integral_constantIbLb0EES1A_IbLb1EEEEDaS16_S17_EUlS16_E_NS1_11comp_targetILNS1_3genE5ELNS1_11target_archE942ELNS1_3gpuE9ELNS1_3repE0EEENS1_30default_config_static_selectorELNS0_4arch9wavefront6targetE0EEEvT1_ ; -- Begin function _ZN7rocprim17ROCPRIM_400000_NS6detail17trampoline_kernelINS0_14default_configENS1_25partition_config_selectorILNS1_17partition_subalgoE5ElNS0_10empty_typeEbEEZZNS1_14partition_implILS5_5ELb0ES3_mN6hipcub16HIPCUB_304000_NS21CountingInputIteratorIllEEPS6_NSA_22TransformInputIteratorIbN2at6native12_GLOBAL__N_19NonZeroOpIbEEPKblEENS0_5tupleIJPlS6_EEENSN_IJSD_SD_EEES6_PiJS6_EEE10hipError_tPvRmT3_T4_T5_T6_T7_T9_mT8_P12ihipStream_tbDpT10_ENKUlT_T0_E_clISt17integral_constantIbLb0EES1A_IbLb1EEEEDaS16_S17_EUlS16_E_NS1_11comp_targetILNS1_3genE5ELNS1_11target_archE942ELNS1_3gpuE9ELNS1_3repE0EEENS1_30default_config_static_selectorELNS0_4arch9wavefront6targetE0EEEvT1_
	.p2align	8
	.type	_ZN7rocprim17ROCPRIM_400000_NS6detail17trampoline_kernelINS0_14default_configENS1_25partition_config_selectorILNS1_17partition_subalgoE5ElNS0_10empty_typeEbEEZZNS1_14partition_implILS5_5ELb0ES3_mN6hipcub16HIPCUB_304000_NS21CountingInputIteratorIllEEPS6_NSA_22TransformInputIteratorIbN2at6native12_GLOBAL__N_19NonZeroOpIbEEPKblEENS0_5tupleIJPlS6_EEENSN_IJSD_SD_EEES6_PiJS6_EEE10hipError_tPvRmT3_T4_T5_T6_T7_T9_mT8_P12ihipStream_tbDpT10_ENKUlT_T0_E_clISt17integral_constantIbLb0EES1A_IbLb1EEEEDaS16_S17_EUlS16_E_NS1_11comp_targetILNS1_3genE5ELNS1_11target_archE942ELNS1_3gpuE9ELNS1_3repE0EEENS1_30default_config_static_selectorELNS0_4arch9wavefront6targetE0EEEvT1_,@function
_ZN7rocprim17ROCPRIM_400000_NS6detail17trampoline_kernelINS0_14default_configENS1_25partition_config_selectorILNS1_17partition_subalgoE5ElNS0_10empty_typeEbEEZZNS1_14partition_implILS5_5ELb0ES3_mN6hipcub16HIPCUB_304000_NS21CountingInputIteratorIllEEPS6_NSA_22TransformInputIteratorIbN2at6native12_GLOBAL__N_19NonZeroOpIbEEPKblEENS0_5tupleIJPlS6_EEENSN_IJSD_SD_EEES6_PiJS6_EEE10hipError_tPvRmT3_T4_T5_T6_T7_T9_mT8_P12ihipStream_tbDpT10_ENKUlT_T0_E_clISt17integral_constantIbLb0EES1A_IbLb1EEEEDaS16_S17_EUlS16_E_NS1_11comp_targetILNS1_3genE5ELNS1_11target_archE942ELNS1_3gpuE9ELNS1_3repE0EEENS1_30default_config_static_selectorELNS0_4arch9wavefront6targetE0EEEvT1_: ; @_ZN7rocprim17ROCPRIM_400000_NS6detail17trampoline_kernelINS0_14default_configENS1_25partition_config_selectorILNS1_17partition_subalgoE5ElNS0_10empty_typeEbEEZZNS1_14partition_implILS5_5ELb0ES3_mN6hipcub16HIPCUB_304000_NS21CountingInputIteratorIllEEPS6_NSA_22TransformInputIteratorIbN2at6native12_GLOBAL__N_19NonZeroOpIbEEPKblEENS0_5tupleIJPlS6_EEENSN_IJSD_SD_EEES6_PiJS6_EEE10hipError_tPvRmT3_T4_T5_T6_T7_T9_mT8_P12ihipStream_tbDpT10_ENKUlT_T0_E_clISt17integral_constantIbLb0EES1A_IbLb1EEEEDaS16_S17_EUlS16_E_NS1_11comp_targetILNS1_3genE5ELNS1_11target_archE942ELNS1_3gpuE9ELNS1_3repE0EEENS1_30default_config_static_selectorELNS0_4arch9wavefront6targetE0EEEvT1_
; %bb.0:
	.section	.rodata,"a",@progbits
	.p2align	6, 0x0
	.amdhsa_kernel _ZN7rocprim17ROCPRIM_400000_NS6detail17trampoline_kernelINS0_14default_configENS1_25partition_config_selectorILNS1_17partition_subalgoE5ElNS0_10empty_typeEbEEZZNS1_14partition_implILS5_5ELb0ES3_mN6hipcub16HIPCUB_304000_NS21CountingInputIteratorIllEEPS6_NSA_22TransformInputIteratorIbN2at6native12_GLOBAL__N_19NonZeroOpIbEEPKblEENS0_5tupleIJPlS6_EEENSN_IJSD_SD_EEES6_PiJS6_EEE10hipError_tPvRmT3_T4_T5_T6_T7_T9_mT8_P12ihipStream_tbDpT10_ENKUlT_T0_E_clISt17integral_constantIbLb0EES1A_IbLb1EEEEDaS16_S17_EUlS16_E_NS1_11comp_targetILNS1_3genE5ELNS1_11target_archE942ELNS1_3gpuE9ELNS1_3repE0EEENS1_30default_config_static_selectorELNS0_4arch9wavefront6targetE0EEEvT1_
		.amdhsa_group_segment_fixed_size 0
		.amdhsa_private_segment_fixed_size 0
		.amdhsa_kernarg_size 136
		.amdhsa_user_sgpr_count 2
		.amdhsa_user_sgpr_dispatch_ptr 0
		.amdhsa_user_sgpr_queue_ptr 0
		.amdhsa_user_sgpr_kernarg_segment_ptr 1
		.amdhsa_user_sgpr_dispatch_id 0
		.amdhsa_user_sgpr_private_segment_size 0
		.amdhsa_wavefront_size32 1
		.amdhsa_uses_dynamic_stack 0
		.amdhsa_enable_private_segment 0
		.amdhsa_system_sgpr_workgroup_id_x 1
		.amdhsa_system_sgpr_workgroup_id_y 0
		.amdhsa_system_sgpr_workgroup_id_z 0
		.amdhsa_system_sgpr_workgroup_info 0
		.amdhsa_system_vgpr_workitem_id 0
		.amdhsa_next_free_vgpr 1
		.amdhsa_next_free_sgpr 1
		.amdhsa_reserve_vcc 0
		.amdhsa_float_round_mode_32 0
		.amdhsa_float_round_mode_16_64 0
		.amdhsa_float_denorm_mode_32 3
		.amdhsa_float_denorm_mode_16_64 3
		.amdhsa_fp16_overflow 0
		.amdhsa_workgroup_processor_mode 1
		.amdhsa_memory_ordered 1
		.amdhsa_forward_progress 1
		.amdhsa_inst_pref_size 0
		.amdhsa_round_robin_scheduling 0
		.amdhsa_exception_fp_ieee_invalid_op 0
		.amdhsa_exception_fp_denorm_src 0
		.amdhsa_exception_fp_ieee_div_zero 0
		.amdhsa_exception_fp_ieee_overflow 0
		.amdhsa_exception_fp_ieee_underflow 0
		.amdhsa_exception_fp_ieee_inexact 0
		.amdhsa_exception_int_div_zero 0
	.end_amdhsa_kernel
	.section	.text._ZN7rocprim17ROCPRIM_400000_NS6detail17trampoline_kernelINS0_14default_configENS1_25partition_config_selectorILNS1_17partition_subalgoE5ElNS0_10empty_typeEbEEZZNS1_14partition_implILS5_5ELb0ES3_mN6hipcub16HIPCUB_304000_NS21CountingInputIteratorIllEEPS6_NSA_22TransformInputIteratorIbN2at6native12_GLOBAL__N_19NonZeroOpIbEEPKblEENS0_5tupleIJPlS6_EEENSN_IJSD_SD_EEES6_PiJS6_EEE10hipError_tPvRmT3_T4_T5_T6_T7_T9_mT8_P12ihipStream_tbDpT10_ENKUlT_T0_E_clISt17integral_constantIbLb0EES1A_IbLb1EEEEDaS16_S17_EUlS16_E_NS1_11comp_targetILNS1_3genE5ELNS1_11target_archE942ELNS1_3gpuE9ELNS1_3repE0EEENS1_30default_config_static_selectorELNS0_4arch9wavefront6targetE0EEEvT1_,"axG",@progbits,_ZN7rocprim17ROCPRIM_400000_NS6detail17trampoline_kernelINS0_14default_configENS1_25partition_config_selectorILNS1_17partition_subalgoE5ElNS0_10empty_typeEbEEZZNS1_14partition_implILS5_5ELb0ES3_mN6hipcub16HIPCUB_304000_NS21CountingInputIteratorIllEEPS6_NSA_22TransformInputIteratorIbN2at6native12_GLOBAL__N_19NonZeroOpIbEEPKblEENS0_5tupleIJPlS6_EEENSN_IJSD_SD_EEES6_PiJS6_EEE10hipError_tPvRmT3_T4_T5_T6_T7_T9_mT8_P12ihipStream_tbDpT10_ENKUlT_T0_E_clISt17integral_constantIbLb0EES1A_IbLb1EEEEDaS16_S17_EUlS16_E_NS1_11comp_targetILNS1_3genE5ELNS1_11target_archE942ELNS1_3gpuE9ELNS1_3repE0EEENS1_30default_config_static_selectorELNS0_4arch9wavefront6targetE0EEEvT1_,comdat
.Lfunc_end755:
	.size	_ZN7rocprim17ROCPRIM_400000_NS6detail17trampoline_kernelINS0_14default_configENS1_25partition_config_selectorILNS1_17partition_subalgoE5ElNS0_10empty_typeEbEEZZNS1_14partition_implILS5_5ELb0ES3_mN6hipcub16HIPCUB_304000_NS21CountingInputIteratorIllEEPS6_NSA_22TransformInputIteratorIbN2at6native12_GLOBAL__N_19NonZeroOpIbEEPKblEENS0_5tupleIJPlS6_EEENSN_IJSD_SD_EEES6_PiJS6_EEE10hipError_tPvRmT3_T4_T5_T6_T7_T9_mT8_P12ihipStream_tbDpT10_ENKUlT_T0_E_clISt17integral_constantIbLb0EES1A_IbLb1EEEEDaS16_S17_EUlS16_E_NS1_11comp_targetILNS1_3genE5ELNS1_11target_archE942ELNS1_3gpuE9ELNS1_3repE0EEENS1_30default_config_static_selectorELNS0_4arch9wavefront6targetE0EEEvT1_, .Lfunc_end755-_ZN7rocprim17ROCPRIM_400000_NS6detail17trampoline_kernelINS0_14default_configENS1_25partition_config_selectorILNS1_17partition_subalgoE5ElNS0_10empty_typeEbEEZZNS1_14partition_implILS5_5ELb0ES3_mN6hipcub16HIPCUB_304000_NS21CountingInputIteratorIllEEPS6_NSA_22TransformInputIteratorIbN2at6native12_GLOBAL__N_19NonZeroOpIbEEPKblEENS0_5tupleIJPlS6_EEENSN_IJSD_SD_EEES6_PiJS6_EEE10hipError_tPvRmT3_T4_T5_T6_T7_T9_mT8_P12ihipStream_tbDpT10_ENKUlT_T0_E_clISt17integral_constantIbLb0EES1A_IbLb1EEEEDaS16_S17_EUlS16_E_NS1_11comp_targetILNS1_3genE5ELNS1_11target_archE942ELNS1_3gpuE9ELNS1_3repE0EEENS1_30default_config_static_selectorELNS0_4arch9wavefront6targetE0EEEvT1_
                                        ; -- End function
	.set _ZN7rocprim17ROCPRIM_400000_NS6detail17trampoline_kernelINS0_14default_configENS1_25partition_config_selectorILNS1_17partition_subalgoE5ElNS0_10empty_typeEbEEZZNS1_14partition_implILS5_5ELb0ES3_mN6hipcub16HIPCUB_304000_NS21CountingInputIteratorIllEEPS6_NSA_22TransformInputIteratorIbN2at6native12_GLOBAL__N_19NonZeroOpIbEEPKblEENS0_5tupleIJPlS6_EEENSN_IJSD_SD_EEES6_PiJS6_EEE10hipError_tPvRmT3_T4_T5_T6_T7_T9_mT8_P12ihipStream_tbDpT10_ENKUlT_T0_E_clISt17integral_constantIbLb0EES1A_IbLb1EEEEDaS16_S17_EUlS16_E_NS1_11comp_targetILNS1_3genE5ELNS1_11target_archE942ELNS1_3gpuE9ELNS1_3repE0EEENS1_30default_config_static_selectorELNS0_4arch9wavefront6targetE0EEEvT1_.num_vgpr, 0
	.set _ZN7rocprim17ROCPRIM_400000_NS6detail17trampoline_kernelINS0_14default_configENS1_25partition_config_selectorILNS1_17partition_subalgoE5ElNS0_10empty_typeEbEEZZNS1_14partition_implILS5_5ELb0ES3_mN6hipcub16HIPCUB_304000_NS21CountingInputIteratorIllEEPS6_NSA_22TransformInputIteratorIbN2at6native12_GLOBAL__N_19NonZeroOpIbEEPKblEENS0_5tupleIJPlS6_EEENSN_IJSD_SD_EEES6_PiJS6_EEE10hipError_tPvRmT3_T4_T5_T6_T7_T9_mT8_P12ihipStream_tbDpT10_ENKUlT_T0_E_clISt17integral_constantIbLb0EES1A_IbLb1EEEEDaS16_S17_EUlS16_E_NS1_11comp_targetILNS1_3genE5ELNS1_11target_archE942ELNS1_3gpuE9ELNS1_3repE0EEENS1_30default_config_static_selectorELNS0_4arch9wavefront6targetE0EEEvT1_.num_agpr, 0
	.set _ZN7rocprim17ROCPRIM_400000_NS6detail17trampoline_kernelINS0_14default_configENS1_25partition_config_selectorILNS1_17partition_subalgoE5ElNS0_10empty_typeEbEEZZNS1_14partition_implILS5_5ELb0ES3_mN6hipcub16HIPCUB_304000_NS21CountingInputIteratorIllEEPS6_NSA_22TransformInputIteratorIbN2at6native12_GLOBAL__N_19NonZeroOpIbEEPKblEENS0_5tupleIJPlS6_EEENSN_IJSD_SD_EEES6_PiJS6_EEE10hipError_tPvRmT3_T4_T5_T6_T7_T9_mT8_P12ihipStream_tbDpT10_ENKUlT_T0_E_clISt17integral_constantIbLb0EES1A_IbLb1EEEEDaS16_S17_EUlS16_E_NS1_11comp_targetILNS1_3genE5ELNS1_11target_archE942ELNS1_3gpuE9ELNS1_3repE0EEENS1_30default_config_static_selectorELNS0_4arch9wavefront6targetE0EEEvT1_.numbered_sgpr, 0
	.set _ZN7rocprim17ROCPRIM_400000_NS6detail17trampoline_kernelINS0_14default_configENS1_25partition_config_selectorILNS1_17partition_subalgoE5ElNS0_10empty_typeEbEEZZNS1_14partition_implILS5_5ELb0ES3_mN6hipcub16HIPCUB_304000_NS21CountingInputIteratorIllEEPS6_NSA_22TransformInputIteratorIbN2at6native12_GLOBAL__N_19NonZeroOpIbEEPKblEENS0_5tupleIJPlS6_EEENSN_IJSD_SD_EEES6_PiJS6_EEE10hipError_tPvRmT3_T4_T5_T6_T7_T9_mT8_P12ihipStream_tbDpT10_ENKUlT_T0_E_clISt17integral_constantIbLb0EES1A_IbLb1EEEEDaS16_S17_EUlS16_E_NS1_11comp_targetILNS1_3genE5ELNS1_11target_archE942ELNS1_3gpuE9ELNS1_3repE0EEENS1_30default_config_static_selectorELNS0_4arch9wavefront6targetE0EEEvT1_.num_named_barrier, 0
	.set _ZN7rocprim17ROCPRIM_400000_NS6detail17trampoline_kernelINS0_14default_configENS1_25partition_config_selectorILNS1_17partition_subalgoE5ElNS0_10empty_typeEbEEZZNS1_14partition_implILS5_5ELb0ES3_mN6hipcub16HIPCUB_304000_NS21CountingInputIteratorIllEEPS6_NSA_22TransformInputIteratorIbN2at6native12_GLOBAL__N_19NonZeroOpIbEEPKblEENS0_5tupleIJPlS6_EEENSN_IJSD_SD_EEES6_PiJS6_EEE10hipError_tPvRmT3_T4_T5_T6_T7_T9_mT8_P12ihipStream_tbDpT10_ENKUlT_T0_E_clISt17integral_constantIbLb0EES1A_IbLb1EEEEDaS16_S17_EUlS16_E_NS1_11comp_targetILNS1_3genE5ELNS1_11target_archE942ELNS1_3gpuE9ELNS1_3repE0EEENS1_30default_config_static_selectorELNS0_4arch9wavefront6targetE0EEEvT1_.private_seg_size, 0
	.set _ZN7rocprim17ROCPRIM_400000_NS6detail17trampoline_kernelINS0_14default_configENS1_25partition_config_selectorILNS1_17partition_subalgoE5ElNS0_10empty_typeEbEEZZNS1_14partition_implILS5_5ELb0ES3_mN6hipcub16HIPCUB_304000_NS21CountingInputIteratorIllEEPS6_NSA_22TransformInputIteratorIbN2at6native12_GLOBAL__N_19NonZeroOpIbEEPKblEENS0_5tupleIJPlS6_EEENSN_IJSD_SD_EEES6_PiJS6_EEE10hipError_tPvRmT3_T4_T5_T6_T7_T9_mT8_P12ihipStream_tbDpT10_ENKUlT_T0_E_clISt17integral_constantIbLb0EES1A_IbLb1EEEEDaS16_S17_EUlS16_E_NS1_11comp_targetILNS1_3genE5ELNS1_11target_archE942ELNS1_3gpuE9ELNS1_3repE0EEENS1_30default_config_static_selectorELNS0_4arch9wavefront6targetE0EEEvT1_.uses_vcc, 0
	.set _ZN7rocprim17ROCPRIM_400000_NS6detail17trampoline_kernelINS0_14default_configENS1_25partition_config_selectorILNS1_17partition_subalgoE5ElNS0_10empty_typeEbEEZZNS1_14partition_implILS5_5ELb0ES3_mN6hipcub16HIPCUB_304000_NS21CountingInputIteratorIllEEPS6_NSA_22TransformInputIteratorIbN2at6native12_GLOBAL__N_19NonZeroOpIbEEPKblEENS0_5tupleIJPlS6_EEENSN_IJSD_SD_EEES6_PiJS6_EEE10hipError_tPvRmT3_T4_T5_T6_T7_T9_mT8_P12ihipStream_tbDpT10_ENKUlT_T0_E_clISt17integral_constantIbLb0EES1A_IbLb1EEEEDaS16_S17_EUlS16_E_NS1_11comp_targetILNS1_3genE5ELNS1_11target_archE942ELNS1_3gpuE9ELNS1_3repE0EEENS1_30default_config_static_selectorELNS0_4arch9wavefront6targetE0EEEvT1_.uses_flat_scratch, 0
	.set _ZN7rocprim17ROCPRIM_400000_NS6detail17trampoline_kernelINS0_14default_configENS1_25partition_config_selectorILNS1_17partition_subalgoE5ElNS0_10empty_typeEbEEZZNS1_14partition_implILS5_5ELb0ES3_mN6hipcub16HIPCUB_304000_NS21CountingInputIteratorIllEEPS6_NSA_22TransformInputIteratorIbN2at6native12_GLOBAL__N_19NonZeroOpIbEEPKblEENS0_5tupleIJPlS6_EEENSN_IJSD_SD_EEES6_PiJS6_EEE10hipError_tPvRmT3_T4_T5_T6_T7_T9_mT8_P12ihipStream_tbDpT10_ENKUlT_T0_E_clISt17integral_constantIbLb0EES1A_IbLb1EEEEDaS16_S17_EUlS16_E_NS1_11comp_targetILNS1_3genE5ELNS1_11target_archE942ELNS1_3gpuE9ELNS1_3repE0EEENS1_30default_config_static_selectorELNS0_4arch9wavefront6targetE0EEEvT1_.has_dyn_sized_stack, 0
	.set _ZN7rocprim17ROCPRIM_400000_NS6detail17trampoline_kernelINS0_14default_configENS1_25partition_config_selectorILNS1_17partition_subalgoE5ElNS0_10empty_typeEbEEZZNS1_14partition_implILS5_5ELb0ES3_mN6hipcub16HIPCUB_304000_NS21CountingInputIteratorIllEEPS6_NSA_22TransformInputIteratorIbN2at6native12_GLOBAL__N_19NonZeroOpIbEEPKblEENS0_5tupleIJPlS6_EEENSN_IJSD_SD_EEES6_PiJS6_EEE10hipError_tPvRmT3_T4_T5_T6_T7_T9_mT8_P12ihipStream_tbDpT10_ENKUlT_T0_E_clISt17integral_constantIbLb0EES1A_IbLb1EEEEDaS16_S17_EUlS16_E_NS1_11comp_targetILNS1_3genE5ELNS1_11target_archE942ELNS1_3gpuE9ELNS1_3repE0EEENS1_30default_config_static_selectorELNS0_4arch9wavefront6targetE0EEEvT1_.has_recursion, 0
	.set _ZN7rocprim17ROCPRIM_400000_NS6detail17trampoline_kernelINS0_14default_configENS1_25partition_config_selectorILNS1_17partition_subalgoE5ElNS0_10empty_typeEbEEZZNS1_14partition_implILS5_5ELb0ES3_mN6hipcub16HIPCUB_304000_NS21CountingInputIteratorIllEEPS6_NSA_22TransformInputIteratorIbN2at6native12_GLOBAL__N_19NonZeroOpIbEEPKblEENS0_5tupleIJPlS6_EEENSN_IJSD_SD_EEES6_PiJS6_EEE10hipError_tPvRmT3_T4_T5_T6_T7_T9_mT8_P12ihipStream_tbDpT10_ENKUlT_T0_E_clISt17integral_constantIbLb0EES1A_IbLb1EEEEDaS16_S17_EUlS16_E_NS1_11comp_targetILNS1_3genE5ELNS1_11target_archE942ELNS1_3gpuE9ELNS1_3repE0EEENS1_30default_config_static_selectorELNS0_4arch9wavefront6targetE0EEEvT1_.has_indirect_call, 0
	.section	.AMDGPU.csdata,"",@progbits
; Kernel info:
; codeLenInByte = 0
; TotalNumSgprs: 0
; NumVgprs: 0
; ScratchSize: 0
; MemoryBound: 0
; FloatMode: 240
; IeeeMode: 1
; LDSByteSize: 0 bytes/workgroup (compile time only)
; SGPRBlocks: 0
; VGPRBlocks: 0
; NumSGPRsForWavesPerEU: 1
; NumVGPRsForWavesPerEU: 1
; Occupancy: 16
; WaveLimiterHint : 0
; COMPUTE_PGM_RSRC2:SCRATCH_EN: 0
; COMPUTE_PGM_RSRC2:USER_SGPR: 2
; COMPUTE_PGM_RSRC2:TRAP_HANDLER: 0
; COMPUTE_PGM_RSRC2:TGID_X_EN: 1
; COMPUTE_PGM_RSRC2:TGID_Y_EN: 0
; COMPUTE_PGM_RSRC2:TGID_Z_EN: 0
; COMPUTE_PGM_RSRC2:TIDIG_COMP_CNT: 0
	.section	.text._ZN7rocprim17ROCPRIM_400000_NS6detail17trampoline_kernelINS0_14default_configENS1_25partition_config_selectorILNS1_17partition_subalgoE5ElNS0_10empty_typeEbEEZZNS1_14partition_implILS5_5ELb0ES3_mN6hipcub16HIPCUB_304000_NS21CountingInputIteratorIllEEPS6_NSA_22TransformInputIteratorIbN2at6native12_GLOBAL__N_19NonZeroOpIbEEPKblEENS0_5tupleIJPlS6_EEENSN_IJSD_SD_EEES6_PiJS6_EEE10hipError_tPvRmT3_T4_T5_T6_T7_T9_mT8_P12ihipStream_tbDpT10_ENKUlT_T0_E_clISt17integral_constantIbLb0EES1A_IbLb1EEEEDaS16_S17_EUlS16_E_NS1_11comp_targetILNS1_3genE4ELNS1_11target_archE910ELNS1_3gpuE8ELNS1_3repE0EEENS1_30default_config_static_selectorELNS0_4arch9wavefront6targetE0EEEvT1_,"axG",@progbits,_ZN7rocprim17ROCPRIM_400000_NS6detail17trampoline_kernelINS0_14default_configENS1_25partition_config_selectorILNS1_17partition_subalgoE5ElNS0_10empty_typeEbEEZZNS1_14partition_implILS5_5ELb0ES3_mN6hipcub16HIPCUB_304000_NS21CountingInputIteratorIllEEPS6_NSA_22TransformInputIteratorIbN2at6native12_GLOBAL__N_19NonZeroOpIbEEPKblEENS0_5tupleIJPlS6_EEENSN_IJSD_SD_EEES6_PiJS6_EEE10hipError_tPvRmT3_T4_T5_T6_T7_T9_mT8_P12ihipStream_tbDpT10_ENKUlT_T0_E_clISt17integral_constantIbLb0EES1A_IbLb1EEEEDaS16_S17_EUlS16_E_NS1_11comp_targetILNS1_3genE4ELNS1_11target_archE910ELNS1_3gpuE8ELNS1_3repE0EEENS1_30default_config_static_selectorELNS0_4arch9wavefront6targetE0EEEvT1_,comdat
	.globl	_ZN7rocprim17ROCPRIM_400000_NS6detail17trampoline_kernelINS0_14default_configENS1_25partition_config_selectorILNS1_17partition_subalgoE5ElNS0_10empty_typeEbEEZZNS1_14partition_implILS5_5ELb0ES3_mN6hipcub16HIPCUB_304000_NS21CountingInputIteratorIllEEPS6_NSA_22TransformInputIteratorIbN2at6native12_GLOBAL__N_19NonZeroOpIbEEPKblEENS0_5tupleIJPlS6_EEENSN_IJSD_SD_EEES6_PiJS6_EEE10hipError_tPvRmT3_T4_T5_T6_T7_T9_mT8_P12ihipStream_tbDpT10_ENKUlT_T0_E_clISt17integral_constantIbLb0EES1A_IbLb1EEEEDaS16_S17_EUlS16_E_NS1_11comp_targetILNS1_3genE4ELNS1_11target_archE910ELNS1_3gpuE8ELNS1_3repE0EEENS1_30default_config_static_selectorELNS0_4arch9wavefront6targetE0EEEvT1_ ; -- Begin function _ZN7rocprim17ROCPRIM_400000_NS6detail17trampoline_kernelINS0_14default_configENS1_25partition_config_selectorILNS1_17partition_subalgoE5ElNS0_10empty_typeEbEEZZNS1_14partition_implILS5_5ELb0ES3_mN6hipcub16HIPCUB_304000_NS21CountingInputIteratorIllEEPS6_NSA_22TransformInputIteratorIbN2at6native12_GLOBAL__N_19NonZeroOpIbEEPKblEENS0_5tupleIJPlS6_EEENSN_IJSD_SD_EEES6_PiJS6_EEE10hipError_tPvRmT3_T4_T5_T6_T7_T9_mT8_P12ihipStream_tbDpT10_ENKUlT_T0_E_clISt17integral_constantIbLb0EES1A_IbLb1EEEEDaS16_S17_EUlS16_E_NS1_11comp_targetILNS1_3genE4ELNS1_11target_archE910ELNS1_3gpuE8ELNS1_3repE0EEENS1_30default_config_static_selectorELNS0_4arch9wavefront6targetE0EEEvT1_
	.p2align	8
	.type	_ZN7rocprim17ROCPRIM_400000_NS6detail17trampoline_kernelINS0_14default_configENS1_25partition_config_selectorILNS1_17partition_subalgoE5ElNS0_10empty_typeEbEEZZNS1_14partition_implILS5_5ELb0ES3_mN6hipcub16HIPCUB_304000_NS21CountingInputIteratorIllEEPS6_NSA_22TransformInputIteratorIbN2at6native12_GLOBAL__N_19NonZeroOpIbEEPKblEENS0_5tupleIJPlS6_EEENSN_IJSD_SD_EEES6_PiJS6_EEE10hipError_tPvRmT3_T4_T5_T6_T7_T9_mT8_P12ihipStream_tbDpT10_ENKUlT_T0_E_clISt17integral_constantIbLb0EES1A_IbLb1EEEEDaS16_S17_EUlS16_E_NS1_11comp_targetILNS1_3genE4ELNS1_11target_archE910ELNS1_3gpuE8ELNS1_3repE0EEENS1_30default_config_static_selectorELNS0_4arch9wavefront6targetE0EEEvT1_,@function
_ZN7rocprim17ROCPRIM_400000_NS6detail17trampoline_kernelINS0_14default_configENS1_25partition_config_selectorILNS1_17partition_subalgoE5ElNS0_10empty_typeEbEEZZNS1_14partition_implILS5_5ELb0ES3_mN6hipcub16HIPCUB_304000_NS21CountingInputIteratorIllEEPS6_NSA_22TransformInputIteratorIbN2at6native12_GLOBAL__N_19NonZeroOpIbEEPKblEENS0_5tupleIJPlS6_EEENSN_IJSD_SD_EEES6_PiJS6_EEE10hipError_tPvRmT3_T4_T5_T6_T7_T9_mT8_P12ihipStream_tbDpT10_ENKUlT_T0_E_clISt17integral_constantIbLb0EES1A_IbLb1EEEEDaS16_S17_EUlS16_E_NS1_11comp_targetILNS1_3genE4ELNS1_11target_archE910ELNS1_3gpuE8ELNS1_3repE0EEENS1_30default_config_static_selectorELNS0_4arch9wavefront6targetE0EEEvT1_: ; @_ZN7rocprim17ROCPRIM_400000_NS6detail17trampoline_kernelINS0_14default_configENS1_25partition_config_selectorILNS1_17partition_subalgoE5ElNS0_10empty_typeEbEEZZNS1_14partition_implILS5_5ELb0ES3_mN6hipcub16HIPCUB_304000_NS21CountingInputIteratorIllEEPS6_NSA_22TransformInputIteratorIbN2at6native12_GLOBAL__N_19NonZeroOpIbEEPKblEENS0_5tupleIJPlS6_EEENSN_IJSD_SD_EEES6_PiJS6_EEE10hipError_tPvRmT3_T4_T5_T6_T7_T9_mT8_P12ihipStream_tbDpT10_ENKUlT_T0_E_clISt17integral_constantIbLb0EES1A_IbLb1EEEEDaS16_S17_EUlS16_E_NS1_11comp_targetILNS1_3genE4ELNS1_11target_archE910ELNS1_3gpuE8ELNS1_3repE0EEENS1_30default_config_static_selectorELNS0_4arch9wavefront6targetE0EEEvT1_
; %bb.0:
	.section	.rodata,"a",@progbits
	.p2align	6, 0x0
	.amdhsa_kernel _ZN7rocprim17ROCPRIM_400000_NS6detail17trampoline_kernelINS0_14default_configENS1_25partition_config_selectorILNS1_17partition_subalgoE5ElNS0_10empty_typeEbEEZZNS1_14partition_implILS5_5ELb0ES3_mN6hipcub16HIPCUB_304000_NS21CountingInputIteratorIllEEPS6_NSA_22TransformInputIteratorIbN2at6native12_GLOBAL__N_19NonZeroOpIbEEPKblEENS0_5tupleIJPlS6_EEENSN_IJSD_SD_EEES6_PiJS6_EEE10hipError_tPvRmT3_T4_T5_T6_T7_T9_mT8_P12ihipStream_tbDpT10_ENKUlT_T0_E_clISt17integral_constantIbLb0EES1A_IbLb1EEEEDaS16_S17_EUlS16_E_NS1_11comp_targetILNS1_3genE4ELNS1_11target_archE910ELNS1_3gpuE8ELNS1_3repE0EEENS1_30default_config_static_selectorELNS0_4arch9wavefront6targetE0EEEvT1_
		.amdhsa_group_segment_fixed_size 0
		.amdhsa_private_segment_fixed_size 0
		.amdhsa_kernarg_size 136
		.amdhsa_user_sgpr_count 2
		.amdhsa_user_sgpr_dispatch_ptr 0
		.amdhsa_user_sgpr_queue_ptr 0
		.amdhsa_user_sgpr_kernarg_segment_ptr 1
		.amdhsa_user_sgpr_dispatch_id 0
		.amdhsa_user_sgpr_private_segment_size 0
		.amdhsa_wavefront_size32 1
		.amdhsa_uses_dynamic_stack 0
		.amdhsa_enable_private_segment 0
		.amdhsa_system_sgpr_workgroup_id_x 1
		.amdhsa_system_sgpr_workgroup_id_y 0
		.amdhsa_system_sgpr_workgroup_id_z 0
		.amdhsa_system_sgpr_workgroup_info 0
		.amdhsa_system_vgpr_workitem_id 0
		.amdhsa_next_free_vgpr 1
		.amdhsa_next_free_sgpr 1
		.amdhsa_reserve_vcc 0
		.amdhsa_float_round_mode_32 0
		.amdhsa_float_round_mode_16_64 0
		.amdhsa_float_denorm_mode_32 3
		.amdhsa_float_denorm_mode_16_64 3
		.amdhsa_fp16_overflow 0
		.amdhsa_workgroup_processor_mode 1
		.amdhsa_memory_ordered 1
		.amdhsa_forward_progress 1
		.amdhsa_inst_pref_size 0
		.amdhsa_round_robin_scheduling 0
		.amdhsa_exception_fp_ieee_invalid_op 0
		.amdhsa_exception_fp_denorm_src 0
		.amdhsa_exception_fp_ieee_div_zero 0
		.amdhsa_exception_fp_ieee_overflow 0
		.amdhsa_exception_fp_ieee_underflow 0
		.amdhsa_exception_fp_ieee_inexact 0
		.amdhsa_exception_int_div_zero 0
	.end_amdhsa_kernel
	.section	.text._ZN7rocprim17ROCPRIM_400000_NS6detail17trampoline_kernelINS0_14default_configENS1_25partition_config_selectorILNS1_17partition_subalgoE5ElNS0_10empty_typeEbEEZZNS1_14partition_implILS5_5ELb0ES3_mN6hipcub16HIPCUB_304000_NS21CountingInputIteratorIllEEPS6_NSA_22TransformInputIteratorIbN2at6native12_GLOBAL__N_19NonZeroOpIbEEPKblEENS0_5tupleIJPlS6_EEENSN_IJSD_SD_EEES6_PiJS6_EEE10hipError_tPvRmT3_T4_T5_T6_T7_T9_mT8_P12ihipStream_tbDpT10_ENKUlT_T0_E_clISt17integral_constantIbLb0EES1A_IbLb1EEEEDaS16_S17_EUlS16_E_NS1_11comp_targetILNS1_3genE4ELNS1_11target_archE910ELNS1_3gpuE8ELNS1_3repE0EEENS1_30default_config_static_selectorELNS0_4arch9wavefront6targetE0EEEvT1_,"axG",@progbits,_ZN7rocprim17ROCPRIM_400000_NS6detail17trampoline_kernelINS0_14default_configENS1_25partition_config_selectorILNS1_17partition_subalgoE5ElNS0_10empty_typeEbEEZZNS1_14partition_implILS5_5ELb0ES3_mN6hipcub16HIPCUB_304000_NS21CountingInputIteratorIllEEPS6_NSA_22TransformInputIteratorIbN2at6native12_GLOBAL__N_19NonZeroOpIbEEPKblEENS0_5tupleIJPlS6_EEENSN_IJSD_SD_EEES6_PiJS6_EEE10hipError_tPvRmT3_T4_T5_T6_T7_T9_mT8_P12ihipStream_tbDpT10_ENKUlT_T0_E_clISt17integral_constantIbLb0EES1A_IbLb1EEEEDaS16_S17_EUlS16_E_NS1_11comp_targetILNS1_3genE4ELNS1_11target_archE910ELNS1_3gpuE8ELNS1_3repE0EEENS1_30default_config_static_selectorELNS0_4arch9wavefront6targetE0EEEvT1_,comdat
.Lfunc_end756:
	.size	_ZN7rocprim17ROCPRIM_400000_NS6detail17trampoline_kernelINS0_14default_configENS1_25partition_config_selectorILNS1_17partition_subalgoE5ElNS0_10empty_typeEbEEZZNS1_14partition_implILS5_5ELb0ES3_mN6hipcub16HIPCUB_304000_NS21CountingInputIteratorIllEEPS6_NSA_22TransformInputIteratorIbN2at6native12_GLOBAL__N_19NonZeroOpIbEEPKblEENS0_5tupleIJPlS6_EEENSN_IJSD_SD_EEES6_PiJS6_EEE10hipError_tPvRmT3_T4_T5_T6_T7_T9_mT8_P12ihipStream_tbDpT10_ENKUlT_T0_E_clISt17integral_constantIbLb0EES1A_IbLb1EEEEDaS16_S17_EUlS16_E_NS1_11comp_targetILNS1_3genE4ELNS1_11target_archE910ELNS1_3gpuE8ELNS1_3repE0EEENS1_30default_config_static_selectorELNS0_4arch9wavefront6targetE0EEEvT1_, .Lfunc_end756-_ZN7rocprim17ROCPRIM_400000_NS6detail17trampoline_kernelINS0_14default_configENS1_25partition_config_selectorILNS1_17partition_subalgoE5ElNS0_10empty_typeEbEEZZNS1_14partition_implILS5_5ELb0ES3_mN6hipcub16HIPCUB_304000_NS21CountingInputIteratorIllEEPS6_NSA_22TransformInputIteratorIbN2at6native12_GLOBAL__N_19NonZeroOpIbEEPKblEENS0_5tupleIJPlS6_EEENSN_IJSD_SD_EEES6_PiJS6_EEE10hipError_tPvRmT3_T4_T5_T6_T7_T9_mT8_P12ihipStream_tbDpT10_ENKUlT_T0_E_clISt17integral_constantIbLb0EES1A_IbLb1EEEEDaS16_S17_EUlS16_E_NS1_11comp_targetILNS1_3genE4ELNS1_11target_archE910ELNS1_3gpuE8ELNS1_3repE0EEENS1_30default_config_static_selectorELNS0_4arch9wavefront6targetE0EEEvT1_
                                        ; -- End function
	.set _ZN7rocprim17ROCPRIM_400000_NS6detail17trampoline_kernelINS0_14default_configENS1_25partition_config_selectorILNS1_17partition_subalgoE5ElNS0_10empty_typeEbEEZZNS1_14partition_implILS5_5ELb0ES3_mN6hipcub16HIPCUB_304000_NS21CountingInputIteratorIllEEPS6_NSA_22TransformInputIteratorIbN2at6native12_GLOBAL__N_19NonZeroOpIbEEPKblEENS0_5tupleIJPlS6_EEENSN_IJSD_SD_EEES6_PiJS6_EEE10hipError_tPvRmT3_T4_T5_T6_T7_T9_mT8_P12ihipStream_tbDpT10_ENKUlT_T0_E_clISt17integral_constantIbLb0EES1A_IbLb1EEEEDaS16_S17_EUlS16_E_NS1_11comp_targetILNS1_3genE4ELNS1_11target_archE910ELNS1_3gpuE8ELNS1_3repE0EEENS1_30default_config_static_selectorELNS0_4arch9wavefront6targetE0EEEvT1_.num_vgpr, 0
	.set _ZN7rocprim17ROCPRIM_400000_NS6detail17trampoline_kernelINS0_14default_configENS1_25partition_config_selectorILNS1_17partition_subalgoE5ElNS0_10empty_typeEbEEZZNS1_14partition_implILS5_5ELb0ES3_mN6hipcub16HIPCUB_304000_NS21CountingInputIteratorIllEEPS6_NSA_22TransformInputIteratorIbN2at6native12_GLOBAL__N_19NonZeroOpIbEEPKblEENS0_5tupleIJPlS6_EEENSN_IJSD_SD_EEES6_PiJS6_EEE10hipError_tPvRmT3_T4_T5_T6_T7_T9_mT8_P12ihipStream_tbDpT10_ENKUlT_T0_E_clISt17integral_constantIbLb0EES1A_IbLb1EEEEDaS16_S17_EUlS16_E_NS1_11comp_targetILNS1_3genE4ELNS1_11target_archE910ELNS1_3gpuE8ELNS1_3repE0EEENS1_30default_config_static_selectorELNS0_4arch9wavefront6targetE0EEEvT1_.num_agpr, 0
	.set _ZN7rocprim17ROCPRIM_400000_NS6detail17trampoline_kernelINS0_14default_configENS1_25partition_config_selectorILNS1_17partition_subalgoE5ElNS0_10empty_typeEbEEZZNS1_14partition_implILS5_5ELb0ES3_mN6hipcub16HIPCUB_304000_NS21CountingInputIteratorIllEEPS6_NSA_22TransformInputIteratorIbN2at6native12_GLOBAL__N_19NonZeroOpIbEEPKblEENS0_5tupleIJPlS6_EEENSN_IJSD_SD_EEES6_PiJS6_EEE10hipError_tPvRmT3_T4_T5_T6_T7_T9_mT8_P12ihipStream_tbDpT10_ENKUlT_T0_E_clISt17integral_constantIbLb0EES1A_IbLb1EEEEDaS16_S17_EUlS16_E_NS1_11comp_targetILNS1_3genE4ELNS1_11target_archE910ELNS1_3gpuE8ELNS1_3repE0EEENS1_30default_config_static_selectorELNS0_4arch9wavefront6targetE0EEEvT1_.numbered_sgpr, 0
	.set _ZN7rocprim17ROCPRIM_400000_NS6detail17trampoline_kernelINS0_14default_configENS1_25partition_config_selectorILNS1_17partition_subalgoE5ElNS0_10empty_typeEbEEZZNS1_14partition_implILS5_5ELb0ES3_mN6hipcub16HIPCUB_304000_NS21CountingInputIteratorIllEEPS6_NSA_22TransformInputIteratorIbN2at6native12_GLOBAL__N_19NonZeroOpIbEEPKblEENS0_5tupleIJPlS6_EEENSN_IJSD_SD_EEES6_PiJS6_EEE10hipError_tPvRmT3_T4_T5_T6_T7_T9_mT8_P12ihipStream_tbDpT10_ENKUlT_T0_E_clISt17integral_constantIbLb0EES1A_IbLb1EEEEDaS16_S17_EUlS16_E_NS1_11comp_targetILNS1_3genE4ELNS1_11target_archE910ELNS1_3gpuE8ELNS1_3repE0EEENS1_30default_config_static_selectorELNS0_4arch9wavefront6targetE0EEEvT1_.num_named_barrier, 0
	.set _ZN7rocprim17ROCPRIM_400000_NS6detail17trampoline_kernelINS0_14default_configENS1_25partition_config_selectorILNS1_17partition_subalgoE5ElNS0_10empty_typeEbEEZZNS1_14partition_implILS5_5ELb0ES3_mN6hipcub16HIPCUB_304000_NS21CountingInputIteratorIllEEPS6_NSA_22TransformInputIteratorIbN2at6native12_GLOBAL__N_19NonZeroOpIbEEPKblEENS0_5tupleIJPlS6_EEENSN_IJSD_SD_EEES6_PiJS6_EEE10hipError_tPvRmT3_T4_T5_T6_T7_T9_mT8_P12ihipStream_tbDpT10_ENKUlT_T0_E_clISt17integral_constantIbLb0EES1A_IbLb1EEEEDaS16_S17_EUlS16_E_NS1_11comp_targetILNS1_3genE4ELNS1_11target_archE910ELNS1_3gpuE8ELNS1_3repE0EEENS1_30default_config_static_selectorELNS0_4arch9wavefront6targetE0EEEvT1_.private_seg_size, 0
	.set _ZN7rocprim17ROCPRIM_400000_NS6detail17trampoline_kernelINS0_14default_configENS1_25partition_config_selectorILNS1_17partition_subalgoE5ElNS0_10empty_typeEbEEZZNS1_14partition_implILS5_5ELb0ES3_mN6hipcub16HIPCUB_304000_NS21CountingInputIteratorIllEEPS6_NSA_22TransformInputIteratorIbN2at6native12_GLOBAL__N_19NonZeroOpIbEEPKblEENS0_5tupleIJPlS6_EEENSN_IJSD_SD_EEES6_PiJS6_EEE10hipError_tPvRmT3_T4_T5_T6_T7_T9_mT8_P12ihipStream_tbDpT10_ENKUlT_T0_E_clISt17integral_constantIbLb0EES1A_IbLb1EEEEDaS16_S17_EUlS16_E_NS1_11comp_targetILNS1_3genE4ELNS1_11target_archE910ELNS1_3gpuE8ELNS1_3repE0EEENS1_30default_config_static_selectorELNS0_4arch9wavefront6targetE0EEEvT1_.uses_vcc, 0
	.set _ZN7rocprim17ROCPRIM_400000_NS6detail17trampoline_kernelINS0_14default_configENS1_25partition_config_selectorILNS1_17partition_subalgoE5ElNS0_10empty_typeEbEEZZNS1_14partition_implILS5_5ELb0ES3_mN6hipcub16HIPCUB_304000_NS21CountingInputIteratorIllEEPS6_NSA_22TransformInputIteratorIbN2at6native12_GLOBAL__N_19NonZeroOpIbEEPKblEENS0_5tupleIJPlS6_EEENSN_IJSD_SD_EEES6_PiJS6_EEE10hipError_tPvRmT3_T4_T5_T6_T7_T9_mT8_P12ihipStream_tbDpT10_ENKUlT_T0_E_clISt17integral_constantIbLb0EES1A_IbLb1EEEEDaS16_S17_EUlS16_E_NS1_11comp_targetILNS1_3genE4ELNS1_11target_archE910ELNS1_3gpuE8ELNS1_3repE0EEENS1_30default_config_static_selectorELNS0_4arch9wavefront6targetE0EEEvT1_.uses_flat_scratch, 0
	.set _ZN7rocprim17ROCPRIM_400000_NS6detail17trampoline_kernelINS0_14default_configENS1_25partition_config_selectorILNS1_17partition_subalgoE5ElNS0_10empty_typeEbEEZZNS1_14partition_implILS5_5ELb0ES3_mN6hipcub16HIPCUB_304000_NS21CountingInputIteratorIllEEPS6_NSA_22TransformInputIteratorIbN2at6native12_GLOBAL__N_19NonZeroOpIbEEPKblEENS0_5tupleIJPlS6_EEENSN_IJSD_SD_EEES6_PiJS6_EEE10hipError_tPvRmT3_T4_T5_T6_T7_T9_mT8_P12ihipStream_tbDpT10_ENKUlT_T0_E_clISt17integral_constantIbLb0EES1A_IbLb1EEEEDaS16_S17_EUlS16_E_NS1_11comp_targetILNS1_3genE4ELNS1_11target_archE910ELNS1_3gpuE8ELNS1_3repE0EEENS1_30default_config_static_selectorELNS0_4arch9wavefront6targetE0EEEvT1_.has_dyn_sized_stack, 0
	.set _ZN7rocprim17ROCPRIM_400000_NS6detail17trampoline_kernelINS0_14default_configENS1_25partition_config_selectorILNS1_17partition_subalgoE5ElNS0_10empty_typeEbEEZZNS1_14partition_implILS5_5ELb0ES3_mN6hipcub16HIPCUB_304000_NS21CountingInputIteratorIllEEPS6_NSA_22TransformInputIteratorIbN2at6native12_GLOBAL__N_19NonZeroOpIbEEPKblEENS0_5tupleIJPlS6_EEENSN_IJSD_SD_EEES6_PiJS6_EEE10hipError_tPvRmT3_T4_T5_T6_T7_T9_mT8_P12ihipStream_tbDpT10_ENKUlT_T0_E_clISt17integral_constantIbLb0EES1A_IbLb1EEEEDaS16_S17_EUlS16_E_NS1_11comp_targetILNS1_3genE4ELNS1_11target_archE910ELNS1_3gpuE8ELNS1_3repE0EEENS1_30default_config_static_selectorELNS0_4arch9wavefront6targetE0EEEvT1_.has_recursion, 0
	.set _ZN7rocprim17ROCPRIM_400000_NS6detail17trampoline_kernelINS0_14default_configENS1_25partition_config_selectorILNS1_17partition_subalgoE5ElNS0_10empty_typeEbEEZZNS1_14partition_implILS5_5ELb0ES3_mN6hipcub16HIPCUB_304000_NS21CountingInputIteratorIllEEPS6_NSA_22TransformInputIteratorIbN2at6native12_GLOBAL__N_19NonZeroOpIbEEPKblEENS0_5tupleIJPlS6_EEENSN_IJSD_SD_EEES6_PiJS6_EEE10hipError_tPvRmT3_T4_T5_T6_T7_T9_mT8_P12ihipStream_tbDpT10_ENKUlT_T0_E_clISt17integral_constantIbLb0EES1A_IbLb1EEEEDaS16_S17_EUlS16_E_NS1_11comp_targetILNS1_3genE4ELNS1_11target_archE910ELNS1_3gpuE8ELNS1_3repE0EEENS1_30default_config_static_selectorELNS0_4arch9wavefront6targetE0EEEvT1_.has_indirect_call, 0
	.section	.AMDGPU.csdata,"",@progbits
; Kernel info:
; codeLenInByte = 0
; TotalNumSgprs: 0
; NumVgprs: 0
; ScratchSize: 0
; MemoryBound: 0
; FloatMode: 240
; IeeeMode: 1
; LDSByteSize: 0 bytes/workgroup (compile time only)
; SGPRBlocks: 0
; VGPRBlocks: 0
; NumSGPRsForWavesPerEU: 1
; NumVGPRsForWavesPerEU: 1
; Occupancy: 16
; WaveLimiterHint : 0
; COMPUTE_PGM_RSRC2:SCRATCH_EN: 0
; COMPUTE_PGM_RSRC2:USER_SGPR: 2
; COMPUTE_PGM_RSRC2:TRAP_HANDLER: 0
; COMPUTE_PGM_RSRC2:TGID_X_EN: 1
; COMPUTE_PGM_RSRC2:TGID_Y_EN: 0
; COMPUTE_PGM_RSRC2:TGID_Z_EN: 0
; COMPUTE_PGM_RSRC2:TIDIG_COMP_CNT: 0
	.section	.text._ZN7rocprim17ROCPRIM_400000_NS6detail17trampoline_kernelINS0_14default_configENS1_25partition_config_selectorILNS1_17partition_subalgoE5ElNS0_10empty_typeEbEEZZNS1_14partition_implILS5_5ELb0ES3_mN6hipcub16HIPCUB_304000_NS21CountingInputIteratorIllEEPS6_NSA_22TransformInputIteratorIbN2at6native12_GLOBAL__N_19NonZeroOpIbEEPKblEENS0_5tupleIJPlS6_EEENSN_IJSD_SD_EEES6_PiJS6_EEE10hipError_tPvRmT3_T4_T5_T6_T7_T9_mT8_P12ihipStream_tbDpT10_ENKUlT_T0_E_clISt17integral_constantIbLb0EES1A_IbLb1EEEEDaS16_S17_EUlS16_E_NS1_11comp_targetILNS1_3genE3ELNS1_11target_archE908ELNS1_3gpuE7ELNS1_3repE0EEENS1_30default_config_static_selectorELNS0_4arch9wavefront6targetE0EEEvT1_,"axG",@progbits,_ZN7rocprim17ROCPRIM_400000_NS6detail17trampoline_kernelINS0_14default_configENS1_25partition_config_selectorILNS1_17partition_subalgoE5ElNS0_10empty_typeEbEEZZNS1_14partition_implILS5_5ELb0ES3_mN6hipcub16HIPCUB_304000_NS21CountingInputIteratorIllEEPS6_NSA_22TransformInputIteratorIbN2at6native12_GLOBAL__N_19NonZeroOpIbEEPKblEENS0_5tupleIJPlS6_EEENSN_IJSD_SD_EEES6_PiJS6_EEE10hipError_tPvRmT3_T4_T5_T6_T7_T9_mT8_P12ihipStream_tbDpT10_ENKUlT_T0_E_clISt17integral_constantIbLb0EES1A_IbLb1EEEEDaS16_S17_EUlS16_E_NS1_11comp_targetILNS1_3genE3ELNS1_11target_archE908ELNS1_3gpuE7ELNS1_3repE0EEENS1_30default_config_static_selectorELNS0_4arch9wavefront6targetE0EEEvT1_,comdat
	.globl	_ZN7rocprim17ROCPRIM_400000_NS6detail17trampoline_kernelINS0_14default_configENS1_25partition_config_selectorILNS1_17partition_subalgoE5ElNS0_10empty_typeEbEEZZNS1_14partition_implILS5_5ELb0ES3_mN6hipcub16HIPCUB_304000_NS21CountingInputIteratorIllEEPS6_NSA_22TransformInputIteratorIbN2at6native12_GLOBAL__N_19NonZeroOpIbEEPKblEENS0_5tupleIJPlS6_EEENSN_IJSD_SD_EEES6_PiJS6_EEE10hipError_tPvRmT3_T4_T5_T6_T7_T9_mT8_P12ihipStream_tbDpT10_ENKUlT_T0_E_clISt17integral_constantIbLb0EES1A_IbLb1EEEEDaS16_S17_EUlS16_E_NS1_11comp_targetILNS1_3genE3ELNS1_11target_archE908ELNS1_3gpuE7ELNS1_3repE0EEENS1_30default_config_static_selectorELNS0_4arch9wavefront6targetE0EEEvT1_ ; -- Begin function _ZN7rocprim17ROCPRIM_400000_NS6detail17trampoline_kernelINS0_14default_configENS1_25partition_config_selectorILNS1_17partition_subalgoE5ElNS0_10empty_typeEbEEZZNS1_14partition_implILS5_5ELb0ES3_mN6hipcub16HIPCUB_304000_NS21CountingInputIteratorIllEEPS6_NSA_22TransformInputIteratorIbN2at6native12_GLOBAL__N_19NonZeroOpIbEEPKblEENS0_5tupleIJPlS6_EEENSN_IJSD_SD_EEES6_PiJS6_EEE10hipError_tPvRmT3_T4_T5_T6_T7_T9_mT8_P12ihipStream_tbDpT10_ENKUlT_T0_E_clISt17integral_constantIbLb0EES1A_IbLb1EEEEDaS16_S17_EUlS16_E_NS1_11comp_targetILNS1_3genE3ELNS1_11target_archE908ELNS1_3gpuE7ELNS1_3repE0EEENS1_30default_config_static_selectorELNS0_4arch9wavefront6targetE0EEEvT1_
	.p2align	8
	.type	_ZN7rocprim17ROCPRIM_400000_NS6detail17trampoline_kernelINS0_14default_configENS1_25partition_config_selectorILNS1_17partition_subalgoE5ElNS0_10empty_typeEbEEZZNS1_14partition_implILS5_5ELb0ES3_mN6hipcub16HIPCUB_304000_NS21CountingInputIteratorIllEEPS6_NSA_22TransformInputIteratorIbN2at6native12_GLOBAL__N_19NonZeroOpIbEEPKblEENS0_5tupleIJPlS6_EEENSN_IJSD_SD_EEES6_PiJS6_EEE10hipError_tPvRmT3_T4_T5_T6_T7_T9_mT8_P12ihipStream_tbDpT10_ENKUlT_T0_E_clISt17integral_constantIbLb0EES1A_IbLb1EEEEDaS16_S17_EUlS16_E_NS1_11comp_targetILNS1_3genE3ELNS1_11target_archE908ELNS1_3gpuE7ELNS1_3repE0EEENS1_30default_config_static_selectorELNS0_4arch9wavefront6targetE0EEEvT1_,@function
_ZN7rocprim17ROCPRIM_400000_NS6detail17trampoline_kernelINS0_14default_configENS1_25partition_config_selectorILNS1_17partition_subalgoE5ElNS0_10empty_typeEbEEZZNS1_14partition_implILS5_5ELb0ES3_mN6hipcub16HIPCUB_304000_NS21CountingInputIteratorIllEEPS6_NSA_22TransformInputIteratorIbN2at6native12_GLOBAL__N_19NonZeroOpIbEEPKblEENS0_5tupleIJPlS6_EEENSN_IJSD_SD_EEES6_PiJS6_EEE10hipError_tPvRmT3_T4_T5_T6_T7_T9_mT8_P12ihipStream_tbDpT10_ENKUlT_T0_E_clISt17integral_constantIbLb0EES1A_IbLb1EEEEDaS16_S17_EUlS16_E_NS1_11comp_targetILNS1_3genE3ELNS1_11target_archE908ELNS1_3gpuE7ELNS1_3repE0EEENS1_30default_config_static_selectorELNS0_4arch9wavefront6targetE0EEEvT1_: ; @_ZN7rocprim17ROCPRIM_400000_NS6detail17trampoline_kernelINS0_14default_configENS1_25partition_config_selectorILNS1_17partition_subalgoE5ElNS0_10empty_typeEbEEZZNS1_14partition_implILS5_5ELb0ES3_mN6hipcub16HIPCUB_304000_NS21CountingInputIteratorIllEEPS6_NSA_22TransformInputIteratorIbN2at6native12_GLOBAL__N_19NonZeroOpIbEEPKblEENS0_5tupleIJPlS6_EEENSN_IJSD_SD_EEES6_PiJS6_EEE10hipError_tPvRmT3_T4_T5_T6_T7_T9_mT8_P12ihipStream_tbDpT10_ENKUlT_T0_E_clISt17integral_constantIbLb0EES1A_IbLb1EEEEDaS16_S17_EUlS16_E_NS1_11comp_targetILNS1_3genE3ELNS1_11target_archE908ELNS1_3gpuE7ELNS1_3repE0EEENS1_30default_config_static_selectorELNS0_4arch9wavefront6targetE0EEEvT1_
; %bb.0:
	.section	.rodata,"a",@progbits
	.p2align	6, 0x0
	.amdhsa_kernel _ZN7rocprim17ROCPRIM_400000_NS6detail17trampoline_kernelINS0_14default_configENS1_25partition_config_selectorILNS1_17partition_subalgoE5ElNS0_10empty_typeEbEEZZNS1_14partition_implILS5_5ELb0ES3_mN6hipcub16HIPCUB_304000_NS21CountingInputIteratorIllEEPS6_NSA_22TransformInputIteratorIbN2at6native12_GLOBAL__N_19NonZeroOpIbEEPKblEENS0_5tupleIJPlS6_EEENSN_IJSD_SD_EEES6_PiJS6_EEE10hipError_tPvRmT3_T4_T5_T6_T7_T9_mT8_P12ihipStream_tbDpT10_ENKUlT_T0_E_clISt17integral_constantIbLb0EES1A_IbLb1EEEEDaS16_S17_EUlS16_E_NS1_11comp_targetILNS1_3genE3ELNS1_11target_archE908ELNS1_3gpuE7ELNS1_3repE0EEENS1_30default_config_static_selectorELNS0_4arch9wavefront6targetE0EEEvT1_
		.amdhsa_group_segment_fixed_size 0
		.amdhsa_private_segment_fixed_size 0
		.amdhsa_kernarg_size 136
		.amdhsa_user_sgpr_count 2
		.amdhsa_user_sgpr_dispatch_ptr 0
		.amdhsa_user_sgpr_queue_ptr 0
		.amdhsa_user_sgpr_kernarg_segment_ptr 1
		.amdhsa_user_sgpr_dispatch_id 0
		.amdhsa_user_sgpr_private_segment_size 0
		.amdhsa_wavefront_size32 1
		.amdhsa_uses_dynamic_stack 0
		.amdhsa_enable_private_segment 0
		.amdhsa_system_sgpr_workgroup_id_x 1
		.amdhsa_system_sgpr_workgroup_id_y 0
		.amdhsa_system_sgpr_workgroup_id_z 0
		.amdhsa_system_sgpr_workgroup_info 0
		.amdhsa_system_vgpr_workitem_id 0
		.amdhsa_next_free_vgpr 1
		.amdhsa_next_free_sgpr 1
		.amdhsa_reserve_vcc 0
		.amdhsa_float_round_mode_32 0
		.amdhsa_float_round_mode_16_64 0
		.amdhsa_float_denorm_mode_32 3
		.amdhsa_float_denorm_mode_16_64 3
		.amdhsa_fp16_overflow 0
		.amdhsa_workgroup_processor_mode 1
		.amdhsa_memory_ordered 1
		.amdhsa_forward_progress 1
		.amdhsa_inst_pref_size 0
		.amdhsa_round_robin_scheduling 0
		.amdhsa_exception_fp_ieee_invalid_op 0
		.amdhsa_exception_fp_denorm_src 0
		.amdhsa_exception_fp_ieee_div_zero 0
		.amdhsa_exception_fp_ieee_overflow 0
		.amdhsa_exception_fp_ieee_underflow 0
		.amdhsa_exception_fp_ieee_inexact 0
		.amdhsa_exception_int_div_zero 0
	.end_amdhsa_kernel
	.section	.text._ZN7rocprim17ROCPRIM_400000_NS6detail17trampoline_kernelINS0_14default_configENS1_25partition_config_selectorILNS1_17partition_subalgoE5ElNS0_10empty_typeEbEEZZNS1_14partition_implILS5_5ELb0ES3_mN6hipcub16HIPCUB_304000_NS21CountingInputIteratorIllEEPS6_NSA_22TransformInputIteratorIbN2at6native12_GLOBAL__N_19NonZeroOpIbEEPKblEENS0_5tupleIJPlS6_EEENSN_IJSD_SD_EEES6_PiJS6_EEE10hipError_tPvRmT3_T4_T5_T6_T7_T9_mT8_P12ihipStream_tbDpT10_ENKUlT_T0_E_clISt17integral_constantIbLb0EES1A_IbLb1EEEEDaS16_S17_EUlS16_E_NS1_11comp_targetILNS1_3genE3ELNS1_11target_archE908ELNS1_3gpuE7ELNS1_3repE0EEENS1_30default_config_static_selectorELNS0_4arch9wavefront6targetE0EEEvT1_,"axG",@progbits,_ZN7rocprim17ROCPRIM_400000_NS6detail17trampoline_kernelINS0_14default_configENS1_25partition_config_selectorILNS1_17partition_subalgoE5ElNS0_10empty_typeEbEEZZNS1_14partition_implILS5_5ELb0ES3_mN6hipcub16HIPCUB_304000_NS21CountingInputIteratorIllEEPS6_NSA_22TransformInputIteratorIbN2at6native12_GLOBAL__N_19NonZeroOpIbEEPKblEENS0_5tupleIJPlS6_EEENSN_IJSD_SD_EEES6_PiJS6_EEE10hipError_tPvRmT3_T4_T5_T6_T7_T9_mT8_P12ihipStream_tbDpT10_ENKUlT_T0_E_clISt17integral_constantIbLb0EES1A_IbLb1EEEEDaS16_S17_EUlS16_E_NS1_11comp_targetILNS1_3genE3ELNS1_11target_archE908ELNS1_3gpuE7ELNS1_3repE0EEENS1_30default_config_static_selectorELNS0_4arch9wavefront6targetE0EEEvT1_,comdat
.Lfunc_end757:
	.size	_ZN7rocprim17ROCPRIM_400000_NS6detail17trampoline_kernelINS0_14default_configENS1_25partition_config_selectorILNS1_17partition_subalgoE5ElNS0_10empty_typeEbEEZZNS1_14partition_implILS5_5ELb0ES3_mN6hipcub16HIPCUB_304000_NS21CountingInputIteratorIllEEPS6_NSA_22TransformInputIteratorIbN2at6native12_GLOBAL__N_19NonZeroOpIbEEPKblEENS0_5tupleIJPlS6_EEENSN_IJSD_SD_EEES6_PiJS6_EEE10hipError_tPvRmT3_T4_T5_T6_T7_T9_mT8_P12ihipStream_tbDpT10_ENKUlT_T0_E_clISt17integral_constantIbLb0EES1A_IbLb1EEEEDaS16_S17_EUlS16_E_NS1_11comp_targetILNS1_3genE3ELNS1_11target_archE908ELNS1_3gpuE7ELNS1_3repE0EEENS1_30default_config_static_selectorELNS0_4arch9wavefront6targetE0EEEvT1_, .Lfunc_end757-_ZN7rocprim17ROCPRIM_400000_NS6detail17trampoline_kernelINS0_14default_configENS1_25partition_config_selectorILNS1_17partition_subalgoE5ElNS0_10empty_typeEbEEZZNS1_14partition_implILS5_5ELb0ES3_mN6hipcub16HIPCUB_304000_NS21CountingInputIteratorIllEEPS6_NSA_22TransformInputIteratorIbN2at6native12_GLOBAL__N_19NonZeroOpIbEEPKblEENS0_5tupleIJPlS6_EEENSN_IJSD_SD_EEES6_PiJS6_EEE10hipError_tPvRmT3_T4_T5_T6_T7_T9_mT8_P12ihipStream_tbDpT10_ENKUlT_T0_E_clISt17integral_constantIbLb0EES1A_IbLb1EEEEDaS16_S17_EUlS16_E_NS1_11comp_targetILNS1_3genE3ELNS1_11target_archE908ELNS1_3gpuE7ELNS1_3repE0EEENS1_30default_config_static_selectorELNS0_4arch9wavefront6targetE0EEEvT1_
                                        ; -- End function
	.set _ZN7rocprim17ROCPRIM_400000_NS6detail17trampoline_kernelINS0_14default_configENS1_25partition_config_selectorILNS1_17partition_subalgoE5ElNS0_10empty_typeEbEEZZNS1_14partition_implILS5_5ELb0ES3_mN6hipcub16HIPCUB_304000_NS21CountingInputIteratorIllEEPS6_NSA_22TransformInputIteratorIbN2at6native12_GLOBAL__N_19NonZeroOpIbEEPKblEENS0_5tupleIJPlS6_EEENSN_IJSD_SD_EEES6_PiJS6_EEE10hipError_tPvRmT3_T4_T5_T6_T7_T9_mT8_P12ihipStream_tbDpT10_ENKUlT_T0_E_clISt17integral_constantIbLb0EES1A_IbLb1EEEEDaS16_S17_EUlS16_E_NS1_11comp_targetILNS1_3genE3ELNS1_11target_archE908ELNS1_3gpuE7ELNS1_3repE0EEENS1_30default_config_static_selectorELNS0_4arch9wavefront6targetE0EEEvT1_.num_vgpr, 0
	.set _ZN7rocprim17ROCPRIM_400000_NS6detail17trampoline_kernelINS0_14default_configENS1_25partition_config_selectorILNS1_17partition_subalgoE5ElNS0_10empty_typeEbEEZZNS1_14partition_implILS5_5ELb0ES3_mN6hipcub16HIPCUB_304000_NS21CountingInputIteratorIllEEPS6_NSA_22TransformInputIteratorIbN2at6native12_GLOBAL__N_19NonZeroOpIbEEPKblEENS0_5tupleIJPlS6_EEENSN_IJSD_SD_EEES6_PiJS6_EEE10hipError_tPvRmT3_T4_T5_T6_T7_T9_mT8_P12ihipStream_tbDpT10_ENKUlT_T0_E_clISt17integral_constantIbLb0EES1A_IbLb1EEEEDaS16_S17_EUlS16_E_NS1_11comp_targetILNS1_3genE3ELNS1_11target_archE908ELNS1_3gpuE7ELNS1_3repE0EEENS1_30default_config_static_selectorELNS0_4arch9wavefront6targetE0EEEvT1_.num_agpr, 0
	.set _ZN7rocprim17ROCPRIM_400000_NS6detail17trampoline_kernelINS0_14default_configENS1_25partition_config_selectorILNS1_17partition_subalgoE5ElNS0_10empty_typeEbEEZZNS1_14partition_implILS5_5ELb0ES3_mN6hipcub16HIPCUB_304000_NS21CountingInputIteratorIllEEPS6_NSA_22TransformInputIteratorIbN2at6native12_GLOBAL__N_19NonZeroOpIbEEPKblEENS0_5tupleIJPlS6_EEENSN_IJSD_SD_EEES6_PiJS6_EEE10hipError_tPvRmT3_T4_T5_T6_T7_T9_mT8_P12ihipStream_tbDpT10_ENKUlT_T0_E_clISt17integral_constantIbLb0EES1A_IbLb1EEEEDaS16_S17_EUlS16_E_NS1_11comp_targetILNS1_3genE3ELNS1_11target_archE908ELNS1_3gpuE7ELNS1_3repE0EEENS1_30default_config_static_selectorELNS0_4arch9wavefront6targetE0EEEvT1_.numbered_sgpr, 0
	.set _ZN7rocprim17ROCPRIM_400000_NS6detail17trampoline_kernelINS0_14default_configENS1_25partition_config_selectorILNS1_17partition_subalgoE5ElNS0_10empty_typeEbEEZZNS1_14partition_implILS5_5ELb0ES3_mN6hipcub16HIPCUB_304000_NS21CountingInputIteratorIllEEPS6_NSA_22TransformInputIteratorIbN2at6native12_GLOBAL__N_19NonZeroOpIbEEPKblEENS0_5tupleIJPlS6_EEENSN_IJSD_SD_EEES6_PiJS6_EEE10hipError_tPvRmT3_T4_T5_T6_T7_T9_mT8_P12ihipStream_tbDpT10_ENKUlT_T0_E_clISt17integral_constantIbLb0EES1A_IbLb1EEEEDaS16_S17_EUlS16_E_NS1_11comp_targetILNS1_3genE3ELNS1_11target_archE908ELNS1_3gpuE7ELNS1_3repE0EEENS1_30default_config_static_selectorELNS0_4arch9wavefront6targetE0EEEvT1_.num_named_barrier, 0
	.set _ZN7rocprim17ROCPRIM_400000_NS6detail17trampoline_kernelINS0_14default_configENS1_25partition_config_selectorILNS1_17partition_subalgoE5ElNS0_10empty_typeEbEEZZNS1_14partition_implILS5_5ELb0ES3_mN6hipcub16HIPCUB_304000_NS21CountingInputIteratorIllEEPS6_NSA_22TransformInputIteratorIbN2at6native12_GLOBAL__N_19NonZeroOpIbEEPKblEENS0_5tupleIJPlS6_EEENSN_IJSD_SD_EEES6_PiJS6_EEE10hipError_tPvRmT3_T4_T5_T6_T7_T9_mT8_P12ihipStream_tbDpT10_ENKUlT_T0_E_clISt17integral_constantIbLb0EES1A_IbLb1EEEEDaS16_S17_EUlS16_E_NS1_11comp_targetILNS1_3genE3ELNS1_11target_archE908ELNS1_3gpuE7ELNS1_3repE0EEENS1_30default_config_static_selectorELNS0_4arch9wavefront6targetE0EEEvT1_.private_seg_size, 0
	.set _ZN7rocprim17ROCPRIM_400000_NS6detail17trampoline_kernelINS0_14default_configENS1_25partition_config_selectorILNS1_17partition_subalgoE5ElNS0_10empty_typeEbEEZZNS1_14partition_implILS5_5ELb0ES3_mN6hipcub16HIPCUB_304000_NS21CountingInputIteratorIllEEPS6_NSA_22TransformInputIteratorIbN2at6native12_GLOBAL__N_19NonZeroOpIbEEPKblEENS0_5tupleIJPlS6_EEENSN_IJSD_SD_EEES6_PiJS6_EEE10hipError_tPvRmT3_T4_T5_T6_T7_T9_mT8_P12ihipStream_tbDpT10_ENKUlT_T0_E_clISt17integral_constantIbLb0EES1A_IbLb1EEEEDaS16_S17_EUlS16_E_NS1_11comp_targetILNS1_3genE3ELNS1_11target_archE908ELNS1_3gpuE7ELNS1_3repE0EEENS1_30default_config_static_selectorELNS0_4arch9wavefront6targetE0EEEvT1_.uses_vcc, 0
	.set _ZN7rocprim17ROCPRIM_400000_NS6detail17trampoline_kernelINS0_14default_configENS1_25partition_config_selectorILNS1_17partition_subalgoE5ElNS0_10empty_typeEbEEZZNS1_14partition_implILS5_5ELb0ES3_mN6hipcub16HIPCUB_304000_NS21CountingInputIteratorIllEEPS6_NSA_22TransformInputIteratorIbN2at6native12_GLOBAL__N_19NonZeroOpIbEEPKblEENS0_5tupleIJPlS6_EEENSN_IJSD_SD_EEES6_PiJS6_EEE10hipError_tPvRmT3_T4_T5_T6_T7_T9_mT8_P12ihipStream_tbDpT10_ENKUlT_T0_E_clISt17integral_constantIbLb0EES1A_IbLb1EEEEDaS16_S17_EUlS16_E_NS1_11comp_targetILNS1_3genE3ELNS1_11target_archE908ELNS1_3gpuE7ELNS1_3repE0EEENS1_30default_config_static_selectorELNS0_4arch9wavefront6targetE0EEEvT1_.uses_flat_scratch, 0
	.set _ZN7rocprim17ROCPRIM_400000_NS6detail17trampoline_kernelINS0_14default_configENS1_25partition_config_selectorILNS1_17partition_subalgoE5ElNS0_10empty_typeEbEEZZNS1_14partition_implILS5_5ELb0ES3_mN6hipcub16HIPCUB_304000_NS21CountingInputIteratorIllEEPS6_NSA_22TransformInputIteratorIbN2at6native12_GLOBAL__N_19NonZeroOpIbEEPKblEENS0_5tupleIJPlS6_EEENSN_IJSD_SD_EEES6_PiJS6_EEE10hipError_tPvRmT3_T4_T5_T6_T7_T9_mT8_P12ihipStream_tbDpT10_ENKUlT_T0_E_clISt17integral_constantIbLb0EES1A_IbLb1EEEEDaS16_S17_EUlS16_E_NS1_11comp_targetILNS1_3genE3ELNS1_11target_archE908ELNS1_3gpuE7ELNS1_3repE0EEENS1_30default_config_static_selectorELNS0_4arch9wavefront6targetE0EEEvT1_.has_dyn_sized_stack, 0
	.set _ZN7rocprim17ROCPRIM_400000_NS6detail17trampoline_kernelINS0_14default_configENS1_25partition_config_selectorILNS1_17partition_subalgoE5ElNS0_10empty_typeEbEEZZNS1_14partition_implILS5_5ELb0ES3_mN6hipcub16HIPCUB_304000_NS21CountingInputIteratorIllEEPS6_NSA_22TransformInputIteratorIbN2at6native12_GLOBAL__N_19NonZeroOpIbEEPKblEENS0_5tupleIJPlS6_EEENSN_IJSD_SD_EEES6_PiJS6_EEE10hipError_tPvRmT3_T4_T5_T6_T7_T9_mT8_P12ihipStream_tbDpT10_ENKUlT_T0_E_clISt17integral_constantIbLb0EES1A_IbLb1EEEEDaS16_S17_EUlS16_E_NS1_11comp_targetILNS1_3genE3ELNS1_11target_archE908ELNS1_3gpuE7ELNS1_3repE0EEENS1_30default_config_static_selectorELNS0_4arch9wavefront6targetE0EEEvT1_.has_recursion, 0
	.set _ZN7rocprim17ROCPRIM_400000_NS6detail17trampoline_kernelINS0_14default_configENS1_25partition_config_selectorILNS1_17partition_subalgoE5ElNS0_10empty_typeEbEEZZNS1_14partition_implILS5_5ELb0ES3_mN6hipcub16HIPCUB_304000_NS21CountingInputIteratorIllEEPS6_NSA_22TransformInputIteratorIbN2at6native12_GLOBAL__N_19NonZeroOpIbEEPKblEENS0_5tupleIJPlS6_EEENSN_IJSD_SD_EEES6_PiJS6_EEE10hipError_tPvRmT3_T4_T5_T6_T7_T9_mT8_P12ihipStream_tbDpT10_ENKUlT_T0_E_clISt17integral_constantIbLb0EES1A_IbLb1EEEEDaS16_S17_EUlS16_E_NS1_11comp_targetILNS1_3genE3ELNS1_11target_archE908ELNS1_3gpuE7ELNS1_3repE0EEENS1_30default_config_static_selectorELNS0_4arch9wavefront6targetE0EEEvT1_.has_indirect_call, 0
	.section	.AMDGPU.csdata,"",@progbits
; Kernel info:
; codeLenInByte = 0
; TotalNumSgprs: 0
; NumVgprs: 0
; ScratchSize: 0
; MemoryBound: 0
; FloatMode: 240
; IeeeMode: 1
; LDSByteSize: 0 bytes/workgroup (compile time only)
; SGPRBlocks: 0
; VGPRBlocks: 0
; NumSGPRsForWavesPerEU: 1
; NumVGPRsForWavesPerEU: 1
; Occupancy: 16
; WaveLimiterHint : 0
; COMPUTE_PGM_RSRC2:SCRATCH_EN: 0
; COMPUTE_PGM_RSRC2:USER_SGPR: 2
; COMPUTE_PGM_RSRC2:TRAP_HANDLER: 0
; COMPUTE_PGM_RSRC2:TGID_X_EN: 1
; COMPUTE_PGM_RSRC2:TGID_Y_EN: 0
; COMPUTE_PGM_RSRC2:TGID_Z_EN: 0
; COMPUTE_PGM_RSRC2:TIDIG_COMP_CNT: 0
	.section	.text._ZN7rocprim17ROCPRIM_400000_NS6detail17trampoline_kernelINS0_14default_configENS1_25partition_config_selectorILNS1_17partition_subalgoE5ElNS0_10empty_typeEbEEZZNS1_14partition_implILS5_5ELb0ES3_mN6hipcub16HIPCUB_304000_NS21CountingInputIteratorIllEEPS6_NSA_22TransformInputIteratorIbN2at6native12_GLOBAL__N_19NonZeroOpIbEEPKblEENS0_5tupleIJPlS6_EEENSN_IJSD_SD_EEES6_PiJS6_EEE10hipError_tPvRmT3_T4_T5_T6_T7_T9_mT8_P12ihipStream_tbDpT10_ENKUlT_T0_E_clISt17integral_constantIbLb0EES1A_IbLb1EEEEDaS16_S17_EUlS16_E_NS1_11comp_targetILNS1_3genE2ELNS1_11target_archE906ELNS1_3gpuE6ELNS1_3repE0EEENS1_30default_config_static_selectorELNS0_4arch9wavefront6targetE0EEEvT1_,"axG",@progbits,_ZN7rocprim17ROCPRIM_400000_NS6detail17trampoline_kernelINS0_14default_configENS1_25partition_config_selectorILNS1_17partition_subalgoE5ElNS0_10empty_typeEbEEZZNS1_14partition_implILS5_5ELb0ES3_mN6hipcub16HIPCUB_304000_NS21CountingInputIteratorIllEEPS6_NSA_22TransformInputIteratorIbN2at6native12_GLOBAL__N_19NonZeroOpIbEEPKblEENS0_5tupleIJPlS6_EEENSN_IJSD_SD_EEES6_PiJS6_EEE10hipError_tPvRmT3_T4_T5_T6_T7_T9_mT8_P12ihipStream_tbDpT10_ENKUlT_T0_E_clISt17integral_constantIbLb0EES1A_IbLb1EEEEDaS16_S17_EUlS16_E_NS1_11comp_targetILNS1_3genE2ELNS1_11target_archE906ELNS1_3gpuE6ELNS1_3repE0EEENS1_30default_config_static_selectorELNS0_4arch9wavefront6targetE0EEEvT1_,comdat
	.globl	_ZN7rocprim17ROCPRIM_400000_NS6detail17trampoline_kernelINS0_14default_configENS1_25partition_config_selectorILNS1_17partition_subalgoE5ElNS0_10empty_typeEbEEZZNS1_14partition_implILS5_5ELb0ES3_mN6hipcub16HIPCUB_304000_NS21CountingInputIteratorIllEEPS6_NSA_22TransformInputIteratorIbN2at6native12_GLOBAL__N_19NonZeroOpIbEEPKblEENS0_5tupleIJPlS6_EEENSN_IJSD_SD_EEES6_PiJS6_EEE10hipError_tPvRmT3_T4_T5_T6_T7_T9_mT8_P12ihipStream_tbDpT10_ENKUlT_T0_E_clISt17integral_constantIbLb0EES1A_IbLb1EEEEDaS16_S17_EUlS16_E_NS1_11comp_targetILNS1_3genE2ELNS1_11target_archE906ELNS1_3gpuE6ELNS1_3repE0EEENS1_30default_config_static_selectorELNS0_4arch9wavefront6targetE0EEEvT1_ ; -- Begin function _ZN7rocprim17ROCPRIM_400000_NS6detail17trampoline_kernelINS0_14default_configENS1_25partition_config_selectorILNS1_17partition_subalgoE5ElNS0_10empty_typeEbEEZZNS1_14partition_implILS5_5ELb0ES3_mN6hipcub16HIPCUB_304000_NS21CountingInputIteratorIllEEPS6_NSA_22TransformInputIteratorIbN2at6native12_GLOBAL__N_19NonZeroOpIbEEPKblEENS0_5tupleIJPlS6_EEENSN_IJSD_SD_EEES6_PiJS6_EEE10hipError_tPvRmT3_T4_T5_T6_T7_T9_mT8_P12ihipStream_tbDpT10_ENKUlT_T0_E_clISt17integral_constantIbLb0EES1A_IbLb1EEEEDaS16_S17_EUlS16_E_NS1_11comp_targetILNS1_3genE2ELNS1_11target_archE906ELNS1_3gpuE6ELNS1_3repE0EEENS1_30default_config_static_selectorELNS0_4arch9wavefront6targetE0EEEvT1_
	.p2align	8
	.type	_ZN7rocprim17ROCPRIM_400000_NS6detail17trampoline_kernelINS0_14default_configENS1_25partition_config_selectorILNS1_17partition_subalgoE5ElNS0_10empty_typeEbEEZZNS1_14partition_implILS5_5ELb0ES3_mN6hipcub16HIPCUB_304000_NS21CountingInputIteratorIllEEPS6_NSA_22TransformInputIteratorIbN2at6native12_GLOBAL__N_19NonZeroOpIbEEPKblEENS0_5tupleIJPlS6_EEENSN_IJSD_SD_EEES6_PiJS6_EEE10hipError_tPvRmT3_T4_T5_T6_T7_T9_mT8_P12ihipStream_tbDpT10_ENKUlT_T0_E_clISt17integral_constantIbLb0EES1A_IbLb1EEEEDaS16_S17_EUlS16_E_NS1_11comp_targetILNS1_3genE2ELNS1_11target_archE906ELNS1_3gpuE6ELNS1_3repE0EEENS1_30default_config_static_selectorELNS0_4arch9wavefront6targetE0EEEvT1_,@function
_ZN7rocprim17ROCPRIM_400000_NS6detail17trampoline_kernelINS0_14default_configENS1_25partition_config_selectorILNS1_17partition_subalgoE5ElNS0_10empty_typeEbEEZZNS1_14partition_implILS5_5ELb0ES3_mN6hipcub16HIPCUB_304000_NS21CountingInputIteratorIllEEPS6_NSA_22TransformInputIteratorIbN2at6native12_GLOBAL__N_19NonZeroOpIbEEPKblEENS0_5tupleIJPlS6_EEENSN_IJSD_SD_EEES6_PiJS6_EEE10hipError_tPvRmT3_T4_T5_T6_T7_T9_mT8_P12ihipStream_tbDpT10_ENKUlT_T0_E_clISt17integral_constantIbLb0EES1A_IbLb1EEEEDaS16_S17_EUlS16_E_NS1_11comp_targetILNS1_3genE2ELNS1_11target_archE906ELNS1_3gpuE6ELNS1_3repE0EEENS1_30default_config_static_selectorELNS0_4arch9wavefront6targetE0EEEvT1_: ; @_ZN7rocprim17ROCPRIM_400000_NS6detail17trampoline_kernelINS0_14default_configENS1_25partition_config_selectorILNS1_17partition_subalgoE5ElNS0_10empty_typeEbEEZZNS1_14partition_implILS5_5ELb0ES3_mN6hipcub16HIPCUB_304000_NS21CountingInputIteratorIllEEPS6_NSA_22TransformInputIteratorIbN2at6native12_GLOBAL__N_19NonZeroOpIbEEPKblEENS0_5tupleIJPlS6_EEENSN_IJSD_SD_EEES6_PiJS6_EEE10hipError_tPvRmT3_T4_T5_T6_T7_T9_mT8_P12ihipStream_tbDpT10_ENKUlT_T0_E_clISt17integral_constantIbLb0EES1A_IbLb1EEEEDaS16_S17_EUlS16_E_NS1_11comp_targetILNS1_3genE2ELNS1_11target_archE906ELNS1_3gpuE6ELNS1_3repE0EEENS1_30default_config_static_selectorELNS0_4arch9wavefront6targetE0EEEvT1_
; %bb.0:
	.section	.rodata,"a",@progbits
	.p2align	6, 0x0
	.amdhsa_kernel _ZN7rocprim17ROCPRIM_400000_NS6detail17trampoline_kernelINS0_14default_configENS1_25partition_config_selectorILNS1_17partition_subalgoE5ElNS0_10empty_typeEbEEZZNS1_14partition_implILS5_5ELb0ES3_mN6hipcub16HIPCUB_304000_NS21CountingInputIteratorIllEEPS6_NSA_22TransformInputIteratorIbN2at6native12_GLOBAL__N_19NonZeroOpIbEEPKblEENS0_5tupleIJPlS6_EEENSN_IJSD_SD_EEES6_PiJS6_EEE10hipError_tPvRmT3_T4_T5_T6_T7_T9_mT8_P12ihipStream_tbDpT10_ENKUlT_T0_E_clISt17integral_constantIbLb0EES1A_IbLb1EEEEDaS16_S17_EUlS16_E_NS1_11comp_targetILNS1_3genE2ELNS1_11target_archE906ELNS1_3gpuE6ELNS1_3repE0EEENS1_30default_config_static_selectorELNS0_4arch9wavefront6targetE0EEEvT1_
		.amdhsa_group_segment_fixed_size 0
		.amdhsa_private_segment_fixed_size 0
		.amdhsa_kernarg_size 136
		.amdhsa_user_sgpr_count 2
		.amdhsa_user_sgpr_dispatch_ptr 0
		.amdhsa_user_sgpr_queue_ptr 0
		.amdhsa_user_sgpr_kernarg_segment_ptr 1
		.amdhsa_user_sgpr_dispatch_id 0
		.amdhsa_user_sgpr_private_segment_size 0
		.amdhsa_wavefront_size32 1
		.amdhsa_uses_dynamic_stack 0
		.amdhsa_enable_private_segment 0
		.amdhsa_system_sgpr_workgroup_id_x 1
		.amdhsa_system_sgpr_workgroup_id_y 0
		.amdhsa_system_sgpr_workgroup_id_z 0
		.amdhsa_system_sgpr_workgroup_info 0
		.amdhsa_system_vgpr_workitem_id 0
		.amdhsa_next_free_vgpr 1
		.amdhsa_next_free_sgpr 1
		.amdhsa_reserve_vcc 0
		.amdhsa_float_round_mode_32 0
		.amdhsa_float_round_mode_16_64 0
		.amdhsa_float_denorm_mode_32 3
		.amdhsa_float_denorm_mode_16_64 3
		.amdhsa_fp16_overflow 0
		.amdhsa_workgroup_processor_mode 1
		.amdhsa_memory_ordered 1
		.amdhsa_forward_progress 1
		.amdhsa_inst_pref_size 0
		.amdhsa_round_robin_scheduling 0
		.amdhsa_exception_fp_ieee_invalid_op 0
		.amdhsa_exception_fp_denorm_src 0
		.amdhsa_exception_fp_ieee_div_zero 0
		.amdhsa_exception_fp_ieee_overflow 0
		.amdhsa_exception_fp_ieee_underflow 0
		.amdhsa_exception_fp_ieee_inexact 0
		.amdhsa_exception_int_div_zero 0
	.end_amdhsa_kernel
	.section	.text._ZN7rocprim17ROCPRIM_400000_NS6detail17trampoline_kernelINS0_14default_configENS1_25partition_config_selectorILNS1_17partition_subalgoE5ElNS0_10empty_typeEbEEZZNS1_14partition_implILS5_5ELb0ES3_mN6hipcub16HIPCUB_304000_NS21CountingInputIteratorIllEEPS6_NSA_22TransformInputIteratorIbN2at6native12_GLOBAL__N_19NonZeroOpIbEEPKblEENS0_5tupleIJPlS6_EEENSN_IJSD_SD_EEES6_PiJS6_EEE10hipError_tPvRmT3_T4_T5_T6_T7_T9_mT8_P12ihipStream_tbDpT10_ENKUlT_T0_E_clISt17integral_constantIbLb0EES1A_IbLb1EEEEDaS16_S17_EUlS16_E_NS1_11comp_targetILNS1_3genE2ELNS1_11target_archE906ELNS1_3gpuE6ELNS1_3repE0EEENS1_30default_config_static_selectorELNS0_4arch9wavefront6targetE0EEEvT1_,"axG",@progbits,_ZN7rocprim17ROCPRIM_400000_NS6detail17trampoline_kernelINS0_14default_configENS1_25partition_config_selectorILNS1_17partition_subalgoE5ElNS0_10empty_typeEbEEZZNS1_14partition_implILS5_5ELb0ES3_mN6hipcub16HIPCUB_304000_NS21CountingInputIteratorIllEEPS6_NSA_22TransformInputIteratorIbN2at6native12_GLOBAL__N_19NonZeroOpIbEEPKblEENS0_5tupleIJPlS6_EEENSN_IJSD_SD_EEES6_PiJS6_EEE10hipError_tPvRmT3_T4_T5_T6_T7_T9_mT8_P12ihipStream_tbDpT10_ENKUlT_T0_E_clISt17integral_constantIbLb0EES1A_IbLb1EEEEDaS16_S17_EUlS16_E_NS1_11comp_targetILNS1_3genE2ELNS1_11target_archE906ELNS1_3gpuE6ELNS1_3repE0EEENS1_30default_config_static_selectorELNS0_4arch9wavefront6targetE0EEEvT1_,comdat
.Lfunc_end758:
	.size	_ZN7rocprim17ROCPRIM_400000_NS6detail17trampoline_kernelINS0_14default_configENS1_25partition_config_selectorILNS1_17partition_subalgoE5ElNS0_10empty_typeEbEEZZNS1_14partition_implILS5_5ELb0ES3_mN6hipcub16HIPCUB_304000_NS21CountingInputIteratorIllEEPS6_NSA_22TransformInputIteratorIbN2at6native12_GLOBAL__N_19NonZeroOpIbEEPKblEENS0_5tupleIJPlS6_EEENSN_IJSD_SD_EEES6_PiJS6_EEE10hipError_tPvRmT3_T4_T5_T6_T7_T9_mT8_P12ihipStream_tbDpT10_ENKUlT_T0_E_clISt17integral_constantIbLb0EES1A_IbLb1EEEEDaS16_S17_EUlS16_E_NS1_11comp_targetILNS1_3genE2ELNS1_11target_archE906ELNS1_3gpuE6ELNS1_3repE0EEENS1_30default_config_static_selectorELNS0_4arch9wavefront6targetE0EEEvT1_, .Lfunc_end758-_ZN7rocprim17ROCPRIM_400000_NS6detail17trampoline_kernelINS0_14default_configENS1_25partition_config_selectorILNS1_17partition_subalgoE5ElNS0_10empty_typeEbEEZZNS1_14partition_implILS5_5ELb0ES3_mN6hipcub16HIPCUB_304000_NS21CountingInputIteratorIllEEPS6_NSA_22TransformInputIteratorIbN2at6native12_GLOBAL__N_19NonZeroOpIbEEPKblEENS0_5tupleIJPlS6_EEENSN_IJSD_SD_EEES6_PiJS6_EEE10hipError_tPvRmT3_T4_T5_T6_T7_T9_mT8_P12ihipStream_tbDpT10_ENKUlT_T0_E_clISt17integral_constantIbLb0EES1A_IbLb1EEEEDaS16_S17_EUlS16_E_NS1_11comp_targetILNS1_3genE2ELNS1_11target_archE906ELNS1_3gpuE6ELNS1_3repE0EEENS1_30default_config_static_selectorELNS0_4arch9wavefront6targetE0EEEvT1_
                                        ; -- End function
	.set _ZN7rocprim17ROCPRIM_400000_NS6detail17trampoline_kernelINS0_14default_configENS1_25partition_config_selectorILNS1_17partition_subalgoE5ElNS0_10empty_typeEbEEZZNS1_14partition_implILS5_5ELb0ES3_mN6hipcub16HIPCUB_304000_NS21CountingInputIteratorIllEEPS6_NSA_22TransformInputIteratorIbN2at6native12_GLOBAL__N_19NonZeroOpIbEEPKblEENS0_5tupleIJPlS6_EEENSN_IJSD_SD_EEES6_PiJS6_EEE10hipError_tPvRmT3_T4_T5_T6_T7_T9_mT8_P12ihipStream_tbDpT10_ENKUlT_T0_E_clISt17integral_constantIbLb0EES1A_IbLb1EEEEDaS16_S17_EUlS16_E_NS1_11comp_targetILNS1_3genE2ELNS1_11target_archE906ELNS1_3gpuE6ELNS1_3repE0EEENS1_30default_config_static_selectorELNS0_4arch9wavefront6targetE0EEEvT1_.num_vgpr, 0
	.set _ZN7rocprim17ROCPRIM_400000_NS6detail17trampoline_kernelINS0_14default_configENS1_25partition_config_selectorILNS1_17partition_subalgoE5ElNS0_10empty_typeEbEEZZNS1_14partition_implILS5_5ELb0ES3_mN6hipcub16HIPCUB_304000_NS21CountingInputIteratorIllEEPS6_NSA_22TransformInputIteratorIbN2at6native12_GLOBAL__N_19NonZeroOpIbEEPKblEENS0_5tupleIJPlS6_EEENSN_IJSD_SD_EEES6_PiJS6_EEE10hipError_tPvRmT3_T4_T5_T6_T7_T9_mT8_P12ihipStream_tbDpT10_ENKUlT_T0_E_clISt17integral_constantIbLb0EES1A_IbLb1EEEEDaS16_S17_EUlS16_E_NS1_11comp_targetILNS1_3genE2ELNS1_11target_archE906ELNS1_3gpuE6ELNS1_3repE0EEENS1_30default_config_static_selectorELNS0_4arch9wavefront6targetE0EEEvT1_.num_agpr, 0
	.set _ZN7rocprim17ROCPRIM_400000_NS6detail17trampoline_kernelINS0_14default_configENS1_25partition_config_selectorILNS1_17partition_subalgoE5ElNS0_10empty_typeEbEEZZNS1_14partition_implILS5_5ELb0ES3_mN6hipcub16HIPCUB_304000_NS21CountingInputIteratorIllEEPS6_NSA_22TransformInputIteratorIbN2at6native12_GLOBAL__N_19NonZeroOpIbEEPKblEENS0_5tupleIJPlS6_EEENSN_IJSD_SD_EEES6_PiJS6_EEE10hipError_tPvRmT3_T4_T5_T6_T7_T9_mT8_P12ihipStream_tbDpT10_ENKUlT_T0_E_clISt17integral_constantIbLb0EES1A_IbLb1EEEEDaS16_S17_EUlS16_E_NS1_11comp_targetILNS1_3genE2ELNS1_11target_archE906ELNS1_3gpuE6ELNS1_3repE0EEENS1_30default_config_static_selectorELNS0_4arch9wavefront6targetE0EEEvT1_.numbered_sgpr, 0
	.set _ZN7rocprim17ROCPRIM_400000_NS6detail17trampoline_kernelINS0_14default_configENS1_25partition_config_selectorILNS1_17partition_subalgoE5ElNS0_10empty_typeEbEEZZNS1_14partition_implILS5_5ELb0ES3_mN6hipcub16HIPCUB_304000_NS21CountingInputIteratorIllEEPS6_NSA_22TransformInputIteratorIbN2at6native12_GLOBAL__N_19NonZeroOpIbEEPKblEENS0_5tupleIJPlS6_EEENSN_IJSD_SD_EEES6_PiJS6_EEE10hipError_tPvRmT3_T4_T5_T6_T7_T9_mT8_P12ihipStream_tbDpT10_ENKUlT_T0_E_clISt17integral_constantIbLb0EES1A_IbLb1EEEEDaS16_S17_EUlS16_E_NS1_11comp_targetILNS1_3genE2ELNS1_11target_archE906ELNS1_3gpuE6ELNS1_3repE0EEENS1_30default_config_static_selectorELNS0_4arch9wavefront6targetE0EEEvT1_.num_named_barrier, 0
	.set _ZN7rocprim17ROCPRIM_400000_NS6detail17trampoline_kernelINS0_14default_configENS1_25partition_config_selectorILNS1_17partition_subalgoE5ElNS0_10empty_typeEbEEZZNS1_14partition_implILS5_5ELb0ES3_mN6hipcub16HIPCUB_304000_NS21CountingInputIteratorIllEEPS6_NSA_22TransformInputIteratorIbN2at6native12_GLOBAL__N_19NonZeroOpIbEEPKblEENS0_5tupleIJPlS6_EEENSN_IJSD_SD_EEES6_PiJS6_EEE10hipError_tPvRmT3_T4_T5_T6_T7_T9_mT8_P12ihipStream_tbDpT10_ENKUlT_T0_E_clISt17integral_constantIbLb0EES1A_IbLb1EEEEDaS16_S17_EUlS16_E_NS1_11comp_targetILNS1_3genE2ELNS1_11target_archE906ELNS1_3gpuE6ELNS1_3repE0EEENS1_30default_config_static_selectorELNS0_4arch9wavefront6targetE0EEEvT1_.private_seg_size, 0
	.set _ZN7rocprim17ROCPRIM_400000_NS6detail17trampoline_kernelINS0_14default_configENS1_25partition_config_selectorILNS1_17partition_subalgoE5ElNS0_10empty_typeEbEEZZNS1_14partition_implILS5_5ELb0ES3_mN6hipcub16HIPCUB_304000_NS21CountingInputIteratorIllEEPS6_NSA_22TransformInputIteratorIbN2at6native12_GLOBAL__N_19NonZeroOpIbEEPKblEENS0_5tupleIJPlS6_EEENSN_IJSD_SD_EEES6_PiJS6_EEE10hipError_tPvRmT3_T4_T5_T6_T7_T9_mT8_P12ihipStream_tbDpT10_ENKUlT_T0_E_clISt17integral_constantIbLb0EES1A_IbLb1EEEEDaS16_S17_EUlS16_E_NS1_11comp_targetILNS1_3genE2ELNS1_11target_archE906ELNS1_3gpuE6ELNS1_3repE0EEENS1_30default_config_static_selectorELNS0_4arch9wavefront6targetE0EEEvT1_.uses_vcc, 0
	.set _ZN7rocprim17ROCPRIM_400000_NS6detail17trampoline_kernelINS0_14default_configENS1_25partition_config_selectorILNS1_17partition_subalgoE5ElNS0_10empty_typeEbEEZZNS1_14partition_implILS5_5ELb0ES3_mN6hipcub16HIPCUB_304000_NS21CountingInputIteratorIllEEPS6_NSA_22TransformInputIteratorIbN2at6native12_GLOBAL__N_19NonZeroOpIbEEPKblEENS0_5tupleIJPlS6_EEENSN_IJSD_SD_EEES6_PiJS6_EEE10hipError_tPvRmT3_T4_T5_T6_T7_T9_mT8_P12ihipStream_tbDpT10_ENKUlT_T0_E_clISt17integral_constantIbLb0EES1A_IbLb1EEEEDaS16_S17_EUlS16_E_NS1_11comp_targetILNS1_3genE2ELNS1_11target_archE906ELNS1_3gpuE6ELNS1_3repE0EEENS1_30default_config_static_selectorELNS0_4arch9wavefront6targetE0EEEvT1_.uses_flat_scratch, 0
	.set _ZN7rocprim17ROCPRIM_400000_NS6detail17trampoline_kernelINS0_14default_configENS1_25partition_config_selectorILNS1_17partition_subalgoE5ElNS0_10empty_typeEbEEZZNS1_14partition_implILS5_5ELb0ES3_mN6hipcub16HIPCUB_304000_NS21CountingInputIteratorIllEEPS6_NSA_22TransformInputIteratorIbN2at6native12_GLOBAL__N_19NonZeroOpIbEEPKblEENS0_5tupleIJPlS6_EEENSN_IJSD_SD_EEES6_PiJS6_EEE10hipError_tPvRmT3_T4_T5_T6_T7_T9_mT8_P12ihipStream_tbDpT10_ENKUlT_T0_E_clISt17integral_constantIbLb0EES1A_IbLb1EEEEDaS16_S17_EUlS16_E_NS1_11comp_targetILNS1_3genE2ELNS1_11target_archE906ELNS1_3gpuE6ELNS1_3repE0EEENS1_30default_config_static_selectorELNS0_4arch9wavefront6targetE0EEEvT1_.has_dyn_sized_stack, 0
	.set _ZN7rocprim17ROCPRIM_400000_NS6detail17trampoline_kernelINS0_14default_configENS1_25partition_config_selectorILNS1_17partition_subalgoE5ElNS0_10empty_typeEbEEZZNS1_14partition_implILS5_5ELb0ES3_mN6hipcub16HIPCUB_304000_NS21CountingInputIteratorIllEEPS6_NSA_22TransformInputIteratorIbN2at6native12_GLOBAL__N_19NonZeroOpIbEEPKblEENS0_5tupleIJPlS6_EEENSN_IJSD_SD_EEES6_PiJS6_EEE10hipError_tPvRmT3_T4_T5_T6_T7_T9_mT8_P12ihipStream_tbDpT10_ENKUlT_T0_E_clISt17integral_constantIbLb0EES1A_IbLb1EEEEDaS16_S17_EUlS16_E_NS1_11comp_targetILNS1_3genE2ELNS1_11target_archE906ELNS1_3gpuE6ELNS1_3repE0EEENS1_30default_config_static_selectorELNS0_4arch9wavefront6targetE0EEEvT1_.has_recursion, 0
	.set _ZN7rocprim17ROCPRIM_400000_NS6detail17trampoline_kernelINS0_14default_configENS1_25partition_config_selectorILNS1_17partition_subalgoE5ElNS0_10empty_typeEbEEZZNS1_14partition_implILS5_5ELb0ES3_mN6hipcub16HIPCUB_304000_NS21CountingInputIteratorIllEEPS6_NSA_22TransformInputIteratorIbN2at6native12_GLOBAL__N_19NonZeroOpIbEEPKblEENS0_5tupleIJPlS6_EEENSN_IJSD_SD_EEES6_PiJS6_EEE10hipError_tPvRmT3_T4_T5_T6_T7_T9_mT8_P12ihipStream_tbDpT10_ENKUlT_T0_E_clISt17integral_constantIbLb0EES1A_IbLb1EEEEDaS16_S17_EUlS16_E_NS1_11comp_targetILNS1_3genE2ELNS1_11target_archE906ELNS1_3gpuE6ELNS1_3repE0EEENS1_30default_config_static_selectorELNS0_4arch9wavefront6targetE0EEEvT1_.has_indirect_call, 0
	.section	.AMDGPU.csdata,"",@progbits
; Kernel info:
; codeLenInByte = 0
; TotalNumSgprs: 0
; NumVgprs: 0
; ScratchSize: 0
; MemoryBound: 0
; FloatMode: 240
; IeeeMode: 1
; LDSByteSize: 0 bytes/workgroup (compile time only)
; SGPRBlocks: 0
; VGPRBlocks: 0
; NumSGPRsForWavesPerEU: 1
; NumVGPRsForWavesPerEU: 1
; Occupancy: 16
; WaveLimiterHint : 0
; COMPUTE_PGM_RSRC2:SCRATCH_EN: 0
; COMPUTE_PGM_RSRC2:USER_SGPR: 2
; COMPUTE_PGM_RSRC2:TRAP_HANDLER: 0
; COMPUTE_PGM_RSRC2:TGID_X_EN: 1
; COMPUTE_PGM_RSRC2:TGID_Y_EN: 0
; COMPUTE_PGM_RSRC2:TGID_Z_EN: 0
; COMPUTE_PGM_RSRC2:TIDIG_COMP_CNT: 0
	.section	.text._ZN7rocprim17ROCPRIM_400000_NS6detail17trampoline_kernelINS0_14default_configENS1_25partition_config_selectorILNS1_17partition_subalgoE5ElNS0_10empty_typeEbEEZZNS1_14partition_implILS5_5ELb0ES3_mN6hipcub16HIPCUB_304000_NS21CountingInputIteratorIllEEPS6_NSA_22TransformInputIteratorIbN2at6native12_GLOBAL__N_19NonZeroOpIbEEPKblEENS0_5tupleIJPlS6_EEENSN_IJSD_SD_EEES6_PiJS6_EEE10hipError_tPvRmT3_T4_T5_T6_T7_T9_mT8_P12ihipStream_tbDpT10_ENKUlT_T0_E_clISt17integral_constantIbLb0EES1A_IbLb1EEEEDaS16_S17_EUlS16_E_NS1_11comp_targetILNS1_3genE10ELNS1_11target_archE1200ELNS1_3gpuE4ELNS1_3repE0EEENS1_30default_config_static_selectorELNS0_4arch9wavefront6targetE0EEEvT1_,"axG",@progbits,_ZN7rocprim17ROCPRIM_400000_NS6detail17trampoline_kernelINS0_14default_configENS1_25partition_config_selectorILNS1_17partition_subalgoE5ElNS0_10empty_typeEbEEZZNS1_14partition_implILS5_5ELb0ES3_mN6hipcub16HIPCUB_304000_NS21CountingInputIteratorIllEEPS6_NSA_22TransformInputIteratorIbN2at6native12_GLOBAL__N_19NonZeroOpIbEEPKblEENS0_5tupleIJPlS6_EEENSN_IJSD_SD_EEES6_PiJS6_EEE10hipError_tPvRmT3_T4_T5_T6_T7_T9_mT8_P12ihipStream_tbDpT10_ENKUlT_T0_E_clISt17integral_constantIbLb0EES1A_IbLb1EEEEDaS16_S17_EUlS16_E_NS1_11comp_targetILNS1_3genE10ELNS1_11target_archE1200ELNS1_3gpuE4ELNS1_3repE0EEENS1_30default_config_static_selectorELNS0_4arch9wavefront6targetE0EEEvT1_,comdat
	.globl	_ZN7rocprim17ROCPRIM_400000_NS6detail17trampoline_kernelINS0_14default_configENS1_25partition_config_selectorILNS1_17partition_subalgoE5ElNS0_10empty_typeEbEEZZNS1_14partition_implILS5_5ELb0ES3_mN6hipcub16HIPCUB_304000_NS21CountingInputIteratorIllEEPS6_NSA_22TransformInputIteratorIbN2at6native12_GLOBAL__N_19NonZeroOpIbEEPKblEENS0_5tupleIJPlS6_EEENSN_IJSD_SD_EEES6_PiJS6_EEE10hipError_tPvRmT3_T4_T5_T6_T7_T9_mT8_P12ihipStream_tbDpT10_ENKUlT_T0_E_clISt17integral_constantIbLb0EES1A_IbLb1EEEEDaS16_S17_EUlS16_E_NS1_11comp_targetILNS1_3genE10ELNS1_11target_archE1200ELNS1_3gpuE4ELNS1_3repE0EEENS1_30default_config_static_selectorELNS0_4arch9wavefront6targetE0EEEvT1_ ; -- Begin function _ZN7rocprim17ROCPRIM_400000_NS6detail17trampoline_kernelINS0_14default_configENS1_25partition_config_selectorILNS1_17partition_subalgoE5ElNS0_10empty_typeEbEEZZNS1_14partition_implILS5_5ELb0ES3_mN6hipcub16HIPCUB_304000_NS21CountingInputIteratorIllEEPS6_NSA_22TransformInputIteratorIbN2at6native12_GLOBAL__N_19NonZeroOpIbEEPKblEENS0_5tupleIJPlS6_EEENSN_IJSD_SD_EEES6_PiJS6_EEE10hipError_tPvRmT3_T4_T5_T6_T7_T9_mT8_P12ihipStream_tbDpT10_ENKUlT_T0_E_clISt17integral_constantIbLb0EES1A_IbLb1EEEEDaS16_S17_EUlS16_E_NS1_11comp_targetILNS1_3genE10ELNS1_11target_archE1200ELNS1_3gpuE4ELNS1_3repE0EEENS1_30default_config_static_selectorELNS0_4arch9wavefront6targetE0EEEvT1_
	.p2align	8
	.type	_ZN7rocprim17ROCPRIM_400000_NS6detail17trampoline_kernelINS0_14default_configENS1_25partition_config_selectorILNS1_17partition_subalgoE5ElNS0_10empty_typeEbEEZZNS1_14partition_implILS5_5ELb0ES3_mN6hipcub16HIPCUB_304000_NS21CountingInputIteratorIllEEPS6_NSA_22TransformInputIteratorIbN2at6native12_GLOBAL__N_19NonZeroOpIbEEPKblEENS0_5tupleIJPlS6_EEENSN_IJSD_SD_EEES6_PiJS6_EEE10hipError_tPvRmT3_T4_T5_T6_T7_T9_mT8_P12ihipStream_tbDpT10_ENKUlT_T0_E_clISt17integral_constantIbLb0EES1A_IbLb1EEEEDaS16_S17_EUlS16_E_NS1_11comp_targetILNS1_3genE10ELNS1_11target_archE1200ELNS1_3gpuE4ELNS1_3repE0EEENS1_30default_config_static_selectorELNS0_4arch9wavefront6targetE0EEEvT1_,@function
_ZN7rocprim17ROCPRIM_400000_NS6detail17trampoline_kernelINS0_14default_configENS1_25partition_config_selectorILNS1_17partition_subalgoE5ElNS0_10empty_typeEbEEZZNS1_14partition_implILS5_5ELb0ES3_mN6hipcub16HIPCUB_304000_NS21CountingInputIteratorIllEEPS6_NSA_22TransformInputIteratorIbN2at6native12_GLOBAL__N_19NonZeroOpIbEEPKblEENS0_5tupleIJPlS6_EEENSN_IJSD_SD_EEES6_PiJS6_EEE10hipError_tPvRmT3_T4_T5_T6_T7_T9_mT8_P12ihipStream_tbDpT10_ENKUlT_T0_E_clISt17integral_constantIbLb0EES1A_IbLb1EEEEDaS16_S17_EUlS16_E_NS1_11comp_targetILNS1_3genE10ELNS1_11target_archE1200ELNS1_3gpuE4ELNS1_3repE0EEENS1_30default_config_static_selectorELNS0_4arch9wavefront6targetE0EEEvT1_: ; @_ZN7rocprim17ROCPRIM_400000_NS6detail17trampoline_kernelINS0_14default_configENS1_25partition_config_selectorILNS1_17partition_subalgoE5ElNS0_10empty_typeEbEEZZNS1_14partition_implILS5_5ELb0ES3_mN6hipcub16HIPCUB_304000_NS21CountingInputIteratorIllEEPS6_NSA_22TransformInputIteratorIbN2at6native12_GLOBAL__N_19NonZeroOpIbEEPKblEENS0_5tupleIJPlS6_EEENSN_IJSD_SD_EEES6_PiJS6_EEE10hipError_tPvRmT3_T4_T5_T6_T7_T9_mT8_P12ihipStream_tbDpT10_ENKUlT_T0_E_clISt17integral_constantIbLb0EES1A_IbLb1EEEEDaS16_S17_EUlS16_E_NS1_11comp_targetILNS1_3genE10ELNS1_11target_archE1200ELNS1_3gpuE4ELNS1_3repE0EEENS1_30default_config_static_selectorELNS0_4arch9wavefront6targetE0EEEvT1_
; %bb.0:
	s_clause 0x3
	s_load_b64 s[12:13], s[0:1], 0x30
	s_load_b128 s[4:7], s[0:1], 0x48
	s_load_b64 s[18:19], s[0:1], 0x58
	s_load_b64 s[14:15], s[0:1], 0x68
	v_cmp_eq_u32_e64 s2, 0, v0
	s_and_saveexec_b32 s3, s2
	s_cbranch_execz .LBB759_4
; %bb.1:
	s_mov_b32 s9, exec_lo
	s_mov_b32 s8, exec_lo
	v_mbcnt_lo_u32_b32 v1, s9, 0
                                        ; implicit-def: $vgpr2
	s_delay_alu instid0(VALU_DEP_1)
	v_cmpx_eq_u32_e32 0, v1
	s_cbranch_execz .LBB759_3
; %bb.2:
	s_load_b64 s[10:11], s[0:1], 0x78
	s_bcnt1_i32_b32 s9, s9
	s_wait_alu 0xfffe
	v_dual_mov_b32 v2, 0 :: v_dual_mov_b32 v3, s9
	s_wait_kmcnt 0x0
	global_atomic_add_u32 v2, v2, v3, s[10:11] th:TH_ATOMIC_RETURN scope:SCOPE_DEV
.LBB759_3:
	s_or_b32 exec_lo, exec_lo, s8
	s_wait_loadcnt 0x0
	v_readfirstlane_b32 s8, v2
	s_wait_alu 0xf1ff
	s_delay_alu instid0(VALU_DEP_1)
	v_dual_mov_b32 v2, 0 :: v_dual_add_nc_u32 v1, s8, v1
	ds_store_b32 v2, v1
.LBB759_4:
	s_or_b32 exec_lo, exec_lo, s3
	v_mov_b32_e32 v1, 0
	s_clause 0x2
	s_load_b128 s[8:11], s[0:1], 0x8
	s_load_b64 s[16:17], s[0:1], 0x20
	s_load_b32 s0, s[0:1], 0x70
	s_wait_dscnt 0x0
	s_barrier_signal -1
	s_barrier_wait -1
	global_inv scope:SCOPE_SE
	ds_load_b32 v2, v1
	s_wait_loadcnt_dscnt 0x0
	s_barrier_signal -1
	s_barrier_wait -1
	global_inv scope:SCOPE_SE
	s_wait_kmcnt 0x0
	global_load_b64 v[17:18], v1, s[6:7]
	s_mov_b32 s7, 0
	v_lshrrev_b32_e32 v1, 2, v0
	v_or_b32_e32 v10, 0x200, v0
	v_or_b32_e32 v9, 0x300, v0
	s_add_nc_u64 s[8:9], s[10:11], s[8:9]
	s_lshl_b32 s6, s0, 10
	s_add_co_i32 s20, s0, -1
	s_add_nc_u64 s[0:1], s[10:11], s[6:7]
	s_lshl_b32 s6, s20, 10
	v_cmp_le_u64_e64 s1, s[18:19], s[0:1]
	v_readfirstlane_b32 s21, v2
	s_add_co_i32 s0, s10, s6
	s_lshl_b32 s3, s21, 10
	s_cmp_eq_u32 s21, s20
	s_mov_b32 s6, s3
	s_cselect_b32 s19, -1, 0
	s_wait_alu 0xfffe
	s_and_b32 s1, s1, s19
	s_wait_alu 0xfffe
	s_xor_b32 s20, s1, -1
	s_mov_b32 s1, -1
	s_and_b32 vcc_lo, exec_lo, s20
	s_cbranch_vccz .LBB759_6
; %bb.5:
	v_or_b32_e32 v8, 0x100, v0
	s_add_nc_u64 s[22:23], s[6:7], s[8:9]
	v_lshrrev_b32_e32 v11, 2, v10
	v_add_co_u32 v2, s1, s22, v0
	s_delay_alu instid0(VALU_DEP_3)
	v_lshrrev_b32_e32 v8, 2, v8
	v_lshrrev_b32_e32 v12, 2, v9
	s_wait_alu 0xf1fe
	v_add_co_ci_u32_e64 v3, null, s23, 0, s1
	v_and_b32_e32 v13, 56, v1
	v_lshlrev_b32_e32 v14, 3, v0
	v_and_b32_e32 v8, 0x78, v8
	v_add_co_u32 v4, vcc_lo, 0x100, v2
	v_and_b32_e32 v15, 0xb8, v11
	v_and_b32_e32 v16, 0xf8, v12
	v_add_co_ci_u32_e64 v5, null, 0, v3, vcc_lo
	v_add_co_u32 v6, vcc_lo, 0x200, v2
	v_add_nc_u32_e32 v13, v13, v14
	s_wait_alu 0xfffd
	v_add_co_ci_u32_e64 v7, null, 0, v3, vcc_lo
	v_add_co_u32 v11, vcc_lo, 0x300, v2
	v_add_nc_u32_e32 v8, v8, v14
	v_add_nc_u32_e32 v15, v15, v14
	s_wait_alu 0xfffd
	v_add_co_ci_u32_e64 v12, null, 0, v3, vcc_lo
	v_add_nc_u32_e32 v14, v16, v14
	ds_store_b64 v13, v[2:3]
	ds_store_b64 v8, v[4:5] offset:2048
	ds_store_b64 v15, v[6:7] offset:4096
	ds_store_b64 v14, v[11:12] offset:6144
	s_wait_loadcnt_dscnt 0x0
	s_barrier_signal -1
	s_mov_b32 s1, s7
	s_barrier_wait -1
.LBB759_6:
	s_sub_co_i32 s3, s18, s0
	s_wait_alu 0xfffe
	s_and_not1_b32 vcc_lo, exec_lo, s1
	v_cmp_gt_u32_e64 s0, s3, v0
	s_wait_alu 0xfffe
	s_cbranch_vccnz .LBB759_8
; %bb.7:
	v_or_b32_e32 v8, 0x100, v0
	s_add_nc_u64 s[8:9], s[8:9], s[6:7]
	v_lshrrev_b32_e32 v13, 2, v10
	s_wait_alu 0xfffe
	v_add_co_u32 v2, s1, s8, v0
	s_wait_alu 0xf1ff
	v_add_co_ci_u32_e64 v3, null, s9, 0, s1
	v_add_co_u32 v4, s1, s8, v8
	s_wait_alu 0xf1ff
	v_add_co_ci_u32_e64 v5, null, s9, 0, s1
	v_cmp_gt_u32_e32 vcc_lo, s3, v8
	v_add_co_u32 v11, s1, s8, v9
	s_wait_alu 0xf1ff
	v_add_co_ci_u32_e64 v12, null, s9, 0, s1
	s_wait_alu 0xfffd
	v_dual_cndmask_b32 v5, 0, v5 :: v_dual_cndmask_b32 v4, 0, v4
	v_cmp_gt_u32_e32 vcc_lo, s3, v9
	v_lshrrev_b32_e32 v8, 2, v8
	v_lshrrev_b32_e32 v14, 2, v9
	v_cndmask_b32_e64 v3, 0, v3, s0
	v_cndmask_b32_e64 v2, 0, v2, s0
	v_add_co_u32 v6, s0, s8, v10
	s_wait_alu 0xfffd
	v_dual_cndmask_b32 v12, 0, v12 :: v_dual_and_b32 v1, 56, v1
	v_lshlrev_b32_e32 v15, 3, v0
	v_dual_cndmask_b32 v11, 0, v11 :: v_dual_and_b32 v8, 0x78, v8
	s_wait_alu 0xf1ff
	v_add_co_ci_u32_e64 v7, null, s9, 0, s0
	v_cmp_gt_u32_e64 s0, s3, v10
	v_and_b32_e32 v13, 0xb8, v13
	v_and_b32_e32 v14, 0xf8, v14
	v_add_nc_u32_e32 v1, v1, v15
	v_add_nc_u32_e32 v8, v8, v15
	s_wait_alu 0xf1ff
	v_cndmask_b32_e64 v7, 0, v7, s0
	v_cndmask_b32_e64 v6, 0, v6, s0
	v_add_nc_u32_e32 v13, v13, v15
	v_add_nc_u32_e32 v14, v14, v15
	ds_store_b64 v1, v[2:3]
	ds_store_b64 v8, v[4:5] offset:2048
	ds_store_b64 v13, v[6:7] offset:4096
	;; [unrolled: 1-line block ×3, first 2 shown]
	s_wait_loadcnt_dscnt 0x0
	s_barrier_signal -1
	s_barrier_wait -1
.LBB759_8:
	v_and_b32_e32 v1, 0xf8, v0
	s_wait_loadcnt 0x0
	global_inv scope:SCOPE_SE
	v_lshrrev_b32_e32 v28, 5, v0
	s_add_nc_u64 s[0:1], s[16:17], s[10:11]
	s_and_b32 vcc_lo, exec_lo, s20
	v_lshl_add_u32 v1, v0, 5, v1
	s_wait_alu 0xfffe
	s_add_nc_u64 s[0:1], s[0:1], s[6:7]
	s_mov_b32 s6, -1
	ds_load_2addr_b64 v[5:8], v1 offset1:1
	ds_load_2addr_b64 v[1:4], v1 offset0:2 offset1:3
	s_wait_loadcnt_dscnt 0x0
	s_barrier_signal -1
	s_barrier_wait -1
	global_inv scope:SCOPE_SE
	s_cbranch_vccz .LBB759_10
; %bb.9:
	s_clause 0x3
	global_load_u8 v11, v0, s[0:1]
	global_load_u8 v12, v0, s[0:1] offset:256
	global_load_u8 v13, v0, s[0:1] offset:512
	;; [unrolled: 1-line block ×3, first 2 shown]
	v_or_b32_e32 v15, 0x100, v0
	v_lshrrev_b32_e32 v16, 5, v10
	v_lshrrev_b32_e32 v19, 5, v9
	v_and_b32_e32 v20, 4, v28
	s_mov_b32 s6, 0
	v_lshrrev_b32_e32 v15, 5, v15
	v_and_b32_e32 v16, 20, v16
	v_and_b32_e32 v19, 28, v19
	v_add_nc_u32_e32 v20, v20, v0
	s_delay_alu instid0(VALU_DEP_4) | instskip(NEXT) | instid1(VALU_DEP_4)
	v_and_b32_e32 v15, 12, v15
	v_add_nc_u32_e32 v16, v16, v0
	s_delay_alu instid0(VALU_DEP_4) | instskip(NEXT) | instid1(VALU_DEP_3)
	v_add_nc_u32_e32 v19, v19, v0
	v_add_nc_u32_e32 v15, v15, v0
	s_wait_loadcnt 0x3
	ds_store_b8 v20, v11
	s_wait_loadcnt 0x2
	ds_store_b8 v15, v12 offset:256
	s_wait_loadcnt 0x1
	ds_store_b8 v16, v13 offset:512
	;; [unrolled: 2-line block ×3, first 2 shown]
	s_wait_dscnt 0x0
	s_barrier_signal -1
	s_barrier_wait -1
.LBB759_10:
	v_lshlrev_b32_e32 v11, 2, v0
	v_lshrrev_b32_e32 v12, 3, v0
	s_and_not1_b32 vcc_lo, exec_lo, s6
	s_wait_alu 0xfffe
	s_cbranch_vccnz .LBB759_18
; %bb.11:
	v_dual_mov_b32 v13, 0 :: v_dual_mov_b32 v14, 0
	s_mov_b32 s6, exec_lo
	v_cmpx_gt_u32_e64 s3, v0
	s_cbranch_execz .LBB759_13
; %bb.12:
	global_load_u8 v13, v0, s[0:1]
	s_wait_loadcnt 0x0
	v_and_b32_e32 v14, 0xffff, v13
.LBB759_13:
	s_or_b32 exec_lo, exec_lo, s6
	v_or_b32_e32 v15, 0x100, v0
	s_mov_b32 s6, exec_lo
	s_delay_alu instid0(VALU_DEP_1)
	v_cmpx_gt_u32_e64 s3, v15
	s_cbranch_execnz .LBB759_132
; %bb.14:
	s_or_b32 exec_lo, exec_lo, s6
	s_delay_alu instid0(SALU_CYCLE_1)
	s_mov_b32 s6, exec_lo
	v_cmpx_gt_u32_e64 s3, v10
	s_cbranch_execnz .LBB759_133
.LBB759_15:
	s_or_b32 exec_lo, exec_lo, s6
	v_cmp_gt_u32_e32 vcc_lo, s3, v9
	s_and_saveexec_b32 s3, vcc_lo
	s_cbranch_execz .LBB759_17
.LBB759_16:
	global_load_u8 v16, v0, s[0:1] offset:768
	v_lshrrev_b32_e32 v19, 16, v14
	s_wait_loadcnt 0x0
	v_lshlrev_b16 v16, 8, v16
	s_delay_alu instid0(VALU_DEP_1) | instskip(NEXT) | instid1(VALU_DEP_1)
	v_or_b32_e32 v16, v19, v16
	v_lshlrev_b32_e32 v16, 16, v16
	s_delay_alu instid0(VALU_DEP_1)
	v_and_or_b32 v14, 0xffff, v14, v16
.LBB759_17:
	s_wait_alu 0xfffe
	s_or_b32 exec_lo, exec_lo, s3
	v_lshrrev_b32_e32 v15, 5, v15
	v_lshrrev_b32_e32 v10, 5, v10
	;; [unrolled: 1-line block ×3, first 2 shown]
	v_and_b32_e32 v16, 4, v28
	v_lshrrev_b32_e32 v19, 8, v14
	v_and_b32_e32 v15, 12, v15
	v_and_b32_e32 v10, 28, v10
	;; [unrolled: 1-line block ×3, first 2 shown]
	v_add_nc_u32_e32 v16, v16, v0
	v_lshrrev_b32_e32 v20, 24, v14
	v_add_nc_u32_e32 v15, v15, v0
	v_add_nc_u32_e32 v10, v10, v0
	;; [unrolled: 1-line block ×3, first 2 shown]
	ds_store_b8 v16, v13
	ds_store_b8 v15, v19 offset:256
	ds_store_b8_d16_hi v10, v14 offset:512
	ds_store_b8 v9, v20 offset:768
	s_wait_loadcnt_dscnt 0x0
	s_barrier_signal -1
	s_barrier_wait -1
.LBB759_18:
	s_delay_alu instid0(VALU_DEP_1)
	v_dual_mov_b32 v10, 0 :: v_dual_and_b32 v9, 28, v12
	s_wait_loadcnt 0x0
	global_inv scope:SCOPE_SE
	v_mbcnt_lo_u32_b32 v33, -1, 0
	s_cmp_lg_u32 s21, 0
	v_add_nc_u32_e32 v9, v9, v11
	s_mov_b32 s1, -1
	s_delay_alu instid0(VALU_DEP_2)
	v_and_b32_e32 v34, 15, v33
	ds_load_b32 v29, v9
	s_wait_loadcnt_dscnt 0x0
	s_barrier_signal -1
	s_barrier_wait -1
	global_inv scope:SCOPE_SE
	v_and_b32_e32 v32, 0xff, v29
	v_bfe_u32 v31, v29, 8, 8
	v_bfe_u32 v30, v29, 16, 8
	v_lshrrev_b32_e32 v27, 24, v29
	s_delay_alu instid0(VALU_DEP_2) | instskip(NEXT) | instid1(VALU_DEP_1)
	v_add3_u32 v9, v31, v32, v30
	v_add_co_u32 v19, s0, v9, v27
	s_wait_alu 0xf1ff
	v_add_co_ci_u32_e64 v20, null, 0, 0, s0
	v_cmp_ne_u32_e64 s0, 0, v34
	s_cbranch_scc0 .LBB759_75
; %bb.19:
	v_mov_b32_e32 v11, v19
	v_mov_b32_dpp v9, v19 row_shr:1 row_mask:0xf bank_mask:0xf
	v_mov_b32_dpp v14, v10 row_shr:1 row_mask:0xf bank_mask:0xf
	v_dual_mov_b32 v13, v19 :: v_dual_mov_b32 v12, v20
	s_and_saveexec_b32 s1, s0
; %bb.20:
	s_delay_alu instid0(VALU_DEP_3) | instskip(SKIP_2) | instid1(VALU_DEP_2)
	v_add_co_u32 v13, vcc_lo, v19, v9
	s_wait_alu 0xfffd
	v_add_co_ci_u32_e64 v10, null, 0, v20, vcc_lo
	v_add_co_u32 v9, vcc_lo, 0, v13
	s_wait_alu 0xfffd
	s_delay_alu instid0(VALU_DEP_2) | instskip(NEXT) | instid1(VALU_DEP_1)
	v_add_co_ci_u32_e64 v10, null, v14, v10, vcc_lo
	v_dual_mov_b32 v12, v10 :: v_dual_mov_b32 v11, v9
; %bb.21:
	s_wait_alu 0xfffe
	s_or_b32 exec_lo, exec_lo, s1
	v_mov_b32_dpp v9, v13 row_shr:2 row_mask:0xf bank_mask:0xf
	v_mov_b32_dpp v14, v10 row_shr:2 row_mask:0xf bank_mask:0xf
	s_mov_b32 s1, exec_lo
	v_cmpx_lt_u32_e32 1, v34
; %bb.22:
	s_delay_alu instid0(VALU_DEP_3) | instskip(SKIP_2) | instid1(VALU_DEP_2)
	v_add_co_u32 v13, vcc_lo, v11, v9
	s_wait_alu 0xfffd
	v_add_co_ci_u32_e64 v10, null, 0, v12, vcc_lo
	v_add_co_u32 v9, vcc_lo, 0, v13
	s_wait_alu 0xfffd
	s_delay_alu instid0(VALU_DEP_2) | instskip(NEXT) | instid1(VALU_DEP_1)
	v_add_co_ci_u32_e64 v10, null, v14, v10, vcc_lo
	v_dual_mov_b32 v12, v10 :: v_dual_mov_b32 v11, v9
; %bb.23:
	s_wait_alu 0xfffe
	s_or_b32 exec_lo, exec_lo, s1
	v_mov_b32_dpp v9, v13 row_shr:4 row_mask:0xf bank_mask:0xf
	v_mov_b32_dpp v14, v10 row_shr:4 row_mask:0xf bank_mask:0xf
	s_mov_b32 s1, exec_lo
	v_cmpx_lt_u32_e32 3, v34
	;; [unrolled: 17-line block ×3, first 2 shown]
; %bb.26:
	s_delay_alu instid0(VALU_DEP_3) | instskip(SKIP_2) | instid1(VALU_DEP_2)
	v_add_co_u32 v13, vcc_lo, v11, v14
	s_wait_alu 0xfffd
	v_add_co_ci_u32_e64 v10, null, 0, v12, vcc_lo
	v_add_co_u32 v11, vcc_lo, 0, v13
	s_wait_alu 0xfffd
	s_delay_alu instid0(VALU_DEP_2) | instskip(NEXT) | instid1(VALU_DEP_1)
	v_add_co_ci_u32_e64 v12, null, v9, v10, vcc_lo
	v_mov_b32_e32 v10, v12
; %bb.27:
	s_wait_alu 0xfffe
	s_or_b32 exec_lo, exec_lo, s1
	ds_swizzle_b32 v9, v13 offset:swizzle(BROADCAST,32,15)
	ds_swizzle_b32 v14, v10 offset:swizzle(BROADCAST,32,15)
	v_and_b32_e32 v15, 16, v33
	s_mov_b32 s1, exec_lo
	s_delay_alu instid0(VALU_DEP_1)
	v_cmpx_ne_u32_e32 0, v15
	s_cbranch_execz .LBB759_29
; %bb.28:
	s_wait_dscnt 0x1
	v_add_co_u32 v13, vcc_lo, v11, v9
	s_wait_alu 0xfffd
	v_add_co_ci_u32_e64 v10, null, 0, v12, vcc_lo
	s_delay_alu instid0(VALU_DEP_2) | instskip(SKIP_2) | instid1(VALU_DEP_2)
	v_add_co_u32 v9, vcc_lo, 0, v13
	s_wait_dscnt 0x0
	s_wait_alu 0xfffd
	v_add_co_ci_u32_e64 v10, null, v14, v10, vcc_lo
	s_delay_alu instid0(VALU_DEP_1)
	v_dual_mov_b32 v12, v10 :: v_dual_mov_b32 v11, v9
.LBB759_29:
	s_wait_alu 0xfffe
	s_or_b32 exec_lo, exec_lo, s1
	s_wait_dscnt 0x1
	v_or_b32_e32 v9, 31, v0
	s_mov_b32 s1, exec_lo
	s_delay_alu instid0(VALU_DEP_1)
	v_cmpx_eq_u32_e64 v0, v9
; %bb.30:
	v_lshlrev_b32_e32 v9, 3, v28
	ds_store_b64 v9, v[11:12]
; %bb.31:
	s_wait_alu 0xfffe
	s_or_b32 exec_lo, exec_lo, s1
	s_delay_alu instid0(SALU_CYCLE_1)
	s_mov_b32 s1, exec_lo
	s_wait_loadcnt_dscnt 0x0
	s_barrier_signal -1
	s_barrier_wait -1
	global_inv scope:SCOPE_SE
	v_cmpx_gt_u32_e32 8, v0
	s_cbranch_execz .LBB759_39
; %bb.32:
	v_lshlrev_b32_e32 v9, 3, v0
	s_mov_b32 s3, exec_lo
	ds_load_b64 v[11:12], v9
	s_wait_dscnt 0x0
	v_dual_mov_b32 v15, v11 :: v_dual_and_b32 v14, 7, v33
	v_mov_b32_dpp v21, v11 row_shr:1 row_mask:0xf bank_mask:0xf
	v_mov_b32_dpp v16, v12 row_shr:1 row_mask:0xf bank_mask:0xf
	s_delay_alu instid0(VALU_DEP_3)
	v_cmpx_ne_u32_e32 0, v14
; %bb.33:
	s_delay_alu instid0(VALU_DEP_3) | instskip(SKIP_2) | instid1(VALU_DEP_2)
	v_add_co_u32 v15, vcc_lo, v11, v21
	s_wait_alu 0xfffd
	v_add_co_ci_u32_e64 v12, null, 0, v12, vcc_lo
	v_add_co_u32 v11, vcc_lo, 0, v15
	s_wait_alu 0xfffd
	s_delay_alu instid0(VALU_DEP_2)
	v_add_co_ci_u32_e64 v12, null, v16, v12, vcc_lo
; %bb.34:
	s_wait_alu 0xfffe
	s_or_b32 exec_lo, exec_lo, s3
	v_mov_b32_dpp v21, v15 row_shr:2 row_mask:0xf bank_mask:0xf
	s_delay_alu instid0(VALU_DEP_2)
	v_mov_b32_dpp v16, v12 row_shr:2 row_mask:0xf bank_mask:0xf
	s_mov_b32 s3, exec_lo
	v_cmpx_lt_u32_e32 1, v14
; %bb.35:
	s_delay_alu instid0(VALU_DEP_3) | instskip(SKIP_2) | instid1(VALU_DEP_2)
	v_add_co_u32 v15, vcc_lo, v11, v21
	s_wait_alu 0xfffd
	v_add_co_ci_u32_e64 v12, null, 0, v12, vcc_lo
	v_add_co_u32 v11, vcc_lo, 0, v15
	s_wait_alu 0xfffd
	s_delay_alu instid0(VALU_DEP_2)
	v_add_co_ci_u32_e64 v12, null, v16, v12, vcc_lo
; %bb.36:
	s_wait_alu 0xfffe
	s_or_b32 exec_lo, exec_lo, s3
	v_mov_b32_dpp v16, v15 row_shr:4 row_mask:0xf bank_mask:0xf
	s_delay_alu instid0(VALU_DEP_2)
	v_mov_b32_dpp v15, v12 row_shr:4 row_mask:0xf bank_mask:0xf
	s_mov_b32 s3, exec_lo
	v_cmpx_lt_u32_e32 3, v14
; %bb.37:
	s_delay_alu instid0(VALU_DEP_3) | instskip(SKIP_2) | instid1(VALU_DEP_2)
	v_add_co_u32 v11, vcc_lo, v11, v16
	s_wait_alu 0xfffd
	v_add_co_ci_u32_e64 v12, null, 0, v12, vcc_lo
	v_add_co_u32 v11, vcc_lo, v11, 0
	s_wait_alu 0xfffd
	s_delay_alu instid0(VALU_DEP_2)
	v_add_co_ci_u32_e64 v12, null, v12, v15, vcc_lo
; %bb.38:
	s_wait_alu 0xfffe
	s_or_b32 exec_lo, exec_lo, s3
	ds_store_b64 v9, v[11:12]
.LBB759_39:
	s_wait_alu 0xfffe
	s_or_b32 exec_lo, exec_lo, s1
	s_delay_alu instid0(SALU_CYCLE_1)
	s_mov_b32 s3, exec_lo
	v_cmp_gt_u32_e32 vcc_lo, 32, v0
	s_wait_loadcnt_dscnt 0x0
	s_barrier_signal -1
	s_barrier_wait -1
	global_inv scope:SCOPE_SE
                                        ; implicit-def: $vgpr21_vgpr22
	v_cmpx_lt_u32_e32 31, v0
	s_cbranch_execz .LBB759_41
; %bb.40:
	v_lshl_add_u32 v9, v28, 3, -8
	ds_load_b64 v[21:22], v9
	s_wait_dscnt 0x0
	v_add_co_u32 v13, s1, v13, v21
	s_wait_alu 0xf1ff
	v_add_co_ci_u32_e64 v10, null, v10, v22, s1
.LBB759_41:
	s_wait_alu 0xfffe
	s_or_b32 exec_lo, exec_lo, s3
	v_sub_co_u32 v9, s1, v33, 1
	s_delay_alu instid0(VALU_DEP_1) | instskip(SKIP_1) | instid1(VALU_DEP_1)
	v_cmp_gt_i32_e64 s3, 0, v9
	s_wait_alu 0xf1ff
	v_cndmask_b32_e64 v9, v9, v33, s3
	s_delay_alu instid0(VALU_DEP_1)
	v_lshlrev_b32_e32 v9, 2, v9
	ds_bpermute_b32 v35, v9, v13
	ds_bpermute_b32 v36, v9, v10
	s_and_saveexec_b32 s3, vcc_lo
	s_cbranch_execz .LBB759_80
; %bb.42:
	v_mov_b32_e32 v12, 0
	ds_load_b64 v[9:10], v12 offset:56
	s_and_saveexec_b32 s6, s1
	s_cbranch_execz .LBB759_44
; %bb.43:
	s_add_co_i32 s8, s21, 32
	s_mov_b32 s9, 0
	s_wait_alu 0xfffe
	s_lshl_b64 s[8:9], s[8:9], 4
	s_wait_alu 0xfffe
	s_add_nc_u64 s[8:9], s[14:15], s[8:9]
	s_wait_alu 0xfffe
	v_dual_mov_b32 v11, 1 :: v_dual_mov_b32 v14, s9
	v_mov_b32_e32 v13, s8
	s_wait_dscnt 0x0
	;;#ASMSTART
	global_store_b128 v[13:14], v[9:12] off scope:SCOPE_DEV	
s_wait_storecnt 0x0
	;;#ASMEND
.LBB759_44:
	s_or_b32 exec_lo, exec_lo, s6
	v_xad_u32 v23, v33, -1, s21
	s_mov_b32 s6, exec_lo
	s_delay_alu instid0(VALU_DEP_1) | instskip(NEXT) | instid1(VALU_DEP_1)
	v_add_nc_u32_e32 v11, 32, v23
	v_lshlrev_b64_e32 v[11:12], 4, v[11:12]
	s_delay_alu instid0(VALU_DEP_1) | instskip(SKIP_1) | instid1(VALU_DEP_2)
	v_add_co_u32 v11, vcc_lo, s14, v11
	s_wait_alu 0xfffd
	v_add_co_ci_u32_e64 v12, null, s15, v12, vcc_lo
	;;#ASMSTART
	global_load_b128 v[13:16], v[11:12] off scope:SCOPE_DEV	
s_wait_loadcnt 0x0
	;;#ASMEND
	v_and_b32_e32 v16, 0xff, v15
	s_delay_alu instid0(VALU_DEP_1)
	v_cmpx_eq_u16_e32 0, v16
	s_cbranch_execz .LBB759_47
.LBB759_45:                             ; =>This Inner Loop Header: Depth=1
	;;#ASMSTART
	global_load_b128 v[13:16], v[11:12] off scope:SCOPE_DEV	
s_wait_loadcnt 0x0
	;;#ASMEND
	v_and_b32_e32 v16, 0xff, v15
	s_delay_alu instid0(VALU_DEP_1) | instskip(SKIP_1) | instid1(SALU_CYCLE_1)
	v_cmp_ne_u16_e32 vcc_lo, 0, v16
	s_or_b32 s7, vcc_lo, s7
	s_and_not1_b32 exec_lo, exec_lo, s7
	s_cbranch_execnz .LBB759_45
; %bb.46:
	s_or_b32 exec_lo, exec_lo, s7
.LBB759_47:
	s_delay_alu instid0(SALU_CYCLE_1)
	s_or_b32 exec_lo, exec_lo, s6
	v_cmp_ne_u32_e32 vcc_lo, 31, v33
	v_and_b32_e32 v12, 0xff, v15
	v_lshlrev_b32_e64 v38, v33, -1
	s_mov_b32 s6, exec_lo
	s_wait_alu 0xfffd
	v_add_co_ci_u32_e64 v11, null, 0, v33, vcc_lo
	v_cmp_eq_u16_e32 vcc_lo, 2, v12
	s_delay_alu instid0(VALU_DEP_2)
	v_dual_mov_b32 v12, v13 :: v_dual_lshlrev_b32 v37, 2, v11
	s_wait_alu 0xfffd
	v_and_or_b32 v11, vcc_lo, v38, 0x80000000
	ds_bpermute_b32 v24, v37, v13
	ds_bpermute_b32 v16, v37, v14
	v_ctz_i32_b32_e32 v11, v11
	s_delay_alu instid0(VALU_DEP_1)
	v_cmpx_lt_u32_e64 v33, v11
	s_cbranch_execz .LBB759_49
; %bb.48:
	s_wait_dscnt 0x1
	v_add_co_u32 v12, vcc_lo, v13, v24
	s_wait_alu 0xfffd
	v_add_co_ci_u32_e64 v14, null, 0, v14, vcc_lo
	s_delay_alu instid0(VALU_DEP_2) | instskip(SKIP_2) | instid1(VALU_DEP_2)
	v_add_co_u32 v13, vcc_lo, 0, v12
	s_wait_dscnt 0x0
	s_wait_alu 0xfffd
	v_add_co_ci_u32_e64 v14, null, v16, v14, vcc_lo
.LBB759_49:
	s_or_b32 exec_lo, exec_lo, s6
	v_cmp_gt_u32_e32 vcc_lo, 30, v33
	v_add_nc_u32_e32 v40, 2, v33
	s_mov_b32 s6, exec_lo
	s_wait_dscnt 0x0
	s_wait_alu 0xfffd
	v_cndmask_b32_e64 v16, 0, 2, vcc_lo
	s_delay_alu instid0(VALU_DEP_1)
	v_add_lshl_u32 v39, v16, v33, 2
	ds_bpermute_b32 v24, v39, v12
	ds_bpermute_b32 v16, v39, v14
	v_cmpx_le_u32_e64 v40, v11
	s_cbranch_execz .LBB759_51
; %bb.50:
	s_wait_dscnt 0x1
	v_add_co_u32 v12, vcc_lo, v13, v24
	s_wait_alu 0xfffd
	v_add_co_ci_u32_e64 v14, null, 0, v14, vcc_lo
	s_delay_alu instid0(VALU_DEP_2) | instskip(SKIP_2) | instid1(VALU_DEP_2)
	v_add_co_u32 v13, vcc_lo, 0, v12
	s_wait_dscnt 0x0
	s_wait_alu 0xfffd
	v_add_co_ci_u32_e64 v14, null, v16, v14, vcc_lo
.LBB759_51:
	s_or_b32 exec_lo, exec_lo, s6
	v_cmp_gt_u32_e32 vcc_lo, 28, v33
	v_add_nc_u32_e32 v42, 4, v33
	s_mov_b32 s6, exec_lo
	s_wait_dscnt 0x0
	s_wait_alu 0xfffd
	v_cndmask_b32_e64 v16, 0, 4, vcc_lo
	s_delay_alu instid0(VALU_DEP_1)
	v_add_lshl_u32 v41, v16, v33, 2
	ds_bpermute_b32 v24, v41, v12
	ds_bpermute_b32 v16, v41, v14
	v_cmpx_le_u32_e64 v42, v11
	;; [unrolled: 24-line block ×3, first 2 shown]
	s_cbranch_execz .LBB759_55
; %bb.54:
	s_wait_dscnt 0x1
	v_add_co_u32 v12, vcc_lo, v13, v24
	s_wait_alu 0xfffd
	v_add_co_ci_u32_e64 v14, null, 0, v14, vcc_lo
	s_delay_alu instid0(VALU_DEP_2) | instskip(SKIP_2) | instid1(VALU_DEP_2)
	v_add_co_u32 v13, vcc_lo, 0, v12
	s_wait_dscnt 0x0
	s_wait_alu 0xfffd
	v_add_co_ci_u32_e64 v14, null, v16, v14, vcc_lo
.LBB759_55:
	s_or_b32 exec_lo, exec_lo, s6
	v_lshl_or_b32 v45, v33, 2, 64
	v_add_nc_u32_e32 v46, 16, v33
	s_mov_b32 s6, exec_lo
	s_wait_dscnt 0x0
	ds_bpermute_b32 v16, v45, v12
	ds_bpermute_b32 v12, v45, v14
	v_cmpx_le_u32_e64 v46, v11
	s_cbranch_execz .LBB759_57
; %bb.56:
	s_wait_dscnt 0x1
	v_add_co_u32 v11, vcc_lo, v13, v16
	s_wait_alu 0xfffd
	v_add_co_ci_u32_e64 v14, null, 0, v14, vcc_lo
	s_delay_alu instid0(VALU_DEP_2) | instskip(SKIP_2) | instid1(VALU_DEP_2)
	v_add_co_u32 v13, vcc_lo, v11, 0
	s_wait_dscnt 0x0
	s_wait_alu 0xfffd
	v_add_co_ci_u32_e64 v14, null, v14, v12, vcc_lo
.LBB759_57:
	s_or_b32 exec_lo, exec_lo, s6
	v_mov_b32_e32 v24, 0
	s_branch .LBB759_60
.LBB759_58:                             ;   in Loop: Header=BB759_60 Depth=1
	s_or_b32 exec_lo, exec_lo, s6
	v_add_co_u32 v13, vcc_lo, v13, v11
	v_subrev_nc_u32_e32 v23, 32, v23
	s_wait_alu 0xfffd
	v_add_co_ci_u32_e64 v14, null, v14, v12, vcc_lo
	s_mov_b32 s6, 0
.LBB759_59:                             ;   in Loop: Header=BB759_60 Depth=1
	s_delay_alu instid0(SALU_CYCLE_1)
	s_and_b32 vcc_lo, exec_lo, s6
	s_wait_alu 0xfffe
	s_cbranch_vccnz .LBB759_76
.LBB759_60:                             ; =>This Loop Header: Depth=1
                                        ;     Child Loop BB759_63 Depth 2
	v_and_b32_e32 v11, 0xff, v15
	s_mov_b32 s6, -1
	s_delay_alu instid0(VALU_DEP_1)
	v_cmp_ne_u16_e32 vcc_lo, 2, v11
	s_wait_dscnt 0x0
	v_dual_mov_b32 v11, v13 :: v_dual_mov_b32 v12, v14
                                        ; implicit-def: $vgpr13_vgpr14
	s_cmp_lg_u32 vcc_lo, exec_lo
	s_cbranch_scc1 .LBB759_59
; %bb.61:                               ;   in Loop: Header=BB759_60 Depth=1
	v_lshlrev_b64_e32 v[13:14], 4, v[23:24]
	s_mov_b32 s6, exec_lo
	s_delay_alu instid0(VALU_DEP_1) | instskip(SKIP_1) | instid1(VALU_DEP_2)
	v_add_co_u32 v25, vcc_lo, s14, v13
	s_wait_alu 0xfffd
	v_add_co_ci_u32_e64 v26, null, s15, v14, vcc_lo
	;;#ASMSTART
	global_load_b128 v[13:16], v[25:26] off scope:SCOPE_DEV	
s_wait_loadcnt 0x0
	;;#ASMEND
	v_and_b32_e32 v16, 0xff, v15
	s_delay_alu instid0(VALU_DEP_1)
	v_cmpx_eq_u16_e32 0, v16
	s_cbranch_execz .LBB759_65
; %bb.62:                               ;   in Loop: Header=BB759_60 Depth=1
	s_mov_b32 s7, 0
.LBB759_63:                             ;   Parent Loop BB759_60 Depth=1
                                        ; =>  This Inner Loop Header: Depth=2
	;;#ASMSTART
	global_load_b128 v[13:16], v[25:26] off scope:SCOPE_DEV	
s_wait_loadcnt 0x0
	;;#ASMEND
	v_and_b32_e32 v16, 0xff, v15
	s_delay_alu instid0(VALU_DEP_1) | instskip(SKIP_1) | instid1(SALU_CYCLE_1)
	v_cmp_ne_u16_e32 vcc_lo, 0, v16
	s_or_b32 s7, vcc_lo, s7
	s_and_not1_b32 exec_lo, exec_lo, s7
	s_cbranch_execnz .LBB759_63
; %bb.64:                               ;   in Loop: Header=BB759_60 Depth=1
	s_or_b32 exec_lo, exec_lo, s7
.LBB759_65:                             ;   in Loop: Header=BB759_60 Depth=1
	s_delay_alu instid0(SALU_CYCLE_1)
	s_or_b32 exec_lo, exec_lo, s6
	v_dual_mov_b32 v25, v13 :: v_dual_and_b32 v16, 0xff, v15
	ds_bpermute_b32 v47, v37, v13
	ds_bpermute_b32 v26, v37, v14
	s_mov_b32 s6, exec_lo
	v_cmp_eq_u16_e32 vcc_lo, 2, v16
	s_wait_alu 0xfffd
	v_and_or_b32 v16, vcc_lo, v38, 0x80000000
	s_delay_alu instid0(VALU_DEP_1) | instskip(NEXT) | instid1(VALU_DEP_1)
	v_ctz_i32_b32_e32 v16, v16
	v_cmpx_lt_u32_e64 v33, v16
	s_cbranch_execz .LBB759_67
; %bb.66:                               ;   in Loop: Header=BB759_60 Depth=1
	s_wait_dscnt 0x1
	v_add_co_u32 v25, vcc_lo, v13, v47
	s_wait_alu 0xfffd
	v_add_co_ci_u32_e64 v14, null, 0, v14, vcc_lo
	s_delay_alu instid0(VALU_DEP_2) | instskip(SKIP_2) | instid1(VALU_DEP_2)
	v_add_co_u32 v13, vcc_lo, 0, v25
	s_wait_dscnt 0x0
	s_wait_alu 0xfffd
	v_add_co_ci_u32_e64 v14, null, v26, v14, vcc_lo
.LBB759_67:                             ;   in Loop: Header=BB759_60 Depth=1
	s_or_b32 exec_lo, exec_lo, s6
	s_wait_dscnt 0x1
	ds_bpermute_b32 v47, v39, v25
	s_wait_dscnt 0x1
	ds_bpermute_b32 v26, v39, v14
	s_mov_b32 s6, exec_lo
	v_cmpx_le_u32_e64 v40, v16
	s_cbranch_execz .LBB759_69
; %bb.68:                               ;   in Loop: Header=BB759_60 Depth=1
	s_wait_dscnt 0x1
	v_add_co_u32 v25, vcc_lo, v13, v47
	s_wait_alu 0xfffd
	v_add_co_ci_u32_e64 v14, null, 0, v14, vcc_lo
	s_delay_alu instid0(VALU_DEP_2) | instskip(SKIP_2) | instid1(VALU_DEP_2)
	v_add_co_u32 v13, vcc_lo, 0, v25
	s_wait_dscnt 0x0
	s_wait_alu 0xfffd
	v_add_co_ci_u32_e64 v14, null, v26, v14, vcc_lo
.LBB759_69:                             ;   in Loop: Header=BB759_60 Depth=1
	s_or_b32 exec_lo, exec_lo, s6
	s_wait_dscnt 0x1
	ds_bpermute_b32 v47, v41, v25
	s_wait_dscnt 0x1
	ds_bpermute_b32 v26, v41, v14
	s_mov_b32 s6, exec_lo
	v_cmpx_le_u32_e64 v42, v16
	;; [unrolled: 19-line block ×3, first 2 shown]
	s_cbranch_execz .LBB759_73
; %bb.72:                               ;   in Loop: Header=BB759_60 Depth=1
	s_wait_dscnt 0x1
	v_add_co_u32 v25, vcc_lo, v13, v47
	s_wait_alu 0xfffd
	v_add_co_ci_u32_e64 v14, null, 0, v14, vcc_lo
	s_delay_alu instid0(VALU_DEP_2) | instskip(SKIP_2) | instid1(VALU_DEP_2)
	v_add_co_u32 v13, vcc_lo, 0, v25
	s_wait_dscnt 0x0
	s_wait_alu 0xfffd
	v_add_co_ci_u32_e64 v14, null, v26, v14, vcc_lo
.LBB759_73:                             ;   in Loop: Header=BB759_60 Depth=1
	s_or_b32 exec_lo, exec_lo, s6
	s_wait_dscnt 0x0
	ds_bpermute_b32 v26, v45, v25
	ds_bpermute_b32 v25, v45, v14
	s_mov_b32 s6, exec_lo
	v_cmpx_le_u32_e64 v46, v16
	s_cbranch_execz .LBB759_58
; %bb.74:                               ;   in Loop: Header=BB759_60 Depth=1
	s_wait_dscnt 0x1
	v_add_co_u32 v13, vcc_lo, v13, v26
	s_wait_alu 0xfffd
	v_add_co_ci_u32_e64 v14, null, 0, v14, vcc_lo
	s_delay_alu instid0(VALU_DEP_2) | instskip(SKIP_2) | instid1(VALU_DEP_2)
	v_add_co_u32 v13, vcc_lo, v13, 0
	s_wait_dscnt 0x0
	s_wait_alu 0xfffd
	v_add_co_ci_u32_e64 v14, null, v14, v25, vcc_lo
	s_branch .LBB759_58
.LBB759_75:
                                        ; implicit-def: $vgpr15_vgpr16
                                        ; implicit-def: $vgpr13_vgpr14
                                        ; implicit-def: $vgpr21_vgpr22
                                        ; implicit-def: $vgpr23_vgpr24
                                        ; implicit-def: $vgpr11_vgpr12
	s_wait_alu 0xfffe
	s_and_b32 vcc_lo, exec_lo, s1
	s_wait_alu 0xfffe
	s_cbranch_vccnz .LBB759_81
	s_branch .LBB759_106
.LBB759_76:
	s_and_saveexec_b32 s6, s1
	s_cbranch_execz .LBB759_78
; %bb.77:
	s_add_co_i32 s8, s21, 32
	s_mov_b32 s9, 0
	v_add_co_u32 v13, vcc_lo, v11, v9
	s_wait_alu 0xfffe
	s_lshl_b64 s[8:9], s[8:9], 4
	v_dual_mov_b32 v15, 2 :: v_dual_mov_b32 v16, 0
	s_wait_alu 0xfffe
	s_add_nc_u64 s[8:9], s[14:15], s[8:9]
	s_wait_alu 0xfffd
	v_add_co_ci_u32_e64 v14, null, v12, v10, vcc_lo
	s_wait_alu 0xfffe
	v_dual_mov_b32 v24, s9 :: v_dual_mov_b32 v23, s8
	;;#ASMSTART
	global_store_b128 v[23:24], v[13:16] off scope:SCOPE_DEV	
s_wait_storecnt 0x0
	;;#ASMEND
	ds_store_b128 v16, v[9:12] offset:8448
.LBB759_78:
	s_or_b32 exec_lo, exec_lo, s6
	s_delay_alu instid0(SALU_CYCLE_1)
	s_and_b32 exec_lo, exec_lo, s2
; %bb.79:
	v_mov_b32_e32 v9, 0
	ds_store_b64 v9, v[11:12] offset:56
.LBB759_80:
	s_wait_alu 0xfffe
	s_or_b32 exec_lo, exec_lo, s3
	v_mov_b32_e32 v9, 0
	s_wait_loadcnt_dscnt 0x0
	s_barrier_signal -1
	s_barrier_wait -1
	global_inv scope:SCOPE_SE
	ds_load_b64 v[13:14], v9 offset:56
	v_cndmask_b32_e64 v11, v35, v21, s1
	v_cndmask_b32_e64 v10, v36, v22, s1
	s_wait_loadcnt_dscnt 0x0
	s_barrier_signal -1
	s_barrier_wait -1
	v_cndmask_b32_e64 v16, v11, 0, s2
	v_cndmask_b32_e64 v15, v10, 0, s2
	global_inv scope:SCOPE_SE
	ds_load_b128 v[9:12], v9 offset:8448
	v_add_co_u32 v23, vcc_lo, v13, v16
	s_wait_alu 0xfffd
	v_add_co_ci_u32_e64 v24, null, v14, v15, vcc_lo
	s_delay_alu instid0(VALU_DEP_2) | instskip(SKIP_1) | instid1(VALU_DEP_2)
	v_add_co_u32 v21, vcc_lo, v23, v32
	s_wait_alu 0xfffd
	v_add_co_ci_u32_e64 v22, null, 0, v24, vcc_lo
	s_delay_alu instid0(VALU_DEP_2) | instskip(SKIP_1) | instid1(VALU_DEP_2)
	v_add_co_u32 v13, vcc_lo, v21, v31
	s_wait_alu 0xfffd
	v_add_co_ci_u32_e64 v14, null, 0, v22, vcc_lo
	s_delay_alu instid0(VALU_DEP_2) | instskip(SKIP_1) | instid1(VALU_DEP_2)
	v_add_co_u32 v15, vcc_lo, v13, v30
	s_wait_alu 0xfffd
	v_add_co_ci_u32_e64 v16, null, 0, v14, vcc_lo
	s_branch .LBB759_106
.LBB759_81:
	s_wait_dscnt 0x0
	v_dual_mov_b32 v10, 0 :: v_dual_mov_b32 v11, v19
	v_mov_b32_dpp v12, v19 row_shr:1 row_mask:0xf bank_mask:0xf
	s_delay_alu instid0(VALU_DEP_2)
	v_mov_b32_dpp v9, v10 row_shr:1 row_mask:0xf bank_mask:0xf
	s_and_saveexec_b32 s1, s0
; %bb.82:
	s_delay_alu instid0(VALU_DEP_2) | instskip(SKIP_2) | instid1(VALU_DEP_2)
	v_add_co_u32 v11, vcc_lo, v19, v12
	s_wait_alu 0xfffd
	v_add_co_ci_u32_e64 v10, null, 0, v20, vcc_lo
	v_add_co_u32 v19, vcc_lo, 0, v11
	s_wait_alu 0xfffd
	s_delay_alu instid0(VALU_DEP_2) | instskip(NEXT) | instid1(VALU_DEP_1)
	v_add_co_ci_u32_e64 v20, null, v9, v10, vcc_lo
	v_mov_b32_e32 v10, v20
; %bb.83:
	s_wait_alu 0xfffe
	s_or_b32 exec_lo, exec_lo, s1
	v_mov_b32_dpp v9, v11 row_shr:2 row_mask:0xf bank_mask:0xf
	s_delay_alu instid0(VALU_DEP_2)
	v_mov_b32_dpp v12, v10 row_shr:2 row_mask:0xf bank_mask:0xf
	s_mov_b32 s0, exec_lo
	v_cmpx_lt_u32_e32 1, v34
; %bb.84:
	s_delay_alu instid0(VALU_DEP_3) | instskip(SKIP_2) | instid1(VALU_DEP_2)
	v_add_co_u32 v11, vcc_lo, v19, v9
	s_wait_alu 0xfffd
	v_add_co_ci_u32_e64 v10, null, 0, v20, vcc_lo
	v_add_co_u32 v9, vcc_lo, 0, v11
	s_wait_alu 0xfffd
	s_delay_alu instid0(VALU_DEP_2) | instskip(NEXT) | instid1(VALU_DEP_1)
	v_add_co_ci_u32_e64 v10, null, v12, v10, vcc_lo
	v_dual_mov_b32 v20, v10 :: v_dual_mov_b32 v19, v9
; %bb.85:
	s_wait_alu 0xfffe
	s_or_b32 exec_lo, exec_lo, s0
	v_mov_b32_dpp v9, v11 row_shr:4 row_mask:0xf bank_mask:0xf
	v_mov_b32_dpp v12, v10 row_shr:4 row_mask:0xf bank_mask:0xf
	s_mov_b32 s0, exec_lo
	v_cmpx_lt_u32_e32 3, v34
; %bb.86:
	s_delay_alu instid0(VALU_DEP_3) | instskip(SKIP_2) | instid1(VALU_DEP_2)
	v_add_co_u32 v11, vcc_lo, v19, v9
	s_wait_alu 0xfffd
	v_add_co_ci_u32_e64 v10, null, 0, v20, vcc_lo
	v_add_co_u32 v9, vcc_lo, 0, v11
	s_wait_alu 0xfffd
	s_delay_alu instid0(VALU_DEP_2) | instskip(NEXT) | instid1(VALU_DEP_1)
	v_add_co_ci_u32_e64 v10, null, v12, v10, vcc_lo
	v_dual_mov_b32 v20, v10 :: v_dual_mov_b32 v19, v9
; %bb.87:
	s_wait_alu 0xfffe
	s_or_b32 exec_lo, exec_lo, s0
	v_mov_b32_dpp v12, v11 row_shr:8 row_mask:0xf bank_mask:0xf
	v_mov_b32_dpp v9, v10 row_shr:8 row_mask:0xf bank_mask:0xf
	s_mov_b32 s0, exec_lo
	v_cmpx_lt_u32_e32 7, v34
; %bb.88:
	s_delay_alu instid0(VALU_DEP_3) | instskip(SKIP_2) | instid1(VALU_DEP_2)
	v_add_co_u32 v11, vcc_lo, v19, v12
	s_wait_alu 0xfffd
	v_add_co_ci_u32_e64 v10, null, 0, v20, vcc_lo
	v_add_co_u32 v19, vcc_lo, 0, v11
	s_wait_alu 0xfffd
	s_delay_alu instid0(VALU_DEP_2) | instskip(NEXT) | instid1(VALU_DEP_1)
	v_add_co_ci_u32_e64 v20, null, v9, v10, vcc_lo
	v_mov_b32_e32 v10, v20
; %bb.89:
	s_wait_alu 0xfffe
	s_or_b32 exec_lo, exec_lo, s0
	ds_swizzle_b32 v11, v11 offset:swizzle(BROADCAST,32,15)
	ds_swizzle_b32 v9, v10 offset:swizzle(BROADCAST,32,15)
	v_and_b32_e32 v10, 16, v33
	s_mov_b32 s0, exec_lo
	s_delay_alu instid0(VALU_DEP_1)
	v_cmpx_ne_u32_e32 0, v10
	s_cbranch_execz .LBB759_91
; %bb.90:
	s_wait_dscnt 0x1
	v_add_co_u32 v10, vcc_lo, v19, v11
	s_wait_alu 0xfffd
	v_add_co_ci_u32_e64 v11, null, 0, v20, vcc_lo
	s_delay_alu instid0(VALU_DEP_2) | instskip(SKIP_2) | instid1(VALU_DEP_2)
	v_add_co_u32 v19, vcc_lo, v10, 0
	s_wait_dscnt 0x0
	s_wait_alu 0xfffd
	v_add_co_ci_u32_e64 v20, null, v11, v9, vcc_lo
.LBB759_91:
	s_wait_alu 0xfffe
	s_or_b32 exec_lo, exec_lo, s0
	s_wait_dscnt 0x0
	v_or_b32_e32 v9, 31, v0
	s_mov_b32 s0, exec_lo
	s_delay_alu instid0(VALU_DEP_1)
	v_cmpx_eq_u32_e64 v0, v9
; %bb.92:
	v_lshlrev_b32_e32 v9, 3, v28
	ds_store_b64 v9, v[19:20]
; %bb.93:
	s_wait_alu 0xfffe
	s_or_b32 exec_lo, exec_lo, s0
	s_delay_alu instid0(SALU_CYCLE_1)
	s_mov_b32 s0, exec_lo
	s_wait_loadcnt_dscnt 0x0
	s_barrier_signal -1
	s_barrier_wait -1
	global_inv scope:SCOPE_SE
	v_cmpx_gt_u32_e32 8, v0
	s_cbranch_execz .LBB759_101
; %bb.94:
	v_lshlrev_b32_e32 v11, 3, v0
	s_mov_b32 s1, exec_lo
	ds_load_b64 v[9:10], v11
	s_wait_dscnt 0x0
	v_dual_mov_b32 v13, v9 :: v_dual_and_b32 v12, 7, v33
	v_mov_b32_dpp v15, v9 row_shr:1 row_mask:0xf bank_mask:0xf
	v_mov_b32_dpp v14, v10 row_shr:1 row_mask:0xf bank_mask:0xf
	s_delay_alu instid0(VALU_DEP_3)
	v_cmpx_ne_u32_e32 0, v12
; %bb.95:
	s_delay_alu instid0(VALU_DEP_3) | instskip(SKIP_2) | instid1(VALU_DEP_2)
	v_add_co_u32 v13, vcc_lo, v9, v15
	s_wait_alu 0xfffd
	v_add_co_ci_u32_e64 v10, null, 0, v10, vcc_lo
	v_add_co_u32 v9, vcc_lo, 0, v13
	s_wait_alu 0xfffd
	s_delay_alu instid0(VALU_DEP_2)
	v_add_co_ci_u32_e64 v10, null, v14, v10, vcc_lo
; %bb.96:
	s_wait_alu 0xfffe
	s_or_b32 exec_lo, exec_lo, s1
	v_mov_b32_dpp v15, v13 row_shr:2 row_mask:0xf bank_mask:0xf
	s_delay_alu instid0(VALU_DEP_2)
	v_mov_b32_dpp v14, v10 row_shr:2 row_mask:0xf bank_mask:0xf
	s_mov_b32 s1, exec_lo
	v_cmpx_lt_u32_e32 1, v12
; %bb.97:
	s_delay_alu instid0(VALU_DEP_3) | instskip(SKIP_2) | instid1(VALU_DEP_2)
	v_add_co_u32 v13, vcc_lo, v9, v15
	s_wait_alu 0xfffd
	v_add_co_ci_u32_e64 v10, null, 0, v10, vcc_lo
	v_add_co_u32 v9, vcc_lo, 0, v13
	s_wait_alu 0xfffd
	s_delay_alu instid0(VALU_DEP_2)
	v_add_co_ci_u32_e64 v10, null, v14, v10, vcc_lo
; %bb.98:
	s_wait_alu 0xfffe
	s_or_b32 exec_lo, exec_lo, s1
	v_mov_b32_dpp v14, v13 row_shr:4 row_mask:0xf bank_mask:0xf
	s_delay_alu instid0(VALU_DEP_2)
	v_mov_b32_dpp v13, v10 row_shr:4 row_mask:0xf bank_mask:0xf
	s_mov_b32 s1, exec_lo
	v_cmpx_lt_u32_e32 3, v12
; %bb.99:
	s_delay_alu instid0(VALU_DEP_3) | instskip(SKIP_2) | instid1(VALU_DEP_2)
	v_add_co_u32 v9, vcc_lo, v9, v14
	s_wait_alu 0xfffd
	v_add_co_ci_u32_e64 v10, null, 0, v10, vcc_lo
	v_add_co_u32 v9, vcc_lo, v9, 0
	s_wait_alu 0xfffd
	s_delay_alu instid0(VALU_DEP_2)
	v_add_co_ci_u32_e64 v10, null, v10, v13, vcc_lo
; %bb.100:
	s_wait_alu 0xfffe
	s_or_b32 exec_lo, exec_lo, s1
	ds_store_b64 v11, v[9:10]
.LBB759_101:
	s_wait_alu 0xfffe
	s_or_b32 exec_lo, exec_lo, s0
	v_mov_b32_e32 v13, 0
	v_mov_b32_e32 v14, 0
	s_mov_b32 s0, exec_lo
	s_wait_loadcnt_dscnt 0x0
	s_barrier_signal -1
	s_barrier_wait -1
	global_inv scope:SCOPE_SE
	v_cmpx_lt_u32_e32 31, v0
; %bb.102:
	v_lshl_add_u32 v9, v28, 3, -8
	ds_load_b64 v[13:14], v9
; %bb.103:
	s_wait_alu 0xfffe
	s_or_b32 exec_lo, exec_lo, s0
	v_sub_co_u32 v9, vcc_lo, v33, 1
	v_mov_b32_e32 v12, 0
	s_delay_alu instid0(VALU_DEP_2) | instskip(SKIP_1) | instid1(VALU_DEP_1)
	v_cmp_gt_i32_e64 s0, 0, v9
	s_wait_alu 0xf1ff
	v_cndmask_b32_e64 v9, v9, v33, s0
	s_wait_dscnt 0x0
	v_add_co_u32 v10, s0, v13, v19
	s_wait_alu 0xf1ff
	v_add_co_ci_u32_e64 v11, null, v14, v20, s0
	v_lshlrev_b32_e32 v9, 2, v9
	ds_bpermute_b32 v15, v9, v10
	ds_bpermute_b32 v16, v9, v11
	ds_load_b64 v[9:10], v12 offset:56
	s_and_saveexec_b32 s0, s2
	s_cbranch_execz .LBB759_105
; %bb.104:
	s_add_nc_u64 s[6:7], s[14:15], 0x200
	s_delay_alu instid0(SALU_CYCLE_1)
	v_dual_mov_b32 v11, 2 :: v_dual_mov_b32 v20, s7
	v_mov_b32_e32 v19, s6
	s_wait_dscnt 0x0
	;;#ASMSTART
	global_store_b128 v[19:20], v[9:12] off scope:SCOPE_DEV	
s_wait_storecnt 0x0
	;;#ASMEND
.LBB759_105:
	s_wait_alu 0xfffe
	s_or_b32 exec_lo, exec_lo, s0
	s_wait_dscnt 0x1
	s_wait_alu 0xfffd
	v_dual_cndmask_b32 v11, v15, v13 :: v_dual_cndmask_b32 v12, v16, v14
	s_wait_loadcnt_dscnt 0x0
	s_barrier_signal -1
	s_barrier_wait -1
	s_delay_alu instid0(VALU_DEP_1)
	v_cndmask_b32_e64 v23, v11, 0, s2
	v_cndmask_b32_e64 v24, v12, 0, s2
	v_mov_b32_e32 v11, 0
	v_mov_b32_e32 v12, 0
	global_inv scope:SCOPE_SE
	v_add_co_u32 v21, vcc_lo, v23, v32
	s_wait_alu 0xfffd
	v_add_co_ci_u32_e64 v22, null, 0, v24, vcc_lo
	s_delay_alu instid0(VALU_DEP_2) | instskip(SKIP_1) | instid1(VALU_DEP_2)
	v_add_co_u32 v13, vcc_lo, v21, v31
	s_wait_alu 0xfffd
	v_add_co_ci_u32_e64 v14, null, 0, v22, vcc_lo
	s_delay_alu instid0(VALU_DEP_2) | instskip(SKIP_1) | instid1(VALU_DEP_2)
	v_add_co_u32 v15, vcc_lo, v13, v30
	s_wait_alu 0xfffd
	v_add_co_ci_u32_e64 v16, null, 0, v14, vcc_lo
.LBB759_106:
	v_and_b32_e32 v28, 1, v29
	s_wait_dscnt 0x0
	v_cmp_gt_u64_e32 vcc_lo, 0x101, v[9:10]
	v_lshrrev_b32_e32 v25, 16, v29
	v_lshrrev_b32_e32 v26, 8, v29
	s_mov_b32 s1, -1
	v_cmp_eq_u32_e64 s0, 1, v28
	s_cbranch_vccnz .LBB759_110
; %bb.107:
	s_wait_alu 0xfffe
	s_and_b32 vcc_lo, exec_lo, s1
	s_wait_alu 0xfffe
	s_cbranch_vccnz .LBB759_119
.LBB759_108:
	s_and_b32 s0, s2, s19
	s_wait_alu 0xfffe
	s_and_saveexec_b32 s1, s0
	s_cbranch_execnz .LBB759_131
.LBB759_109:
	s_endpgm
.LBB759_110:
	v_add_co_u32 v19, vcc_lo, v11, v9
	s_wait_alu 0xfffd
	v_add_co_ci_u32_e64 v20, null, v12, v10, vcc_lo
	s_delay_alu instid0(VALU_DEP_1)
	v_cmp_lt_u64_e32 vcc_lo, v[23:24], v[19:20]
	s_or_b32 s1, s20, vcc_lo
	s_wait_alu 0xfffe
	s_and_b32 s1, s1, s0
	s_wait_alu 0xfffe
	s_and_saveexec_b32 s0, s1
	s_cbranch_execz .LBB759_112
; %bb.111:
	v_lshlrev_b64_e32 v[29:30], 3, v[17:18]
	v_lshlrev_b64_e32 v[31:32], 3, v[23:24]
	s_delay_alu instid0(VALU_DEP_2) | instskip(SKIP_1) | instid1(VALU_DEP_3)
	v_add_co_u32 v24, vcc_lo, s12, v29
	s_wait_alu 0xfffd
	v_add_co_ci_u32_e64 v30, null, s13, v30, vcc_lo
	s_delay_alu instid0(VALU_DEP_2) | instskip(SKIP_1) | instid1(VALU_DEP_2)
	v_add_co_u32 v29, vcc_lo, v24, v31
	s_wait_alu 0xfffd
	v_add_co_ci_u32_e64 v30, null, v30, v32, vcc_lo
	global_store_b64 v[29:30], v[5:6], off
.LBB759_112:
	s_wait_alu 0xfffe
	s_or_b32 exec_lo, exec_lo, s0
	v_and_b32_e32 v24, 1, v26
	v_cmp_lt_u64_e32 vcc_lo, v[21:22], v[19:20]
	s_delay_alu instid0(VALU_DEP_2)
	v_cmp_eq_u32_e64 s0, 1, v24
	s_or_b32 s1, s20, vcc_lo
	s_wait_alu 0xfffe
	s_and_b32 s1, s1, s0
	s_wait_alu 0xfffe
	s_and_saveexec_b32 s0, s1
	s_cbranch_execz .LBB759_114
; %bb.113:
	v_lshlrev_b64_e32 v[29:30], 3, v[17:18]
	v_lshlrev_b64_e32 v[31:32], 3, v[21:22]
	s_delay_alu instid0(VALU_DEP_2) | instskip(SKIP_1) | instid1(VALU_DEP_3)
	v_add_co_u32 v22, vcc_lo, s12, v29
	s_wait_alu 0xfffd
	v_add_co_ci_u32_e64 v24, null, s13, v30, vcc_lo
	s_delay_alu instid0(VALU_DEP_2) | instskip(SKIP_1) | instid1(VALU_DEP_2)
	v_add_co_u32 v29, vcc_lo, v22, v31
	s_wait_alu 0xfffd
	v_add_co_ci_u32_e64 v30, null, v24, v32, vcc_lo
	global_store_b64 v[29:30], v[7:8], off
.LBB759_114:
	s_wait_alu 0xfffe
	s_or_b32 exec_lo, exec_lo, s0
	v_and_b32_e32 v22, 1, v25
	v_cmp_lt_u64_e32 vcc_lo, v[13:14], v[19:20]
	s_delay_alu instid0(VALU_DEP_2)
	v_cmp_eq_u32_e64 s0, 1, v22
	;; [unrolled: 25-line block ×3, first 2 shown]
	s_or_b32 s1, s20, vcc_lo
	s_wait_alu 0xfffe
	s_and_b32 s1, s1, s0
	s_wait_alu 0xfffe
	s_and_saveexec_b32 s0, s1
	s_cbranch_execz .LBB759_118
; %bb.117:
	v_lshlrev_b64_e32 v[19:20], 3, v[17:18]
	v_lshlrev_b64_e32 v[29:30], 3, v[15:16]
	s_delay_alu instid0(VALU_DEP_2) | instskip(SKIP_1) | instid1(VALU_DEP_3)
	v_add_co_u32 v14, vcc_lo, s12, v19
	s_wait_alu 0xfffd
	v_add_co_ci_u32_e64 v16, null, s13, v20, vcc_lo
	s_delay_alu instid0(VALU_DEP_2) | instskip(SKIP_1) | instid1(VALU_DEP_2)
	v_add_co_u32 v19, vcc_lo, v14, v29
	s_wait_alu 0xfffd
	v_add_co_ci_u32_e64 v20, null, v16, v30, vcc_lo
	global_store_b64 v[19:20], v[3:4], off
.LBB759_118:
	s_wait_alu 0xfffe
	s_or_b32 exec_lo, exec_lo, s0
	s_branch .LBB759_108
.LBB759_119:
	s_mov_b32 s0, exec_lo
	v_cmpx_eq_u32_e32 1, v28
; %bb.120:
	v_sub_nc_u32_e32 v14, v23, v11
	s_delay_alu instid0(VALU_DEP_1)
	v_lshlrev_b32_e32 v14, 3, v14
	ds_store_b64 v14, v[5:6]
; %bb.121:
	s_wait_alu 0xfffe
	s_or_b32 exec_lo, exec_lo, s0
	v_and_b32_e32 v5, 1, v26
	s_mov_b32 s0, exec_lo
	s_delay_alu instid0(VALU_DEP_1)
	v_cmpx_eq_u32_e32 1, v5
; %bb.122:
	v_sub_nc_u32_e32 v5, v21, v11
	s_delay_alu instid0(VALU_DEP_1)
	v_lshlrev_b32_e32 v5, 3, v5
	ds_store_b64 v5, v[7:8]
; %bb.123:
	s_wait_alu 0xfffe
	s_or_b32 exec_lo, exec_lo, s0
	v_and_b32_e32 v5, 1, v25
	s_mov_b32 s0, exec_lo
	s_delay_alu instid0(VALU_DEP_1)
	;; [unrolled: 12-line block ×3, first 2 shown]
	v_cmpx_eq_u32_e32 1, v1
; %bb.126:
	v_sub_nc_u32_e32 v1, v15, v11
	s_delay_alu instid0(VALU_DEP_1)
	v_lshlrev_b32_e32 v1, 3, v1
	ds_store_b64 v1, v[3:4]
; %bb.127:
	s_wait_alu 0xfffe
	s_or_b32 exec_lo, exec_lo, s0
	v_mov_b32_e32 v1, 0
	s_mov_b32 s1, exec_lo
	s_wait_storecnt 0x0
	s_wait_loadcnt_dscnt 0x0
	s_barrier_signal -1
	s_barrier_wait -1
	global_inv scope:SCOPE_SE
	v_cmpx_gt_u64_e64 v[9:10], v[0:1]
	s_cbranch_execz .LBB759_130
; %bb.128:
	v_lshlrev_b64_e32 v[2:3], 3, v[11:12]
	v_lshlrev_b64_e32 v[4:5], 3, v[17:18]
	s_mov_b32 s3, 0
	s_delay_alu instid0(VALU_DEP_2) | instskip(SKIP_1) | instid1(VALU_DEP_3)
	v_add_co_u32 v6, vcc_lo, s12, v2
	s_wait_alu 0xfffd
	v_add_co_ci_u32_e64 v7, null, s13, v3, vcc_lo
	v_dual_mov_b32 v3, v1 :: v_dual_mov_b32 v2, v0
	s_delay_alu instid0(VALU_DEP_3) | instskip(SKIP_1) | instid1(VALU_DEP_3)
	v_add_co_u32 v4, vcc_lo, v6, v4
	s_wait_alu 0xfffd
	v_add_co_ci_u32_e64 v5, null, v7, v5, vcc_lo
	v_or_b32_e32 v0, 0x100, v0
.LBB759_129:                            ; =>This Inner Loop Header: Depth=1
	v_lshlrev_b32_e32 v6, 3, v2
	v_lshlrev_b64_e32 v[13:14], 3, v[2:3]
	v_mov_b32_e32 v3, v1
	s_delay_alu instid0(VALU_DEP_4)
	v_cmp_le_u64_e32 vcc_lo, v[9:10], v[0:1]
	v_mov_b32_e32 v2, v0
	ds_load_b64 v[6:7], v6
	v_add_nc_u32_e32 v0, 0x100, v0
	v_add_co_u32 v13, s0, v4, v13
	s_wait_alu 0xf1ff
	v_add_co_ci_u32_e64 v14, null, v5, v14, s0
	s_wait_alu 0xfffe
	s_or_b32 s3, vcc_lo, s3
	s_wait_dscnt 0x0
	global_store_b64 v[13:14], v[6:7], off
	s_wait_alu 0xfffe
	s_and_not1_b32 exec_lo, exec_lo, s3
	s_cbranch_execnz .LBB759_129
.LBB759_130:
	s_wait_alu 0xfffe
	s_or_b32 exec_lo, exec_lo, s1
	s_and_b32 s0, s2, s19
	s_wait_alu 0xfffe
	s_and_saveexec_b32 s1, s0
	s_cbranch_execz .LBB759_109
.LBB759_131:
	v_add_co_u32 v0, vcc_lo, v11, v9
	s_wait_alu 0xfffd
	v_add_co_ci_u32_e64 v1, null, v12, v10, vcc_lo
	v_mov_b32_e32 v2, 0
	s_delay_alu instid0(VALU_DEP_3) | instskip(SKIP_1) | instid1(VALU_DEP_3)
	v_add_co_u32 v0, vcc_lo, v0, v17
	s_wait_alu 0xfffd
	v_add_co_ci_u32_e64 v1, null, v1, v18, vcc_lo
	global_store_b64 v2, v[0:1], s[4:5]
	s_endpgm
.LBB759_132:
	global_load_u8 v16, v0, s[0:1] offset:256
	s_wait_loadcnt 0x0
	v_lshlrev_b16 v16, 8, v16
	s_delay_alu instid0(VALU_DEP_1) | instskip(NEXT) | instid1(VALU_DEP_1)
	v_or_b32_e32 v14, v14, v16
	v_and_b32_e32 v14, 0xffff, v14
	s_or_b32 exec_lo, exec_lo, s6
	s_delay_alu instid0(SALU_CYCLE_1)
	s_mov_b32 s6, exec_lo
	v_cmpx_gt_u32_e64 s3, v10
	s_cbranch_execz .LBB759_15
.LBB759_133:
	global_load_u8 v16, v0, s[0:1] offset:512
	s_wait_loadcnt 0x0
	v_lshl_or_b32 v14, v16, 16, v14
	s_or_b32 exec_lo, exec_lo, s6
	v_cmp_gt_u32_e32 vcc_lo, s3, v9
	s_and_saveexec_b32 s3, vcc_lo
	s_cbranch_execnz .LBB759_16
	s_branch .LBB759_17
	.section	.rodata,"a",@progbits
	.p2align	6, 0x0
	.amdhsa_kernel _ZN7rocprim17ROCPRIM_400000_NS6detail17trampoline_kernelINS0_14default_configENS1_25partition_config_selectorILNS1_17partition_subalgoE5ElNS0_10empty_typeEbEEZZNS1_14partition_implILS5_5ELb0ES3_mN6hipcub16HIPCUB_304000_NS21CountingInputIteratorIllEEPS6_NSA_22TransformInputIteratorIbN2at6native12_GLOBAL__N_19NonZeroOpIbEEPKblEENS0_5tupleIJPlS6_EEENSN_IJSD_SD_EEES6_PiJS6_EEE10hipError_tPvRmT3_T4_T5_T6_T7_T9_mT8_P12ihipStream_tbDpT10_ENKUlT_T0_E_clISt17integral_constantIbLb0EES1A_IbLb1EEEEDaS16_S17_EUlS16_E_NS1_11comp_targetILNS1_3genE10ELNS1_11target_archE1200ELNS1_3gpuE4ELNS1_3repE0EEENS1_30default_config_static_selectorELNS0_4arch9wavefront6targetE0EEEvT1_
		.amdhsa_group_segment_fixed_size 8464
		.amdhsa_private_segment_fixed_size 0
		.amdhsa_kernarg_size 136
		.amdhsa_user_sgpr_count 2
		.amdhsa_user_sgpr_dispatch_ptr 0
		.amdhsa_user_sgpr_queue_ptr 0
		.amdhsa_user_sgpr_kernarg_segment_ptr 1
		.amdhsa_user_sgpr_dispatch_id 0
		.amdhsa_user_sgpr_private_segment_size 0
		.amdhsa_wavefront_size32 1
		.amdhsa_uses_dynamic_stack 0
		.amdhsa_enable_private_segment 0
		.amdhsa_system_sgpr_workgroup_id_x 1
		.amdhsa_system_sgpr_workgroup_id_y 0
		.amdhsa_system_sgpr_workgroup_id_z 0
		.amdhsa_system_sgpr_workgroup_info 0
		.amdhsa_system_vgpr_workitem_id 0
		.amdhsa_next_free_vgpr 48
		.amdhsa_next_free_sgpr 24
		.amdhsa_reserve_vcc 1
		.amdhsa_float_round_mode_32 0
		.amdhsa_float_round_mode_16_64 0
		.amdhsa_float_denorm_mode_32 3
		.amdhsa_float_denorm_mode_16_64 3
		.amdhsa_fp16_overflow 0
		.amdhsa_workgroup_processor_mode 1
		.amdhsa_memory_ordered 1
		.amdhsa_forward_progress 1
		.amdhsa_inst_pref_size 53
		.amdhsa_round_robin_scheduling 0
		.amdhsa_exception_fp_ieee_invalid_op 0
		.amdhsa_exception_fp_denorm_src 0
		.amdhsa_exception_fp_ieee_div_zero 0
		.amdhsa_exception_fp_ieee_overflow 0
		.amdhsa_exception_fp_ieee_underflow 0
		.amdhsa_exception_fp_ieee_inexact 0
		.amdhsa_exception_int_div_zero 0
	.end_amdhsa_kernel
	.section	.text._ZN7rocprim17ROCPRIM_400000_NS6detail17trampoline_kernelINS0_14default_configENS1_25partition_config_selectorILNS1_17partition_subalgoE5ElNS0_10empty_typeEbEEZZNS1_14partition_implILS5_5ELb0ES3_mN6hipcub16HIPCUB_304000_NS21CountingInputIteratorIllEEPS6_NSA_22TransformInputIteratorIbN2at6native12_GLOBAL__N_19NonZeroOpIbEEPKblEENS0_5tupleIJPlS6_EEENSN_IJSD_SD_EEES6_PiJS6_EEE10hipError_tPvRmT3_T4_T5_T6_T7_T9_mT8_P12ihipStream_tbDpT10_ENKUlT_T0_E_clISt17integral_constantIbLb0EES1A_IbLb1EEEEDaS16_S17_EUlS16_E_NS1_11comp_targetILNS1_3genE10ELNS1_11target_archE1200ELNS1_3gpuE4ELNS1_3repE0EEENS1_30default_config_static_selectorELNS0_4arch9wavefront6targetE0EEEvT1_,"axG",@progbits,_ZN7rocprim17ROCPRIM_400000_NS6detail17trampoline_kernelINS0_14default_configENS1_25partition_config_selectorILNS1_17partition_subalgoE5ElNS0_10empty_typeEbEEZZNS1_14partition_implILS5_5ELb0ES3_mN6hipcub16HIPCUB_304000_NS21CountingInputIteratorIllEEPS6_NSA_22TransformInputIteratorIbN2at6native12_GLOBAL__N_19NonZeroOpIbEEPKblEENS0_5tupleIJPlS6_EEENSN_IJSD_SD_EEES6_PiJS6_EEE10hipError_tPvRmT3_T4_T5_T6_T7_T9_mT8_P12ihipStream_tbDpT10_ENKUlT_T0_E_clISt17integral_constantIbLb0EES1A_IbLb1EEEEDaS16_S17_EUlS16_E_NS1_11comp_targetILNS1_3genE10ELNS1_11target_archE1200ELNS1_3gpuE4ELNS1_3repE0EEENS1_30default_config_static_selectorELNS0_4arch9wavefront6targetE0EEEvT1_,comdat
.Lfunc_end759:
	.size	_ZN7rocprim17ROCPRIM_400000_NS6detail17trampoline_kernelINS0_14default_configENS1_25partition_config_selectorILNS1_17partition_subalgoE5ElNS0_10empty_typeEbEEZZNS1_14partition_implILS5_5ELb0ES3_mN6hipcub16HIPCUB_304000_NS21CountingInputIteratorIllEEPS6_NSA_22TransformInputIteratorIbN2at6native12_GLOBAL__N_19NonZeroOpIbEEPKblEENS0_5tupleIJPlS6_EEENSN_IJSD_SD_EEES6_PiJS6_EEE10hipError_tPvRmT3_T4_T5_T6_T7_T9_mT8_P12ihipStream_tbDpT10_ENKUlT_T0_E_clISt17integral_constantIbLb0EES1A_IbLb1EEEEDaS16_S17_EUlS16_E_NS1_11comp_targetILNS1_3genE10ELNS1_11target_archE1200ELNS1_3gpuE4ELNS1_3repE0EEENS1_30default_config_static_selectorELNS0_4arch9wavefront6targetE0EEEvT1_, .Lfunc_end759-_ZN7rocprim17ROCPRIM_400000_NS6detail17trampoline_kernelINS0_14default_configENS1_25partition_config_selectorILNS1_17partition_subalgoE5ElNS0_10empty_typeEbEEZZNS1_14partition_implILS5_5ELb0ES3_mN6hipcub16HIPCUB_304000_NS21CountingInputIteratorIllEEPS6_NSA_22TransformInputIteratorIbN2at6native12_GLOBAL__N_19NonZeroOpIbEEPKblEENS0_5tupleIJPlS6_EEENSN_IJSD_SD_EEES6_PiJS6_EEE10hipError_tPvRmT3_T4_T5_T6_T7_T9_mT8_P12ihipStream_tbDpT10_ENKUlT_T0_E_clISt17integral_constantIbLb0EES1A_IbLb1EEEEDaS16_S17_EUlS16_E_NS1_11comp_targetILNS1_3genE10ELNS1_11target_archE1200ELNS1_3gpuE4ELNS1_3repE0EEENS1_30default_config_static_selectorELNS0_4arch9wavefront6targetE0EEEvT1_
                                        ; -- End function
	.set _ZN7rocprim17ROCPRIM_400000_NS6detail17trampoline_kernelINS0_14default_configENS1_25partition_config_selectorILNS1_17partition_subalgoE5ElNS0_10empty_typeEbEEZZNS1_14partition_implILS5_5ELb0ES3_mN6hipcub16HIPCUB_304000_NS21CountingInputIteratorIllEEPS6_NSA_22TransformInputIteratorIbN2at6native12_GLOBAL__N_19NonZeroOpIbEEPKblEENS0_5tupleIJPlS6_EEENSN_IJSD_SD_EEES6_PiJS6_EEE10hipError_tPvRmT3_T4_T5_T6_T7_T9_mT8_P12ihipStream_tbDpT10_ENKUlT_T0_E_clISt17integral_constantIbLb0EES1A_IbLb1EEEEDaS16_S17_EUlS16_E_NS1_11comp_targetILNS1_3genE10ELNS1_11target_archE1200ELNS1_3gpuE4ELNS1_3repE0EEENS1_30default_config_static_selectorELNS0_4arch9wavefront6targetE0EEEvT1_.num_vgpr, 48
	.set _ZN7rocprim17ROCPRIM_400000_NS6detail17trampoline_kernelINS0_14default_configENS1_25partition_config_selectorILNS1_17partition_subalgoE5ElNS0_10empty_typeEbEEZZNS1_14partition_implILS5_5ELb0ES3_mN6hipcub16HIPCUB_304000_NS21CountingInputIteratorIllEEPS6_NSA_22TransformInputIteratorIbN2at6native12_GLOBAL__N_19NonZeroOpIbEEPKblEENS0_5tupleIJPlS6_EEENSN_IJSD_SD_EEES6_PiJS6_EEE10hipError_tPvRmT3_T4_T5_T6_T7_T9_mT8_P12ihipStream_tbDpT10_ENKUlT_T0_E_clISt17integral_constantIbLb0EES1A_IbLb1EEEEDaS16_S17_EUlS16_E_NS1_11comp_targetILNS1_3genE10ELNS1_11target_archE1200ELNS1_3gpuE4ELNS1_3repE0EEENS1_30default_config_static_selectorELNS0_4arch9wavefront6targetE0EEEvT1_.num_agpr, 0
	.set _ZN7rocprim17ROCPRIM_400000_NS6detail17trampoline_kernelINS0_14default_configENS1_25partition_config_selectorILNS1_17partition_subalgoE5ElNS0_10empty_typeEbEEZZNS1_14partition_implILS5_5ELb0ES3_mN6hipcub16HIPCUB_304000_NS21CountingInputIteratorIllEEPS6_NSA_22TransformInputIteratorIbN2at6native12_GLOBAL__N_19NonZeroOpIbEEPKblEENS0_5tupleIJPlS6_EEENSN_IJSD_SD_EEES6_PiJS6_EEE10hipError_tPvRmT3_T4_T5_T6_T7_T9_mT8_P12ihipStream_tbDpT10_ENKUlT_T0_E_clISt17integral_constantIbLb0EES1A_IbLb1EEEEDaS16_S17_EUlS16_E_NS1_11comp_targetILNS1_3genE10ELNS1_11target_archE1200ELNS1_3gpuE4ELNS1_3repE0EEENS1_30default_config_static_selectorELNS0_4arch9wavefront6targetE0EEEvT1_.numbered_sgpr, 24
	.set _ZN7rocprim17ROCPRIM_400000_NS6detail17trampoline_kernelINS0_14default_configENS1_25partition_config_selectorILNS1_17partition_subalgoE5ElNS0_10empty_typeEbEEZZNS1_14partition_implILS5_5ELb0ES3_mN6hipcub16HIPCUB_304000_NS21CountingInputIteratorIllEEPS6_NSA_22TransformInputIteratorIbN2at6native12_GLOBAL__N_19NonZeroOpIbEEPKblEENS0_5tupleIJPlS6_EEENSN_IJSD_SD_EEES6_PiJS6_EEE10hipError_tPvRmT3_T4_T5_T6_T7_T9_mT8_P12ihipStream_tbDpT10_ENKUlT_T0_E_clISt17integral_constantIbLb0EES1A_IbLb1EEEEDaS16_S17_EUlS16_E_NS1_11comp_targetILNS1_3genE10ELNS1_11target_archE1200ELNS1_3gpuE4ELNS1_3repE0EEENS1_30default_config_static_selectorELNS0_4arch9wavefront6targetE0EEEvT1_.num_named_barrier, 0
	.set _ZN7rocprim17ROCPRIM_400000_NS6detail17trampoline_kernelINS0_14default_configENS1_25partition_config_selectorILNS1_17partition_subalgoE5ElNS0_10empty_typeEbEEZZNS1_14partition_implILS5_5ELb0ES3_mN6hipcub16HIPCUB_304000_NS21CountingInputIteratorIllEEPS6_NSA_22TransformInputIteratorIbN2at6native12_GLOBAL__N_19NonZeroOpIbEEPKblEENS0_5tupleIJPlS6_EEENSN_IJSD_SD_EEES6_PiJS6_EEE10hipError_tPvRmT3_T4_T5_T6_T7_T9_mT8_P12ihipStream_tbDpT10_ENKUlT_T0_E_clISt17integral_constantIbLb0EES1A_IbLb1EEEEDaS16_S17_EUlS16_E_NS1_11comp_targetILNS1_3genE10ELNS1_11target_archE1200ELNS1_3gpuE4ELNS1_3repE0EEENS1_30default_config_static_selectorELNS0_4arch9wavefront6targetE0EEEvT1_.private_seg_size, 0
	.set _ZN7rocprim17ROCPRIM_400000_NS6detail17trampoline_kernelINS0_14default_configENS1_25partition_config_selectorILNS1_17partition_subalgoE5ElNS0_10empty_typeEbEEZZNS1_14partition_implILS5_5ELb0ES3_mN6hipcub16HIPCUB_304000_NS21CountingInputIteratorIllEEPS6_NSA_22TransformInputIteratorIbN2at6native12_GLOBAL__N_19NonZeroOpIbEEPKblEENS0_5tupleIJPlS6_EEENSN_IJSD_SD_EEES6_PiJS6_EEE10hipError_tPvRmT3_T4_T5_T6_T7_T9_mT8_P12ihipStream_tbDpT10_ENKUlT_T0_E_clISt17integral_constantIbLb0EES1A_IbLb1EEEEDaS16_S17_EUlS16_E_NS1_11comp_targetILNS1_3genE10ELNS1_11target_archE1200ELNS1_3gpuE4ELNS1_3repE0EEENS1_30default_config_static_selectorELNS0_4arch9wavefront6targetE0EEEvT1_.uses_vcc, 1
	.set _ZN7rocprim17ROCPRIM_400000_NS6detail17trampoline_kernelINS0_14default_configENS1_25partition_config_selectorILNS1_17partition_subalgoE5ElNS0_10empty_typeEbEEZZNS1_14partition_implILS5_5ELb0ES3_mN6hipcub16HIPCUB_304000_NS21CountingInputIteratorIllEEPS6_NSA_22TransformInputIteratorIbN2at6native12_GLOBAL__N_19NonZeroOpIbEEPKblEENS0_5tupleIJPlS6_EEENSN_IJSD_SD_EEES6_PiJS6_EEE10hipError_tPvRmT3_T4_T5_T6_T7_T9_mT8_P12ihipStream_tbDpT10_ENKUlT_T0_E_clISt17integral_constantIbLb0EES1A_IbLb1EEEEDaS16_S17_EUlS16_E_NS1_11comp_targetILNS1_3genE10ELNS1_11target_archE1200ELNS1_3gpuE4ELNS1_3repE0EEENS1_30default_config_static_selectorELNS0_4arch9wavefront6targetE0EEEvT1_.uses_flat_scratch, 0
	.set _ZN7rocprim17ROCPRIM_400000_NS6detail17trampoline_kernelINS0_14default_configENS1_25partition_config_selectorILNS1_17partition_subalgoE5ElNS0_10empty_typeEbEEZZNS1_14partition_implILS5_5ELb0ES3_mN6hipcub16HIPCUB_304000_NS21CountingInputIteratorIllEEPS6_NSA_22TransformInputIteratorIbN2at6native12_GLOBAL__N_19NonZeroOpIbEEPKblEENS0_5tupleIJPlS6_EEENSN_IJSD_SD_EEES6_PiJS6_EEE10hipError_tPvRmT3_T4_T5_T6_T7_T9_mT8_P12ihipStream_tbDpT10_ENKUlT_T0_E_clISt17integral_constantIbLb0EES1A_IbLb1EEEEDaS16_S17_EUlS16_E_NS1_11comp_targetILNS1_3genE10ELNS1_11target_archE1200ELNS1_3gpuE4ELNS1_3repE0EEENS1_30default_config_static_selectorELNS0_4arch9wavefront6targetE0EEEvT1_.has_dyn_sized_stack, 0
	.set _ZN7rocprim17ROCPRIM_400000_NS6detail17trampoline_kernelINS0_14default_configENS1_25partition_config_selectorILNS1_17partition_subalgoE5ElNS0_10empty_typeEbEEZZNS1_14partition_implILS5_5ELb0ES3_mN6hipcub16HIPCUB_304000_NS21CountingInputIteratorIllEEPS6_NSA_22TransformInputIteratorIbN2at6native12_GLOBAL__N_19NonZeroOpIbEEPKblEENS0_5tupleIJPlS6_EEENSN_IJSD_SD_EEES6_PiJS6_EEE10hipError_tPvRmT3_T4_T5_T6_T7_T9_mT8_P12ihipStream_tbDpT10_ENKUlT_T0_E_clISt17integral_constantIbLb0EES1A_IbLb1EEEEDaS16_S17_EUlS16_E_NS1_11comp_targetILNS1_3genE10ELNS1_11target_archE1200ELNS1_3gpuE4ELNS1_3repE0EEENS1_30default_config_static_selectorELNS0_4arch9wavefront6targetE0EEEvT1_.has_recursion, 0
	.set _ZN7rocprim17ROCPRIM_400000_NS6detail17trampoline_kernelINS0_14default_configENS1_25partition_config_selectorILNS1_17partition_subalgoE5ElNS0_10empty_typeEbEEZZNS1_14partition_implILS5_5ELb0ES3_mN6hipcub16HIPCUB_304000_NS21CountingInputIteratorIllEEPS6_NSA_22TransformInputIteratorIbN2at6native12_GLOBAL__N_19NonZeroOpIbEEPKblEENS0_5tupleIJPlS6_EEENSN_IJSD_SD_EEES6_PiJS6_EEE10hipError_tPvRmT3_T4_T5_T6_T7_T9_mT8_P12ihipStream_tbDpT10_ENKUlT_T0_E_clISt17integral_constantIbLb0EES1A_IbLb1EEEEDaS16_S17_EUlS16_E_NS1_11comp_targetILNS1_3genE10ELNS1_11target_archE1200ELNS1_3gpuE4ELNS1_3repE0EEENS1_30default_config_static_selectorELNS0_4arch9wavefront6targetE0EEEvT1_.has_indirect_call, 0
	.section	.AMDGPU.csdata,"",@progbits
; Kernel info:
; codeLenInByte = 6772
; TotalNumSgprs: 26
; NumVgprs: 48
; ScratchSize: 0
; MemoryBound: 0
; FloatMode: 240
; IeeeMode: 1
; LDSByteSize: 8464 bytes/workgroup (compile time only)
; SGPRBlocks: 0
; VGPRBlocks: 5
; NumSGPRsForWavesPerEU: 26
; NumVGPRsForWavesPerEU: 48
; Occupancy: 16
; WaveLimiterHint : 1
; COMPUTE_PGM_RSRC2:SCRATCH_EN: 0
; COMPUTE_PGM_RSRC2:USER_SGPR: 2
; COMPUTE_PGM_RSRC2:TRAP_HANDLER: 0
; COMPUTE_PGM_RSRC2:TGID_X_EN: 1
; COMPUTE_PGM_RSRC2:TGID_Y_EN: 0
; COMPUTE_PGM_RSRC2:TGID_Z_EN: 0
; COMPUTE_PGM_RSRC2:TIDIG_COMP_CNT: 0
	.section	.text._ZN7rocprim17ROCPRIM_400000_NS6detail17trampoline_kernelINS0_14default_configENS1_25partition_config_selectorILNS1_17partition_subalgoE5ElNS0_10empty_typeEbEEZZNS1_14partition_implILS5_5ELb0ES3_mN6hipcub16HIPCUB_304000_NS21CountingInputIteratorIllEEPS6_NSA_22TransformInputIteratorIbN2at6native12_GLOBAL__N_19NonZeroOpIbEEPKblEENS0_5tupleIJPlS6_EEENSN_IJSD_SD_EEES6_PiJS6_EEE10hipError_tPvRmT3_T4_T5_T6_T7_T9_mT8_P12ihipStream_tbDpT10_ENKUlT_T0_E_clISt17integral_constantIbLb0EES1A_IbLb1EEEEDaS16_S17_EUlS16_E_NS1_11comp_targetILNS1_3genE9ELNS1_11target_archE1100ELNS1_3gpuE3ELNS1_3repE0EEENS1_30default_config_static_selectorELNS0_4arch9wavefront6targetE0EEEvT1_,"axG",@progbits,_ZN7rocprim17ROCPRIM_400000_NS6detail17trampoline_kernelINS0_14default_configENS1_25partition_config_selectorILNS1_17partition_subalgoE5ElNS0_10empty_typeEbEEZZNS1_14partition_implILS5_5ELb0ES3_mN6hipcub16HIPCUB_304000_NS21CountingInputIteratorIllEEPS6_NSA_22TransformInputIteratorIbN2at6native12_GLOBAL__N_19NonZeroOpIbEEPKblEENS0_5tupleIJPlS6_EEENSN_IJSD_SD_EEES6_PiJS6_EEE10hipError_tPvRmT3_T4_T5_T6_T7_T9_mT8_P12ihipStream_tbDpT10_ENKUlT_T0_E_clISt17integral_constantIbLb0EES1A_IbLb1EEEEDaS16_S17_EUlS16_E_NS1_11comp_targetILNS1_3genE9ELNS1_11target_archE1100ELNS1_3gpuE3ELNS1_3repE0EEENS1_30default_config_static_selectorELNS0_4arch9wavefront6targetE0EEEvT1_,comdat
	.globl	_ZN7rocprim17ROCPRIM_400000_NS6detail17trampoline_kernelINS0_14default_configENS1_25partition_config_selectorILNS1_17partition_subalgoE5ElNS0_10empty_typeEbEEZZNS1_14partition_implILS5_5ELb0ES3_mN6hipcub16HIPCUB_304000_NS21CountingInputIteratorIllEEPS6_NSA_22TransformInputIteratorIbN2at6native12_GLOBAL__N_19NonZeroOpIbEEPKblEENS0_5tupleIJPlS6_EEENSN_IJSD_SD_EEES6_PiJS6_EEE10hipError_tPvRmT3_T4_T5_T6_T7_T9_mT8_P12ihipStream_tbDpT10_ENKUlT_T0_E_clISt17integral_constantIbLb0EES1A_IbLb1EEEEDaS16_S17_EUlS16_E_NS1_11comp_targetILNS1_3genE9ELNS1_11target_archE1100ELNS1_3gpuE3ELNS1_3repE0EEENS1_30default_config_static_selectorELNS0_4arch9wavefront6targetE0EEEvT1_ ; -- Begin function _ZN7rocprim17ROCPRIM_400000_NS6detail17trampoline_kernelINS0_14default_configENS1_25partition_config_selectorILNS1_17partition_subalgoE5ElNS0_10empty_typeEbEEZZNS1_14partition_implILS5_5ELb0ES3_mN6hipcub16HIPCUB_304000_NS21CountingInputIteratorIllEEPS6_NSA_22TransformInputIteratorIbN2at6native12_GLOBAL__N_19NonZeroOpIbEEPKblEENS0_5tupleIJPlS6_EEENSN_IJSD_SD_EEES6_PiJS6_EEE10hipError_tPvRmT3_T4_T5_T6_T7_T9_mT8_P12ihipStream_tbDpT10_ENKUlT_T0_E_clISt17integral_constantIbLb0EES1A_IbLb1EEEEDaS16_S17_EUlS16_E_NS1_11comp_targetILNS1_3genE9ELNS1_11target_archE1100ELNS1_3gpuE3ELNS1_3repE0EEENS1_30default_config_static_selectorELNS0_4arch9wavefront6targetE0EEEvT1_
	.p2align	8
	.type	_ZN7rocprim17ROCPRIM_400000_NS6detail17trampoline_kernelINS0_14default_configENS1_25partition_config_selectorILNS1_17partition_subalgoE5ElNS0_10empty_typeEbEEZZNS1_14partition_implILS5_5ELb0ES3_mN6hipcub16HIPCUB_304000_NS21CountingInputIteratorIllEEPS6_NSA_22TransformInputIteratorIbN2at6native12_GLOBAL__N_19NonZeroOpIbEEPKblEENS0_5tupleIJPlS6_EEENSN_IJSD_SD_EEES6_PiJS6_EEE10hipError_tPvRmT3_T4_T5_T6_T7_T9_mT8_P12ihipStream_tbDpT10_ENKUlT_T0_E_clISt17integral_constantIbLb0EES1A_IbLb1EEEEDaS16_S17_EUlS16_E_NS1_11comp_targetILNS1_3genE9ELNS1_11target_archE1100ELNS1_3gpuE3ELNS1_3repE0EEENS1_30default_config_static_selectorELNS0_4arch9wavefront6targetE0EEEvT1_,@function
_ZN7rocprim17ROCPRIM_400000_NS6detail17trampoline_kernelINS0_14default_configENS1_25partition_config_selectorILNS1_17partition_subalgoE5ElNS0_10empty_typeEbEEZZNS1_14partition_implILS5_5ELb0ES3_mN6hipcub16HIPCUB_304000_NS21CountingInputIteratorIllEEPS6_NSA_22TransformInputIteratorIbN2at6native12_GLOBAL__N_19NonZeroOpIbEEPKblEENS0_5tupleIJPlS6_EEENSN_IJSD_SD_EEES6_PiJS6_EEE10hipError_tPvRmT3_T4_T5_T6_T7_T9_mT8_P12ihipStream_tbDpT10_ENKUlT_T0_E_clISt17integral_constantIbLb0EES1A_IbLb1EEEEDaS16_S17_EUlS16_E_NS1_11comp_targetILNS1_3genE9ELNS1_11target_archE1100ELNS1_3gpuE3ELNS1_3repE0EEENS1_30default_config_static_selectorELNS0_4arch9wavefront6targetE0EEEvT1_: ; @_ZN7rocprim17ROCPRIM_400000_NS6detail17trampoline_kernelINS0_14default_configENS1_25partition_config_selectorILNS1_17partition_subalgoE5ElNS0_10empty_typeEbEEZZNS1_14partition_implILS5_5ELb0ES3_mN6hipcub16HIPCUB_304000_NS21CountingInputIteratorIllEEPS6_NSA_22TransformInputIteratorIbN2at6native12_GLOBAL__N_19NonZeroOpIbEEPKblEENS0_5tupleIJPlS6_EEENSN_IJSD_SD_EEES6_PiJS6_EEE10hipError_tPvRmT3_T4_T5_T6_T7_T9_mT8_P12ihipStream_tbDpT10_ENKUlT_T0_E_clISt17integral_constantIbLb0EES1A_IbLb1EEEEDaS16_S17_EUlS16_E_NS1_11comp_targetILNS1_3genE9ELNS1_11target_archE1100ELNS1_3gpuE3ELNS1_3repE0EEENS1_30default_config_static_selectorELNS0_4arch9wavefront6targetE0EEEvT1_
; %bb.0:
	.section	.rodata,"a",@progbits
	.p2align	6, 0x0
	.amdhsa_kernel _ZN7rocprim17ROCPRIM_400000_NS6detail17trampoline_kernelINS0_14default_configENS1_25partition_config_selectorILNS1_17partition_subalgoE5ElNS0_10empty_typeEbEEZZNS1_14partition_implILS5_5ELb0ES3_mN6hipcub16HIPCUB_304000_NS21CountingInputIteratorIllEEPS6_NSA_22TransformInputIteratorIbN2at6native12_GLOBAL__N_19NonZeroOpIbEEPKblEENS0_5tupleIJPlS6_EEENSN_IJSD_SD_EEES6_PiJS6_EEE10hipError_tPvRmT3_T4_T5_T6_T7_T9_mT8_P12ihipStream_tbDpT10_ENKUlT_T0_E_clISt17integral_constantIbLb0EES1A_IbLb1EEEEDaS16_S17_EUlS16_E_NS1_11comp_targetILNS1_3genE9ELNS1_11target_archE1100ELNS1_3gpuE3ELNS1_3repE0EEENS1_30default_config_static_selectorELNS0_4arch9wavefront6targetE0EEEvT1_
		.amdhsa_group_segment_fixed_size 0
		.amdhsa_private_segment_fixed_size 0
		.amdhsa_kernarg_size 136
		.amdhsa_user_sgpr_count 2
		.amdhsa_user_sgpr_dispatch_ptr 0
		.amdhsa_user_sgpr_queue_ptr 0
		.amdhsa_user_sgpr_kernarg_segment_ptr 1
		.amdhsa_user_sgpr_dispatch_id 0
		.amdhsa_user_sgpr_private_segment_size 0
		.amdhsa_wavefront_size32 1
		.amdhsa_uses_dynamic_stack 0
		.amdhsa_enable_private_segment 0
		.amdhsa_system_sgpr_workgroup_id_x 1
		.amdhsa_system_sgpr_workgroup_id_y 0
		.amdhsa_system_sgpr_workgroup_id_z 0
		.amdhsa_system_sgpr_workgroup_info 0
		.amdhsa_system_vgpr_workitem_id 0
		.amdhsa_next_free_vgpr 1
		.amdhsa_next_free_sgpr 1
		.amdhsa_reserve_vcc 0
		.amdhsa_float_round_mode_32 0
		.amdhsa_float_round_mode_16_64 0
		.amdhsa_float_denorm_mode_32 3
		.amdhsa_float_denorm_mode_16_64 3
		.amdhsa_fp16_overflow 0
		.amdhsa_workgroup_processor_mode 1
		.amdhsa_memory_ordered 1
		.amdhsa_forward_progress 1
		.amdhsa_inst_pref_size 0
		.amdhsa_round_robin_scheduling 0
		.amdhsa_exception_fp_ieee_invalid_op 0
		.amdhsa_exception_fp_denorm_src 0
		.amdhsa_exception_fp_ieee_div_zero 0
		.amdhsa_exception_fp_ieee_overflow 0
		.amdhsa_exception_fp_ieee_underflow 0
		.amdhsa_exception_fp_ieee_inexact 0
		.amdhsa_exception_int_div_zero 0
	.end_amdhsa_kernel
	.section	.text._ZN7rocprim17ROCPRIM_400000_NS6detail17trampoline_kernelINS0_14default_configENS1_25partition_config_selectorILNS1_17partition_subalgoE5ElNS0_10empty_typeEbEEZZNS1_14partition_implILS5_5ELb0ES3_mN6hipcub16HIPCUB_304000_NS21CountingInputIteratorIllEEPS6_NSA_22TransformInputIteratorIbN2at6native12_GLOBAL__N_19NonZeroOpIbEEPKblEENS0_5tupleIJPlS6_EEENSN_IJSD_SD_EEES6_PiJS6_EEE10hipError_tPvRmT3_T4_T5_T6_T7_T9_mT8_P12ihipStream_tbDpT10_ENKUlT_T0_E_clISt17integral_constantIbLb0EES1A_IbLb1EEEEDaS16_S17_EUlS16_E_NS1_11comp_targetILNS1_3genE9ELNS1_11target_archE1100ELNS1_3gpuE3ELNS1_3repE0EEENS1_30default_config_static_selectorELNS0_4arch9wavefront6targetE0EEEvT1_,"axG",@progbits,_ZN7rocprim17ROCPRIM_400000_NS6detail17trampoline_kernelINS0_14default_configENS1_25partition_config_selectorILNS1_17partition_subalgoE5ElNS0_10empty_typeEbEEZZNS1_14partition_implILS5_5ELb0ES3_mN6hipcub16HIPCUB_304000_NS21CountingInputIteratorIllEEPS6_NSA_22TransformInputIteratorIbN2at6native12_GLOBAL__N_19NonZeroOpIbEEPKblEENS0_5tupleIJPlS6_EEENSN_IJSD_SD_EEES6_PiJS6_EEE10hipError_tPvRmT3_T4_T5_T6_T7_T9_mT8_P12ihipStream_tbDpT10_ENKUlT_T0_E_clISt17integral_constantIbLb0EES1A_IbLb1EEEEDaS16_S17_EUlS16_E_NS1_11comp_targetILNS1_3genE9ELNS1_11target_archE1100ELNS1_3gpuE3ELNS1_3repE0EEENS1_30default_config_static_selectorELNS0_4arch9wavefront6targetE0EEEvT1_,comdat
.Lfunc_end760:
	.size	_ZN7rocprim17ROCPRIM_400000_NS6detail17trampoline_kernelINS0_14default_configENS1_25partition_config_selectorILNS1_17partition_subalgoE5ElNS0_10empty_typeEbEEZZNS1_14partition_implILS5_5ELb0ES3_mN6hipcub16HIPCUB_304000_NS21CountingInputIteratorIllEEPS6_NSA_22TransformInputIteratorIbN2at6native12_GLOBAL__N_19NonZeroOpIbEEPKblEENS0_5tupleIJPlS6_EEENSN_IJSD_SD_EEES6_PiJS6_EEE10hipError_tPvRmT3_T4_T5_T6_T7_T9_mT8_P12ihipStream_tbDpT10_ENKUlT_T0_E_clISt17integral_constantIbLb0EES1A_IbLb1EEEEDaS16_S17_EUlS16_E_NS1_11comp_targetILNS1_3genE9ELNS1_11target_archE1100ELNS1_3gpuE3ELNS1_3repE0EEENS1_30default_config_static_selectorELNS0_4arch9wavefront6targetE0EEEvT1_, .Lfunc_end760-_ZN7rocprim17ROCPRIM_400000_NS6detail17trampoline_kernelINS0_14default_configENS1_25partition_config_selectorILNS1_17partition_subalgoE5ElNS0_10empty_typeEbEEZZNS1_14partition_implILS5_5ELb0ES3_mN6hipcub16HIPCUB_304000_NS21CountingInputIteratorIllEEPS6_NSA_22TransformInputIteratorIbN2at6native12_GLOBAL__N_19NonZeroOpIbEEPKblEENS0_5tupleIJPlS6_EEENSN_IJSD_SD_EEES6_PiJS6_EEE10hipError_tPvRmT3_T4_T5_T6_T7_T9_mT8_P12ihipStream_tbDpT10_ENKUlT_T0_E_clISt17integral_constantIbLb0EES1A_IbLb1EEEEDaS16_S17_EUlS16_E_NS1_11comp_targetILNS1_3genE9ELNS1_11target_archE1100ELNS1_3gpuE3ELNS1_3repE0EEENS1_30default_config_static_selectorELNS0_4arch9wavefront6targetE0EEEvT1_
                                        ; -- End function
	.set _ZN7rocprim17ROCPRIM_400000_NS6detail17trampoline_kernelINS0_14default_configENS1_25partition_config_selectorILNS1_17partition_subalgoE5ElNS0_10empty_typeEbEEZZNS1_14partition_implILS5_5ELb0ES3_mN6hipcub16HIPCUB_304000_NS21CountingInputIteratorIllEEPS6_NSA_22TransformInputIteratorIbN2at6native12_GLOBAL__N_19NonZeroOpIbEEPKblEENS0_5tupleIJPlS6_EEENSN_IJSD_SD_EEES6_PiJS6_EEE10hipError_tPvRmT3_T4_T5_T6_T7_T9_mT8_P12ihipStream_tbDpT10_ENKUlT_T0_E_clISt17integral_constantIbLb0EES1A_IbLb1EEEEDaS16_S17_EUlS16_E_NS1_11comp_targetILNS1_3genE9ELNS1_11target_archE1100ELNS1_3gpuE3ELNS1_3repE0EEENS1_30default_config_static_selectorELNS0_4arch9wavefront6targetE0EEEvT1_.num_vgpr, 0
	.set _ZN7rocprim17ROCPRIM_400000_NS6detail17trampoline_kernelINS0_14default_configENS1_25partition_config_selectorILNS1_17partition_subalgoE5ElNS0_10empty_typeEbEEZZNS1_14partition_implILS5_5ELb0ES3_mN6hipcub16HIPCUB_304000_NS21CountingInputIteratorIllEEPS6_NSA_22TransformInputIteratorIbN2at6native12_GLOBAL__N_19NonZeroOpIbEEPKblEENS0_5tupleIJPlS6_EEENSN_IJSD_SD_EEES6_PiJS6_EEE10hipError_tPvRmT3_T4_T5_T6_T7_T9_mT8_P12ihipStream_tbDpT10_ENKUlT_T0_E_clISt17integral_constantIbLb0EES1A_IbLb1EEEEDaS16_S17_EUlS16_E_NS1_11comp_targetILNS1_3genE9ELNS1_11target_archE1100ELNS1_3gpuE3ELNS1_3repE0EEENS1_30default_config_static_selectorELNS0_4arch9wavefront6targetE0EEEvT1_.num_agpr, 0
	.set _ZN7rocprim17ROCPRIM_400000_NS6detail17trampoline_kernelINS0_14default_configENS1_25partition_config_selectorILNS1_17partition_subalgoE5ElNS0_10empty_typeEbEEZZNS1_14partition_implILS5_5ELb0ES3_mN6hipcub16HIPCUB_304000_NS21CountingInputIteratorIllEEPS6_NSA_22TransformInputIteratorIbN2at6native12_GLOBAL__N_19NonZeroOpIbEEPKblEENS0_5tupleIJPlS6_EEENSN_IJSD_SD_EEES6_PiJS6_EEE10hipError_tPvRmT3_T4_T5_T6_T7_T9_mT8_P12ihipStream_tbDpT10_ENKUlT_T0_E_clISt17integral_constantIbLb0EES1A_IbLb1EEEEDaS16_S17_EUlS16_E_NS1_11comp_targetILNS1_3genE9ELNS1_11target_archE1100ELNS1_3gpuE3ELNS1_3repE0EEENS1_30default_config_static_selectorELNS0_4arch9wavefront6targetE0EEEvT1_.numbered_sgpr, 0
	.set _ZN7rocprim17ROCPRIM_400000_NS6detail17trampoline_kernelINS0_14default_configENS1_25partition_config_selectorILNS1_17partition_subalgoE5ElNS0_10empty_typeEbEEZZNS1_14partition_implILS5_5ELb0ES3_mN6hipcub16HIPCUB_304000_NS21CountingInputIteratorIllEEPS6_NSA_22TransformInputIteratorIbN2at6native12_GLOBAL__N_19NonZeroOpIbEEPKblEENS0_5tupleIJPlS6_EEENSN_IJSD_SD_EEES6_PiJS6_EEE10hipError_tPvRmT3_T4_T5_T6_T7_T9_mT8_P12ihipStream_tbDpT10_ENKUlT_T0_E_clISt17integral_constantIbLb0EES1A_IbLb1EEEEDaS16_S17_EUlS16_E_NS1_11comp_targetILNS1_3genE9ELNS1_11target_archE1100ELNS1_3gpuE3ELNS1_3repE0EEENS1_30default_config_static_selectorELNS0_4arch9wavefront6targetE0EEEvT1_.num_named_barrier, 0
	.set _ZN7rocprim17ROCPRIM_400000_NS6detail17trampoline_kernelINS0_14default_configENS1_25partition_config_selectorILNS1_17partition_subalgoE5ElNS0_10empty_typeEbEEZZNS1_14partition_implILS5_5ELb0ES3_mN6hipcub16HIPCUB_304000_NS21CountingInputIteratorIllEEPS6_NSA_22TransformInputIteratorIbN2at6native12_GLOBAL__N_19NonZeroOpIbEEPKblEENS0_5tupleIJPlS6_EEENSN_IJSD_SD_EEES6_PiJS6_EEE10hipError_tPvRmT3_T4_T5_T6_T7_T9_mT8_P12ihipStream_tbDpT10_ENKUlT_T0_E_clISt17integral_constantIbLb0EES1A_IbLb1EEEEDaS16_S17_EUlS16_E_NS1_11comp_targetILNS1_3genE9ELNS1_11target_archE1100ELNS1_3gpuE3ELNS1_3repE0EEENS1_30default_config_static_selectorELNS0_4arch9wavefront6targetE0EEEvT1_.private_seg_size, 0
	.set _ZN7rocprim17ROCPRIM_400000_NS6detail17trampoline_kernelINS0_14default_configENS1_25partition_config_selectorILNS1_17partition_subalgoE5ElNS0_10empty_typeEbEEZZNS1_14partition_implILS5_5ELb0ES3_mN6hipcub16HIPCUB_304000_NS21CountingInputIteratorIllEEPS6_NSA_22TransformInputIteratorIbN2at6native12_GLOBAL__N_19NonZeroOpIbEEPKblEENS0_5tupleIJPlS6_EEENSN_IJSD_SD_EEES6_PiJS6_EEE10hipError_tPvRmT3_T4_T5_T6_T7_T9_mT8_P12ihipStream_tbDpT10_ENKUlT_T0_E_clISt17integral_constantIbLb0EES1A_IbLb1EEEEDaS16_S17_EUlS16_E_NS1_11comp_targetILNS1_3genE9ELNS1_11target_archE1100ELNS1_3gpuE3ELNS1_3repE0EEENS1_30default_config_static_selectorELNS0_4arch9wavefront6targetE0EEEvT1_.uses_vcc, 0
	.set _ZN7rocprim17ROCPRIM_400000_NS6detail17trampoline_kernelINS0_14default_configENS1_25partition_config_selectorILNS1_17partition_subalgoE5ElNS0_10empty_typeEbEEZZNS1_14partition_implILS5_5ELb0ES3_mN6hipcub16HIPCUB_304000_NS21CountingInputIteratorIllEEPS6_NSA_22TransformInputIteratorIbN2at6native12_GLOBAL__N_19NonZeroOpIbEEPKblEENS0_5tupleIJPlS6_EEENSN_IJSD_SD_EEES6_PiJS6_EEE10hipError_tPvRmT3_T4_T5_T6_T7_T9_mT8_P12ihipStream_tbDpT10_ENKUlT_T0_E_clISt17integral_constantIbLb0EES1A_IbLb1EEEEDaS16_S17_EUlS16_E_NS1_11comp_targetILNS1_3genE9ELNS1_11target_archE1100ELNS1_3gpuE3ELNS1_3repE0EEENS1_30default_config_static_selectorELNS0_4arch9wavefront6targetE0EEEvT1_.uses_flat_scratch, 0
	.set _ZN7rocprim17ROCPRIM_400000_NS6detail17trampoline_kernelINS0_14default_configENS1_25partition_config_selectorILNS1_17partition_subalgoE5ElNS0_10empty_typeEbEEZZNS1_14partition_implILS5_5ELb0ES3_mN6hipcub16HIPCUB_304000_NS21CountingInputIteratorIllEEPS6_NSA_22TransformInputIteratorIbN2at6native12_GLOBAL__N_19NonZeroOpIbEEPKblEENS0_5tupleIJPlS6_EEENSN_IJSD_SD_EEES6_PiJS6_EEE10hipError_tPvRmT3_T4_T5_T6_T7_T9_mT8_P12ihipStream_tbDpT10_ENKUlT_T0_E_clISt17integral_constantIbLb0EES1A_IbLb1EEEEDaS16_S17_EUlS16_E_NS1_11comp_targetILNS1_3genE9ELNS1_11target_archE1100ELNS1_3gpuE3ELNS1_3repE0EEENS1_30default_config_static_selectorELNS0_4arch9wavefront6targetE0EEEvT1_.has_dyn_sized_stack, 0
	.set _ZN7rocprim17ROCPRIM_400000_NS6detail17trampoline_kernelINS0_14default_configENS1_25partition_config_selectorILNS1_17partition_subalgoE5ElNS0_10empty_typeEbEEZZNS1_14partition_implILS5_5ELb0ES3_mN6hipcub16HIPCUB_304000_NS21CountingInputIteratorIllEEPS6_NSA_22TransformInputIteratorIbN2at6native12_GLOBAL__N_19NonZeroOpIbEEPKblEENS0_5tupleIJPlS6_EEENSN_IJSD_SD_EEES6_PiJS6_EEE10hipError_tPvRmT3_T4_T5_T6_T7_T9_mT8_P12ihipStream_tbDpT10_ENKUlT_T0_E_clISt17integral_constantIbLb0EES1A_IbLb1EEEEDaS16_S17_EUlS16_E_NS1_11comp_targetILNS1_3genE9ELNS1_11target_archE1100ELNS1_3gpuE3ELNS1_3repE0EEENS1_30default_config_static_selectorELNS0_4arch9wavefront6targetE0EEEvT1_.has_recursion, 0
	.set _ZN7rocprim17ROCPRIM_400000_NS6detail17trampoline_kernelINS0_14default_configENS1_25partition_config_selectorILNS1_17partition_subalgoE5ElNS0_10empty_typeEbEEZZNS1_14partition_implILS5_5ELb0ES3_mN6hipcub16HIPCUB_304000_NS21CountingInputIteratorIllEEPS6_NSA_22TransformInputIteratorIbN2at6native12_GLOBAL__N_19NonZeroOpIbEEPKblEENS0_5tupleIJPlS6_EEENSN_IJSD_SD_EEES6_PiJS6_EEE10hipError_tPvRmT3_T4_T5_T6_T7_T9_mT8_P12ihipStream_tbDpT10_ENKUlT_T0_E_clISt17integral_constantIbLb0EES1A_IbLb1EEEEDaS16_S17_EUlS16_E_NS1_11comp_targetILNS1_3genE9ELNS1_11target_archE1100ELNS1_3gpuE3ELNS1_3repE0EEENS1_30default_config_static_selectorELNS0_4arch9wavefront6targetE0EEEvT1_.has_indirect_call, 0
	.section	.AMDGPU.csdata,"",@progbits
; Kernel info:
; codeLenInByte = 0
; TotalNumSgprs: 0
; NumVgprs: 0
; ScratchSize: 0
; MemoryBound: 0
; FloatMode: 240
; IeeeMode: 1
; LDSByteSize: 0 bytes/workgroup (compile time only)
; SGPRBlocks: 0
; VGPRBlocks: 0
; NumSGPRsForWavesPerEU: 1
; NumVGPRsForWavesPerEU: 1
; Occupancy: 16
; WaveLimiterHint : 0
; COMPUTE_PGM_RSRC2:SCRATCH_EN: 0
; COMPUTE_PGM_RSRC2:USER_SGPR: 2
; COMPUTE_PGM_RSRC2:TRAP_HANDLER: 0
; COMPUTE_PGM_RSRC2:TGID_X_EN: 1
; COMPUTE_PGM_RSRC2:TGID_Y_EN: 0
; COMPUTE_PGM_RSRC2:TGID_Z_EN: 0
; COMPUTE_PGM_RSRC2:TIDIG_COMP_CNT: 0
	.section	.text._ZN7rocprim17ROCPRIM_400000_NS6detail17trampoline_kernelINS0_14default_configENS1_25partition_config_selectorILNS1_17partition_subalgoE5ElNS0_10empty_typeEbEEZZNS1_14partition_implILS5_5ELb0ES3_mN6hipcub16HIPCUB_304000_NS21CountingInputIteratorIllEEPS6_NSA_22TransformInputIteratorIbN2at6native12_GLOBAL__N_19NonZeroOpIbEEPKblEENS0_5tupleIJPlS6_EEENSN_IJSD_SD_EEES6_PiJS6_EEE10hipError_tPvRmT3_T4_T5_T6_T7_T9_mT8_P12ihipStream_tbDpT10_ENKUlT_T0_E_clISt17integral_constantIbLb0EES1A_IbLb1EEEEDaS16_S17_EUlS16_E_NS1_11comp_targetILNS1_3genE8ELNS1_11target_archE1030ELNS1_3gpuE2ELNS1_3repE0EEENS1_30default_config_static_selectorELNS0_4arch9wavefront6targetE0EEEvT1_,"axG",@progbits,_ZN7rocprim17ROCPRIM_400000_NS6detail17trampoline_kernelINS0_14default_configENS1_25partition_config_selectorILNS1_17partition_subalgoE5ElNS0_10empty_typeEbEEZZNS1_14partition_implILS5_5ELb0ES3_mN6hipcub16HIPCUB_304000_NS21CountingInputIteratorIllEEPS6_NSA_22TransformInputIteratorIbN2at6native12_GLOBAL__N_19NonZeroOpIbEEPKblEENS0_5tupleIJPlS6_EEENSN_IJSD_SD_EEES6_PiJS6_EEE10hipError_tPvRmT3_T4_T5_T6_T7_T9_mT8_P12ihipStream_tbDpT10_ENKUlT_T0_E_clISt17integral_constantIbLb0EES1A_IbLb1EEEEDaS16_S17_EUlS16_E_NS1_11comp_targetILNS1_3genE8ELNS1_11target_archE1030ELNS1_3gpuE2ELNS1_3repE0EEENS1_30default_config_static_selectorELNS0_4arch9wavefront6targetE0EEEvT1_,comdat
	.globl	_ZN7rocprim17ROCPRIM_400000_NS6detail17trampoline_kernelINS0_14default_configENS1_25partition_config_selectorILNS1_17partition_subalgoE5ElNS0_10empty_typeEbEEZZNS1_14partition_implILS5_5ELb0ES3_mN6hipcub16HIPCUB_304000_NS21CountingInputIteratorIllEEPS6_NSA_22TransformInputIteratorIbN2at6native12_GLOBAL__N_19NonZeroOpIbEEPKblEENS0_5tupleIJPlS6_EEENSN_IJSD_SD_EEES6_PiJS6_EEE10hipError_tPvRmT3_T4_T5_T6_T7_T9_mT8_P12ihipStream_tbDpT10_ENKUlT_T0_E_clISt17integral_constantIbLb0EES1A_IbLb1EEEEDaS16_S17_EUlS16_E_NS1_11comp_targetILNS1_3genE8ELNS1_11target_archE1030ELNS1_3gpuE2ELNS1_3repE0EEENS1_30default_config_static_selectorELNS0_4arch9wavefront6targetE0EEEvT1_ ; -- Begin function _ZN7rocprim17ROCPRIM_400000_NS6detail17trampoline_kernelINS0_14default_configENS1_25partition_config_selectorILNS1_17partition_subalgoE5ElNS0_10empty_typeEbEEZZNS1_14partition_implILS5_5ELb0ES3_mN6hipcub16HIPCUB_304000_NS21CountingInputIteratorIllEEPS6_NSA_22TransformInputIteratorIbN2at6native12_GLOBAL__N_19NonZeroOpIbEEPKblEENS0_5tupleIJPlS6_EEENSN_IJSD_SD_EEES6_PiJS6_EEE10hipError_tPvRmT3_T4_T5_T6_T7_T9_mT8_P12ihipStream_tbDpT10_ENKUlT_T0_E_clISt17integral_constantIbLb0EES1A_IbLb1EEEEDaS16_S17_EUlS16_E_NS1_11comp_targetILNS1_3genE8ELNS1_11target_archE1030ELNS1_3gpuE2ELNS1_3repE0EEENS1_30default_config_static_selectorELNS0_4arch9wavefront6targetE0EEEvT1_
	.p2align	8
	.type	_ZN7rocprim17ROCPRIM_400000_NS6detail17trampoline_kernelINS0_14default_configENS1_25partition_config_selectorILNS1_17partition_subalgoE5ElNS0_10empty_typeEbEEZZNS1_14partition_implILS5_5ELb0ES3_mN6hipcub16HIPCUB_304000_NS21CountingInputIteratorIllEEPS6_NSA_22TransformInputIteratorIbN2at6native12_GLOBAL__N_19NonZeroOpIbEEPKblEENS0_5tupleIJPlS6_EEENSN_IJSD_SD_EEES6_PiJS6_EEE10hipError_tPvRmT3_T4_T5_T6_T7_T9_mT8_P12ihipStream_tbDpT10_ENKUlT_T0_E_clISt17integral_constantIbLb0EES1A_IbLb1EEEEDaS16_S17_EUlS16_E_NS1_11comp_targetILNS1_3genE8ELNS1_11target_archE1030ELNS1_3gpuE2ELNS1_3repE0EEENS1_30default_config_static_selectorELNS0_4arch9wavefront6targetE0EEEvT1_,@function
_ZN7rocprim17ROCPRIM_400000_NS6detail17trampoline_kernelINS0_14default_configENS1_25partition_config_selectorILNS1_17partition_subalgoE5ElNS0_10empty_typeEbEEZZNS1_14partition_implILS5_5ELb0ES3_mN6hipcub16HIPCUB_304000_NS21CountingInputIteratorIllEEPS6_NSA_22TransformInputIteratorIbN2at6native12_GLOBAL__N_19NonZeroOpIbEEPKblEENS0_5tupleIJPlS6_EEENSN_IJSD_SD_EEES6_PiJS6_EEE10hipError_tPvRmT3_T4_T5_T6_T7_T9_mT8_P12ihipStream_tbDpT10_ENKUlT_T0_E_clISt17integral_constantIbLb0EES1A_IbLb1EEEEDaS16_S17_EUlS16_E_NS1_11comp_targetILNS1_3genE8ELNS1_11target_archE1030ELNS1_3gpuE2ELNS1_3repE0EEENS1_30default_config_static_selectorELNS0_4arch9wavefront6targetE0EEEvT1_: ; @_ZN7rocprim17ROCPRIM_400000_NS6detail17trampoline_kernelINS0_14default_configENS1_25partition_config_selectorILNS1_17partition_subalgoE5ElNS0_10empty_typeEbEEZZNS1_14partition_implILS5_5ELb0ES3_mN6hipcub16HIPCUB_304000_NS21CountingInputIteratorIllEEPS6_NSA_22TransformInputIteratorIbN2at6native12_GLOBAL__N_19NonZeroOpIbEEPKblEENS0_5tupleIJPlS6_EEENSN_IJSD_SD_EEES6_PiJS6_EEE10hipError_tPvRmT3_T4_T5_T6_T7_T9_mT8_P12ihipStream_tbDpT10_ENKUlT_T0_E_clISt17integral_constantIbLb0EES1A_IbLb1EEEEDaS16_S17_EUlS16_E_NS1_11comp_targetILNS1_3genE8ELNS1_11target_archE1030ELNS1_3gpuE2ELNS1_3repE0EEENS1_30default_config_static_selectorELNS0_4arch9wavefront6targetE0EEEvT1_
; %bb.0:
	.section	.rodata,"a",@progbits
	.p2align	6, 0x0
	.amdhsa_kernel _ZN7rocprim17ROCPRIM_400000_NS6detail17trampoline_kernelINS0_14default_configENS1_25partition_config_selectorILNS1_17partition_subalgoE5ElNS0_10empty_typeEbEEZZNS1_14partition_implILS5_5ELb0ES3_mN6hipcub16HIPCUB_304000_NS21CountingInputIteratorIllEEPS6_NSA_22TransformInputIteratorIbN2at6native12_GLOBAL__N_19NonZeroOpIbEEPKblEENS0_5tupleIJPlS6_EEENSN_IJSD_SD_EEES6_PiJS6_EEE10hipError_tPvRmT3_T4_T5_T6_T7_T9_mT8_P12ihipStream_tbDpT10_ENKUlT_T0_E_clISt17integral_constantIbLb0EES1A_IbLb1EEEEDaS16_S17_EUlS16_E_NS1_11comp_targetILNS1_3genE8ELNS1_11target_archE1030ELNS1_3gpuE2ELNS1_3repE0EEENS1_30default_config_static_selectorELNS0_4arch9wavefront6targetE0EEEvT1_
		.amdhsa_group_segment_fixed_size 0
		.amdhsa_private_segment_fixed_size 0
		.amdhsa_kernarg_size 136
		.amdhsa_user_sgpr_count 2
		.amdhsa_user_sgpr_dispatch_ptr 0
		.amdhsa_user_sgpr_queue_ptr 0
		.amdhsa_user_sgpr_kernarg_segment_ptr 1
		.amdhsa_user_sgpr_dispatch_id 0
		.amdhsa_user_sgpr_private_segment_size 0
		.amdhsa_wavefront_size32 1
		.amdhsa_uses_dynamic_stack 0
		.amdhsa_enable_private_segment 0
		.amdhsa_system_sgpr_workgroup_id_x 1
		.amdhsa_system_sgpr_workgroup_id_y 0
		.amdhsa_system_sgpr_workgroup_id_z 0
		.amdhsa_system_sgpr_workgroup_info 0
		.amdhsa_system_vgpr_workitem_id 0
		.amdhsa_next_free_vgpr 1
		.amdhsa_next_free_sgpr 1
		.amdhsa_reserve_vcc 0
		.amdhsa_float_round_mode_32 0
		.amdhsa_float_round_mode_16_64 0
		.amdhsa_float_denorm_mode_32 3
		.amdhsa_float_denorm_mode_16_64 3
		.amdhsa_fp16_overflow 0
		.amdhsa_workgroup_processor_mode 1
		.amdhsa_memory_ordered 1
		.amdhsa_forward_progress 1
		.amdhsa_inst_pref_size 0
		.amdhsa_round_robin_scheduling 0
		.amdhsa_exception_fp_ieee_invalid_op 0
		.amdhsa_exception_fp_denorm_src 0
		.amdhsa_exception_fp_ieee_div_zero 0
		.amdhsa_exception_fp_ieee_overflow 0
		.amdhsa_exception_fp_ieee_underflow 0
		.amdhsa_exception_fp_ieee_inexact 0
		.amdhsa_exception_int_div_zero 0
	.end_amdhsa_kernel
	.section	.text._ZN7rocprim17ROCPRIM_400000_NS6detail17trampoline_kernelINS0_14default_configENS1_25partition_config_selectorILNS1_17partition_subalgoE5ElNS0_10empty_typeEbEEZZNS1_14partition_implILS5_5ELb0ES3_mN6hipcub16HIPCUB_304000_NS21CountingInputIteratorIllEEPS6_NSA_22TransformInputIteratorIbN2at6native12_GLOBAL__N_19NonZeroOpIbEEPKblEENS0_5tupleIJPlS6_EEENSN_IJSD_SD_EEES6_PiJS6_EEE10hipError_tPvRmT3_T4_T5_T6_T7_T9_mT8_P12ihipStream_tbDpT10_ENKUlT_T0_E_clISt17integral_constantIbLb0EES1A_IbLb1EEEEDaS16_S17_EUlS16_E_NS1_11comp_targetILNS1_3genE8ELNS1_11target_archE1030ELNS1_3gpuE2ELNS1_3repE0EEENS1_30default_config_static_selectorELNS0_4arch9wavefront6targetE0EEEvT1_,"axG",@progbits,_ZN7rocprim17ROCPRIM_400000_NS6detail17trampoline_kernelINS0_14default_configENS1_25partition_config_selectorILNS1_17partition_subalgoE5ElNS0_10empty_typeEbEEZZNS1_14partition_implILS5_5ELb0ES3_mN6hipcub16HIPCUB_304000_NS21CountingInputIteratorIllEEPS6_NSA_22TransformInputIteratorIbN2at6native12_GLOBAL__N_19NonZeroOpIbEEPKblEENS0_5tupleIJPlS6_EEENSN_IJSD_SD_EEES6_PiJS6_EEE10hipError_tPvRmT3_T4_T5_T6_T7_T9_mT8_P12ihipStream_tbDpT10_ENKUlT_T0_E_clISt17integral_constantIbLb0EES1A_IbLb1EEEEDaS16_S17_EUlS16_E_NS1_11comp_targetILNS1_3genE8ELNS1_11target_archE1030ELNS1_3gpuE2ELNS1_3repE0EEENS1_30default_config_static_selectorELNS0_4arch9wavefront6targetE0EEEvT1_,comdat
.Lfunc_end761:
	.size	_ZN7rocprim17ROCPRIM_400000_NS6detail17trampoline_kernelINS0_14default_configENS1_25partition_config_selectorILNS1_17partition_subalgoE5ElNS0_10empty_typeEbEEZZNS1_14partition_implILS5_5ELb0ES3_mN6hipcub16HIPCUB_304000_NS21CountingInputIteratorIllEEPS6_NSA_22TransformInputIteratorIbN2at6native12_GLOBAL__N_19NonZeroOpIbEEPKblEENS0_5tupleIJPlS6_EEENSN_IJSD_SD_EEES6_PiJS6_EEE10hipError_tPvRmT3_T4_T5_T6_T7_T9_mT8_P12ihipStream_tbDpT10_ENKUlT_T0_E_clISt17integral_constantIbLb0EES1A_IbLb1EEEEDaS16_S17_EUlS16_E_NS1_11comp_targetILNS1_3genE8ELNS1_11target_archE1030ELNS1_3gpuE2ELNS1_3repE0EEENS1_30default_config_static_selectorELNS0_4arch9wavefront6targetE0EEEvT1_, .Lfunc_end761-_ZN7rocprim17ROCPRIM_400000_NS6detail17trampoline_kernelINS0_14default_configENS1_25partition_config_selectorILNS1_17partition_subalgoE5ElNS0_10empty_typeEbEEZZNS1_14partition_implILS5_5ELb0ES3_mN6hipcub16HIPCUB_304000_NS21CountingInputIteratorIllEEPS6_NSA_22TransformInputIteratorIbN2at6native12_GLOBAL__N_19NonZeroOpIbEEPKblEENS0_5tupleIJPlS6_EEENSN_IJSD_SD_EEES6_PiJS6_EEE10hipError_tPvRmT3_T4_T5_T6_T7_T9_mT8_P12ihipStream_tbDpT10_ENKUlT_T0_E_clISt17integral_constantIbLb0EES1A_IbLb1EEEEDaS16_S17_EUlS16_E_NS1_11comp_targetILNS1_3genE8ELNS1_11target_archE1030ELNS1_3gpuE2ELNS1_3repE0EEENS1_30default_config_static_selectorELNS0_4arch9wavefront6targetE0EEEvT1_
                                        ; -- End function
	.set _ZN7rocprim17ROCPRIM_400000_NS6detail17trampoline_kernelINS0_14default_configENS1_25partition_config_selectorILNS1_17partition_subalgoE5ElNS0_10empty_typeEbEEZZNS1_14partition_implILS5_5ELb0ES3_mN6hipcub16HIPCUB_304000_NS21CountingInputIteratorIllEEPS6_NSA_22TransformInputIteratorIbN2at6native12_GLOBAL__N_19NonZeroOpIbEEPKblEENS0_5tupleIJPlS6_EEENSN_IJSD_SD_EEES6_PiJS6_EEE10hipError_tPvRmT3_T4_T5_T6_T7_T9_mT8_P12ihipStream_tbDpT10_ENKUlT_T0_E_clISt17integral_constantIbLb0EES1A_IbLb1EEEEDaS16_S17_EUlS16_E_NS1_11comp_targetILNS1_3genE8ELNS1_11target_archE1030ELNS1_3gpuE2ELNS1_3repE0EEENS1_30default_config_static_selectorELNS0_4arch9wavefront6targetE0EEEvT1_.num_vgpr, 0
	.set _ZN7rocprim17ROCPRIM_400000_NS6detail17trampoline_kernelINS0_14default_configENS1_25partition_config_selectorILNS1_17partition_subalgoE5ElNS0_10empty_typeEbEEZZNS1_14partition_implILS5_5ELb0ES3_mN6hipcub16HIPCUB_304000_NS21CountingInputIteratorIllEEPS6_NSA_22TransformInputIteratorIbN2at6native12_GLOBAL__N_19NonZeroOpIbEEPKblEENS0_5tupleIJPlS6_EEENSN_IJSD_SD_EEES6_PiJS6_EEE10hipError_tPvRmT3_T4_T5_T6_T7_T9_mT8_P12ihipStream_tbDpT10_ENKUlT_T0_E_clISt17integral_constantIbLb0EES1A_IbLb1EEEEDaS16_S17_EUlS16_E_NS1_11comp_targetILNS1_3genE8ELNS1_11target_archE1030ELNS1_3gpuE2ELNS1_3repE0EEENS1_30default_config_static_selectorELNS0_4arch9wavefront6targetE0EEEvT1_.num_agpr, 0
	.set _ZN7rocprim17ROCPRIM_400000_NS6detail17trampoline_kernelINS0_14default_configENS1_25partition_config_selectorILNS1_17partition_subalgoE5ElNS0_10empty_typeEbEEZZNS1_14partition_implILS5_5ELb0ES3_mN6hipcub16HIPCUB_304000_NS21CountingInputIteratorIllEEPS6_NSA_22TransformInputIteratorIbN2at6native12_GLOBAL__N_19NonZeroOpIbEEPKblEENS0_5tupleIJPlS6_EEENSN_IJSD_SD_EEES6_PiJS6_EEE10hipError_tPvRmT3_T4_T5_T6_T7_T9_mT8_P12ihipStream_tbDpT10_ENKUlT_T0_E_clISt17integral_constantIbLb0EES1A_IbLb1EEEEDaS16_S17_EUlS16_E_NS1_11comp_targetILNS1_3genE8ELNS1_11target_archE1030ELNS1_3gpuE2ELNS1_3repE0EEENS1_30default_config_static_selectorELNS0_4arch9wavefront6targetE0EEEvT1_.numbered_sgpr, 0
	.set _ZN7rocprim17ROCPRIM_400000_NS6detail17trampoline_kernelINS0_14default_configENS1_25partition_config_selectorILNS1_17partition_subalgoE5ElNS0_10empty_typeEbEEZZNS1_14partition_implILS5_5ELb0ES3_mN6hipcub16HIPCUB_304000_NS21CountingInputIteratorIllEEPS6_NSA_22TransformInputIteratorIbN2at6native12_GLOBAL__N_19NonZeroOpIbEEPKblEENS0_5tupleIJPlS6_EEENSN_IJSD_SD_EEES6_PiJS6_EEE10hipError_tPvRmT3_T4_T5_T6_T7_T9_mT8_P12ihipStream_tbDpT10_ENKUlT_T0_E_clISt17integral_constantIbLb0EES1A_IbLb1EEEEDaS16_S17_EUlS16_E_NS1_11comp_targetILNS1_3genE8ELNS1_11target_archE1030ELNS1_3gpuE2ELNS1_3repE0EEENS1_30default_config_static_selectorELNS0_4arch9wavefront6targetE0EEEvT1_.num_named_barrier, 0
	.set _ZN7rocprim17ROCPRIM_400000_NS6detail17trampoline_kernelINS0_14default_configENS1_25partition_config_selectorILNS1_17partition_subalgoE5ElNS0_10empty_typeEbEEZZNS1_14partition_implILS5_5ELb0ES3_mN6hipcub16HIPCUB_304000_NS21CountingInputIteratorIllEEPS6_NSA_22TransformInputIteratorIbN2at6native12_GLOBAL__N_19NonZeroOpIbEEPKblEENS0_5tupleIJPlS6_EEENSN_IJSD_SD_EEES6_PiJS6_EEE10hipError_tPvRmT3_T4_T5_T6_T7_T9_mT8_P12ihipStream_tbDpT10_ENKUlT_T0_E_clISt17integral_constantIbLb0EES1A_IbLb1EEEEDaS16_S17_EUlS16_E_NS1_11comp_targetILNS1_3genE8ELNS1_11target_archE1030ELNS1_3gpuE2ELNS1_3repE0EEENS1_30default_config_static_selectorELNS0_4arch9wavefront6targetE0EEEvT1_.private_seg_size, 0
	.set _ZN7rocprim17ROCPRIM_400000_NS6detail17trampoline_kernelINS0_14default_configENS1_25partition_config_selectorILNS1_17partition_subalgoE5ElNS0_10empty_typeEbEEZZNS1_14partition_implILS5_5ELb0ES3_mN6hipcub16HIPCUB_304000_NS21CountingInputIteratorIllEEPS6_NSA_22TransformInputIteratorIbN2at6native12_GLOBAL__N_19NonZeroOpIbEEPKblEENS0_5tupleIJPlS6_EEENSN_IJSD_SD_EEES6_PiJS6_EEE10hipError_tPvRmT3_T4_T5_T6_T7_T9_mT8_P12ihipStream_tbDpT10_ENKUlT_T0_E_clISt17integral_constantIbLb0EES1A_IbLb1EEEEDaS16_S17_EUlS16_E_NS1_11comp_targetILNS1_3genE8ELNS1_11target_archE1030ELNS1_3gpuE2ELNS1_3repE0EEENS1_30default_config_static_selectorELNS0_4arch9wavefront6targetE0EEEvT1_.uses_vcc, 0
	.set _ZN7rocprim17ROCPRIM_400000_NS6detail17trampoline_kernelINS0_14default_configENS1_25partition_config_selectorILNS1_17partition_subalgoE5ElNS0_10empty_typeEbEEZZNS1_14partition_implILS5_5ELb0ES3_mN6hipcub16HIPCUB_304000_NS21CountingInputIteratorIllEEPS6_NSA_22TransformInputIteratorIbN2at6native12_GLOBAL__N_19NonZeroOpIbEEPKblEENS0_5tupleIJPlS6_EEENSN_IJSD_SD_EEES6_PiJS6_EEE10hipError_tPvRmT3_T4_T5_T6_T7_T9_mT8_P12ihipStream_tbDpT10_ENKUlT_T0_E_clISt17integral_constantIbLb0EES1A_IbLb1EEEEDaS16_S17_EUlS16_E_NS1_11comp_targetILNS1_3genE8ELNS1_11target_archE1030ELNS1_3gpuE2ELNS1_3repE0EEENS1_30default_config_static_selectorELNS0_4arch9wavefront6targetE0EEEvT1_.uses_flat_scratch, 0
	.set _ZN7rocprim17ROCPRIM_400000_NS6detail17trampoline_kernelINS0_14default_configENS1_25partition_config_selectorILNS1_17partition_subalgoE5ElNS0_10empty_typeEbEEZZNS1_14partition_implILS5_5ELb0ES3_mN6hipcub16HIPCUB_304000_NS21CountingInputIteratorIllEEPS6_NSA_22TransformInputIteratorIbN2at6native12_GLOBAL__N_19NonZeroOpIbEEPKblEENS0_5tupleIJPlS6_EEENSN_IJSD_SD_EEES6_PiJS6_EEE10hipError_tPvRmT3_T4_T5_T6_T7_T9_mT8_P12ihipStream_tbDpT10_ENKUlT_T0_E_clISt17integral_constantIbLb0EES1A_IbLb1EEEEDaS16_S17_EUlS16_E_NS1_11comp_targetILNS1_3genE8ELNS1_11target_archE1030ELNS1_3gpuE2ELNS1_3repE0EEENS1_30default_config_static_selectorELNS0_4arch9wavefront6targetE0EEEvT1_.has_dyn_sized_stack, 0
	.set _ZN7rocprim17ROCPRIM_400000_NS6detail17trampoline_kernelINS0_14default_configENS1_25partition_config_selectorILNS1_17partition_subalgoE5ElNS0_10empty_typeEbEEZZNS1_14partition_implILS5_5ELb0ES3_mN6hipcub16HIPCUB_304000_NS21CountingInputIteratorIllEEPS6_NSA_22TransformInputIteratorIbN2at6native12_GLOBAL__N_19NonZeroOpIbEEPKblEENS0_5tupleIJPlS6_EEENSN_IJSD_SD_EEES6_PiJS6_EEE10hipError_tPvRmT3_T4_T5_T6_T7_T9_mT8_P12ihipStream_tbDpT10_ENKUlT_T0_E_clISt17integral_constantIbLb0EES1A_IbLb1EEEEDaS16_S17_EUlS16_E_NS1_11comp_targetILNS1_3genE8ELNS1_11target_archE1030ELNS1_3gpuE2ELNS1_3repE0EEENS1_30default_config_static_selectorELNS0_4arch9wavefront6targetE0EEEvT1_.has_recursion, 0
	.set _ZN7rocprim17ROCPRIM_400000_NS6detail17trampoline_kernelINS0_14default_configENS1_25partition_config_selectorILNS1_17partition_subalgoE5ElNS0_10empty_typeEbEEZZNS1_14partition_implILS5_5ELb0ES3_mN6hipcub16HIPCUB_304000_NS21CountingInputIteratorIllEEPS6_NSA_22TransformInputIteratorIbN2at6native12_GLOBAL__N_19NonZeroOpIbEEPKblEENS0_5tupleIJPlS6_EEENSN_IJSD_SD_EEES6_PiJS6_EEE10hipError_tPvRmT3_T4_T5_T6_T7_T9_mT8_P12ihipStream_tbDpT10_ENKUlT_T0_E_clISt17integral_constantIbLb0EES1A_IbLb1EEEEDaS16_S17_EUlS16_E_NS1_11comp_targetILNS1_3genE8ELNS1_11target_archE1030ELNS1_3gpuE2ELNS1_3repE0EEENS1_30default_config_static_selectorELNS0_4arch9wavefront6targetE0EEEvT1_.has_indirect_call, 0
	.section	.AMDGPU.csdata,"",@progbits
; Kernel info:
; codeLenInByte = 0
; TotalNumSgprs: 0
; NumVgprs: 0
; ScratchSize: 0
; MemoryBound: 0
; FloatMode: 240
; IeeeMode: 1
; LDSByteSize: 0 bytes/workgroup (compile time only)
; SGPRBlocks: 0
; VGPRBlocks: 0
; NumSGPRsForWavesPerEU: 1
; NumVGPRsForWavesPerEU: 1
; Occupancy: 16
; WaveLimiterHint : 0
; COMPUTE_PGM_RSRC2:SCRATCH_EN: 0
; COMPUTE_PGM_RSRC2:USER_SGPR: 2
; COMPUTE_PGM_RSRC2:TRAP_HANDLER: 0
; COMPUTE_PGM_RSRC2:TGID_X_EN: 1
; COMPUTE_PGM_RSRC2:TGID_Y_EN: 0
; COMPUTE_PGM_RSRC2:TGID_Z_EN: 0
; COMPUTE_PGM_RSRC2:TIDIG_COMP_CNT: 0
	.section	.text._ZN7rocprim17ROCPRIM_400000_NS6detail17trampoline_kernelINS0_14default_configENS1_22reduce_config_selectorIiEEZNS1_11reduce_implILb1ES3_PiS7_iN6hipcub16HIPCUB_304000_NS6detail34convert_binary_result_type_wrapperINS9_3SumENS9_22TransformInputIteratorIbN2at6native12_GLOBAL__N_19NonZeroOpIN3c108BFloat16EEEPKSJ_lEEiEEEE10hipError_tPvRmT1_T2_T3_mT4_P12ihipStream_tbEUlT_E0_NS1_11comp_targetILNS1_3genE0ELNS1_11target_archE4294967295ELNS1_3gpuE0ELNS1_3repE0EEENS1_30default_config_static_selectorELNS0_4arch9wavefront6targetE0EEEvSS_,"axG",@progbits,_ZN7rocprim17ROCPRIM_400000_NS6detail17trampoline_kernelINS0_14default_configENS1_22reduce_config_selectorIiEEZNS1_11reduce_implILb1ES3_PiS7_iN6hipcub16HIPCUB_304000_NS6detail34convert_binary_result_type_wrapperINS9_3SumENS9_22TransformInputIteratorIbN2at6native12_GLOBAL__N_19NonZeroOpIN3c108BFloat16EEEPKSJ_lEEiEEEE10hipError_tPvRmT1_T2_T3_mT4_P12ihipStream_tbEUlT_E0_NS1_11comp_targetILNS1_3genE0ELNS1_11target_archE4294967295ELNS1_3gpuE0ELNS1_3repE0EEENS1_30default_config_static_selectorELNS0_4arch9wavefront6targetE0EEEvSS_,comdat
	.globl	_ZN7rocprim17ROCPRIM_400000_NS6detail17trampoline_kernelINS0_14default_configENS1_22reduce_config_selectorIiEEZNS1_11reduce_implILb1ES3_PiS7_iN6hipcub16HIPCUB_304000_NS6detail34convert_binary_result_type_wrapperINS9_3SumENS9_22TransformInputIteratorIbN2at6native12_GLOBAL__N_19NonZeroOpIN3c108BFloat16EEEPKSJ_lEEiEEEE10hipError_tPvRmT1_T2_T3_mT4_P12ihipStream_tbEUlT_E0_NS1_11comp_targetILNS1_3genE0ELNS1_11target_archE4294967295ELNS1_3gpuE0ELNS1_3repE0EEENS1_30default_config_static_selectorELNS0_4arch9wavefront6targetE0EEEvSS_ ; -- Begin function _ZN7rocprim17ROCPRIM_400000_NS6detail17trampoline_kernelINS0_14default_configENS1_22reduce_config_selectorIiEEZNS1_11reduce_implILb1ES3_PiS7_iN6hipcub16HIPCUB_304000_NS6detail34convert_binary_result_type_wrapperINS9_3SumENS9_22TransformInputIteratorIbN2at6native12_GLOBAL__N_19NonZeroOpIN3c108BFloat16EEEPKSJ_lEEiEEEE10hipError_tPvRmT1_T2_T3_mT4_P12ihipStream_tbEUlT_E0_NS1_11comp_targetILNS1_3genE0ELNS1_11target_archE4294967295ELNS1_3gpuE0ELNS1_3repE0EEENS1_30default_config_static_selectorELNS0_4arch9wavefront6targetE0EEEvSS_
	.p2align	8
	.type	_ZN7rocprim17ROCPRIM_400000_NS6detail17trampoline_kernelINS0_14default_configENS1_22reduce_config_selectorIiEEZNS1_11reduce_implILb1ES3_PiS7_iN6hipcub16HIPCUB_304000_NS6detail34convert_binary_result_type_wrapperINS9_3SumENS9_22TransformInputIteratorIbN2at6native12_GLOBAL__N_19NonZeroOpIN3c108BFloat16EEEPKSJ_lEEiEEEE10hipError_tPvRmT1_T2_T3_mT4_P12ihipStream_tbEUlT_E0_NS1_11comp_targetILNS1_3genE0ELNS1_11target_archE4294967295ELNS1_3gpuE0ELNS1_3repE0EEENS1_30default_config_static_selectorELNS0_4arch9wavefront6targetE0EEEvSS_,@function
_ZN7rocprim17ROCPRIM_400000_NS6detail17trampoline_kernelINS0_14default_configENS1_22reduce_config_selectorIiEEZNS1_11reduce_implILb1ES3_PiS7_iN6hipcub16HIPCUB_304000_NS6detail34convert_binary_result_type_wrapperINS9_3SumENS9_22TransformInputIteratorIbN2at6native12_GLOBAL__N_19NonZeroOpIN3c108BFloat16EEEPKSJ_lEEiEEEE10hipError_tPvRmT1_T2_T3_mT4_P12ihipStream_tbEUlT_E0_NS1_11comp_targetILNS1_3genE0ELNS1_11target_archE4294967295ELNS1_3gpuE0ELNS1_3repE0EEENS1_30default_config_static_selectorELNS0_4arch9wavefront6targetE0EEEvSS_: ; @_ZN7rocprim17ROCPRIM_400000_NS6detail17trampoline_kernelINS0_14default_configENS1_22reduce_config_selectorIiEEZNS1_11reduce_implILb1ES3_PiS7_iN6hipcub16HIPCUB_304000_NS6detail34convert_binary_result_type_wrapperINS9_3SumENS9_22TransformInputIteratorIbN2at6native12_GLOBAL__N_19NonZeroOpIN3c108BFloat16EEEPKSJ_lEEiEEEE10hipError_tPvRmT1_T2_T3_mT4_P12ihipStream_tbEUlT_E0_NS1_11comp_targetILNS1_3genE0ELNS1_11target_archE4294967295ELNS1_3gpuE0ELNS1_3repE0EEENS1_30default_config_static_selectorELNS0_4arch9wavefront6targetE0EEEvSS_
; %bb.0:
	.section	.rodata,"a",@progbits
	.p2align	6, 0x0
	.amdhsa_kernel _ZN7rocprim17ROCPRIM_400000_NS6detail17trampoline_kernelINS0_14default_configENS1_22reduce_config_selectorIiEEZNS1_11reduce_implILb1ES3_PiS7_iN6hipcub16HIPCUB_304000_NS6detail34convert_binary_result_type_wrapperINS9_3SumENS9_22TransformInputIteratorIbN2at6native12_GLOBAL__N_19NonZeroOpIN3c108BFloat16EEEPKSJ_lEEiEEEE10hipError_tPvRmT1_T2_T3_mT4_P12ihipStream_tbEUlT_E0_NS1_11comp_targetILNS1_3genE0ELNS1_11target_archE4294967295ELNS1_3gpuE0ELNS1_3repE0EEENS1_30default_config_static_selectorELNS0_4arch9wavefront6targetE0EEEvSS_
		.amdhsa_group_segment_fixed_size 0
		.amdhsa_private_segment_fixed_size 0
		.amdhsa_kernarg_size 56
		.amdhsa_user_sgpr_count 2
		.amdhsa_user_sgpr_dispatch_ptr 0
		.amdhsa_user_sgpr_queue_ptr 0
		.amdhsa_user_sgpr_kernarg_segment_ptr 1
		.amdhsa_user_sgpr_dispatch_id 0
		.amdhsa_user_sgpr_private_segment_size 0
		.amdhsa_wavefront_size32 1
		.amdhsa_uses_dynamic_stack 0
		.amdhsa_enable_private_segment 0
		.amdhsa_system_sgpr_workgroup_id_x 1
		.amdhsa_system_sgpr_workgroup_id_y 0
		.amdhsa_system_sgpr_workgroup_id_z 0
		.amdhsa_system_sgpr_workgroup_info 0
		.amdhsa_system_vgpr_workitem_id 0
		.amdhsa_next_free_vgpr 1
		.amdhsa_next_free_sgpr 1
		.amdhsa_reserve_vcc 0
		.amdhsa_float_round_mode_32 0
		.amdhsa_float_round_mode_16_64 0
		.amdhsa_float_denorm_mode_32 3
		.amdhsa_float_denorm_mode_16_64 3
		.amdhsa_fp16_overflow 0
		.amdhsa_workgroup_processor_mode 1
		.amdhsa_memory_ordered 1
		.amdhsa_forward_progress 1
		.amdhsa_inst_pref_size 0
		.amdhsa_round_robin_scheduling 0
		.amdhsa_exception_fp_ieee_invalid_op 0
		.amdhsa_exception_fp_denorm_src 0
		.amdhsa_exception_fp_ieee_div_zero 0
		.amdhsa_exception_fp_ieee_overflow 0
		.amdhsa_exception_fp_ieee_underflow 0
		.amdhsa_exception_fp_ieee_inexact 0
		.amdhsa_exception_int_div_zero 0
	.end_amdhsa_kernel
	.section	.text._ZN7rocprim17ROCPRIM_400000_NS6detail17trampoline_kernelINS0_14default_configENS1_22reduce_config_selectorIiEEZNS1_11reduce_implILb1ES3_PiS7_iN6hipcub16HIPCUB_304000_NS6detail34convert_binary_result_type_wrapperINS9_3SumENS9_22TransformInputIteratorIbN2at6native12_GLOBAL__N_19NonZeroOpIN3c108BFloat16EEEPKSJ_lEEiEEEE10hipError_tPvRmT1_T2_T3_mT4_P12ihipStream_tbEUlT_E0_NS1_11comp_targetILNS1_3genE0ELNS1_11target_archE4294967295ELNS1_3gpuE0ELNS1_3repE0EEENS1_30default_config_static_selectorELNS0_4arch9wavefront6targetE0EEEvSS_,"axG",@progbits,_ZN7rocprim17ROCPRIM_400000_NS6detail17trampoline_kernelINS0_14default_configENS1_22reduce_config_selectorIiEEZNS1_11reduce_implILb1ES3_PiS7_iN6hipcub16HIPCUB_304000_NS6detail34convert_binary_result_type_wrapperINS9_3SumENS9_22TransformInputIteratorIbN2at6native12_GLOBAL__N_19NonZeroOpIN3c108BFloat16EEEPKSJ_lEEiEEEE10hipError_tPvRmT1_T2_T3_mT4_P12ihipStream_tbEUlT_E0_NS1_11comp_targetILNS1_3genE0ELNS1_11target_archE4294967295ELNS1_3gpuE0ELNS1_3repE0EEENS1_30default_config_static_selectorELNS0_4arch9wavefront6targetE0EEEvSS_,comdat
.Lfunc_end762:
	.size	_ZN7rocprim17ROCPRIM_400000_NS6detail17trampoline_kernelINS0_14default_configENS1_22reduce_config_selectorIiEEZNS1_11reduce_implILb1ES3_PiS7_iN6hipcub16HIPCUB_304000_NS6detail34convert_binary_result_type_wrapperINS9_3SumENS9_22TransformInputIteratorIbN2at6native12_GLOBAL__N_19NonZeroOpIN3c108BFloat16EEEPKSJ_lEEiEEEE10hipError_tPvRmT1_T2_T3_mT4_P12ihipStream_tbEUlT_E0_NS1_11comp_targetILNS1_3genE0ELNS1_11target_archE4294967295ELNS1_3gpuE0ELNS1_3repE0EEENS1_30default_config_static_selectorELNS0_4arch9wavefront6targetE0EEEvSS_, .Lfunc_end762-_ZN7rocprim17ROCPRIM_400000_NS6detail17trampoline_kernelINS0_14default_configENS1_22reduce_config_selectorIiEEZNS1_11reduce_implILb1ES3_PiS7_iN6hipcub16HIPCUB_304000_NS6detail34convert_binary_result_type_wrapperINS9_3SumENS9_22TransformInputIteratorIbN2at6native12_GLOBAL__N_19NonZeroOpIN3c108BFloat16EEEPKSJ_lEEiEEEE10hipError_tPvRmT1_T2_T3_mT4_P12ihipStream_tbEUlT_E0_NS1_11comp_targetILNS1_3genE0ELNS1_11target_archE4294967295ELNS1_3gpuE0ELNS1_3repE0EEENS1_30default_config_static_selectorELNS0_4arch9wavefront6targetE0EEEvSS_
                                        ; -- End function
	.set _ZN7rocprim17ROCPRIM_400000_NS6detail17trampoline_kernelINS0_14default_configENS1_22reduce_config_selectorIiEEZNS1_11reduce_implILb1ES3_PiS7_iN6hipcub16HIPCUB_304000_NS6detail34convert_binary_result_type_wrapperINS9_3SumENS9_22TransformInputIteratorIbN2at6native12_GLOBAL__N_19NonZeroOpIN3c108BFloat16EEEPKSJ_lEEiEEEE10hipError_tPvRmT1_T2_T3_mT4_P12ihipStream_tbEUlT_E0_NS1_11comp_targetILNS1_3genE0ELNS1_11target_archE4294967295ELNS1_3gpuE0ELNS1_3repE0EEENS1_30default_config_static_selectorELNS0_4arch9wavefront6targetE0EEEvSS_.num_vgpr, 0
	.set _ZN7rocprim17ROCPRIM_400000_NS6detail17trampoline_kernelINS0_14default_configENS1_22reduce_config_selectorIiEEZNS1_11reduce_implILb1ES3_PiS7_iN6hipcub16HIPCUB_304000_NS6detail34convert_binary_result_type_wrapperINS9_3SumENS9_22TransformInputIteratorIbN2at6native12_GLOBAL__N_19NonZeroOpIN3c108BFloat16EEEPKSJ_lEEiEEEE10hipError_tPvRmT1_T2_T3_mT4_P12ihipStream_tbEUlT_E0_NS1_11comp_targetILNS1_3genE0ELNS1_11target_archE4294967295ELNS1_3gpuE0ELNS1_3repE0EEENS1_30default_config_static_selectorELNS0_4arch9wavefront6targetE0EEEvSS_.num_agpr, 0
	.set _ZN7rocprim17ROCPRIM_400000_NS6detail17trampoline_kernelINS0_14default_configENS1_22reduce_config_selectorIiEEZNS1_11reduce_implILb1ES3_PiS7_iN6hipcub16HIPCUB_304000_NS6detail34convert_binary_result_type_wrapperINS9_3SumENS9_22TransformInputIteratorIbN2at6native12_GLOBAL__N_19NonZeroOpIN3c108BFloat16EEEPKSJ_lEEiEEEE10hipError_tPvRmT1_T2_T3_mT4_P12ihipStream_tbEUlT_E0_NS1_11comp_targetILNS1_3genE0ELNS1_11target_archE4294967295ELNS1_3gpuE0ELNS1_3repE0EEENS1_30default_config_static_selectorELNS0_4arch9wavefront6targetE0EEEvSS_.numbered_sgpr, 0
	.set _ZN7rocprim17ROCPRIM_400000_NS6detail17trampoline_kernelINS0_14default_configENS1_22reduce_config_selectorIiEEZNS1_11reduce_implILb1ES3_PiS7_iN6hipcub16HIPCUB_304000_NS6detail34convert_binary_result_type_wrapperINS9_3SumENS9_22TransformInputIteratorIbN2at6native12_GLOBAL__N_19NonZeroOpIN3c108BFloat16EEEPKSJ_lEEiEEEE10hipError_tPvRmT1_T2_T3_mT4_P12ihipStream_tbEUlT_E0_NS1_11comp_targetILNS1_3genE0ELNS1_11target_archE4294967295ELNS1_3gpuE0ELNS1_3repE0EEENS1_30default_config_static_selectorELNS0_4arch9wavefront6targetE0EEEvSS_.num_named_barrier, 0
	.set _ZN7rocprim17ROCPRIM_400000_NS6detail17trampoline_kernelINS0_14default_configENS1_22reduce_config_selectorIiEEZNS1_11reduce_implILb1ES3_PiS7_iN6hipcub16HIPCUB_304000_NS6detail34convert_binary_result_type_wrapperINS9_3SumENS9_22TransformInputIteratorIbN2at6native12_GLOBAL__N_19NonZeroOpIN3c108BFloat16EEEPKSJ_lEEiEEEE10hipError_tPvRmT1_T2_T3_mT4_P12ihipStream_tbEUlT_E0_NS1_11comp_targetILNS1_3genE0ELNS1_11target_archE4294967295ELNS1_3gpuE0ELNS1_3repE0EEENS1_30default_config_static_selectorELNS0_4arch9wavefront6targetE0EEEvSS_.private_seg_size, 0
	.set _ZN7rocprim17ROCPRIM_400000_NS6detail17trampoline_kernelINS0_14default_configENS1_22reduce_config_selectorIiEEZNS1_11reduce_implILb1ES3_PiS7_iN6hipcub16HIPCUB_304000_NS6detail34convert_binary_result_type_wrapperINS9_3SumENS9_22TransformInputIteratorIbN2at6native12_GLOBAL__N_19NonZeroOpIN3c108BFloat16EEEPKSJ_lEEiEEEE10hipError_tPvRmT1_T2_T3_mT4_P12ihipStream_tbEUlT_E0_NS1_11comp_targetILNS1_3genE0ELNS1_11target_archE4294967295ELNS1_3gpuE0ELNS1_3repE0EEENS1_30default_config_static_selectorELNS0_4arch9wavefront6targetE0EEEvSS_.uses_vcc, 0
	.set _ZN7rocprim17ROCPRIM_400000_NS6detail17trampoline_kernelINS0_14default_configENS1_22reduce_config_selectorIiEEZNS1_11reduce_implILb1ES3_PiS7_iN6hipcub16HIPCUB_304000_NS6detail34convert_binary_result_type_wrapperINS9_3SumENS9_22TransformInputIteratorIbN2at6native12_GLOBAL__N_19NonZeroOpIN3c108BFloat16EEEPKSJ_lEEiEEEE10hipError_tPvRmT1_T2_T3_mT4_P12ihipStream_tbEUlT_E0_NS1_11comp_targetILNS1_3genE0ELNS1_11target_archE4294967295ELNS1_3gpuE0ELNS1_3repE0EEENS1_30default_config_static_selectorELNS0_4arch9wavefront6targetE0EEEvSS_.uses_flat_scratch, 0
	.set _ZN7rocprim17ROCPRIM_400000_NS6detail17trampoline_kernelINS0_14default_configENS1_22reduce_config_selectorIiEEZNS1_11reduce_implILb1ES3_PiS7_iN6hipcub16HIPCUB_304000_NS6detail34convert_binary_result_type_wrapperINS9_3SumENS9_22TransformInputIteratorIbN2at6native12_GLOBAL__N_19NonZeroOpIN3c108BFloat16EEEPKSJ_lEEiEEEE10hipError_tPvRmT1_T2_T3_mT4_P12ihipStream_tbEUlT_E0_NS1_11comp_targetILNS1_3genE0ELNS1_11target_archE4294967295ELNS1_3gpuE0ELNS1_3repE0EEENS1_30default_config_static_selectorELNS0_4arch9wavefront6targetE0EEEvSS_.has_dyn_sized_stack, 0
	.set _ZN7rocprim17ROCPRIM_400000_NS6detail17trampoline_kernelINS0_14default_configENS1_22reduce_config_selectorIiEEZNS1_11reduce_implILb1ES3_PiS7_iN6hipcub16HIPCUB_304000_NS6detail34convert_binary_result_type_wrapperINS9_3SumENS9_22TransformInputIteratorIbN2at6native12_GLOBAL__N_19NonZeroOpIN3c108BFloat16EEEPKSJ_lEEiEEEE10hipError_tPvRmT1_T2_T3_mT4_P12ihipStream_tbEUlT_E0_NS1_11comp_targetILNS1_3genE0ELNS1_11target_archE4294967295ELNS1_3gpuE0ELNS1_3repE0EEENS1_30default_config_static_selectorELNS0_4arch9wavefront6targetE0EEEvSS_.has_recursion, 0
	.set _ZN7rocprim17ROCPRIM_400000_NS6detail17trampoline_kernelINS0_14default_configENS1_22reduce_config_selectorIiEEZNS1_11reduce_implILb1ES3_PiS7_iN6hipcub16HIPCUB_304000_NS6detail34convert_binary_result_type_wrapperINS9_3SumENS9_22TransformInputIteratorIbN2at6native12_GLOBAL__N_19NonZeroOpIN3c108BFloat16EEEPKSJ_lEEiEEEE10hipError_tPvRmT1_T2_T3_mT4_P12ihipStream_tbEUlT_E0_NS1_11comp_targetILNS1_3genE0ELNS1_11target_archE4294967295ELNS1_3gpuE0ELNS1_3repE0EEENS1_30default_config_static_selectorELNS0_4arch9wavefront6targetE0EEEvSS_.has_indirect_call, 0
	.section	.AMDGPU.csdata,"",@progbits
; Kernel info:
; codeLenInByte = 0
; TotalNumSgprs: 0
; NumVgprs: 0
; ScratchSize: 0
; MemoryBound: 0
; FloatMode: 240
; IeeeMode: 1
; LDSByteSize: 0 bytes/workgroup (compile time only)
; SGPRBlocks: 0
; VGPRBlocks: 0
; NumSGPRsForWavesPerEU: 1
; NumVGPRsForWavesPerEU: 1
; Occupancy: 16
; WaveLimiterHint : 0
; COMPUTE_PGM_RSRC2:SCRATCH_EN: 0
; COMPUTE_PGM_RSRC2:USER_SGPR: 2
; COMPUTE_PGM_RSRC2:TRAP_HANDLER: 0
; COMPUTE_PGM_RSRC2:TGID_X_EN: 1
; COMPUTE_PGM_RSRC2:TGID_Y_EN: 0
; COMPUTE_PGM_RSRC2:TGID_Z_EN: 0
; COMPUTE_PGM_RSRC2:TIDIG_COMP_CNT: 0
	.section	.text._ZN7rocprim17ROCPRIM_400000_NS6detail17trampoline_kernelINS0_14default_configENS1_22reduce_config_selectorIiEEZNS1_11reduce_implILb1ES3_PiS7_iN6hipcub16HIPCUB_304000_NS6detail34convert_binary_result_type_wrapperINS9_3SumENS9_22TransformInputIteratorIbN2at6native12_GLOBAL__N_19NonZeroOpIN3c108BFloat16EEEPKSJ_lEEiEEEE10hipError_tPvRmT1_T2_T3_mT4_P12ihipStream_tbEUlT_E0_NS1_11comp_targetILNS1_3genE5ELNS1_11target_archE942ELNS1_3gpuE9ELNS1_3repE0EEENS1_30default_config_static_selectorELNS0_4arch9wavefront6targetE0EEEvSS_,"axG",@progbits,_ZN7rocprim17ROCPRIM_400000_NS6detail17trampoline_kernelINS0_14default_configENS1_22reduce_config_selectorIiEEZNS1_11reduce_implILb1ES3_PiS7_iN6hipcub16HIPCUB_304000_NS6detail34convert_binary_result_type_wrapperINS9_3SumENS9_22TransformInputIteratorIbN2at6native12_GLOBAL__N_19NonZeroOpIN3c108BFloat16EEEPKSJ_lEEiEEEE10hipError_tPvRmT1_T2_T3_mT4_P12ihipStream_tbEUlT_E0_NS1_11comp_targetILNS1_3genE5ELNS1_11target_archE942ELNS1_3gpuE9ELNS1_3repE0EEENS1_30default_config_static_selectorELNS0_4arch9wavefront6targetE0EEEvSS_,comdat
	.globl	_ZN7rocprim17ROCPRIM_400000_NS6detail17trampoline_kernelINS0_14default_configENS1_22reduce_config_selectorIiEEZNS1_11reduce_implILb1ES3_PiS7_iN6hipcub16HIPCUB_304000_NS6detail34convert_binary_result_type_wrapperINS9_3SumENS9_22TransformInputIteratorIbN2at6native12_GLOBAL__N_19NonZeroOpIN3c108BFloat16EEEPKSJ_lEEiEEEE10hipError_tPvRmT1_T2_T3_mT4_P12ihipStream_tbEUlT_E0_NS1_11comp_targetILNS1_3genE5ELNS1_11target_archE942ELNS1_3gpuE9ELNS1_3repE0EEENS1_30default_config_static_selectorELNS0_4arch9wavefront6targetE0EEEvSS_ ; -- Begin function _ZN7rocprim17ROCPRIM_400000_NS6detail17trampoline_kernelINS0_14default_configENS1_22reduce_config_selectorIiEEZNS1_11reduce_implILb1ES3_PiS7_iN6hipcub16HIPCUB_304000_NS6detail34convert_binary_result_type_wrapperINS9_3SumENS9_22TransformInputIteratorIbN2at6native12_GLOBAL__N_19NonZeroOpIN3c108BFloat16EEEPKSJ_lEEiEEEE10hipError_tPvRmT1_T2_T3_mT4_P12ihipStream_tbEUlT_E0_NS1_11comp_targetILNS1_3genE5ELNS1_11target_archE942ELNS1_3gpuE9ELNS1_3repE0EEENS1_30default_config_static_selectorELNS0_4arch9wavefront6targetE0EEEvSS_
	.p2align	8
	.type	_ZN7rocprim17ROCPRIM_400000_NS6detail17trampoline_kernelINS0_14default_configENS1_22reduce_config_selectorIiEEZNS1_11reduce_implILb1ES3_PiS7_iN6hipcub16HIPCUB_304000_NS6detail34convert_binary_result_type_wrapperINS9_3SumENS9_22TransformInputIteratorIbN2at6native12_GLOBAL__N_19NonZeroOpIN3c108BFloat16EEEPKSJ_lEEiEEEE10hipError_tPvRmT1_T2_T3_mT4_P12ihipStream_tbEUlT_E0_NS1_11comp_targetILNS1_3genE5ELNS1_11target_archE942ELNS1_3gpuE9ELNS1_3repE0EEENS1_30default_config_static_selectorELNS0_4arch9wavefront6targetE0EEEvSS_,@function
_ZN7rocprim17ROCPRIM_400000_NS6detail17trampoline_kernelINS0_14default_configENS1_22reduce_config_selectorIiEEZNS1_11reduce_implILb1ES3_PiS7_iN6hipcub16HIPCUB_304000_NS6detail34convert_binary_result_type_wrapperINS9_3SumENS9_22TransformInputIteratorIbN2at6native12_GLOBAL__N_19NonZeroOpIN3c108BFloat16EEEPKSJ_lEEiEEEE10hipError_tPvRmT1_T2_T3_mT4_P12ihipStream_tbEUlT_E0_NS1_11comp_targetILNS1_3genE5ELNS1_11target_archE942ELNS1_3gpuE9ELNS1_3repE0EEENS1_30default_config_static_selectorELNS0_4arch9wavefront6targetE0EEEvSS_: ; @_ZN7rocprim17ROCPRIM_400000_NS6detail17trampoline_kernelINS0_14default_configENS1_22reduce_config_selectorIiEEZNS1_11reduce_implILb1ES3_PiS7_iN6hipcub16HIPCUB_304000_NS6detail34convert_binary_result_type_wrapperINS9_3SumENS9_22TransformInputIteratorIbN2at6native12_GLOBAL__N_19NonZeroOpIN3c108BFloat16EEEPKSJ_lEEiEEEE10hipError_tPvRmT1_T2_T3_mT4_P12ihipStream_tbEUlT_E0_NS1_11comp_targetILNS1_3genE5ELNS1_11target_archE942ELNS1_3gpuE9ELNS1_3repE0EEENS1_30default_config_static_selectorELNS0_4arch9wavefront6targetE0EEEvSS_
; %bb.0:
	.section	.rodata,"a",@progbits
	.p2align	6, 0x0
	.amdhsa_kernel _ZN7rocprim17ROCPRIM_400000_NS6detail17trampoline_kernelINS0_14default_configENS1_22reduce_config_selectorIiEEZNS1_11reduce_implILb1ES3_PiS7_iN6hipcub16HIPCUB_304000_NS6detail34convert_binary_result_type_wrapperINS9_3SumENS9_22TransformInputIteratorIbN2at6native12_GLOBAL__N_19NonZeroOpIN3c108BFloat16EEEPKSJ_lEEiEEEE10hipError_tPvRmT1_T2_T3_mT4_P12ihipStream_tbEUlT_E0_NS1_11comp_targetILNS1_3genE5ELNS1_11target_archE942ELNS1_3gpuE9ELNS1_3repE0EEENS1_30default_config_static_selectorELNS0_4arch9wavefront6targetE0EEEvSS_
		.amdhsa_group_segment_fixed_size 0
		.amdhsa_private_segment_fixed_size 0
		.amdhsa_kernarg_size 56
		.amdhsa_user_sgpr_count 2
		.amdhsa_user_sgpr_dispatch_ptr 0
		.amdhsa_user_sgpr_queue_ptr 0
		.amdhsa_user_sgpr_kernarg_segment_ptr 1
		.amdhsa_user_sgpr_dispatch_id 0
		.amdhsa_user_sgpr_private_segment_size 0
		.amdhsa_wavefront_size32 1
		.amdhsa_uses_dynamic_stack 0
		.amdhsa_enable_private_segment 0
		.amdhsa_system_sgpr_workgroup_id_x 1
		.amdhsa_system_sgpr_workgroup_id_y 0
		.amdhsa_system_sgpr_workgroup_id_z 0
		.amdhsa_system_sgpr_workgroup_info 0
		.amdhsa_system_vgpr_workitem_id 0
		.amdhsa_next_free_vgpr 1
		.amdhsa_next_free_sgpr 1
		.amdhsa_reserve_vcc 0
		.amdhsa_float_round_mode_32 0
		.amdhsa_float_round_mode_16_64 0
		.amdhsa_float_denorm_mode_32 3
		.amdhsa_float_denorm_mode_16_64 3
		.amdhsa_fp16_overflow 0
		.amdhsa_workgroup_processor_mode 1
		.amdhsa_memory_ordered 1
		.amdhsa_forward_progress 1
		.amdhsa_inst_pref_size 0
		.amdhsa_round_robin_scheduling 0
		.amdhsa_exception_fp_ieee_invalid_op 0
		.amdhsa_exception_fp_denorm_src 0
		.amdhsa_exception_fp_ieee_div_zero 0
		.amdhsa_exception_fp_ieee_overflow 0
		.amdhsa_exception_fp_ieee_underflow 0
		.amdhsa_exception_fp_ieee_inexact 0
		.amdhsa_exception_int_div_zero 0
	.end_amdhsa_kernel
	.section	.text._ZN7rocprim17ROCPRIM_400000_NS6detail17trampoline_kernelINS0_14default_configENS1_22reduce_config_selectorIiEEZNS1_11reduce_implILb1ES3_PiS7_iN6hipcub16HIPCUB_304000_NS6detail34convert_binary_result_type_wrapperINS9_3SumENS9_22TransformInputIteratorIbN2at6native12_GLOBAL__N_19NonZeroOpIN3c108BFloat16EEEPKSJ_lEEiEEEE10hipError_tPvRmT1_T2_T3_mT4_P12ihipStream_tbEUlT_E0_NS1_11comp_targetILNS1_3genE5ELNS1_11target_archE942ELNS1_3gpuE9ELNS1_3repE0EEENS1_30default_config_static_selectorELNS0_4arch9wavefront6targetE0EEEvSS_,"axG",@progbits,_ZN7rocprim17ROCPRIM_400000_NS6detail17trampoline_kernelINS0_14default_configENS1_22reduce_config_selectorIiEEZNS1_11reduce_implILb1ES3_PiS7_iN6hipcub16HIPCUB_304000_NS6detail34convert_binary_result_type_wrapperINS9_3SumENS9_22TransformInputIteratorIbN2at6native12_GLOBAL__N_19NonZeroOpIN3c108BFloat16EEEPKSJ_lEEiEEEE10hipError_tPvRmT1_T2_T3_mT4_P12ihipStream_tbEUlT_E0_NS1_11comp_targetILNS1_3genE5ELNS1_11target_archE942ELNS1_3gpuE9ELNS1_3repE0EEENS1_30default_config_static_selectorELNS0_4arch9wavefront6targetE0EEEvSS_,comdat
.Lfunc_end763:
	.size	_ZN7rocprim17ROCPRIM_400000_NS6detail17trampoline_kernelINS0_14default_configENS1_22reduce_config_selectorIiEEZNS1_11reduce_implILb1ES3_PiS7_iN6hipcub16HIPCUB_304000_NS6detail34convert_binary_result_type_wrapperINS9_3SumENS9_22TransformInputIteratorIbN2at6native12_GLOBAL__N_19NonZeroOpIN3c108BFloat16EEEPKSJ_lEEiEEEE10hipError_tPvRmT1_T2_T3_mT4_P12ihipStream_tbEUlT_E0_NS1_11comp_targetILNS1_3genE5ELNS1_11target_archE942ELNS1_3gpuE9ELNS1_3repE0EEENS1_30default_config_static_selectorELNS0_4arch9wavefront6targetE0EEEvSS_, .Lfunc_end763-_ZN7rocprim17ROCPRIM_400000_NS6detail17trampoline_kernelINS0_14default_configENS1_22reduce_config_selectorIiEEZNS1_11reduce_implILb1ES3_PiS7_iN6hipcub16HIPCUB_304000_NS6detail34convert_binary_result_type_wrapperINS9_3SumENS9_22TransformInputIteratorIbN2at6native12_GLOBAL__N_19NonZeroOpIN3c108BFloat16EEEPKSJ_lEEiEEEE10hipError_tPvRmT1_T2_T3_mT4_P12ihipStream_tbEUlT_E0_NS1_11comp_targetILNS1_3genE5ELNS1_11target_archE942ELNS1_3gpuE9ELNS1_3repE0EEENS1_30default_config_static_selectorELNS0_4arch9wavefront6targetE0EEEvSS_
                                        ; -- End function
	.set _ZN7rocprim17ROCPRIM_400000_NS6detail17trampoline_kernelINS0_14default_configENS1_22reduce_config_selectorIiEEZNS1_11reduce_implILb1ES3_PiS7_iN6hipcub16HIPCUB_304000_NS6detail34convert_binary_result_type_wrapperINS9_3SumENS9_22TransformInputIteratorIbN2at6native12_GLOBAL__N_19NonZeroOpIN3c108BFloat16EEEPKSJ_lEEiEEEE10hipError_tPvRmT1_T2_T3_mT4_P12ihipStream_tbEUlT_E0_NS1_11comp_targetILNS1_3genE5ELNS1_11target_archE942ELNS1_3gpuE9ELNS1_3repE0EEENS1_30default_config_static_selectorELNS0_4arch9wavefront6targetE0EEEvSS_.num_vgpr, 0
	.set _ZN7rocprim17ROCPRIM_400000_NS6detail17trampoline_kernelINS0_14default_configENS1_22reduce_config_selectorIiEEZNS1_11reduce_implILb1ES3_PiS7_iN6hipcub16HIPCUB_304000_NS6detail34convert_binary_result_type_wrapperINS9_3SumENS9_22TransformInputIteratorIbN2at6native12_GLOBAL__N_19NonZeroOpIN3c108BFloat16EEEPKSJ_lEEiEEEE10hipError_tPvRmT1_T2_T3_mT4_P12ihipStream_tbEUlT_E0_NS1_11comp_targetILNS1_3genE5ELNS1_11target_archE942ELNS1_3gpuE9ELNS1_3repE0EEENS1_30default_config_static_selectorELNS0_4arch9wavefront6targetE0EEEvSS_.num_agpr, 0
	.set _ZN7rocprim17ROCPRIM_400000_NS6detail17trampoline_kernelINS0_14default_configENS1_22reduce_config_selectorIiEEZNS1_11reduce_implILb1ES3_PiS7_iN6hipcub16HIPCUB_304000_NS6detail34convert_binary_result_type_wrapperINS9_3SumENS9_22TransformInputIteratorIbN2at6native12_GLOBAL__N_19NonZeroOpIN3c108BFloat16EEEPKSJ_lEEiEEEE10hipError_tPvRmT1_T2_T3_mT4_P12ihipStream_tbEUlT_E0_NS1_11comp_targetILNS1_3genE5ELNS1_11target_archE942ELNS1_3gpuE9ELNS1_3repE0EEENS1_30default_config_static_selectorELNS0_4arch9wavefront6targetE0EEEvSS_.numbered_sgpr, 0
	.set _ZN7rocprim17ROCPRIM_400000_NS6detail17trampoline_kernelINS0_14default_configENS1_22reduce_config_selectorIiEEZNS1_11reduce_implILb1ES3_PiS7_iN6hipcub16HIPCUB_304000_NS6detail34convert_binary_result_type_wrapperINS9_3SumENS9_22TransformInputIteratorIbN2at6native12_GLOBAL__N_19NonZeroOpIN3c108BFloat16EEEPKSJ_lEEiEEEE10hipError_tPvRmT1_T2_T3_mT4_P12ihipStream_tbEUlT_E0_NS1_11comp_targetILNS1_3genE5ELNS1_11target_archE942ELNS1_3gpuE9ELNS1_3repE0EEENS1_30default_config_static_selectorELNS0_4arch9wavefront6targetE0EEEvSS_.num_named_barrier, 0
	.set _ZN7rocprim17ROCPRIM_400000_NS6detail17trampoline_kernelINS0_14default_configENS1_22reduce_config_selectorIiEEZNS1_11reduce_implILb1ES3_PiS7_iN6hipcub16HIPCUB_304000_NS6detail34convert_binary_result_type_wrapperINS9_3SumENS9_22TransformInputIteratorIbN2at6native12_GLOBAL__N_19NonZeroOpIN3c108BFloat16EEEPKSJ_lEEiEEEE10hipError_tPvRmT1_T2_T3_mT4_P12ihipStream_tbEUlT_E0_NS1_11comp_targetILNS1_3genE5ELNS1_11target_archE942ELNS1_3gpuE9ELNS1_3repE0EEENS1_30default_config_static_selectorELNS0_4arch9wavefront6targetE0EEEvSS_.private_seg_size, 0
	.set _ZN7rocprim17ROCPRIM_400000_NS6detail17trampoline_kernelINS0_14default_configENS1_22reduce_config_selectorIiEEZNS1_11reduce_implILb1ES3_PiS7_iN6hipcub16HIPCUB_304000_NS6detail34convert_binary_result_type_wrapperINS9_3SumENS9_22TransformInputIteratorIbN2at6native12_GLOBAL__N_19NonZeroOpIN3c108BFloat16EEEPKSJ_lEEiEEEE10hipError_tPvRmT1_T2_T3_mT4_P12ihipStream_tbEUlT_E0_NS1_11comp_targetILNS1_3genE5ELNS1_11target_archE942ELNS1_3gpuE9ELNS1_3repE0EEENS1_30default_config_static_selectorELNS0_4arch9wavefront6targetE0EEEvSS_.uses_vcc, 0
	.set _ZN7rocprim17ROCPRIM_400000_NS6detail17trampoline_kernelINS0_14default_configENS1_22reduce_config_selectorIiEEZNS1_11reduce_implILb1ES3_PiS7_iN6hipcub16HIPCUB_304000_NS6detail34convert_binary_result_type_wrapperINS9_3SumENS9_22TransformInputIteratorIbN2at6native12_GLOBAL__N_19NonZeroOpIN3c108BFloat16EEEPKSJ_lEEiEEEE10hipError_tPvRmT1_T2_T3_mT4_P12ihipStream_tbEUlT_E0_NS1_11comp_targetILNS1_3genE5ELNS1_11target_archE942ELNS1_3gpuE9ELNS1_3repE0EEENS1_30default_config_static_selectorELNS0_4arch9wavefront6targetE0EEEvSS_.uses_flat_scratch, 0
	.set _ZN7rocprim17ROCPRIM_400000_NS6detail17trampoline_kernelINS0_14default_configENS1_22reduce_config_selectorIiEEZNS1_11reduce_implILb1ES3_PiS7_iN6hipcub16HIPCUB_304000_NS6detail34convert_binary_result_type_wrapperINS9_3SumENS9_22TransformInputIteratorIbN2at6native12_GLOBAL__N_19NonZeroOpIN3c108BFloat16EEEPKSJ_lEEiEEEE10hipError_tPvRmT1_T2_T3_mT4_P12ihipStream_tbEUlT_E0_NS1_11comp_targetILNS1_3genE5ELNS1_11target_archE942ELNS1_3gpuE9ELNS1_3repE0EEENS1_30default_config_static_selectorELNS0_4arch9wavefront6targetE0EEEvSS_.has_dyn_sized_stack, 0
	.set _ZN7rocprim17ROCPRIM_400000_NS6detail17trampoline_kernelINS0_14default_configENS1_22reduce_config_selectorIiEEZNS1_11reduce_implILb1ES3_PiS7_iN6hipcub16HIPCUB_304000_NS6detail34convert_binary_result_type_wrapperINS9_3SumENS9_22TransformInputIteratorIbN2at6native12_GLOBAL__N_19NonZeroOpIN3c108BFloat16EEEPKSJ_lEEiEEEE10hipError_tPvRmT1_T2_T3_mT4_P12ihipStream_tbEUlT_E0_NS1_11comp_targetILNS1_3genE5ELNS1_11target_archE942ELNS1_3gpuE9ELNS1_3repE0EEENS1_30default_config_static_selectorELNS0_4arch9wavefront6targetE0EEEvSS_.has_recursion, 0
	.set _ZN7rocprim17ROCPRIM_400000_NS6detail17trampoline_kernelINS0_14default_configENS1_22reduce_config_selectorIiEEZNS1_11reduce_implILb1ES3_PiS7_iN6hipcub16HIPCUB_304000_NS6detail34convert_binary_result_type_wrapperINS9_3SumENS9_22TransformInputIteratorIbN2at6native12_GLOBAL__N_19NonZeroOpIN3c108BFloat16EEEPKSJ_lEEiEEEE10hipError_tPvRmT1_T2_T3_mT4_P12ihipStream_tbEUlT_E0_NS1_11comp_targetILNS1_3genE5ELNS1_11target_archE942ELNS1_3gpuE9ELNS1_3repE0EEENS1_30default_config_static_selectorELNS0_4arch9wavefront6targetE0EEEvSS_.has_indirect_call, 0
	.section	.AMDGPU.csdata,"",@progbits
; Kernel info:
; codeLenInByte = 0
; TotalNumSgprs: 0
; NumVgprs: 0
; ScratchSize: 0
; MemoryBound: 0
; FloatMode: 240
; IeeeMode: 1
; LDSByteSize: 0 bytes/workgroup (compile time only)
; SGPRBlocks: 0
; VGPRBlocks: 0
; NumSGPRsForWavesPerEU: 1
; NumVGPRsForWavesPerEU: 1
; Occupancy: 16
; WaveLimiterHint : 0
; COMPUTE_PGM_RSRC2:SCRATCH_EN: 0
; COMPUTE_PGM_RSRC2:USER_SGPR: 2
; COMPUTE_PGM_RSRC2:TRAP_HANDLER: 0
; COMPUTE_PGM_RSRC2:TGID_X_EN: 1
; COMPUTE_PGM_RSRC2:TGID_Y_EN: 0
; COMPUTE_PGM_RSRC2:TGID_Z_EN: 0
; COMPUTE_PGM_RSRC2:TIDIG_COMP_CNT: 0
	.section	.text._ZN7rocprim17ROCPRIM_400000_NS6detail17trampoline_kernelINS0_14default_configENS1_22reduce_config_selectorIiEEZNS1_11reduce_implILb1ES3_PiS7_iN6hipcub16HIPCUB_304000_NS6detail34convert_binary_result_type_wrapperINS9_3SumENS9_22TransformInputIteratorIbN2at6native12_GLOBAL__N_19NonZeroOpIN3c108BFloat16EEEPKSJ_lEEiEEEE10hipError_tPvRmT1_T2_T3_mT4_P12ihipStream_tbEUlT_E0_NS1_11comp_targetILNS1_3genE4ELNS1_11target_archE910ELNS1_3gpuE8ELNS1_3repE0EEENS1_30default_config_static_selectorELNS0_4arch9wavefront6targetE0EEEvSS_,"axG",@progbits,_ZN7rocprim17ROCPRIM_400000_NS6detail17trampoline_kernelINS0_14default_configENS1_22reduce_config_selectorIiEEZNS1_11reduce_implILb1ES3_PiS7_iN6hipcub16HIPCUB_304000_NS6detail34convert_binary_result_type_wrapperINS9_3SumENS9_22TransformInputIteratorIbN2at6native12_GLOBAL__N_19NonZeroOpIN3c108BFloat16EEEPKSJ_lEEiEEEE10hipError_tPvRmT1_T2_T3_mT4_P12ihipStream_tbEUlT_E0_NS1_11comp_targetILNS1_3genE4ELNS1_11target_archE910ELNS1_3gpuE8ELNS1_3repE0EEENS1_30default_config_static_selectorELNS0_4arch9wavefront6targetE0EEEvSS_,comdat
	.globl	_ZN7rocprim17ROCPRIM_400000_NS6detail17trampoline_kernelINS0_14default_configENS1_22reduce_config_selectorIiEEZNS1_11reduce_implILb1ES3_PiS7_iN6hipcub16HIPCUB_304000_NS6detail34convert_binary_result_type_wrapperINS9_3SumENS9_22TransformInputIteratorIbN2at6native12_GLOBAL__N_19NonZeroOpIN3c108BFloat16EEEPKSJ_lEEiEEEE10hipError_tPvRmT1_T2_T3_mT4_P12ihipStream_tbEUlT_E0_NS1_11comp_targetILNS1_3genE4ELNS1_11target_archE910ELNS1_3gpuE8ELNS1_3repE0EEENS1_30default_config_static_selectorELNS0_4arch9wavefront6targetE0EEEvSS_ ; -- Begin function _ZN7rocprim17ROCPRIM_400000_NS6detail17trampoline_kernelINS0_14default_configENS1_22reduce_config_selectorIiEEZNS1_11reduce_implILb1ES3_PiS7_iN6hipcub16HIPCUB_304000_NS6detail34convert_binary_result_type_wrapperINS9_3SumENS9_22TransformInputIteratorIbN2at6native12_GLOBAL__N_19NonZeroOpIN3c108BFloat16EEEPKSJ_lEEiEEEE10hipError_tPvRmT1_T2_T3_mT4_P12ihipStream_tbEUlT_E0_NS1_11comp_targetILNS1_3genE4ELNS1_11target_archE910ELNS1_3gpuE8ELNS1_3repE0EEENS1_30default_config_static_selectorELNS0_4arch9wavefront6targetE0EEEvSS_
	.p2align	8
	.type	_ZN7rocprim17ROCPRIM_400000_NS6detail17trampoline_kernelINS0_14default_configENS1_22reduce_config_selectorIiEEZNS1_11reduce_implILb1ES3_PiS7_iN6hipcub16HIPCUB_304000_NS6detail34convert_binary_result_type_wrapperINS9_3SumENS9_22TransformInputIteratorIbN2at6native12_GLOBAL__N_19NonZeroOpIN3c108BFloat16EEEPKSJ_lEEiEEEE10hipError_tPvRmT1_T2_T3_mT4_P12ihipStream_tbEUlT_E0_NS1_11comp_targetILNS1_3genE4ELNS1_11target_archE910ELNS1_3gpuE8ELNS1_3repE0EEENS1_30default_config_static_selectorELNS0_4arch9wavefront6targetE0EEEvSS_,@function
_ZN7rocprim17ROCPRIM_400000_NS6detail17trampoline_kernelINS0_14default_configENS1_22reduce_config_selectorIiEEZNS1_11reduce_implILb1ES3_PiS7_iN6hipcub16HIPCUB_304000_NS6detail34convert_binary_result_type_wrapperINS9_3SumENS9_22TransformInputIteratorIbN2at6native12_GLOBAL__N_19NonZeroOpIN3c108BFloat16EEEPKSJ_lEEiEEEE10hipError_tPvRmT1_T2_T3_mT4_P12ihipStream_tbEUlT_E0_NS1_11comp_targetILNS1_3genE4ELNS1_11target_archE910ELNS1_3gpuE8ELNS1_3repE0EEENS1_30default_config_static_selectorELNS0_4arch9wavefront6targetE0EEEvSS_: ; @_ZN7rocprim17ROCPRIM_400000_NS6detail17trampoline_kernelINS0_14default_configENS1_22reduce_config_selectorIiEEZNS1_11reduce_implILb1ES3_PiS7_iN6hipcub16HIPCUB_304000_NS6detail34convert_binary_result_type_wrapperINS9_3SumENS9_22TransformInputIteratorIbN2at6native12_GLOBAL__N_19NonZeroOpIN3c108BFloat16EEEPKSJ_lEEiEEEE10hipError_tPvRmT1_T2_T3_mT4_P12ihipStream_tbEUlT_E0_NS1_11comp_targetILNS1_3genE4ELNS1_11target_archE910ELNS1_3gpuE8ELNS1_3repE0EEENS1_30default_config_static_selectorELNS0_4arch9wavefront6targetE0EEEvSS_
; %bb.0:
	.section	.rodata,"a",@progbits
	.p2align	6, 0x0
	.amdhsa_kernel _ZN7rocprim17ROCPRIM_400000_NS6detail17trampoline_kernelINS0_14default_configENS1_22reduce_config_selectorIiEEZNS1_11reduce_implILb1ES3_PiS7_iN6hipcub16HIPCUB_304000_NS6detail34convert_binary_result_type_wrapperINS9_3SumENS9_22TransformInputIteratorIbN2at6native12_GLOBAL__N_19NonZeroOpIN3c108BFloat16EEEPKSJ_lEEiEEEE10hipError_tPvRmT1_T2_T3_mT4_P12ihipStream_tbEUlT_E0_NS1_11comp_targetILNS1_3genE4ELNS1_11target_archE910ELNS1_3gpuE8ELNS1_3repE0EEENS1_30default_config_static_selectorELNS0_4arch9wavefront6targetE0EEEvSS_
		.amdhsa_group_segment_fixed_size 0
		.amdhsa_private_segment_fixed_size 0
		.amdhsa_kernarg_size 56
		.amdhsa_user_sgpr_count 2
		.amdhsa_user_sgpr_dispatch_ptr 0
		.amdhsa_user_sgpr_queue_ptr 0
		.amdhsa_user_sgpr_kernarg_segment_ptr 1
		.amdhsa_user_sgpr_dispatch_id 0
		.amdhsa_user_sgpr_private_segment_size 0
		.amdhsa_wavefront_size32 1
		.amdhsa_uses_dynamic_stack 0
		.amdhsa_enable_private_segment 0
		.amdhsa_system_sgpr_workgroup_id_x 1
		.amdhsa_system_sgpr_workgroup_id_y 0
		.amdhsa_system_sgpr_workgroup_id_z 0
		.amdhsa_system_sgpr_workgroup_info 0
		.amdhsa_system_vgpr_workitem_id 0
		.amdhsa_next_free_vgpr 1
		.amdhsa_next_free_sgpr 1
		.amdhsa_reserve_vcc 0
		.amdhsa_float_round_mode_32 0
		.amdhsa_float_round_mode_16_64 0
		.amdhsa_float_denorm_mode_32 3
		.amdhsa_float_denorm_mode_16_64 3
		.amdhsa_fp16_overflow 0
		.amdhsa_workgroup_processor_mode 1
		.amdhsa_memory_ordered 1
		.amdhsa_forward_progress 1
		.amdhsa_inst_pref_size 0
		.amdhsa_round_robin_scheduling 0
		.amdhsa_exception_fp_ieee_invalid_op 0
		.amdhsa_exception_fp_denorm_src 0
		.amdhsa_exception_fp_ieee_div_zero 0
		.amdhsa_exception_fp_ieee_overflow 0
		.amdhsa_exception_fp_ieee_underflow 0
		.amdhsa_exception_fp_ieee_inexact 0
		.amdhsa_exception_int_div_zero 0
	.end_amdhsa_kernel
	.section	.text._ZN7rocprim17ROCPRIM_400000_NS6detail17trampoline_kernelINS0_14default_configENS1_22reduce_config_selectorIiEEZNS1_11reduce_implILb1ES3_PiS7_iN6hipcub16HIPCUB_304000_NS6detail34convert_binary_result_type_wrapperINS9_3SumENS9_22TransformInputIteratorIbN2at6native12_GLOBAL__N_19NonZeroOpIN3c108BFloat16EEEPKSJ_lEEiEEEE10hipError_tPvRmT1_T2_T3_mT4_P12ihipStream_tbEUlT_E0_NS1_11comp_targetILNS1_3genE4ELNS1_11target_archE910ELNS1_3gpuE8ELNS1_3repE0EEENS1_30default_config_static_selectorELNS0_4arch9wavefront6targetE0EEEvSS_,"axG",@progbits,_ZN7rocprim17ROCPRIM_400000_NS6detail17trampoline_kernelINS0_14default_configENS1_22reduce_config_selectorIiEEZNS1_11reduce_implILb1ES3_PiS7_iN6hipcub16HIPCUB_304000_NS6detail34convert_binary_result_type_wrapperINS9_3SumENS9_22TransformInputIteratorIbN2at6native12_GLOBAL__N_19NonZeroOpIN3c108BFloat16EEEPKSJ_lEEiEEEE10hipError_tPvRmT1_T2_T3_mT4_P12ihipStream_tbEUlT_E0_NS1_11comp_targetILNS1_3genE4ELNS1_11target_archE910ELNS1_3gpuE8ELNS1_3repE0EEENS1_30default_config_static_selectorELNS0_4arch9wavefront6targetE0EEEvSS_,comdat
.Lfunc_end764:
	.size	_ZN7rocprim17ROCPRIM_400000_NS6detail17trampoline_kernelINS0_14default_configENS1_22reduce_config_selectorIiEEZNS1_11reduce_implILb1ES3_PiS7_iN6hipcub16HIPCUB_304000_NS6detail34convert_binary_result_type_wrapperINS9_3SumENS9_22TransformInputIteratorIbN2at6native12_GLOBAL__N_19NonZeroOpIN3c108BFloat16EEEPKSJ_lEEiEEEE10hipError_tPvRmT1_T2_T3_mT4_P12ihipStream_tbEUlT_E0_NS1_11comp_targetILNS1_3genE4ELNS1_11target_archE910ELNS1_3gpuE8ELNS1_3repE0EEENS1_30default_config_static_selectorELNS0_4arch9wavefront6targetE0EEEvSS_, .Lfunc_end764-_ZN7rocprim17ROCPRIM_400000_NS6detail17trampoline_kernelINS0_14default_configENS1_22reduce_config_selectorIiEEZNS1_11reduce_implILb1ES3_PiS7_iN6hipcub16HIPCUB_304000_NS6detail34convert_binary_result_type_wrapperINS9_3SumENS9_22TransformInputIteratorIbN2at6native12_GLOBAL__N_19NonZeroOpIN3c108BFloat16EEEPKSJ_lEEiEEEE10hipError_tPvRmT1_T2_T3_mT4_P12ihipStream_tbEUlT_E0_NS1_11comp_targetILNS1_3genE4ELNS1_11target_archE910ELNS1_3gpuE8ELNS1_3repE0EEENS1_30default_config_static_selectorELNS0_4arch9wavefront6targetE0EEEvSS_
                                        ; -- End function
	.set _ZN7rocprim17ROCPRIM_400000_NS6detail17trampoline_kernelINS0_14default_configENS1_22reduce_config_selectorIiEEZNS1_11reduce_implILb1ES3_PiS7_iN6hipcub16HIPCUB_304000_NS6detail34convert_binary_result_type_wrapperINS9_3SumENS9_22TransformInputIteratorIbN2at6native12_GLOBAL__N_19NonZeroOpIN3c108BFloat16EEEPKSJ_lEEiEEEE10hipError_tPvRmT1_T2_T3_mT4_P12ihipStream_tbEUlT_E0_NS1_11comp_targetILNS1_3genE4ELNS1_11target_archE910ELNS1_3gpuE8ELNS1_3repE0EEENS1_30default_config_static_selectorELNS0_4arch9wavefront6targetE0EEEvSS_.num_vgpr, 0
	.set _ZN7rocprim17ROCPRIM_400000_NS6detail17trampoline_kernelINS0_14default_configENS1_22reduce_config_selectorIiEEZNS1_11reduce_implILb1ES3_PiS7_iN6hipcub16HIPCUB_304000_NS6detail34convert_binary_result_type_wrapperINS9_3SumENS9_22TransformInputIteratorIbN2at6native12_GLOBAL__N_19NonZeroOpIN3c108BFloat16EEEPKSJ_lEEiEEEE10hipError_tPvRmT1_T2_T3_mT4_P12ihipStream_tbEUlT_E0_NS1_11comp_targetILNS1_3genE4ELNS1_11target_archE910ELNS1_3gpuE8ELNS1_3repE0EEENS1_30default_config_static_selectorELNS0_4arch9wavefront6targetE0EEEvSS_.num_agpr, 0
	.set _ZN7rocprim17ROCPRIM_400000_NS6detail17trampoline_kernelINS0_14default_configENS1_22reduce_config_selectorIiEEZNS1_11reduce_implILb1ES3_PiS7_iN6hipcub16HIPCUB_304000_NS6detail34convert_binary_result_type_wrapperINS9_3SumENS9_22TransformInputIteratorIbN2at6native12_GLOBAL__N_19NonZeroOpIN3c108BFloat16EEEPKSJ_lEEiEEEE10hipError_tPvRmT1_T2_T3_mT4_P12ihipStream_tbEUlT_E0_NS1_11comp_targetILNS1_3genE4ELNS1_11target_archE910ELNS1_3gpuE8ELNS1_3repE0EEENS1_30default_config_static_selectorELNS0_4arch9wavefront6targetE0EEEvSS_.numbered_sgpr, 0
	.set _ZN7rocprim17ROCPRIM_400000_NS6detail17trampoline_kernelINS0_14default_configENS1_22reduce_config_selectorIiEEZNS1_11reduce_implILb1ES3_PiS7_iN6hipcub16HIPCUB_304000_NS6detail34convert_binary_result_type_wrapperINS9_3SumENS9_22TransformInputIteratorIbN2at6native12_GLOBAL__N_19NonZeroOpIN3c108BFloat16EEEPKSJ_lEEiEEEE10hipError_tPvRmT1_T2_T3_mT4_P12ihipStream_tbEUlT_E0_NS1_11comp_targetILNS1_3genE4ELNS1_11target_archE910ELNS1_3gpuE8ELNS1_3repE0EEENS1_30default_config_static_selectorELNS0_4arch9wavefront6targetE0EEEvSS_.num_named_barrier, 0
	.set _ZN7rocprim17ROCPRIM_400000_NS6detail17trampoline_kernelINS0_14default_configENS1_22reduce_config_selectorIiEEZNS1_11reduce_implILb1ES3_PiS7_iN6hipcub16HIPCUB_304000_NS6detail34convert_binary_result_type_wrapperINS9_3SumENS9_22TransformInputIteratorIbN2at6native12_GLOBAL__N_19NonZeroOpIN3c108BFloat16EEEPKSJ_lEEiEEEE10hipError_tPvRmT1_T2_T3_mT4_P12ihipStream_tbEUlT_E0_NS1_11comp_targetILNS1_3genE4ELNS1_11target_archE910ELNS1_3gpuE8ELNS1_3repE0EEENS1_30default_config_static_selectorELNS0_4arch9wavefront6targetE0EEEvSS_.private_seg_size, 0
	.set _ZN7rocprim17ROCPRIM_400000_NS6detail17trampoline_kernelINS0_14default_configENS1_22reduce_config_selectorIiEEZNS1_11reduce_implILb1ES3_PiS7_iN6hipcub16HIPCUB_304000_NS6detail34convert_binary_result_type_wrapperINS9_3SumENS9_22TransformInputIteratorIbN2at6native12_GLOBAL__N_19NonZeroOpIN3c108BFloat16EEEPKSJ_lEEiEEEE10hipError_tPvRmT1_T2_T3_mT4_P12ihipStream_tbEUlT_E0_NS1_11comp_targetILNS1_3genE4ELNS1_11target_archE910ELNS1_3gpuE8ELNS1_3repE0EEENS1_30default_config_static_selectorELNS0_4arch9wavefront6targetE0EEEvSS_.uses_vcc, 0
	.set _ZN7rocprim17ROCPRIM_400000_NS6detail17trampoline_kernelINS0_14default_configENS1_22reduce_config_selectorIiEEZNS1_11reduce_implILb1ES3_PiS7_iN6hipcub16HIPCUB_304000_NS6detail34convert_binary_result_type_wrapperINS9_3SumENS9_22TransformInputIteratorIbN2at6native12_GLOBAL__N_19NonZeroOpIN3c108BFloat16EEEPKSJ_lEEiEEEE10hipError_tPvRmT1_T2_T3_mT4_P12ihipStream_tbEUlT_E0_NS1_11comp_targetILNS1_3genE4ELNS1_11target_archE910ELNS1_3gpuE8ELNS1_3repE0EEENS1_30default_config_static_selectorELNS0_4arch9wavefront6targetE0EEEvSS_.uses_flat_scratch, 0
	.set _ZN7rocprim17ROCPRIM_400000_NS6detail17trampoline_kernelINS0_14default_configENS1_22reduce_config_selectorIiEEZNS1_11reduce_implILb1ES3_PiS7_iN6hipcub16HIPCUB_304000_NS6detail34convert_binary_result_type_wrapperINS9_3SumENS9_22TransformInputIteratorIbN2at6native12_GLOBAL__N_19NonZeroOpIN3c108BFloat16EEEPKSJ_lEEiEEEE10hipError_tPvRmT1_T2_T3_mT4_P12ihipStream_tbEUlT_E0_NS1_11comp_targetILNS1_3genE4ELNS1_11target_archE910ELNS1_3gpuE8ELNS1_3repE0EEENS1_30default_config_static_selectorELNS0_4arch9wavefront6targetE0EEEvSS_.has_dyn_sized_stack, 0
	.set _ZN7rocprim17ROCPRIM_400000_NS6detail17trampoline_kernelINS0_14default_configENS1_22reduce_config_selectorIiEEZNS1_11reduce_implILb1ES3_PiS7_iN6hipcub16HIPCUB_304000_NS6detail34convert_binary_result_type_wrapperINS9_3SumENS9_22TransformInputIteratorIbN2at6native12_GLOBAL__N_19NonZeroOpIN3c108BFloat16EEEPKSJ_lEEiEEEE10hipError_tPvRmT1_T2_T3_mT4_P12ihipStream_tbEUlT_E0_NS1_11comp_targetILNS1_3genE4ELNS1_11target_archE910ELNS1_3gpuE8ELNS1_3repE0EEENS1_30default_config_static_selectorELNS0_4arch9wavefront6targetE0EEEvSS_.has_recursion, 0
	.set _ZN7rocprim17ROCPRIM_400000_NS6detail17trampoline_kernelINS0_14default_configENS1_22reduce_config_selectorIiEEZNS1_11reduce_implILb1ES3_PiS7_iN6hipcub16HIPCUB_304000_NS6detail34convert_binary_result_type_wrapperINS9_3SumENS9_22TransformInputIteratorIbN2at6native12_GLOBAL__N_19NonZeroOpIN3c108BFloat16EEEPKSJ_lEEiEEEE10hipError_tPvRmT1_T2_T3_mT4_P12ihipStream_tbEUlT_E0_NS1_11comp_targetILNS1_3genE4ELNS1_11target_archE910ELNS1_3gpuE8ELNS1_3repE0EEENS1_30default_config_static_selectorELNS0_4arch9wavefront6targetE0EEEvSS_.has_indirect_call, 0
	.section	.AMDGPU.csdata,"",@progbits
; Kernel info:
; codeLenInByte = 0
; TotalNumSgprs: 0
; NumVgprs: 0
; ScratchSize: 0
; MemoryBound: 0
; FloatMode: 240
; IeeeMode: 1
; LDSByteSize: 0 bytes/workgroup (compile time only)
; SGPRBlocks: 0
; VGPRBlocks: 0
; NumSGPRsForWavesPerEU: 1
; NumVGPRsForWavesPerEU: 1
; Occupancy: 16
; WaveLimiterHint : 0
; COMPUTE_PGM_RSRC2:SCRATCH_EN: 0
; COMPUTE_PGM_RSRC2:USER_SGPR: 2
; COMPUTE_PGM_RSRC2:TRAP_HANDLER: 0
; COMPUTE_PGM_RSRC2:TGID_X_EN: 1
; COMPUTE_PGM_RSRC2:TGID_Y_EN: 0
; COMPUTE_PGM_RSRC2:TGID_Z_EN: 0
; COMPUTE_PGM_RSRC2:TIDIG_COMP_CNT: 0
	.section	.text._ZN7rocprim17ROCPRIM_400000_NS6detail17trampoline_kernelINS0_14default_configENS1_22reduce_config_selectorIiEEZNS1_11reduce_implILb1ES3_PiS7_iN6hipcub16HIPCUB_304000_NS6detail34convert_binary_result_type_wrapperINS9_3SumENS9_22TransformInputIteratorIbN2at6native12_GLOBAL__N_19NonZeroOpIN3c108BFloat16EEEPKSJ_lEEiEEEE10hipError_tPvRmT1_T2_T3_mT4_P12ihipStream_tbEUlT_E0_NS1_11comp_targetILNS1_3genE3ELNS1_11target_archE908ELNS1_3gpuE7ELNS1_3repE0EEENS1_30default_config_static_selectorELNS0_4arch9wavefront6targetE0EEEvSS_,"axG",@progbits,_ZN7rocprim17ROCPRIM_400000_NS6detail17trampoline_kernelINS0_14default_configENS1_22reduce_config_selectorIiEEZNS1_11reduce_implILb1ES3_PiS7_iN6hipcub16HIPCUB_304000_NS6detail34convert_binary_result_type_wrapperINS9_3SumENS9_22TransformInputIteratorIbN2at6native12_GLOBAL__N_19NonZeroOpIN3c108BFloat16EEEPKSJ_lEEiEEEE10hipError_tPvRmT1_T2_T3_mT4_P12ihipStream_tbEUlT_E0_NS1_11comp_targetILNS1_3genE3ELNS1_11target_archE908ELNS1_3gpuE7ELNS1_3repE0EEENS1_30default_config_static_selectorELNS0_4arch9wavefront6targetE0EEEvSS_,comdat
	.globl	_ZN7rocprim17ROCPRIM_400000_NS6detail17trampoline_kernelINS0_14default_configENS1_22reduce_config_selectorIiEEZNS1_11reduce_implILb1ES3_PiS7_iN6hipcub16HIPCUB_304000_NS6detail34convert_binary_result_type_wrapperINS9_3SumENS9_22TransformInputIteratorIbN2at6native12_GLOBAL__N_19NonZeroOpIN3c108BFloat16EEEPKSJ_lEEiEEEE10hipError_tPvRmT1_T2_T3_mT4_P12ihipStream_tbEUlT_E0_NS1_11comp_targetILNS1_3genE3ELNS1_11target_archE908ELNS1_3gpuE7ELNS1_3repE0EEENS1_30default_config_static_selectorELNS0_4arch9wavefront6targetE0EEEvSS_ ; -- Begin function _ZN7rocprim17ROCPRIM_400000_NS6detail17trampoline_kernelINS0_14default_configENS1_22reduce_config_selectorIiEEZNS1_11reduce_implILb1ES3_PiS7_iN6hipcub16HIPCUB_304000_NS6detail34convert_binary_result_type_wrapperINS9_3SumENS9_22TransformInputIteratorIbN2at6native12_GLOBAL__N_19NonZeroOpIN3c108BFloat16EEEPKSJ_lEEiEEEE10hipError_tPvRmT1_T2_T3_mT4_P12ihipStream_tbEUlT_E0_NS1_11comp_targetILNS1_3genE3ELNS1_11target_archE908ELNS1_3gpuE7ELNS1_3repE0EEENS1_30default_config_static_selectorELNS0_4arch9wavefront6targetE0EEEvSS_
	.p2align	8
	.type	_ZN7rocprim17ROCPRIM_400000_NS6detail17trampoline_kernelINS0_14default_configENS1_22reduce_config_selectorIiEEZNS1_11reduce_implILb1ES3_PiS7_iN6hipcub16HIPCUB_304000_NS6detail34convert_binary_result_type_wrapperINS9_3SumENS9_22TransformInputIteratorIbN2at6native12_GLOBAL__N_19NonZeroOpIN3c108BFloat16EEEPKSJ_lEEiEEEE10hipError_tPvRmT1_T2_T3_mT4_P12ihipStream_tbEUlT_E0_NS1_11comp_targetILNS1_3genE3ELNS1_11target_archE908ELNS1_3gpuE7ELNS1_3repE0EEENS1_30default_config_static_selectorELNS0_4arch9wavefront6targetE0EEEvSS_,@function
_ZN7rocprim17ROCPRIM_400000_NS6detail17trampoline_kernelINS0_14default_configENS1_22reduce_config_selectorIiEEZNS1_11reduce_implILb1ES3_PiS7_iN6hipcub16HIPCUB_304000_NS6detail34convert_binary_result_type_wrapperINS9_3SumENS9_22TransformInputIteratorIbN2at6native12_GLOBAL__N_19NonZeroOpIN3c108BFloat16EEEPKSJ_lEEiEEEE10hipError_tPvRmT1_T2_T3_mT4_P12ihipStream_tbEUlT_E0_NS1_11comp_targetILNS1_3genE3ELNS1_11target_archE908ELNS1_3gpuE7ELNS1_3repE0EEENS1_30default_config_static_selectorELNS0_4arch9wavefront6targetE0EEEvSS_: ; @_ZN7rocprim17ROCPRIM_400000_NS6detail17trampoline_kernelINS0_14default_configENS1_22reduce_config_selectorIiEEZNS1_11reduce_implILb1ES3_PiS7_iN6hipcub16HIPCUB_304000_NS6detail34convert_binary_result_type_wrapperINS9_3SumENS9_22TransformInputIteratorIbN2at6native12_GLOBAL__N_19NonZeroOpIN3c108BFloat16EEEPKSJ_lEEiEEEE10hipError_tPvRmT1_T2_T3_mT4_P12ihipStream_tbEUlT_E0_NS1_11comp_targetILNS1_3genE3ELNS1_11target_archE908ELNS1_3gpuE7ELNS1_3repE0EEENS1_30default_config_static_selectorELNS0_4arch9wavefront6targetE0EEEvSS_
; %bb.0:
	.section	.rodata,"a",@progbits
	.p2align	6, 0x0
	.amdhsa_kernel _ZN7rocprim17ROCPRIM_400000_NS6detail17trampoline_kernelINS0_14default_configENS1_22reduce_config_selectorIiEEZNS1_11reduce_implILb1ES3_PiS7_iN6hipcub16HIPCUB_304000_NS6detail34convert_binary_result_type_wrapperINS9_3SumENS9_22TransformInputIteratorIbN2at6native12_GLOBAL__N_19NonZeroOpIN3c108BFloat16EEEPKSJ_lEEiEEEE10hipError_tPvRmT1_T2_T3_mT4_P12ihipStream_tbEUlT_E0_NS1_11comp_targetILNS1_3genE3ELNS1_11target_archE908ELNS1_3gpuE7ELNS1_3repE0EEENS1_30default_config_static_selectorELNS0_4arch9wavefront6targetE0EEEvSS_
		.amdhsa_group_segment_fixed_size 0
		.amdhsa_private_segment_fixed_size 0
		.amdhsa_kernarg_size 56
		.amdhsa_user_sgpr_count 2
		.amdhsa_user_sgpr_dispatch_ptr 0
		.amdhsa_user_sgpr_queue_ptr 0
		.amdhsa_user_sgpr_kernarg_segment_ptr 1
		.amdhsa_user_sgpr_dispatch_id 0
		.amdhsa_user_sgpr_private_segment_size 0
		.amdhsa_wavefront_size32 1
		.amdhsa_uses_dynamic_stack 0
		.amdhsa_enable_private_segment 0
		.amdhsa_system_sgpr_workgroup_id_x 1
		.amdhsa_system_sgpr_workgroup_id_y 0
		.amdhsa_system_sgpr_workgroup_id_z 0
		.amdhsa_system_sgpr_workgroup_info 0
		.amdhsa_system_vgpr_workitem_id 0
		.amdhsa_next_free_vgpr 1
		.amdhsa_next_free_sgpr 1
		.amdhsa_reserve_vcc 0
		.amdhsa_float_round_mode_32 0
		.amdhsa_float_round_mode_16_64 0
		.amdhsa_float_denorm_mode_32 3
		.amdhsa_float_denorm_mode_16_64 3
		.amdhsa_fp16_overflow 0
		.amdhsa_workgroup_processor_mode 1
		.amdhsa_memory_ordered 1
		.amdhsa_forward_progress 1
		.amdhsa_inst_pref_size 0
		.amdhsa_round_robin_scheduling 0
		.amdhsa_exception_fp_ieee_invalid_op 0
		.amdhsa_exception_fp_denorm_src 0
		.amdhsa_exception_fp_ieee_div_zero 0
		.amdhsa_exception_fp_ieee_overflow 0
		.amdhsa_exception_fp_ieee_underflow 0
		.amdhsa_exception_fp_ieee_inexact 0
		.amdhsa_exception_int_div_zero 0
	.end_amdhsa_kernel
	.section	.text._ZN7rocprim17ROCPRIM_400000_NS6detail17trampoline_kernelINS0_14default_configENS1_22reduce_config_selectorIiEEZNS1_11reduce_implILb1ES3_PiS7_iN6hipcub16HIPCUB_304000_NS6detail34convert_binary_result_type_wrapperINS9_3SumENS9_22TransformInputIteratorIbN2at6native12_GLOBAL__N_19NonZeroOpIN3c108BFloat16EEEPKSJ_lEEiEEEE10hipError_tPvRmT1_T2_T3_mT4_P12ihipStream_tbEUlT_E0_NS1_11comp_targetILNS1_3genE3ELNS1_11target_archE908ELNS1_3gpuE7ELNS1_3repE0EEENS1_30default_config_static_selectorELNS0_4arch9wavefront6targetE0EEEvSS_,"axG",@progbits,_ZN7rocprim17ROCPRIM_400000_NS6detail17trampoline_kernelINS0_14default_configENS1_22reduce_config_selectorIiEEZNS1_11reduce_implILb1ES3_PiS7_iN6hipcub16HIPCUB_304000_NS6detail34convert_binary_result_type_wrapperINS9_3SumENS9_22TransformInputIteratorIbN2at6native12_GLOBAL__N_19NonZeroOpIN3c108BFloat16EEEPKSJ_lEEiEEEE10hipError_tPvRmT1_T2_T3_mT4_P12ihipStream_tbEUlT_E0_NS1_11comp_targetILNS1_3genE3ELNS1_11target_archE908ELNS1_3gpuE7ELNS1_3repE0EEENS1_30default_config_static_selectorELNS0_4arch9wavefront6targetE0EEEvSS_,comdat
.Lfunc_end765:
	.size	_ZN7rocprim17ROCPRIM_400000_NS6detail17trampoline_kernelINS0_14default_configENS1_22reduce_config_selectorIiEEZNS1_11reduce_implILb1ES3_PiS7_iN6hipcub16HIPCUB_304000_NS6detail34convert_binary_result_type_wrapperINS9_3SumENS9_22TransformInputIteratorIbN2at6native12_GLOBAL__N_19NonZeroOpIN3c108BFloat16EEEPKSJ_lEEiEEEE10hipError_tPvRmT1_T2_T3_mT4_P12ihipStream_tbEUlT_E0_NS1_11comp_targetILNS1_3genE3ELNS1_11target_archE908ELNS1_3gpuE7ELNS1_3repE0EEENS1_30default_config_static_selectorELNS0_4arch9wavefront6targetE0EEEvSS_, .Lfunc_end765-_ZN7rocprim17ROCPRIM_400000_NS6detail17trampoline_kernelINS0_14default_configENS1_22reduce_config_selectorIiEEZNS1_11reduce_implILb1ES3_PiS7_iN6hipcub16HIPCUB_304000_NS6detail34convert_binary_result_type_wrapperINS9_3SumENS9_22TransformInputIteratorIbN2at6native12_GLOBAL__N_19NonZeroOpIN3c108BFloat16EEEPKSJ_lEEiEEEE10hipError_tPvRmT1_T2_T3_mT4_P12ihipStream_tbEUlT_E0_NS1_11comp_targetILNS1_3genE3ELNS1_11target_archE908ELNS1_3gpuE7ELNS1_3repE0EEENS1_30default_config_static_selectorELNS0_4arch9wavefront6targetE0EEEvSS_
                                        ; -- End function
	.set _ZN7rocprim17ROCPRIM_400000_NS6detail17trampoline_kernelINS0_14default_configENS1_22reduce_config_selectorIiEEZNS1_11reduce_implILb1ES3_PiS7_iN6hipcub16HIPCUB_304000_NS6detail34convert_binary_result_type_wrapperINS9_3SumENS9_22TransformInputIteratorIbN2at6native12_GLOBAL__N_19NonZeroOpIN3c108BFloat16EEEPKSJ_lEEiEEEE10hipError_tPvRmT1_T2_T3_mT4_P12ihipStream_tbEUlT_E0_NS1_11comp_targetILNS1_3genE3ELNS1_11target_archE908ELNS1_3gpuE7ELNS1_3repE0EEENS1_30default_config_static_selectorELNS0_4arch9wavefront6targetE0EEEvSS_.num_vgpr, 0
	.set _ZN7rocprim17ROCPRIM_400000_NS6detail17trampoline_kernelINS0_14default_configENS1_22reduce_config_selectorIiEEZNS1_11reduce_implILb1ES3_PiS7_iN6hipcub16HIPCUB_304000_NS6detail34convert_binary_result_type_wrapperINS9_3SumENS9_22TransformInputIteratorIbN2at6native12_GLOBAL__N_19NonZeroOpIN3c108BFloat16EEEPKSJ_lEEiEEEE10hipError_tPvRmT1_T2_T3_mT4_P12ihipStream_tbEUlT_E0_NS1_11comp_targetILNS1_3genE3ELNS1_11target_archE908ELNS1_3gpuE7ELNS1_3repE0EEENS1_30default_config_static_selectorELNS0_4arch9wavefront6targetE0EEEvSS_.num_agpr, 0
	.set _ZN7rocprim17ROCPRIM_400000_NS6detail17trampoline_kernelINS0_14default_configENS1_22reduce_config_selectorIiEEZNS1_11reduce_implILb1ES3_PiS7_iN6hipcub16HIPCUB_304000_NS6detail34convert_binary_result_type_wrapperINS9_3SumENS9_22TransformInputIteratorIbN2at6native12_GLOBAL__N_19NonZeroOpIN3c108BFloat16EEEPKSJ_lEEiEEEE10hipError_tPvRmT1_T2_T3_mT4_P12ihipStream_tbEUlT_E0_NS1_11comp_targetILNS1_3genE3ELNS1_11target_archE908ELNS1_3gpuE7ELNS1_3repE0EEENS1_30default_config_static_selectorELNS0_4arch9wavefront6targetE0EEEvSS_.numbered_sgpr, 0
	.set _ZN7rocprim17ROCPRIM_400000_NS6detail17trampoline_kernelINS0_14default_configENS1_22reduce_config_selectorIiEEZNS1_11reduce_implILb1ES3_PiS7_iN6hipcub16HIPCUB_304000_NS6detail34convert_binary_result_type_wrapperINS9_3SumENS9_22TransformInputIteratorIbN2at6native12_GLOBAL__N_19NonZeroOpIN3c108BFloat16EEEPKSJ_lEEiEEEE10hipError_tPvRmT1_T2_T3_mT4_P12ihipStream_tbEUlT_E0_NS1_11comp_targetILNS1_3genE3ELNS1_11target_archE908ELNS1_3gpuE7ELNS1_3repE0EEENS1_30default_config_static_selectorELNS0_4arch9wavefront6targetE0EEEvSS_.num_named_barrier, 0
	.set _ZN7rocprim17ROCPRIM_400000_NS6detail17trampoline_kernelINS0_14default_configENS1_22reduce_config_selectorIiEEZNS1_11reduce_implILb1ES3_PiS7_iN6hipcub16HIPCUB_304000_NS6detail34convert_binary_result_type_wrapperINS9_3SumENS9_22TransformInputIteratorIbN2at6native12_GLOBAL__N_19NonZeroOpIN3c108BFloat16EEEPKSJ_lEEiEEEE10hipError_tPvRmT1_T2_T3_mT4_P12ihipStream_tbEUlT_E0_NS1_11comp_targetILNS1_3genE3ELNS1_11target_archE908ELNS1_3gpuE7ELNS1_3repE0EEENS1_30default_config_static_selectorELNS0_4arch9wavefront6targetE0EEEvSS_.private_seg_size, 0
	.set _ZN7rocprim17ROCPRIM_400000_NS6detail17trampoline_kernelINS0_14default_configENS1_22reduce_config_selectorIiEEZNS1_11reduce_implILb1ES3_PiS7_iN6hipcub16HIPCUB_304000_NS6detail34convert_binary_result_type_wrapperINS9_3SumENS9_22TransformInputIteratorIbN2at6native12_GLOBAL__N_19NonZeroOpIN3c108BFloat16EEEPKSJ_lEEiEEEE10hipError_tPvRmT1_T2_T3_mT4_P12ihipStream_tbEUlT_E0_NS1_11comp_targetILNS1_3genE3ELNS1_11target_archE908ELNS1_3gpuE7ELNS1_3repE0EEENS1_30default_config_static_selectorELNS0_4arch9wavefront6targetE0EEEvSS_.uses_vcc, 0
	.set _ZN7rocprim17ROCPRIM_400000_NS6detail17trampoline_kernelINS0_14default_configENS1_22reduce_config_selectorIiEEZNS1_11reduce_implILb1ES3_PiS7_iN6hipcub16HIPCUB_304000_NS6detail34convert_binary_result_type_wrapperINS9_3SumENS9_22TransformInputIteratorIbN2at6native12_GLOBAL__N_19NonZeroOpIN3c108BFloat16EEEPKSJ_lEEiEEEE10hipError_tPvRmT1_T2_T3_mT4_P12ihipStream_tbEUlT_E0_NS1_11comp_targetILNS1_3genE3ELNS1_11target_archE908ELNS1_3gpuE7ELNS1_3repE0EEENS1_30default_config_static_selectorELNS0_4arch9wavefront6targetE0EEEvSS_.uses_flat_scratch, 0
	.set _ZN7rocprim17ROCPRIM_400000_NS6detail17trampoline_kernelINS0_14default_configENS1_22reduce_config_selectorIiEEZNS1_11reduce_implILb1ES3_PiS7_iN6hipcub16HIPCUB_304000_NS6detail34convert_binary_result_type_wrapperINS9_3SumENS9_22TransformInputIteratorIbN2at6native12_GLOBAL__N_19NonZeroOpIN3c108BFloat16EEEPKSJ_lEEiEEEE10hipError_tPvRmT1_T2_T3_mT4_P12ihipStream_tbEUlT_E0_NS1_11comp_targetILNS1_3genE3ELNS1_11target_archE908ELNS1_3gpuE7ELNS1_3repE0EEENS1_30default_config_static_selectorELNS0_4arch9wavefront6targetE0EEEvSS_.has_dyn_sized_stack, 0
	.set _ZN7rocprim17ROCPRIM_400000_NS6detail17trampoline_kernelINS0_14default_configENS1_22reduce_config_selectorIiEEZNS1_11reduce_implILb1ES3_PiS7_iN6hipcub16HIPCUB_304000_NS6detail34convert_binary_result_type_wrapperINS9_3SumENS9_22TransformInputIteratorIbN2at6native12_GLOBAL__N_19NonZeroOpIN3c108BFloat16EEEPKSJ_lEEiEEEE10hipError_tPvRmT1_T2_T3_mT4_P12ihipStream_tbEUlT_E0_NS1_11comp_targetILNS1_3genE3ELNS1_11target_archE908ELNS1_3gpuE7ELNS1_3repE0EEENS1_30default_config_static_selectorELNS0_4arch9wavefront6targetE0EEEvSS_.has_recursion, 0
	.set _ZN7rocprim17ROCPRIM_400000_NS6detail17trampoline_kernelINS0_14default_configENS1_22reduce_config_selectorIiEEZNS1_11reduce_implILb1ES3_PiS7_iN6hipcub16HIPCUB_304000_NS6detail34convert_binary_result_type_wrapperINS9_3SumENS9_22TransformInputIteratorIbN2at6native12_GLOBAL__N_19NonZeroOpIN3c108BFloat16EEEPKSJ_lEEiEEEE10hipError_tPvRmT1_T2_T3_mT4_P12ihipStream_tbEUlT_E0_NS1_11comp_targetILNS1_3genE3ELNS1_11target_archE908ELNS1_3gpuE7ELNS1_3repE0EEENS1_30default_config_static_selectorELNS0_4arch9wavefront6targetE0EEEvSS_.has_indirect_call, 0
	.section	.AMDGPU.csdata,"",@progbits
; Kernel info:
; codeLenInByte = 0
; TotalNumSgprs: 0
; NumVgprs: 0
; ScratchSize: 0
; MemoryBound: 0
; FloatMode: 240
; IeeeMode: 1
; LDSByteSize: 0 bytes/workgroup (compile time only)
; SGPRBlocks: 0
; VGPRBlocks: 0
; NumSGPRsForWavesPerEU: 1
; NumVGPRsForWavesPerEU: 1
; Occupancy: 16
; WaveLimiterHint : 0
; COMPUTE_PGM_RSRC2:SCRATCH_EN: 0
; COMPUTE_PGM_RSRC2:USER_SGPR: 2
; COMPUTE_PGM_RSRC2:TRAP_HANDLER: 0
; COMPUTE_PGM_RSRC2:TGID_X_EN: 1
; COMPUTE_PGM_RSRC2:TGID_Y_EN: 0
; COMPUTE_PGM_RSRC2:TGID_Z_EN: 0
; COMPUTE_PGM_RSRC2:TIDIG_COMP_CNT: 0
	.section	.text._ZN7rocprim17ROCPRIM_400000_NS6detail17trampoline_kernelINS0_14default_configENS1_22reduce_config_selectorIiEEZNS1_11reduce_implILb1ES3_PiS7_iN6hipcub16HIPCUB_304000_NS6detail34convert_binary_result_type_wrapperINS9_3SumENS9_22TransformInputIteratorIbN2at6native12_GLOBAL__N_19NonZeroOpIN3c108BFloat16EEEPKSJ_lEEiEEEE10hipError_tPvRmT1_T2_T3_mT4_P12ihipStream_tbEUlT_E0_NS1_11comp_targetILNS1_3genE2ELNS1_11target_archE906ELNS1_3gpuE6ELNS1_3repE0EEENS1_30default_config_static_selectorELNS0_4arch9wavefront6targetE0EEEvSS_,"axG",@progbits,_ZN7rocprim17ROCPRIM_400000_NS6detail17trampoline_kernelINS0_14default_configENS1_22reduce_config_selectorIiEEZNS1_11reduce_implILb1ES3_PiS7_iN6hipcub16HIPCUB_304000_NS6detail34convert_binary_result_type_wrapperINS9_3SumENS9_22TransformInputIteratorIbN2at6native12_GLOBAL__N_19NonZeroOpIN3c108BFloat16EEEPKSJ_lEEiEEEE10hipError_tPvRmT1_T2_T3_mT4_P12ihipStream_tbEUlT_E0_NS1_11comp_targetILNS1_3genE2ELNS1_11target_archE906ELNS1_3gpuE6ELNS1_3repE0EEENS1_30default_config_static_selectorELNS0_4arch9wavefront6targetE0EEEvSS_,comdat
	.globl	_ZN7rocprim17ROCPRIM_400000_NS6detail17trampoline_kernelINS0_14default_configENS1_22reduce_config_selectorIiEEZNS1_11reduce_implILb1ES3_PiS7_iN6hipcub16HIPCUB_304000_NS6detail34convert_binary_result_type_wrapperINS9_3SumENS9_22TransformInputIteratorIbN2at6native12_GLOBAL__N_19NonZeroOpIN3c108BFloat16EEEPKSJ_lEEiEEEE10hipError_tPvRmT1_T2_T3_mT4_P12ihipStream_tbEUlT_E0_NS1_11comp_targetILNS1_3genE2ELNS1_11target_archE906ELNS1_3gpuE6ELNS1_3repE0EEENS1_30default_config_static_selectorELNS0_4arch9wavefront6targetE0EEEvSS_ ; -- Begin function _ZN7rocprim17ROCPRIM_400000_NS6detail17trampoline_kernelINS0_14default_configENS1_22reduce_config_selectorIiEEZNS1_11reduce_implILb1ES3_PiS7_iN6hipcub16HIPCUB_304000_NS6detail34convert_binary_result_type_wrapperINS9_3SumENS9_22TransformInputIteratorIbN2at6native12_GLOBAL__N_19NonZeroOpIN3c108BFloat16EEEPKSJ_lEEiEEEE10hipError_tPvRmT1_T2_T3_mT4_P12ihipStream_tbEUlT_E0_NS1_11comp_targetILNS1_3genE2ELNS1_11target_archE906ELNS1_3gpuE6ELNS1_3repE0EEENS1_30default_config_static_selectorELNS0_4arch9wavefront6targetE0EEEvSS_
	.p2align	8
	.type	_ZN7rocprim17ROCPRIM_400000_NS6detail17trampoline_kernelINS0_14default_configENS1_22reduce_config_selectorIiEEZNS1_11reduce_implILb1ES3_PiS7_iN6hipcub16HIPCUB_304000_NS6detail34convert_binary_result_type_wrapperINS9_3SumENS9_22TransformInputIteratorIbN2at6native12_GLOBAL__N_19NonZeroOpIN3c108BFloat16EEEPKSJ_lEEiEEEE10hipError_tPvRmT1_T2_T3_mT4_P12ihipStream_tbEUlT_E0_NS1_11comp_targetILNS1_3genE2ELNS1_11target_archE906ELNS1_3gpuE6ELNS1_3repE0EEENS1_30default_config_static_selectorELNS0_4arch9wavefront6targetE0EEEvSS_,@function
_ZN7rocprim17ROCPRIM_400000_NS6detail17trampoline_kernelINS0_14default_configENS1_22reduce_config_selectorIiEEZNS1_11reduce_implILb1ES3_PiS7_iN6hipcub16HIPCUB_304000_NS6detail34convert_binary_result_type_wrapperINS9_3SumENS9_22TransformInputIteratorIbN2at6native12_GLOBAL__N_19NonZeroOpIN3c108BFloat16EEEPKSJ_lEEiEEEE10hipError_tPvRmT1_T2_T3_mT4_P12ihipStream_tbEUlT_E0_NS1_11comp_targetILNS1_3genE2ELNS1_11target_archE906ELNS1_3gpuE6ELNS1_3repE0EEENS1_30default_config_static_selectorELNS0_4arch9wavefront6targetE0EEEvSS_: ; @_ZN7rocprim17ROCPRIM_400000_NS6detail17trampoline_kernelINS0_14default_configENS1_22reduce_config_selectorIiEEZNS1_11reduce_implILb1ES3_PiS7_iN6hipcub16HIPCUB_304000_NS6detail34convert_binary_result_type_wrapperINS9_3SumENS9_22TransformInputIteratorIbN2at6native12_GLOBAL__N_19NonZeroOpIN3c108BFloat16EEEPKSJ_lEEiEEEE10hipError_tPvRmT1_T2_T3_mT4_P12ihipStream_tbEUlT_E0_NS1_11comp_targetILNS1_3genE2ELNS1_11target_archE906ELNS1_3gpuE6ELNS1_3repE0EEENS1_30default_config_static_selectorELNS0_4arch9wavefront6targetE0EEEvSS_
; %bb.0:
	.section	.rodata,"a",@progbits
	.p2align	6, 0x0
	.amdhsa_kernel _ZN7rocprim17ROCPRIM_400000_NS6detail17trampoline_kernelINS0_14default_configENS1_22reduce_config_selectorIiEEZNS1_11reduce_implILb1ES3_PiS7_iN6hipcub16HIPCUB_304000_NS6detail34convert_binary_result_type_wrapperINS9_3SumENS9_22TransformInputIteratorIbN2at6native12_GLOBAL__N_19NonZeroOpIN3c108BFloat16EEEPKSJ_lEEiEEEE10hipError_tPvRmT1_T2_T3_mT4_P12ihipStream_tbEUlT_E0_NS1_11comp_targetILNS1_3genE2ELNS1_11target_archE906ELNS1_3gpuE6ELNS1_3repE0EEENS1_30default_config_static_selectorELNS0_4arch9wavefront6targetE0EEEvSS_
		.amdhsa_group_segment_fixed_size 0
		.amdhsa_private_segment_fixed_size 0
		.amdhsa_kernarg_size 56
		.amdhsa_user_sgpr_count 2
		.amdhsa_user_sgpr_dispatch_ptr 0
		.amdhsa_user_sgpr_queue_ptr 0
		.amdhsa_user_sgpr_kernarg_segment_ptr 1
		.amdhsa_user_sgpr_dispatch_id 0
		.amdhsa_user_sgpr_private_segment_size 0
		.amdhsa_wavefront_size32 1
		.amdhsa_uses_dynamic_stack 0
		.amdhsa_enable_private_segment 0
		.amdhsa_system_sgpr_workgroup_id_x 1
		.amdhsa_system_sgpr_workgroup_id_y 0
		.amdhsa_system_sgpr_workgroup_id_z 0
		.amdhsa_system_sgpr_workgroup_info 0
		.amdhsa_system_vgpr_workitem_id 0
		.amdhsa_next_free_vgpr 1
		.amdhsa_next_free_sgpr 1
		.amdhsa_reserve_vcc 0
		.amdhsa_float_round_mode_32 0
		.amdhsa_float_round_mode_16_64 0
		.amdhsa_float_denorm_mode_32 3
		.amdhsa_float_denorm_mode_16_64 3
		.amdhsa_fp16_overflow 0
		.amdhsa_workgroup_processor_mode 1
		.amdhsa_memory_ordered 1
		.amdhsa_forward_progress 1
		.amdhsa_inst_pref_size 0
		.amdhsa_round_robin_scheduling 0
		.amdhsa_exception_fp_ieee_invalid_op 0
		.amdhsa_exception_fp_denorm_src 0
		.amdhsa_exception_fp_ieee_div_zero 0
		.amdhsa_exception_fp_ieee_overflow 0
		.amdhsa_exception_fp_ieee_underflow 0
		.amdhsa_exception_fp_ieee_inexact 0
		.amdhsa_exception_int_div_zero 0
	.end_amdhsa_kernel
	.section	.text._ZN7rocprim17ROCPRIM_400000_NS6detail17trampoline_kernelINS0_14default_configENS1_22reduce_config_selectorIiEEZNS1_11reduce_implILb1ES3_PiS7_iN6hipcub16HIPCUB_304000_NS6detail34convert_binary_result_type_wrapperINS9_3SumENS9_22TransformInputIteratorIbN2at6native12_GLOBAL__N_19NonZeroOpIN3c108BFloat16EEEPKSJ_lEEiEEEE10hipError_tPvRmT1_T2_T3_mT4_P12ihipStream_tbEUlT_E0_NS1_11comp_targetILNS1_3genE2ELNS1_11target_archE906ELNS1_3gpuE6ELNS1_3repE0EEENS1_30default_config_static_selectorELNS0_4arch9wavefront6targetE0EEEvSS_,"axG",@progbits,_ZN7rocprim17ROCPRIM_400000_NS6detail17trampoline_kernelINS0_14default_configENS1_22reduce_config_selectorIiEEZNS1_11reduce_implILb1ES3_PiS7_iN6hipcub16HIPCUB_304000_NS6detail34convert_binary_result_type_wrapperINS9_3SumENS9_22TransformInputIteratorIbN2at6native12_GLOBAL__N_19NonZeroOpIN3c108BFloat16EEEPKSJ_lEEiEEEE10hipError_tPvRmT1_T2_T3_mT4_P12ihipStream_tbEUlT_E0_NS1_11comp_targetILNS1_3genE2ELNS1_11target_archE906ELNS1_3gpuE6ELNS1_3repE0EEENS1_30default_config_static_selectorELNS0_4arch9wavefront6targetE0EEEvSS_,comdat
.Lfunc_end766:
	.size	_ZN7rocprim17ROCPRIM_400000_NS6detail17trampoline_kernelINS0_14default_configENS1_22reduce_config_selectorIiEEZNS1_11reduce_implILb1ES3_PiS7_iN6hipcub16HIPCUB_304000_NS6detail34convert_binary_result_type_wrapperINS9_3SumENS9_22TransformInputIteratorIbN2at6native12_GLOBAL__N_19NonZeroOpIN3c108BFloat16EEEPKSJ_lEEiEEEE10hipError_tPvRmT1_T2_T3_mT4_P12ihipStream_tbEUlT_E0_NS1_11comp_targetILNS1_3genE2ELNS1_11target_archE906ELNS1_3gpuE6ELNS1_3repE0EEENS1_30default_config_static_selectorELNS0_4arch9wavefront6targetE0EEEvSS_, .Lfunc_end766-_ZN7rocprim17ROCPRIM_400000_NS6detail17trampoline_kernelINS0_14default_configENS1_22reduce_config_selectorIiEEZNS1_11reduce_implILb1ES3_PiS7_iN6hipcub16HIPCUB_304000_NS6detail34convert_binary_result_type_wrapperINS9_3SumENS9_22TransformInputIteratorIbN2at6native12_GLOBAL__N_19NonZeroOpIN3c108BFloat16EEEPKSJ_lEEiEEEE10hipError_tPvRmT1_T2_T3_mT4_P12ihipStream_tbEUlT_E0_NS1_11comp_targetILNS1_3genE2ELNS1_11target_archE906ELNS1_3gpuE6ELNS1_3repE0EEENS1_30default_config_static_selectorELNS0_4arch9wavefront6targetE0EEEvSS_
                                        ; -- End function
	.set _ZN7rocprim17ROCPRIM_400000_NS6detail17trampoline_kernelINS0_14default_configENS1_22reduce_config_selectorIiEEZNS1_11reduce_implILb1ES3_PiS7_iN6hipcub16HIPCUB_304000_NS6detail34convert_binary_result_type_wrapperINS9_3SumENS9_22TransformInputIteratorIbN2at6native12_GLOBAL__N_19NonZeroOpIN3c108BFloat16EEEPKSJ_lEEiEEEE10hipError_tPvRmT1_T2_T3_mT4_P12ihipStream_tbEUlT_E0_NS1_11comp_targetILNS1_3genE2ELNS1_11target_archE906ELNS1_3gpuE6ELNS1_3repE0EEENS1_30default_config_static_selectorELNS0_4arch9wavefront6targetE0EEEvSS_.num_vgpr, 0
	.set _ZN7rocprim17ROCPRIM_400000_NS6detail17trampoline_kernelINS0_14default_configENS1_22reduce_config_selectorIiEEZNS1_11reduce_implILb1ES3_PiS7_iN6hipcub16HIPCUB_304000_NS6detail34convert_binary_result_type_wrapperINS9_3SumENS9_22TransformInputIteratorIbN2at6native12_GLOBAL__N_19NonZeroOpIN3c108BFloat16EEEPKSJ_lEEiEEEE10hipError_tPvRmT1_T2_T3_mT4_P12ihipStream_tbEUlT_E0_NS1_11comp_targetILNS1_3genE2ELNS1_11target_archE906ELNS1_3gpuE6ELNS1_3repE0EEENS1_30default_config_static_selectorELNS0_4arch9wavefront6targetE0EEEvSS_.num_agpr, 0
	.set _ZN7rocprim17ROCPRIM_400000_NS6detail17trampoline_kernelINS0_14default_configENS1_22reduce_config_selectorIiEEZNS1_11reduce_implILb1ES3_PiS7_iN6hipcub16HIPCUB_304000_NS6detail34convert_binary_result_type_wrapperINS9_3SumENS9_22TransformInputIteratorIbN2at6native12_GLOBAL__N_19NonZeroOpIN3c108BFloat16EEEPKSJ_lEEiEEEE10hipError_tPvRmT1_T2_T3_mT4_P12ihipStream_tbEUlT_E0_NS1_11comp_targetILNS1_3genE2ELNS1_11target_archE906ELNS1_3gpuE6ELNS1_3repE0EEENS1_30default_config_static_selectorELNS0_4arch9wavefront6targetE0EEEvSS_.numbered_sgpr, 0
	.set _ZN7rocprim17ROCPRIM_400000_NS6detail17trampoline_kernelINS0_14default_configENS1_22reduce_config_selectorIiEEZNS1_11reduce_implILb1ES3_PiS7_iN6hipcub16HIPCUB_304000_NS6detail34convert_binary_result_type_wrapperINS9_3SumENS9_22TransformInputIteratorIbN2at6native12_GLOBAL__N_19NonZeroOpIN3c108BFloat16EEEPKSJ_lEEiEEEE10hipError_tPvRmT1_T2_T3_mT4_P12ihipStream_tbEUlT_E0_NS1_11comp_targetILNS1_3genE2ELNS1_11target_archE906ELNS1_3gpuE6ELNS1_3repE0EEENS1_30default_config_static_selectorELNS0_4arch9wavefront6targetE0EEEvSS_.num_named_barrier, 0
	.set _ZN7rocprim17ROCPRIM_400000_NS6detail17trampoline_kernelINS0_14default_configENS1_22reduce_config_selectorIiEEZNS1_11reduce_implILb1ES3_PiS7_iN6hipcub16HIPCUB_304000_NS6detail34convert_binary_result_type_wrapperINS9_3SumENS9_22TransformInputIteratorIbN2at6native12_GLOBAL__N_19NonZeroOpIN3c108BFloat16EEEPKSJ_lEEiEEEE10hipError_tPvRmT1_T2_T3_mT4_P12ihipStream_tbEUlT_E0_NS1_11comp_targetILNS1_3genE2ELNS1_11target_archE906ELNS1_3gpuE6ELNS1_3repE0EEENS1_30default_config_static_selectorELNS0_4arch9wavefront6targetE0EEEvSS_.private_seg_size, 0
	.set _ZN7rocprim17ROCPRIM_400000_NS6detail17trampoline_kernelINS0_14default_configENS1_22reduce_config_selectorIiEEZNS1_11reduce_implILb1ES3_PiS7_iN6hipcub16HIPCUB_304000_NS6detail34convert_binary_result_type_wrapperINS9_3SumENS9_22TransformInputIteratorIbN2at6native12_GLOBAL__N_19NonZeroOpIN3c108BFloat16EEEPKSJ_lEEiEEEE10hipError_tPvRmT1_T2_T3_mT4_P12ihipStream_tbEUlT_E0_NS1_11comp_targetILNS1_3genE2ELNS1_11target_archE906ELNS1_3gpuE6ELNS1_3repE0EEENS1_30default_config_static_selectorELNS0_4arch9wavefront6targetE0EEEvSS_.uses_vcc, 0
	.set _ZN7rocprim17ROCPRIM_400000_NS6detail17trampoline_kernelINS0_14default_configENS1_22reduce_config_selectorIiEEZNS1_11reduce_implILb1ES3_PiS7_iN6hipcub16HIPCUB_304000_NS6detail34convert_binary_result_type_wrapperINS9_3SumENS9_22TransformInputIteratorIbN2at6native12_GLOBAL__N_19NonZeroOpIN3c108BFloat16EEEPKSJ_lEEiEEEE10hipError_tPvRmT1_T2_T3_mT4_P12ihipStream_tbEUlT_E0_NS1_11comp_targetILNS1_3genE2ELNS1_11target_archE906ELNS1_3gpuE6ELNS1_3repE0EEENS1_30default_config_static_selectorELNS0_4arch9wavefront6targetE0EEEvSS_.uses_flat_scratch, 0
	.set _ZN7rocprim17ROCPRIM_400000_NS6detail17trampoline_kernelINS0_14default_configENS1_22reduce_config_selectorIiEEZNS1_11reduce_implILb1ES3_PiS7_iN6hipcub16HIPCUB_304000_NS6detail34convert_binary_result_type_wrapperINS9_3SumENS9_22TransformInputIteratorIbN2at6native12_GLOBAL__N_19NonZeroOpIN3c108BFloat16EEEPKSJ_lEEiEEEE10hipError_tPvRmT1_T2_T3_mT4_P12ihipStream_tbEUlT_E0_NS1_11comp_targetILNS1_3genE2ELNS1_11target_archE906ELNS1_3gpuE6ELNS1_3repE0EEENS1_30default_config_static_selectorELNS0_4arch9wavefront6targetE0EEEvSS_.has_dyn_sized_stack, 0
	.set _ZN7rocprim17ROCPRIM_400000_NS6detail17trampoline_kernelINS0_14default_configENS1_22reduce_config_selectorIiEEZNS1_11reduce_implILb1ES3_PiS7_iN6hipcub16HIPCUB_304000_NS6detail34convert_binary_result_type_wrapperINS9_3SumENS9_22TransformInputIteratorIbN2at6native12_GLOBAL__N_19NonZeroOpIN3c108BFloat16EEEPKSJ_lEEiEEEE10hipError_tPvRmT1_T2_T3_mT4_P12ihipStream_tbEUlT_E0_NS1_11comp_targetILNS1_3genE2ELNS1_11target_archE906ELNS1_3gpuE6ELNS1_3repE0EEENS1_30default_config_static_selectorELNS0_4arch9wavefront6targetE0EEEvSS_.has_recursion, 0
	.set _ZN7rocprim17ROCPRIM_400000_NS6detail17trampoline_kernelINS0_14default_configENS1_22reduce_config_selectorIiEEZNS1_11reduce_implILb1ES3_PiS7_iN6hipcub16HIPCUB_304000_NS6detail34convert_binary_result_type_wrapperINS9_3SumENS9_22TransformInputIteratorIbN2at6native12_GLOBAL__N_19NonZeroOpIN3c108BFloat16EEEPKSJ_lEEiEEEE10hipError_tPvRmT1_T2_T3_mT4_P12ihipStream_tbEUlT_E0_NS1_11comp_targetILNS1_3genE2ELNS1_11target_archE906ELNS1_3gpuE6ELNS1_3repE0EEENS1_30default_config_static_selectorELNS0_4arch9wavefront6targetE0EEEvSS_.has_indirect_call, 0
	.section	.AMDGPU.csdata,"",@progbits
; Kernel info:
; codeLenInByte = 0
; TotalNumSgprs: 0
; NumVgprs: 0
; ScratchSize: 0
; MemoryBound: 0
; FloatMode: 240
; IeeeMode: 1
; LDSByteSize: 0 bytes/workgroup (compile time only)
; SGPRBlocks: 0
; VGPRBlocks: 0
; NumSGPRsForWavesPerEU: 1
; NumVGPRsForWavesPerEU: 1
; Occupancy: 16
; WaveLimiterHint : 0
; COMPUTE_PGM_RSRC2:SCRATCH_EN: 0
; COMPUTE_PGM_RSRC2:USER_SGPR: 2
; COMPUTE_PGM_RSRC2:TRAP_HANDLER: 0
; COMPUTE_PGM_RSRC2:TGID_X_EN: 1
; COMPUTE_PGM_RSRC2:TGID_Y_EN: 0
; COMPUTE_PGM_RSRC2:TGID_Z_EN: 0
; COMPUTE_PGM_RSRC2:TIDIG_COMP_CNT: 0
	.section	.text._ZN7rocprim17ROCPRIM_400000_NS6detail17trampoline_kernelINS0_14default_configENS1_22reduce_config_selectorIiEEZNS1_11reduce_implILb1ES3_PiS7_iN6hipcub16HIPCUB_304000_NS6detail34convert_binary_result_type_wrapperINS9_3SumENS9_22TransformInputIteratorIbN2at6native12_GLOBAL__N_19NonZeroOpIN3c108BFloat16EEEPKSJ_lEEiEEEE10hipError_tPvRmT1_T2_T3_mT4_P12ihipStream_tbEUlT_E0_NS1_11comp_targetILNS1_3genE10ELNS1_11target_archE1201ELNS1_3gpuE5ELNS1_3repE0EEENS1_30default_config_static_selectorELNS0_4arch9wavefront6targetE0EEEvSS_,"axG",@progbits,_ZN7rocprim17ROCPRIM_400000_NS6detail17trampoline_kernelINS0_14default_configENS1_22reduce_config_selectorIiEEZNS1_11reduce_implILb1ES3_PiS7_iN6hipcub16HIPCUB_304000_NS6detail34convert_binary_result_type_wrapperINS9_3SumENS9_22TransformInputIteratorIbN2at6native12_GLOBAL__N_19NonZeroOpIN3c108BFloat16EEEPKSJ_lEEiEEEE10hipError_tPvRmT1_T2_T3_mT4_P12ihipStream_tbEUlT_E0_NS1_11comp_targetILNS1_3genE10ELNS1_11target_archE1201ELNS1_3gpuE5ELNS1_3repE0EEENS1_30default_config_static_selectorELNS0_4arch9wavefront6targetE0EEEvSS_,comdat
	.globl	_ZN7rocprim17ROCPRIM_400000_NS6detail17trampoline_kernelINS0_14default_configENS1_22reduce_config_selectorIiEEZNS1_11reduce_implILb1ES3_PiS7_iN6hipcub16HIPCUB_304000_NS6detail34convert_binary_result_type_wrapperINS9_3SumENS9_22TransformInputIteratorIbN2at6native12_GLOBAL__N_19NonZeroOpIN3c108BFloat16EEEPKSJ_lEEiEEEE10hipError_tPvRmT1_T2_T3_mT4_P12ihipStream_tbEUlT_E0_NS1_11comp_targetILNS1_3genE10ELNS1_11target_archE1201ELNS1_3gpuE5ELNS1_3repE0EEENS1_30default_config_static_selectorELNS0_4arch9wavefront6targetE0EEEvSS_ ; -- Begin function _ZN7rocprim17ROCPRIM_400000_NS6detail17trampoline_kernelINS0_14default_configENS1_22reduce_config_selectorIiEEZNS1_11reduce_implILb1ES3_PiS7_iN6hipcub16HIPCUB_304000_NS6detail34convert_binary_result_type_wrapperINS9_3SumENS9_22TransformInputIteratorIbN2at6native12_GLOBAL__N_19NonZeroOpIN3c108BFloat16EEEPKSJ_lEEiEEEE10hipError_tPvRmT1_T2_T3_mT4_P12ihipStream_tbEUlT_E0_NS1_11comp_targetILNS1_3genE10ELNS1_11target_archE1201ELNS1_3gpuE5ELNS1_3repE0EEENS1_30default_config_static_selectorELNS0_4arch9wavefront6targetE0EEEvSS_
	.p2align	8
	.type	_ZN7rocprim17ROCPRIM_400000_NS6detail17trampoline_kernelINS0_14default_configENS1_22reduce_config_selectorIiEEZNS1_11reduce_implILb1ES3_PiS7_iN6hipcub16HIPCUB_304000_NS6detail34convert_binary_result_type_wrapperINS9_3SumENS9_22TransformInputIteratorIbN2at6native12_GLOBAL__N_19NonZeroOpIN3c108BFloat16EEEPKSJ_lEEiEEEE10hipError_tPvRmT1_T2_T3_mT4_P12ihipStream_tbEUlT_E0_NS1_11comp_targetILNS1_3genE10ELNS1_11target_archE1201ELNS1_3gpuE5ELNS1_3repE0EEENS1_30default_config_static_selectorELNS0_4arch9wavefront6targetE0EEEvSS_,@function
_ZN7rocprim17ROCPRIM_400000_NS6detail17trampoline_kernelINS0_14default_configENS1_22reduce_config_selectorIiEEZNS1_11reduce_implILb1ES3_PiS7_iN6hipcub16HIPCUB_304000_NS6detail34convert_binary_result_type_wrapperINS9_3SumENS9_22TransformInputIteratorIbN2at6native12_GLOBAL__N_19NonZeroOpIN3c108BFloat16EEEPKSJ_lEEiEEEE10hipError_tPvRmT1_T2_T3_mT4_P12ihipStream_tbEUlT_E0_NS1_11comp_targetILNS1_3genE10ELNS1_11target_archE1201ELNS1_3gpuE5ELNS1_3repE0EEENS1_30default_config_static_selectorELNS0_4arch9wavefront6targetE0EEEvSS_: ; @_ZN7rocprim17ROCPRIM_400000_NS6detail17trampoline_kernelINS0_14default_configENS1_22reduce_config_selectorIiEEZNS1_11reduce_implILb1ES3_PiS7_iN6hipcub16HIPCUB_304000_NS6detail34convert_binary_result_type_wrapperINS9_3SumENS9_22TransformInputIteratorIbN2at6native12_GLOBAL__N_19NonZeroOpIN3c108BFloat16EEEPKSJ_lEEiEEEE10hipError_tPvRmT1_T2_T3_mT4_P12ihipStream_tbEUlT_E0_NS1_11comp_targetILNS1_3genE10ELNS1_11target_archE1201ELNS1_3gpuE5ELNS1_3repE0EEENS1_30default_config_static_selectorELNS0_4arch9wavefront6targetE0EEEvSS_
; %bb.0:
	s_clause 0x1
	s_load_b256 s[12:19], s[0:1], 0x0
	s_load_b128 s[20:23], s[0:1], 0x20
	s_lshl_b32 s2, ttmp9, 12
	s_mov_b32 s3, 0
	v_mbcnt_lo_u32_b32 v18, -1, 0
	v_lshlrev_b32_e32 v19, 2, v0
	s_mov_b32 s24, ttmp9
	s_mov_b32 s25, s3
	s_lshl_b64 s[8:9], s[2:3], 2
	s_wait_kmcnt 0x0
	s_lshl_b64 s[4:5], s[14:15], 2
	s_lshr_b64 s[6:7], s[16:17], 12
	s_add_nc_u64 s[4:5], s[12:13], s[4:5]
	s_cmp_lg_u64 s[6:7], s[24:25]
	s_add_nc_u64 s[26:27], s[4:5], s[8:9]
	s_cbranch_scc0 .LBB767_6
; %bb.1:
	s_clause 0xf
	global_load_b32 v1, v19, s[26:27]
	global_load_b32 v2, v19, s[26:27] offset:1024
	global_load_b32 v3, v19, s[26:27] offset:2048
	;; [unrolled: 1-line block ×15, first 2 shown]
	s_mov_b32 s3, exec_lo
	s_wait_loadcnt 0xe
	v_add_nc_u32_e32 v1, v2, v1
	s_wait_loadcnt 0xc
	s_delay_alu instid0(VALU_DEP_1) | instskip(SKIP_1) | instid1(VALU_DEP_1)
	v_add3_u32 v1, v1, v3, v4
	s_wait_loadcnt 0xa
	v_add3_u32 v1, v1, v5, v6
	s_wait_loadcnt 0x8
	s_delay_alu instid0(VALU_DEP_1) | instskip(SKIP_1) | instid1(VALU_DEP_1)
	v_add3_u32 v1, v1, v7, v8
	s_wait_loadcnt 0x6
	v_add3_u32 v1, v1, v9, v10
	;; [unrolled: 5-line block ×3, first 2 shown]
	s_wait_loadcnt 0x0
	s_delay_alu instid0(VALU_DEP_1) | instskip(NEXT) | instid1(VALU_DEP_1)
	v_add3_u32 v1, v1, v15, v16
	v_mov_b32_dpp v2, v1 quad_perm:[1,0,3,2] row_mask:0xf bank_mask:0xf
	s_delay_alu instid0(VALU_DEP_1) | instskip(NEXT) | instid1(VALU_DEP_1)
	v_add_nc_u32_e32 v1, v2, v1
	v_mov_b32_dpp v2, v1 quad_perm:[2,3,0,1] row_mask:0xf bank_mask:0xf
	s_delay_alu instid0(VALU_DEP_1) | instskip(NEXT) | instid1(VALU_DEP_1)
	v_add_nc_u32_e32 v1, v1, v2
	v_mov_b32_dpp v2, v1 row_ror:4 row_mask:0xf bank_mask:0xf
	s_delay_alu instid0(VALU_DEP_1) | instskip(NEXT) | instid1(VALU_DEP_1)
	v_add_nc_u32_e32 v1, v1, v2
	v_mov_b32_dpp v2, v1 row_ror:8 row_mask:0xf bank_mask:0xf
	s_delay_alu instid0(VALU_DEP_1)
	v_add_nc_u32_e32 v1, v1, v2
	ds_swizzle_b32 v2, v1 offset:swizzle(BROADCAST,32,15)
	s_wait_dscnt 0x0
	v_dual_mov_b32 v2, 0 :: v_dual_add_nc_u32 v1, v1, v2
	ds_bpermute_b32 v1, v2, v1 offset:124
	v_cmpx_eq_u32_e32 0, v18
	s_cbranch_execz .LBB767_3
; %bb.2:
	v_lshrrev_b32_e32 v2, 3, v0
	s_delay_alu instid0(VALU_DEP_1)
	v_and_b32_e32 v2, 28, v2
	s_wait_dscnt 0x0
	ds_store_b32 v2, v1
.LBB767_3:
	s_or_b32 exec_lo, exec_lo, s3
	s_delay_alu instid0(SALU_CYCLE_1)
	s_mov_b32 s3, exec_lo
	s_wait_dscnt 0x0
	s_barrier_signal -1
	s_barrier_wait -1
	global_inv scope:SCOPE_SE
	v_cmpx_gt_u32_e32 32, v0
	s_cbranch_execz .LBB767_5
; %bb.4:
	v_and_b32_e32 v1, 7, v18
	s_delay_alu instid0(VALU_DEP_1) | instskip(SKIP_4) | instid1(VALU_DEP_2)
	v_lshlrev_b32_e32 v2, 2, v1
	v_cmp_ne_u32_e32 vcc_lo, 7, v1
	ds_load_b32 v2, v2
	v_add_co_ci_u32_e64 v3, null, 0, v18, vcc_lo
	v_cmp_gt_u32_e32 vcc_lo, 6, v1
	v_lshlrev_b32_e32 v3, 2, v3
	s_wait_alu 0xfffd
	v_cndmask_b32_e64 v1, 0, 2, vcc_lo
	s_delay_alu instid0(VALU_DEP_1)
	v_add_lshl_u32 v1, v1, v18, 2
	s_wait_dscnt 0x0
	ds_bpermute_b32 v3, v3, v2
	s_wait_dscnt 0x0
	v_add_nc_u32_e32 v2, v3, v2
	v_lshlrev_b32_e32 v3, 2, v18
	ds_bpermute_b32 v1, v1, v2
	s_wait_dscnt 0x0
	v_add_nc_u32_e32 v1, v1, v2
	v_or_b32_e32 v2, 16, v3
	ds_bpermute_b32 v2, v2, v1
	s_wait_dscnt 0x0
	v_add_nc_u32_e32 v1, v2, v1
.LBB767_5:
	s_or_b32 exec_lo, exec_lo, s3
	s_branch .LBB767_44
.LBB767_6:
                                        ; implicit-def: $vgpr1
	s_cbranch_execz .LBB767_44
; %bb.7:
	v_mov_b32_e32 v1, 0
	s_sub_co_i32 s28, s16, s2
	s_mov_b32 s2, exec_lo
	s_delay_alu instid0(VALU_DEP_1)
	v_dual_mov_b32 v2, v1 :: v_dual_mov_b32 v3, v1
	v_dual_mov_b32 v4, v1 :: v_dual_mov_b32 v5, v1
	;; [unrolled: 1-line block ×7, first 2 shown]
	v_mov_b32_e32 v16, v1
	v_cmpx_gt_u32_e64 s28, v0
	s_cbranch_execz .LBB767_9
; %bb.8:
	global_load_b32 v2, v19, s[26:27]
	v_mov_b32_e32 v17, v1
	v_dual_mov_b32 v3, v1 :: v_dual_mov_b32 v4, v1
	v_dual_mov_b32 v5, v1 :: v_dual_mov_b32 v6, v1
	;; [unrolled: 1-line block ×7, first 2 shown]
	s_wait_loadcnt 0x0
	v_mov_b32_e32 v1, v2
	v_mov_b32_e32 v2, v3
	;; [unrolled: 1-line block ×16, first 2 shown]
.LBB767_9:
	s_or_b32 exec_lo, exec_lo, s2
	v_or_b32_e32 v17, 0x100, v0
	s_delay_alu instid0(VALU_DEP_1)
	v_cmp_gt_u32_e32 vcc_lo, s28, v17
	s_and_saveexec_b32 s2, vcc_lo
	s_cbranch_execz .LBB767_11
; %bb.10:
	global_load_b32 v2, v19, s[26:27] offset:1024
.LBB767_11:
	s_or_b32 exec_lo, exec_lo, s2
	v_or_b32_e32 v17, 0x200, v0
	s_delay_alu instid0(VALU_DEP_1)
	v_cmp_gt_u32_e64 s2, s28, v17
	s_and_saveexec_b32 s3, s2
	s_cbranch_execz .LBB767_13
; %bb.12:
	global_load_b32 v3, v19, s[26:27] offset:2048
.LBB767_13:
	s_or_b32 exec_lo, exec_lo, s3
	v_or_b32_e32 v17, 0x300, v0
	s_delay_alu instid0(VALU_DEP_1)
	v_cmp_gt_u32_e64 s3, s28, v17
	s_and_saveexec_b32 s4, s3
	;; [unrolled: 9-line block ×14, first 2 shown]
	s_cbranch_execz .LBB767_39
; %bb.38:
	global_load_b32 v16, v19, s[26:27] offset:15360
.LBB767_39:
	s_wait_alu 0xfffe
	s_or_b32 exec_lo, exec_lo, s29
	s_wait_loadcnt 0x0
	v_cndmask_b32_e32 v2, 0, v2, vcc_lo
	v_cndmask_b32_e64 v3, 0, v3, s2
	v_cndmask_b32_e64 v4, 0, v4, s3
	v_cmp_ne_u32_e32 vcc_lo, 31, v18
	s_min_u32 s2, s28, 0x100
	v_add_nc_u32_e32 v1, v2, v1
	v_cndmask_b32_e64 v2, 0, v5, s4
	v_cndmask_b32_e64 v5, 0, v6, s5
	;; [unrolled: 1-line block ×3, first 2 shown]
	s_mov_b32 s3, exec_lo
	v_add3_u32 v1, v1, v3, v4
	v_cndmask_b32_e64 v3, 0, v7, s6
	v_cndmask_b32_e64 v4, 0, v8, s7
	s_delay_alu instid0(VALU_DEP_3) | instskip(SKIP_2) | instid1(VALU_DEP_3)
	v_add3_u32 v1, v1, v2, v5
	v_cndmask_b32_e64 v2, 0, v9, s8
	v_cndmask_b32_e64 v5, 0, v10, s9
	v_add3_u32 v1, v1, v3, v4
	v_cndmask_b32_e64 v3, 0, v11, s10
	v_cndmask_b32_e64 v4, 0, v12, s11
	s_delay_alu instid0(VALU_DEP_3) | instskip(SKIP_2) | instid1(VALU_DEP_3)
	v_add3_u32 v1, v1, v2, v5
	v_cndmask_b32_e64 v2, 0, v13, s12
	v_cndmask_b32_e64 v5, 0, v14, s13
	v_add3_u32 v1, v1, v3, v4
	v_cndmask_b32_e64 v3, 0, v16, s15
	s_wait_alu 0xfffd
	v_add_co_ci_u32_e64 v4, null, 0, v18, vcc_lo
	v_cmp_gt_u32_e32 vcc_lo, 30, v18
	v_add3_u32 v1, v1, v2, v5
	s_delay_alu instid0(VALU_DEP_3)
	v_lshlrev_b32_e32 v2, 2, v4
	v_add_nc_u32_e32 v4, 1, v18
	s_wait_alu 0xfffd
	v_cndmask_b32_e64 v5, 0, 2, vcc_lo
	v_add3_u32 v1, v1, v6, v3
	v_and_b32_e32 v3, 0xe0, v0
	ds_bpermute_b32 v2, v2, v1
	s_wait_alu 0xfffe
	v_sub_nc_u32_e64 v3, s2, v3 clamp
	s_delay_alu instid0(VALU_DEP_1)
	v_cmp_lt_u32_e32 vcc_lo, v4, v3
	v_add_lshl_u32 v4, v5, v18, 2
	s_wait_dscnt 0x0
	s_wait_alu 0xfffd
	v_cndmask_b32_e32 v2, 0, v2, vcc_lo
	v_cmp_gt_u32_e32 vcc_lo, 28, v18
	s_delay_alu instid0(VALU_DEP_2) | instskip(SKIP_4) | instid1(VALU_DEP_1)
	v_add_nc_u32_e32 v1, v1, v2
	s_wait_alu 0xfffd
	v_cndmask_b32_e64 v5, 0, 4, vcc_lo
	ds_bpermute_b32 v2, v4, v1
	v_add_nc_u32_e32 v4, 2, v18
	v_cmp_lt_u32_e32 vcc_lo, v4, v3
	v_add_lshl_u32 v4, v5, v18, 2
	s_wait_dscnt 0x0
	s_wait_alu 0xfffd
	v_cndmask_b32_e32 v2, 0, v2, vcc_lo
	v_cmp_gt_u32_e32 vcc_lo, 24, v18
	s_delay_alu instid0(VALU_DEP_2) | instskip(SKIP_4) | instid1(VALU_DEP_1)
	v_add_nc_u32_e32 v1, v1, v2
	s_wait_alu 0xfffd
	v_cndmask_b32_e64 v5, 0, 8, vcc_lo
	ds_bpermute_b32 v2, v4, v1
	v_add_nc_u32_e32 v4, 4, v18
	v_cmp_lt_u32_e32 vcc_lo, v4, v3
	v_add_lshl_u32 v4, v5, v18, 2
	v_add_nc_u32_e32 v5, 8, v18
	s_wait_dscnt 0x0
	s_wait_alu 0xfffd
	v_cndmask_b32_e32 v2, 0, v2, vcc_lo
	s_delay_alu instid0(VALU_DEP_2) | instskip(NEXT) | instid1(VALU_DEP_2)
	v_cmp_lt_u32_e32 vcc_lo, v5, v3
	v_add_nc_u32_e32 v1, v1, v2
	v_lshlrev_b32_e32 v2, 2, v18
	ds_bpermute_b32 v4, v4, v1
	v_or_b32_e32 v5, 64, v2
	s_wait_dscnt 0x0
	s_wait_alu 0xfffd
	v_cndmask_b32_e32 v4, 0, v4, vcc_lo
	s_delay_alu instid0(VALU_DEP_1) | instskip(SKIP_2) | instid1(VALU_DEP_1)
	v_add_nc_u32_e32 v1, v1, v4
	ds_bpermute_b32 v4, v5, v1
	v_add_nc_u32_e32 v5, 16, v18
	v_cmp_lt_u32_e32 vcc_lo, v5, v3
	s_wait_dscnt 0x0
	s_wait_alu 0xfffd
	v_cndmask_b32_e32 v3, 0, v4, vcc_lo
	s_delay_alu instid0(VALU_DEP_1)
	v_add_nc_u32_e32 v1, v1, v3
	v_cmpx_eq_u32_e32 0, v18
; %bb.40:
	v_lshrrev_b32_e32 v3, 3, v0
	s_delay_alu instid0(VALU_DEP_1)
	v_and_b32_e32 v3, 28, v3
	ds_store_b32 v3, v1 offset:32
; %bb.41:
	s_or_b32 exec_lo, exec_lo, s3
	s_delay_alu instid0(SALU_CYCLE_1)
	s_mov_b32 s3, exec_lo
	s_wait_dscnt 0x0
	s_barrier_signal -1
	s_barrier_wait -1
	global_inv scope:SCOPE_SE
	v_cmpx_gt_u32_e32 8, v0
	s_cbranch_execz .LBB767_43
; %bb.42:
	ds_load_b32 v1, v2 offset:32
	v_and_b32_e32 v3, 7, v18
	s_add_co_i32 s2, s2, 31
	v_or_b32_e32 v2, 16, v2
	s_wait_alu 0xfffe
	s_lshr_b32 s2, s2, 5
	v_cmp_ne_u32_e32 vcc_lo, 7, v3
	v_add_nc_u32_e32 v5, 1, v3
	s_wait_alu 0xfffd
	v_add_co_ci_u32_e64 v4, null, 0, v18, vcc_lo
	v_cmp_gt_u32_e32 vcc_lo, 6, v3
	s_delay_alu instid0(VALU_DEP_2)
	v_lshlrev_b32_e32 v4, 2, v4
	s_wait_alu 0xfffd
	v_cndmask_b32_e64 v6, 0, 2, vcc_lo
	s_wait_alu 0xfffe
	v_cmp_gt_u32_e32 vcc_lo, s2, v5
	s_wait_dscnt 0x0
	ds_bpermute_b32 v4, v4, v1
	v_add_lshl_u32 v5, v6, v18, 2
	s_wait_dscnt 0x0
	s_wait_alu 0xfffd
	v_cndmask_b32_e32 v4, 0, v4, vcc_lo
	s_delay_alu instid0(VALU_DEP_1) | instskip(SKIP_3) | instid1(VALU_DEP_2)
	v_add_nc_u32_e32 v1, v4, v1
	ds_bpermute_b32 v4, v5, v1
	v_add_nc_u32_e32 v5, 2, v3
	v_add_nc_u32_e32 v3, 4, v3
	v_cmp_gt_u32_e32 vcc_lo, s2, v5
	s_wait_dscnt 0x0
	s_wait_alu 0xfffd
	v_cndmask_b32_e32 v4, 0, v4, vcc_lo
	v_cmp_gt_u32_e32 vcc_lo, s2, v3
	s_delay_alu instid0(VALU_DEP_2) | instskip(SKIP_4) | instid1(VALU_DEP_1)
	v_add_nc_u32_e32 v1, v1, v4
	ds_bpermute_b32 v2, v2, v1
	s_wait_dscnt 0x0
	s_wait_alu 0xfffd
	v_cndmask_b32_e32 v2, 0, v2, vcc_lo
	v_add_nc_u32_e32 v1, v1, v2
.LBB767_43:
	s_wait_alu 0xfffe
	s_or_b32 exec_lo, exec_lo, s3
.LBB767_44:
	s_load_b32 s0, s[0:1], 0x30
	s_mov_b32 s1, exec_lo
	v_cmpx_eq_u32_e32 0, v0
	s_cbranch_execz .LBB767_46
; %bb.45:
	s_mul_u64 s[2:3], s[22:23], s[20:21]
	s_wait_alu 0xfffe
	s_lshl_b64 s[2:3], s[2:3], 2
	s_cmp_eq_u64 s[16:17], 0
	s_wait_alu 0xfffe
	s_add_nc_u64 s[2:3], s[18:19], s[2:3]
	s_cselect_b32 s1, -1, 0
	s_wait_kmcnt 0x0
	v_cndmask_b32_e64 v0, v1, s0, s1
	v_mov_b32_e32 v1, 0
	s_lshl_b64 s[0:1], s[24:25], 2
	s_wait_alu 0xfffe
	s_add_nc_u64 s[0:1], s[2:3], s[0:1]
	global_store_b32 v1, v0, s[0:1]
.LBB767_46:
	s_endpgm
	.section	.rodata,"a",@progbits
	.p2align	6, 0x0
	.amdhsa_kernel _ZN7rocprim17ROCPRIM_400000_NS6detail17trampoline_kernelINS0_14default_configENS1_22reduce_config_selectorIiEEZNS1_11reduce_implILb1ES3_PiS7_iN6hipcub16HIPCUB_304000_NS6detail34convert_binary_result_type_wrapperINS9_3SumENS9_22TransformInputIteratorIbN2at6native12_GLOBAL__N_19NonZeroOpIN3c108BFloat16EEEPKSJ_lEEiEEEE10hipError_tPvRmT1_T2_T3_mT4_P12ihipStream_tbEUlT_E0_NS1_11comp_targetILNS1_3genE10ELNS1_11target_archE1201ELNS1_3gpuE5ELNS1_3repE0EEENS1_30default_config_static_selectorELNS0_4arch9wavefront6targetE0EEEvSS_
		.amdhsa_group_segment_fixed_size 64
		.amdhsa_private_segment_fixed_size 0
		.amdhsa_kernarg_size 56
		.amdhsa_user_sgpr_count 2
		.amdhsa_user_sgpr_dispatch_ptr 0
		.amdhsa_user_sgpr_queue_ptr 0
		.amdhsa_user_sgpr_kernarg_segment_ptr 1
		.amdhsa_user_sgpr_dispatch_id 0
		.amdhsa_user_sgpr_private_segment_size 0
		.amdhsa_wavefront_size32 1
		.amdhsa_uses_dynamic_stack 0
		.amdhsa_enable_private_segment 0
		.amdhsa_system_sgpr_workgroup_id_x 1
		.amdhsa_system_sgpr_workgroup_id_y 0
		.amdhsa_system_sgpr_workgroup_id_z 0
		.amdhsa_system_sgpr_workgroup_info 0
		.amdhsa_system_vgpr_workitem_id 0
		.amdhsa_next_free_vgpr 20
		.amdhsa_next_free_sgpr 30
		.amdhsa_reserve_vcc 1
		.amdhsa_float_round_mode_32 0
		.amdhsa_float_round_mode_16_64 0
		.amdhsa_float_denorm_mode_32 3
		.amdhsa_float_denorm_mode_16_64 3
		.amdhsa_fp16_overflow 0
		.amdhsa_workgroup_processor_mode 1
		.amdhsa_memory_ordered 1
		.amdhsa_forward_progress 1
		.amdhsa_inst_pref_size 20
		.amdhsa_round_robin_scheduling 0
		.amdhsa_exception_fp_ieee_invalid_op 0
		.amdhsa_exception_fp_denorm_src 0
		.amdhsa_exception_fp_ieee_div_zero 0
		.amdhsa_exception_fp_ieee_overflow 0
		.amdhsa_exception_fp_ieee_underflow 0
		.amdhsa_exception_fp_ieee_inexact 0
		.amdhsa_exception_int_div_zero 0
	.end_amdhsa_kernel
	.section	.text._ZN7rocprim17ROCPRIM_400000_NS6detail17trampoline_kernelINS0_14default_configENS1_22reduce_config_selectorIiEEZNS1_11reduce_implILb1ES3_PiS7_iN6hipcub16HIPCUB_304000_NS6detail34convert_binary_result_type_wrapperINS9_3SumENS9_22TransformInputIteratorIbN2at6native12_GLOBAL__N_19NonZeroOpIN3c108BFloat16EEEPKSJ_lEEiEEEE10hipError_tPvRmT1_T2_T3_mT4_P12ihipStream_tbEUlT_E0_NS1_11comp_targetILNS1_3genE10ELNS1_11target_archE1201ELNS1_3gpuE5ELNS1_3repE0EEENS1_30default_config_static_selectorELNS0_4arch9wavefront6targetE0EEEvSS_,"axG",@progbits,_ZN7rocprim17ROCPRIM_400000_NS6detail17trampoline_kernelINS0_14default_configENS1_22reduce_config_selectorIiEEZNS1_11reduce_implILb1ES3_PiS7_iN6hipcub16HIPCUB_304000_NS6detail34convert_binary_result_type_wrapperINS9_3SumENS9_22TransformInputIteratorIbN2at6native12_GLOBAL__N_19NonZeroOpIN3c108BFloat16EEEPKSJ_lEEiEEEE10hipError_tPvRmT1_T2_T3_mT4_P12ihipStream_tbEUlT_E0_NS1_11comp_targetILNS1_3genE10ELNS1_11target_archE1201ELNS1_3gpuE5ELNS1_3repE0EEENS1_30default_config_static_selectorELNS0_4arch9wavefront6targetE0EEEvSS_,comdat
.Lfunc_end767:
	.size	_ZN7rocprim17ROCPRIM_400000_NS6detail17trampoline_kernelINS0_14default_configENS1_22reduce_config_selectorIiEEZNS1_11reduce_implILb1ES3_PiS7_iN6hipcub16HIPCUB_304000_NS6detail34convert_binary_result_type_wrapperINS9_3SumENS9_22TransformInputIteratorIbN2at6native12_GLOBAL__N_19NonZeroOpIN3c108BFloat16EEEPKSJ_lEEiEEEE10hipError_tPvRmT1_T2_T3_mT4_P12ihipStream_tbEUlT_E0_NS1_11comp_targetILNS1_3genE10ELNS1_11target_archE1201ELNS1_3gpuE5ELNS1_3repE0EEENS1_30default_config_static_selectorELNS0_4arch9wavefront6targetE0EEEvSS_, .Lfunc_end767-_ZN7rocprim17ROCPRIM_400000_NS6detail17trampoline_kernelINS0_14default_configENS1_22reduce_config_selectorIiEEZNS1_11reduce_implILb1ES3_PiS7_iN6hipcub16HIPCUB_304000_NS6detail34convert_binary_result_type_wrapperINS9_3SumENS9_22TransformInputIteratorIbN2at6native12_GLOBAL__N_19NonZeroOpIN3c108BFloat16EEEPKSJ_lEEiEEEE10hipError_tPvRmT1_T2_T3_mT4_P12ihipStream_tbEUlT_E0_NS1_11comp_targetILNS1_3genE10ELNS1_11target_archE1201ELNS1_3gpuE5ELNS1_3repE0EEENS1_30default_config_static_selectorELNS0_4arch9wavefront6targetE0EEEvSS_
                                        ; -- End function
	.set _ZN7rocprim17ROCPRIM_400000_NS6detail17trampoline_kernelINS0_14default_configENS1_22reduce_config_selectorIiEEZNS1_11reduce_implILb1ES3_PiS7_iN6hipcub16HIPCUB_304000_NS6detail34convert_binary_result_type_wrapperINS9_3SumENS9_22TransformInputIteratorIbN2at6native12_GLOBAL__N_19NonZeroOpIN3c108BFloat16EEEPKSJ_lEEiEEEE10hipError_tPvRmT1_T2_T3_mT4_P12ihipStream_tbEUlT_E0_NS1_11comp_targetILNS1_3genE10ELNS1_11target_archE1201ELNS1_3gpuE5ELNS1_3repE0EEENS1_30default_config_static_selectorELNS0_4arch9wavefront6targetE0EEEvSS_.num_vgpr, 20
	.set _ZN7rocprim17ROCPRIM_400000_NS6detail17trampoline_kernelINS0_14default_configENS1_22reduce_config_selectorIiEEZNS1_11reduce_implILb1ES3_PiS7_iN6hipcub16HIPCUB_304000_NS6detail34convert_binary_result_type_wrapperINS9_3SumENS9_22TransformInputIteratorIbN2at6native12_GLOBAL__N_19NonZeroOpIN3c108BFloat16EEEPKSJ_lEEiEEEE10hipError_tPvRmT1_T2_T3_mT4_P12ihipStream_tbEUlT_E0_NS1_11comp_targetILNS1_3genE10ELNS1_11target_archE1201ELNS1_3gpuE5ELNS1_3repE0EEENS1_30default_config_static_selectorELNS0_4arch9wavefront6targetE0EEEvSS_.num_agpr, 0
	.set _ZN7rocprim17ROCPRIM_400000_NS6detail17trampoline_kernelINS0_14default_configENS1_22reduce_config_selectorIiEEZNS1_11reduce_implILb1ES3_PiS7_iN6hipcub16HIPCUB_304000_NS6detail34convert_binary_result_type_wrapperINS9_3SumENS9_22TransformInputIteratorIbN2at6native12_GLOBAL__N_19NonZeroOpIN3c108BFloat16EEEPKSJ_lEEiEEEE10hipError_tPvRmT1_T2_T3_mT4_P12ihipStream_tbEUlT_E0_NS1_11comp_targetILNS1_3genE10ELNS1_11target_archE1201ELNS1_3gpuE5ELNS1_3repE0EEENS1_30default_config_static_selectorELNS0_4arch9wavefront6targetE0EEEvSS_.numbered_sgpr, 30
	.set _ZN7rocprim17ROCPRIM_400000_NS6detail17trampoline_kernelINS0_14default_configENS1_22reduce_config_selectorIiEEZNS1_11reduce_implILb1ES3_PiS7_iN6hipcub16HIPCUB_304000_NS6detail34convert_binary_result_type_wrapperINS9_3SumENS9_22TransformInputIteratorIbN2at6native12_GLOBAL__N_19NonZeroOpIN3c108BFloat16EEEPKSJ_lEEiEEEE10hipError_tPvRmT1_T2_T3_mT4_P12ihipStream_tbEUlT_E0_NS1_11comp_targetILNS1_3genE10ELNS1_11target_archE1201ELNS1_3gpuE5ELNS1_3repE0EEENS1_30default_config_static_selectorELNS0_4arch9wavefront6targetE0EEEvSS_.num_named_barrier, 0
	.set _ZN7rocprim17ROCPRIM_400000_NS6detail17trampoline_kernelINS0_14default_configENS1_22reduce_config_selectorIiEEZNS1_11reduce_implILb1ES3_PiS7_iN6hipcub16HIPCUB_304000_NS6detail34convert_binary_result_type_wrapperINS9_3SumENS9_22TransformInputIteratorIbN2at6native12_GLOBAL__N_19NonZeroOpIN3c108BFloat16EEEPKSJ_lEEiEEEE10hipError_tPvRmT1_T2_T3_mT4_P12ihipStream_tbEUlT_E0_NS1_11comp_targetILNS1_3genE10ELNS1_11target_archE1201ELNS1_3gpuE5ELNS1_3repE0EEENS1_30default_config_static_selectorELNS0_4arch9wavefront6targetE0EEEvSS_.private_seg_size, 0
	.set _ZN7rocprim17ROCPRIM_400000_NS6detail17trampoline_kernelINS0_14default_configENS1_22reduce_config_selectorIiEEZNS1_11reduce_implILb1ES3_PiS7_iN6hipcub16HIPCUB_304000_NS6detail34convert_binary_result_type_wrapperINS9_3SumENS9_22TransformInputIteratorIbN2at6native12_GLOBAL__N_19NonZeroOpIN3c108BFloat16EEEPKSJ_lEEiEEEE10hipError_tPvRmT1_T2_T3_mT4_P12ihipStream_tbEUlT_E0_NS1_11comp_targetILNS1_3genE10ELNS1_11target_archE1201ELNS1_3gpuE5ELNS1_3repE0EEENS1_30default_config_static_selectorELNS0_4arch9wavefront6targetE0EEEvSS_.uses_vcc, 1
	.set _ZN7rocprim17ROCPRIM_400000_NS6detail17trampoline_kernelINS0_14default_configENS1_22reduce_config_selectorIiEEZNS1_11reduce_implILb1ES3_PiS7_iN6hipcub16HIPCUB_304000_NS6detail34convert_binary_result_type_wrapperINS9_3SumENS9_22TransformInputIteratorIbN2at6native12_GLOBAL__N_19NonZeroOpIN3c108BFloat16EEEPKSJ_lEEiEEEE10hipError_tPvRmT1_T2_T3_mT4_P12ihipStream_tbEUlT_E0_NS1_11comp_targetILNS1_3genE10ELNS1_11target_archE1201ELNS1_3gpuE5ELNS1_3repE0EEENS1_30default_config_static_selectorELNS0_4arch9wavefront6targetE0EEEvSS_.uses_flat_scratch, 0
	.set _ZN7rocprim17ROCPRIM_400000_NS6detail17trampoline_kernelINS0_14default_configENS1_22reduce_config_selectorIiEEZNS1_11reduce_implILb1ES3_PiS7_iN6hipcub16HIPCUB_304000_NS6detail34convert_binary_result_type_wrapperINS9_3SumENS9_22TransformInputIteratorIbN2at6native12_GLOBAL__N_19NonZeroOpIN3c108BFloat16EEEPKSJ_lEEiEEEE10hipError_tPvRmT1_T2_T3_mT4_P12ihipStream_tbEUlT_E0_NS1_11comp_targetILNS1_3genE10ELNS1_11target_archE1201ELNS1_3gpuE5ELNS1_3repE0EEENS1_30default_config_static_selectorELNS0_4arch9wavefront6targetE0EEEvSS_.has_dyn_sized_stack, 0
	.set _ZN7rocprim17ROCPRIM_400000_NS6detail17trampoline_kernelINS0_14default_configENS1_22reduce_config_selectorIiEEZNS1_11reduce_implILb1ES3_PiS7_iN6hipcub16HIPCUB_304000_NS6detail34convert_binary_result_type_wrapperINS9_3SumENS9_22TransformInputIteratorIbN2at6native12_GLOBAL__N_19NonZeroOpIN3c108BFloat16EEEPKSJ_lEEiEEEE10hipError_tPvRmT1_T2_T3_mT4_P12ihipStream_tbEUlT_E0_NS1_11comp_targetILNS1_3genE10ELNS1_11target_archE1201ELNS1_3gpuE5ELNS1_3repE0EEENS1_30default_config_static_selectorELNS0_4arch9wavefront6targetE0EEEvSS_.has_recursion, 0
	.set _ZN7rocprim17ROCPRIM_400000_NS6detail17trampoline_kernelINS0_14default_configENS1_22reduce_config_selectorIiEEZNS1_11reduce_implILb1ES3_PiS7_iN6hipcub16HIPCUB_304000_NS6detail34convert_binary_result_type_wrapperINS9_3SumENS9_22TransformInputIteratorIbN2at6native12_GLOBAL__N_19NonZeroOpIN3c108BFloat16EEEPKSJ_lEEiEEEE10hipError_tPvRmT1_T2_T3_mT4_P12ihipStream_tbEUlT_E0_NS1_11comp_targetILNS1_3genE10ELNS1_11target_archE1201ELNS1_3gpuE5ELNS1_3repE0EEENS1_30default_config_static_selectorELNS0_4arch9wavefront6targetE0EEEvSS_.has_indirect_call, 0
	.section	.AMDGPU.csdata,"",@progbits
; Kernel info:
; codeLenInByte = 2448
; TotalNumSgprs: 32
; NumVgprs: 20
; ScratchSize: 0
; MemoryBound: 0
; FloatMode: 240
; IeeeMode: 1
; LDSByteSize: 64 bytes/workgroup (compile time only)
; SGPRBlocks: 0
; VGPRBlocks: 2
; NumSGPRsForWavesPerEU: 32
; NumVGPRsForWavesPerEU: 20
; Occupancy: 16
; WaveLimiterHint : 1
; COMPUTE_PGM_RSRC2:SCRATCH_EN: 0
; COMPUTE_PGM_RSRC2:USER_SGPR: 2
; COMPUTE_PGM_RSRC2:TRAP_HANDLER: 0
; COMPUTE_PGM_RSRC2:TGID_X_EN: 1
; COMPUTE_PGM_RSRC2:TGID_Y_EN: 0
; COMPUTE_PGM_RSRC2:TGID_Z_EN: 0
; COMPUTE_PGM_RSRC2:TIDIG_COMP_CNT: 0
	.section	.text._ZN7rocprim17ROCPRIM_400000_NS6detail17trampoline_kernelINS0_14default_configENS1_22reduce_config_selectorIiEEZNS1_11reduce_implILb1ES3_PiS7_iN6hipcub16HIPCUB_304000_NS6detail34convert_binary_result_type_wrapperINS9_3SumENS9_22TransformInputIteratorIbN2at6native12_GLOBAL__N_19NonZeroOpIN3c108BFloat16EEEPKSJ_lEEiEEEE10hipError_tPvRmT1_T2_T3_mT4_P12ihipStream_tbEUlT_E0_NS1_11comp_targetILNS1_3genE10ELNS1_11target_archE1200ELNS1_3gpuE4ELNS1_3repE0EEENS1_30default_config_static_selectorELNS0_4arch9wavefront6targetE0EEEvSS_,"axG",@progbits,_ZN7rocprim17ROCPRIM_400000_NS6detail17trampoline_kernelINS0_14default_configENS1_22reduce_config_selectorIiEEZNS1_11reduce_implILb1ES3_PiS7_iN6hipcub16HIPCUB_304000_NS6detail34convert_binary_result_type_wrapperINS9_3SumENS9_22TransformInputIteratorIbN2at6native12_GLOBAL__N_19NonZeroOpIN3c108BFloat16EEEPKSJ_lEEiEEEE10hipError_tPvRmT1_T2_T3_mT4_P12ihipStream_tbEUlT_E0_NS1_11comp_targetILNS1_3genE10ELNS1_11target_archE1200ELNS1_3gpuE4ELNS1_3repE0EEENS1_30default_config_static_selectorELNS0_4arch9wavefront6targetE0EEEvSS_,comdat
	.globl	_ZN7rocprim17ROCPRIM_400000_NS6detail17trampoline_kernelINS0_14default_configENS1_22reduce_config_selectorIiEEZNS1_11reduce_implILb1ES3_PiS7_iN6hipcub16HIPCUB_304000_NS6detail34convert_binary_result_type_wrapperINS9_3SumENS9_22TransformInputIteratorIbN2at6native12_GLOBAL__N_19NonZeroOpIN3c108BFloat16EEEPKSJ_lEEiEEEE10hipError_tPvRmT1_T2_T3_mT4_P12ihipStream_tbEUlT_E0_NS1_11comp_targetILNS1_3genE10ELNS1_11target_archE1200ELNS1_3gpuE4ELNS1_3repE0EEENS1_30default_config_static_selectorELNS0_4arch9wavefront6targetE0EEEvSS_ ; -- Begin function _ZN7rocprim17ROCPRIM_400000_NS6detail17trampoline_kernelINS0_14default_configENS1_22reduce_config_selectorIiEEZNS1_11reduce_implILb1ES3_PiS7_iN6hipcub16HIPCUB_304000_NS6detail34convert_binary_result_type_wrapperINS9_3SumENS9_22TransformInputIteratorIbN2at6native12_GLOBAL__N_19NonZeroOpIN3c108BFloat16EEEPKSJ_lEEiEEEE10hipError_tPvRmT1_T2_T3_mT4_P12ihipStream_tbEUlT_E0_NS1_11comp_targetILNS1_3genE10ELNS1_11target_archE1200ELNS1_3gpuE4ELNS1_3repE0EEENS1_30default_config_static_selectorELNS0_4arch9wavefront6targetE0EEEvSS_
	.p2align	8
	.type	_ZN7rocprim17ROCPRIM_400000_NS6detail17trampoline_kernelINS0_14default_configENS1_22reduce_config_selectorIiEEZNS1_11reduce_implILb1ES3_PiS7_iN6hipcub16HIPCUB_304000_NS6detail34convert_binary_result_type_wrapperINS9_3SumENS9_22TransformInputIteratorIbN2at6native12_GLOBAL__N_19NonZeroOpIN3c108BFloat16EEEPKSJ_lEEiEEEE10hipError_tPvRmT1_T2_T3_mT4_P12ihipStream_tbEUlT_E0_NS1_11comp_targetILNS1_3genE10ELNS1_11target_archE1200ELNS1_3gpuE4ELNS1_3repE0EEENS1_30default_config_static_selectorELNS0_4arch9wavefront6targetE0EEEvSS_,@function
_ZN7rocprim17ROCPRIM_400000_NS6detail17trampoline_kernelINS0_14default_configENS1_22reduce_config_selectorIiEEZNS1_11reduce_implILb1ES3_PiS7_iN6hipcub16HIPCUB_304000_NS6detail34convert_binary_result_type_wrapperINS9_3SumENS9_22TransformInputIteratorIbN2at6native12_GLOBAL__N_19NonZeroOpIN3c108BFloat16EEEPKSJ_lEEiEEEE10hipError_tPvRmT1_T2_T3_mT4_P12ihipStream_tbEUlT_E0_NS1_11comp_targetILNS1_3genE10ELNS1_11target_archE1200ELNS1_3gpuE4ELNS1_3repE0EEENS1_30default_config_static_selectorELNS0_4arch9wavefront6targetE0EEEvSS_: ; @_ZN7rocprim17ROCPRIM_400000_NS6detail17trampoline_kernelINS0_14default_configENS1_22reduce_config_selectorIiEEZNS1_11reduce_implILb1ES3_PiS7_iN6hipcub16HIPCUB_304000_NS6detail34convert_binary_result_type_wrapperINS9_3SumENS9_22TransformInputIteratorIbN2at6native12_GLOBAL__N_19NonZeroOpIN3c108BFloat16EEEPKSJ_lEEiEEEE10hipError_tPvRmT1_T2_T3_mT4_P12ihipStream_tbEUlT_E0_NS1_11comp_targetILNS1_3genE10ELNS1_11target_archE1200ELNS1_3gpuE4ELNS1_3repE0EEENS1_30default_config_static_selectorELNS0_4arch9wavefront6targetE0EEEvSS_
; %bb.0:
	.section	.rodata,"a",@progbits
	.p2align	6, 0x0
	.amdhsa_kernel _ZN7rocprim17ROCPRIM_400000_NS6detail17trampoline_kernelINS0_14default_configENS1_22reduce_config_selectorIiEEZNS1_11reduce_implILb1ES3_PiS7_iN6hipcub16HIPCUB_304000_NS6detail34convert_binary_result_type_wrapperINS9_3SumENS9_22TransformInputIteratorIbN2at6native12_GLOBAL__N_19NonZeroOpIN3c108BFloat16EEEPKSJ_lEEiEEEE10hipError_tPvRmT1_T2_T3_mT4_P12ihipStream_tbEUlT_E0_NS1_11comp_targetILNS1_3genE10ELNS1_11target_archE1200ELNS1_3gpuE4ELNS1_3repE0EEENS1_30default_config_static_selectorELNS0_4arch9wavefront6targetE0EEEvSS_
		.amdhsa_group_segment_fixed_size 0
		.amdhsa_private_segment_fixed_size 0
		.amdhsa_kernarg_size 56
		.amdhsa_user_sgpr_count 2
		.amdhsa_user_sgpr_dispatch_ptr 0
		.amdhsa_user_sgpr_queue_ptr 0
		.amdhsa_user_sgpr_kernarg_segment_ptr 1
		.amdhsa_user_sgpr_dispatch_id 0
		.amdhsa_user_sgpr_private_segment_size 0
		.amdhsa_wavefront_size32 1
		.amdhsa_uses_dynamic_stack 0
		.amdhsa_enable_private_segment 0
		.amdhsa_system_sgpr_workgroup_id_x 1
		.amdhsa_system_sgpr_workgroup_id_y 0
		.amdhsa_system_sgpr_workgroup_id_z 0
		.amdhsa_system_sgpr_workgroup_info 0
		.amdhsa_system_vgpr_workitem_id 0
		.amdhsa_next_free_vgpr 1
		.amdhsa_next_free_sgpr 1
		.amdhsa_reserve_vcc 0
		.amdhsa_float_round_mode_32 0
		.amdhsa_float_round_mode_16_64 0
		.amdhsa_float_denorm_mode_32 3
		.amdhsa_float_denorm_mode_16_64 3
		.amdhsa_fp16_overflow 0
		.amdhsa_workgroup_processor_mode 1
		.amdhsa_memory_ordered 1
		.amdhsa_forward_progress 1
		.amdhsa_inst_pref_size 0
		.amdhsa_round_robin_scheduling 0
		.amdhsa_exception_fp_ieee_invalid_op 0
		.amdhsa_exception_fp_denorm_src 0
		.amdhsa_exception_fp_ieee_div_zero 0
		.amdhsa_exception_fp_ieee_overflow 0
		.amdhsa_exception_fp_ieee_underflow 0
		.amdhsa_exception_fp_ieee_inexact 0
		.amdhsa_exception_int_div_zero 0
	.end_amdhsa_kernel
	.section	.text._ZN7rocprim17ROCPRIM_400000_NS6detail17trampoline_kernelINS0_14default_configENS1_22reduce_config_selectorIiEEZNS1_11reduce_implILb1ES3_PiS7_iN6hipcub16HIPCUB_304000_NS6detail34convert_binary_result_type_wrapperINS9_3SumENS9_22TransformInputIteratorIbN2at6native12_GLOBAL__N_19NonZeroOpIN3c108BFloat16EEEPKSJ_lEEiEEEE10hipError_tPvRmT1_T2_T3_mT4_P12ihipStream_tbEUlT_E0_NS1_11comp_targetILNS1_3genE10ELNS1_11target_archE1200ELNS1_3gpuE4ELNS1_3repE0EEENS1_30default_config_static_selectorELNS0_4arch9wavefront6targetE0EEEvSS_,"axG",@progbits,_ZN7rocprim17ROCPRIM_400000_NS6detail17trampoline_kernelINS0_14default_configENS1_22reduce_config_selectorIiEEZNS1_11reduce_implILb1ES3_PiS7_iN6hipcub16HIPCUB_304000_NS6detail34convert_binary_result_type_wrapperINS9_3SumENS9_22TransformInputIteratorIbN2at6native12_GLOBAL__N_19NonZeroOpIN3c108BFloat16EEEPKSJ_lEEiEEEE10hipError_tPvRmT1_T2_T3_mT4_P12ihipStream_tbEUlT_E0_NS1_11comp_targetILNS1_3genE10ELNS1_11target_archE1200ELNS1_3gpuE4ELNS1_3repE0EEENS1_30default_config_static_selectorELNS0_4arch9wavefront6targetE0EEEvSS_,comdat
.Lfunc_end768:
	.size	_ZN7rocprim17ROCPRIM_400000_NS6detail17trampoline_kernelINS0_14default_configENS1_22reduce_config_selectorIiEEZNS1_11reduce_implILb1ES3_PiS7_iN6hipcub16HIPCUB_304000_NS6detail34convert_binary_result_type_wrapperINS9_3SumENS9_22TransformInputIteratorIbN2at6native12_GLOBAL__N_19NonZeroOpIN3c108BFloat16EEEPKSJ_lEEiEEEE10hipError_tPvRmT1_T2_T3_mT4_P12ihipStream_tbEUlT_E0_NS1_11comp_targetILNS1_3genE10ELNS1_11target_archE1200ELNS1_3gpuE4ELNS1_3repE0EEENS1_30default_config_static_selectorELNS0_4arch9wavefront6targetE0EEEvSS_, .Lfunc_end768-_ZN7rocprim17ROCPRIM_400000_NS6detail17trampoline_kernelINS0_14default_configENS1_22reduce_config_selectorIiEEZNS1_11reduce_implILb1ES3_PiS7_iN6hipcub16HIPCUB_304000_NS6detail34convert_binary_result_type_wrapperINS9_3SumENS9_22TransformInputIteratorIbN2at6native12_GLOBAL__N_19NonZeroOpIN3c108BFloat16EEEPKSJ_lEEiEEEE10hipError_tPvRmT1_T2_T3_mT4_P12ihipStream_tbEUlT_E0_NS1_11comp_targetILNS1_3genE10ELNS1_11target_archE1200ELNS1_3gpuE4ELNS1_3repE0EEENS1_30default_config_static_selectorELNS0_4arch9wavefront6targetE0EEEvSS_
                                        ; -- End function
	.set _ZN7rocprim17ROCPRIM_400000_NS6detail17trampoline_kernelINS0_14default_configENS1_22reduce_config_selectorIiEEZNS1_11reduce_implILb1ES3_PiS7_iN6hipcub16HIPCUB_304000_NS6detail34convert_binary_result_type_wrapperINS9_3SumENS9_22TransformInputIteratorIbN2at6native12_GLOBAL__N_19NonZeroOpIN3c108BFloat16EEEPKSJ_lEEiEEEE10hipError_tPvRmT1_T2_T3_mT4_P12ihipStream_tbEUlT_E0_NS1_11comp_targetILNS1_3genE10ELNS1_11target_archE1200ELNS1_3gpuE4ELNS1_3repE0EEENS1_30default_config_static_selectorELNS0_4arch9wavefront6targetE0EEEvSS_.num_vgpr, 0
	.set _ZN7rocprim17ROCPRIM_400000_NS6detail17trampoline_kernelINS0_14default_configENS1_22reduce_config_selectorIiEEZNS1_11reduce_implILb1ES3_PiS7_iN6hipcub16HIPCUB_304000_NS6detail34convert_binary_result_type_wrapperINS9_3SumENS9_22TransformInputIteratorIbN2at6native12_GLOBAL__N_19NonZeroOpIN3c108BFloat16EEEPKSJ_lEEiEEEE10hipError_tPvRmT1_T2_T3_mT4_P12ihipStream_tbEUlT_E0_NS1_11comp_targetILNS1_3genE10ELNS1_11target_archE1200ELNS1_3gpuE4ELNS1_3repE0EEENS1_30default_config_static_selectorELNS0_4arch9wavefront6targetE0EEEvSS_.num_agpr, 0
	.set _ZN7rocprim17ROCPRIM_400000_NS6detail17trampoline_kernelINS0_14default_configENS1_22reduce_config_selectorIiEEZNS1_11reduce_implILb1ES3_PiS7_iN6hipcub16HIPCUB_304000_NS6detail34convert_binary_result_type_wrapperINS9_3SumENS9_22TransformInputIteratorIbN2at6native12_GLOBAL__N_19NonZeroOpIN3c108BFloat16EEEPKSJ_lEEiEEEE10hipError_tPvRmT1_T2_T3_mT4_P12ihipStream_tbEUlT_E0_NS1_11comp_targetILNS1_3genE10ELNS1_11target_archE1200ELNS1_3gpuE4ELNS1_3repE0EEENS1_30default_config_static_selectorELNS0_4arch9wavefront6targetE0EEEvSS_.numbered_sgpr, 0
	.set _ZN7rocprim17ROCPRIM_400000_NS6detail17trampoline_kernelINS0_14default_configENS1_22reduce_config_selectorIiEEZNS1_11reduce_implILb1ES3_PiS7_iN6hipcub16HIPCUB_304000_NS6detail34convert_binary_result_type_wrapperINS9_3SumENS9_22TransformInputIteratorIbN2at6native12_GLOBAL__N_19NonZeroOpIN3c108BFloat16EEEPKSJ_lEEiEEEE10hipError_tPvRmT1_T2_T3_mT4_P12ihipStream_tbEUlT_E0_NS1_11comp_targetILNS1_3genE10ELNS1_11target_archE1200ELNS1_3gpuE4ELNS1_3repE0EEENS1_30default_config_static_selectorELNS0_4arch9wavefront6targetE0EEEvSS_.num_named_barrier, 0
	.set _ZN7rocprim17ROCPRIM_400000_NS6detail17trampoline_kernelINS0_14default_configENS1_22reduce_config_selectorIiEEZNS1_11reduce_implILb1ES3_PiS7_iN6hipcub16HIPCUB_304000_NS6detail34convert_binary_result_type_wrapperINS9_3SumENS9_22TransformInputIteratorIbN2at6native12_GLOBAL__N_19NonZeroOpIN3c108BFloat16EEEPKSJ_lEEiEEEE10hipError_tPvRmT1_T2_T3_mT4_P12ihipStream_tbEUlT_E0_NS1_11comp_targetILNS1_3genE10ELNS1_11target_archE1200ELNS1_3gpuE4ELNS1_3repE0EEENS1_30default_config_static_selectorELNS0_4arch9wavefront6targetE0EEEvSS_.private_seg_size, 0
	.set _ZN7rocprim17ROCPRIM_400000_NS6detail17trampoline_kernelINS0_14default_configENS1_22reduce_config_selectorIiEEZNS1_11reduce_implILb1ES3_PiS7_iN6hipcub16HIPCUB_304000_NS6detail34convert_binary_result_type_wrapperINS9_3SumENS9_22TransformInputIteratorIbN2at6native12_GLOBAL__N_19NonZeroOpIN3c108BFloat16EEEPKSJ_lEEiEEEE10hipError_tPvRmT1_T2_T3_mT4_P12ihipStream_tbEUlT_E0_NS1_11comp_targetILNS1_3genE10ELNS1_11target_archE1200ELNS1_3gpuE4ELNS1_3repE0EEENS1_30default_config_static_selectorELNS0_4arch9wavefront6targetE0EEEvSS_.uses_vcc, 0
	.set _ZN7rocprim17ROCPRIM_400000_NS6detail17trampoline_kernelINS0_14default_configENS1_22reduce_config_selectorIiEEZNS1_11reduce_implILb1ES3_PiS7_iN6hipcub16HIPCUB_304000_NS6detail34convert_binary_result_type_wrapperINS9_3SumENS9_22TransformInputIteratorIbN2at6native12_GLOBAL__N_19NonZeroOpIN3c108BFloat16EEEPKSJ_lEEiEEEE10hipError_tPvRmT1_T2_T3_mT4_P12ihipStream_tbEUlT_E0_NS1_11comp_targetILNS1_3genE10ELNS1_11target_archE1200ELNS1_3gpuE4ELNS1_3repE0EEENS1_30default_config_static_selectorELNS0_4arch9wavefront6targetE0EEEvSS_.uses_flat_scratch, 0
	.set _ZN7rocprim17ROCPRIM_400000_NS6detail17trampoline_kernelINS0_14default_configENS1_22reduce_config_selectorIiEEZNS1_11reduce_implILb1ES3_PiS7_iN6hipcub16HIPCUB_304000_NS6detail34convert_binary_result_type_wrapperINS9_3SumENS9_22TransformInputIteratorIbN2at6native12_GLOBAL__N_19NonZeroOpIN3c108BFloat16EEEPKSJ_lEEiEEEE10hipError_tPvRmT1_T2_T3_mT4_P12ihipStream_tbEUlT_E0_NS1_11comp_targetILNS1_3genE10ELNS1_11target_archE1200ELNS1_3gpuE4ELNS1_3repE0EEENS1_30default_config_static_selectorELNS0_4arch9wavefront6targetE0EEEvSS_.has_dyn_sized_stack, 0
	.set _ZN7rocprim17ROCPRIM_400000_NS6detail17trampoline_kernelINS0_14default_configENS1_22reduce_config_selectorIiEEZNS1_11reduce_implILb1ES3_PiS7_iN6hipcub16HIPCUB_304000_NS6detail34convert_binary_result_type_wrapperINS9_3SumENS9_22TransformInputIteratorIbN2at6native12_GLOBAL__N_19NonZeroOpIN3c108BFloat16EEEPKSJ_lEEiEEEE10hipError_tPvRmT1_T2_T3_mT4_P12ihipStream_tbEUlT_E0_NS1_11comp_targetILNS1_3genE10ELNS1_11target_archE1200ELNS1_3gpuE4ELNS1_3repE0EEENS1_30default_config_static_selectorELNS0_4arch9wavefront6targetE0EEEvSS_.has_recursion, 0
	.set _ZN7rocprim17ROCPRIM_400000_NS6detail17trampoline_kernelINS0_14default_configENS1_22reduce_config_selectorIiEEZNS1_11reduce_implILb1ES3_PiS7_iN6hipcub16HIPCUB_304000_NS6detail34convert_binary_result_type_wrapperINS9_3SumENS9_22TransformInputIteratorIbN2at6native12_GLOBAL__N_19NonZeroOpIN3c108BFloat16EEEPKSJ_lEEiEEEE10hipError_tPvRmT1_T2_T3_mT4_P12ihipStream_tbEUlT_E0_NS1_11comp_targetILNS1_3genE10ELNS1_11target_archE1200ELNS1_3gpuE4ELNS1_3repE0EEENS1_30default_config_static_selectorELNS0_4arch9wavefront6targetE0EEEvSS_.has_indirect_call, 0
	.section	.AMDGPU.csdata,"",@progbits
; Kernel info:
; codeLenInByte = 0
; TotalNumSgprs: 0
; NumVgprs: 0
; ScratchSize: 0
; MemoryBound: 0
; FloatMode: 240
; IeeeMode: 1
; LDSByteSize: 0 bytes/workgroup (compile time only)
; SGPRBlocks: 0
; VGPRBlocks: 0
; NumSGPRsForWavesPerEU: 1
; NumVGPRsForWavesPerEU: 1
; Occupancy: 16
; WaveLimiterHint : 0
; COMPUTE_PGM_RSRC2:SCRATCH_EN: 0
; COMPUTE_PGM_RSRC2:USER_SGPR: 2
; COMPUTE_PGM_RSRC2:TRAP_HANDLER: 0
; COMPUTE_PGM_RSRC2:TGID_X_EN: 1
; COMPUTE_PGM_RSRC2:TGID_Y_EN: 0
; COMPUTE_PGM_RSRC2:TGID_Z_EN: 0
; COMPUTE_PGM_RSRC2:TIDIG_COMP_CNT: 0
	.section	.text._ZN7rocprim17ROCPRIM_400000_NS6detail17trampoline_kernelINS0_14default_configENS1_22reduce_config_selectorIiEEZNS1_11reduce_implILb1ES3_PiS7_iN6hipcub16HIPCUB_304000_NS6detail34convert_binary_result_type_wrapperINS9_3SumENS9_22TransformInputIteratorIbN2at6native12_GLOBAL__N_19NonZeroOpIN3c108BFloat16EEEPKSJ_lEEiEEEE10hipError_tPvRmT1_T2_T3_mT4_P12ihipStream_tbEUlT_E0_NS1_11comp_targetILNS1_3genE9ELNS1_11target_archE1100ELNS1_3gpuE3ELNS1_3repE0EEENS1_30default_config_static_selectorELNS0_4arch9wavefront6targetE0EEEvSS_,"axG",@progbits,_ZN7rocprim17ROCPRIM_400000_NS6detail17trampoline_kernelINS0_14default_configENS1_22reduce_config_selectorIiEEZNS1_11reduce_implILb1ES3_PiS7_iN6hipcub16HIPCUB_304000_NS6detail34convert_binary_result_type_wrapperINS9_3SumENS9_22TransformInputIteratorIbN2at6native12_GLOBAL__N_19NonZeroOpIN3c108BFloat16EEEPKSJ_lEEiEEEE10hipError_tPvRmT1_T2_T3_mT4_P12ihipStream_tbEUlT_E0_NS1_11comp_targetILNS1_3genE9ELNS1_11target_archE1100ELNS1_3gpuE3ELNS1_3repE0EEENS1_30default_config_static_selectorELNS0_4arch9wavefront6targetE0EEEvSS_,comdat
	.globl	_ZN7rocprim17ROCPRIM_400000_NS6detail17trampoline_kernelINS0_14default_configENS1_22reduce_config_selectorIiEEZNS1_11reduce_implILb1ES3_PiS7_iN6hipcub16HIPCUB_304000_NS6detail34convert_binary_result_type_wrapperINS9_3SumENS9_22TransformInputIteratorIbN2at6native12_GLOBAL__N_19NonZeroOpIN3c108BFloat16EEEPKSJ_lEEiEEEE10hipError_tPvRmT1_T2_T3_mT4_P12ihipStream_tbEUlT_E0_NS1_11comp_targetILNS1_3genE9ELNS1_11target_archE1100ELNS1_3gpuE3ELNS1_3repE0EEENS1_30default_config_static_selectorELNS0_4arch9wavefront6targetE0EEEvSS_ ; -- Begin function _ZN7rocprim17ROCPRIM_400000_NS6detail17trampoline_kernelINS0_14default_configENS1_22reduce_config_selectorIiEEZNS1_11reduce_implILb1ES3_PiS7_iN6hipcub16HIPCUB_304000_NS6detail34convert_binary_result_type_wrapperINS9_3SumENS9_22TransformInputIteratorIbN2at6native12_GLOBAL__N_19NonZeroOpIN3c108BFloat16EEEPKSJ_lEEiEEEE10hipError_tPvRmT1_T2_T3_mT4_P12ihipStream_tbEUlT_E0_NS1_11comp_targetILNS1_3genE9ELNS1_11target_archE1100ELNS1_3gpuE3ELNS1_3repE0EEENS1_30default_config_static_selectorELNS0_4arch9wavefront6targetE0EEEvSS_
	.p2align	8
	.type	_ZN7rocprim17ROCPRIM_400000_NS6detail17trampoline_kernelINS0_14default_configENS1_22reduce_config_selectorIiEEZNS1_11reduce_implILb1ES3_PiS7_iN6hipcub16HIPCUB_304000_NS6detail34convert_binary_result_type_wrapperINS9_3SumENS9_22TransformInputIteratorIbN2at6native12_GLOBAL__N_19NonZeroOpIN3c108BFloat16EEEPKSJ_lEEiEEEE10hipError_tPvRmT1_T2_T3_mT4_P12ihipStream_tbEUlT_E0_NS1_11comp_targetILNS1_3genE9ELNS1_11target_archE1100ELNS1_3gpuE3ELNS1_3repE0EEENS1_30default_config_static_selectorELNS0_4arch9wavefront6targetE0EEEvSS_,@function
_ZN7rocprim17ROCPRIM_400000_NS6detail17trampoline_kernelINS0_14default_configENS1_22reduce_config_selectorIiEEZNS1_11reduce_implILb1ES3_PiS7_iN6hipcub16HIPCUB_304000_NS6detail34convert_binary_result_type_wrapperINS9_3SumENS9_22TransformInputIteratorIbN2at6native12_GLOBAL__N_19NonZeroOpIN3c108BFloat16EEEPKSJ_lEEiEEEE10hipError_tPvRmT1_T2_T3_mT4_P12ihipStream_tbEUlT_E0_NS1_11comp_targetILNS1_3genE9ELNS1_11target_archE1100ELNS1_3gpuE3ELNS1_3repE0EEENS1_30default_config_static_selectorELNS0_4arch9wavefront6targetE0EEEvSS_: ; @_ZN7rocprim17ROCPRIM_400000_NS6detail17trampoline_kernelINS0_14default_configENS1_22reduce_config_selectorIiEEZNS1_11reduce_implILb1ES3_PiS7_iN6hipcub16HIPCUB_304000_NS6detail34convert_binary_result_type_wrapperINS9_3SumENS9_22TransformInputIteratorIbN2at6native12_GLOBAL__N_19NonZeroOpIN3c108BFloat16EEEPKSJ_lEEiEEEE10hipError_tPvRmT1_T2_T3_mT4_P12ihipStream_tbEUlT_E0_NS1_11comp_targetILNS1_3genE9ELNS1_11target_archE1100ELNS1_3gpuE3ELNS1_3repE0EEENS1_30default_config_static_selectorELNS0_4arch9wavefront6targetE0EEEvSS_
; %bb.0:
	.section	.rodata,"a",@progbits
	.p2align	6, 0x0
	.amdhsa_kernel _ZN7rocprim17ROCPRIM_400000_NS6detail17trampoline_kernelINS0_14default_configENS1_22reduce_config_selectorIiEEZNS1_11reduce_implILb1ES3_PiS7_iN6hipcub16HIPCUB_304000_NS6detail34convert_binary_result_type_wrapperINS9_3SumENS9_22TransformInputIteratorIbN2at6native12_GLOBAL__N_19NonZeroOpIN3c108BFloat16EEEPKSJ_lEEiEEEE10hipError_tPvRmT1_T2_T3_mT4_P12ihipStream_tbEUlT_E0_NS1_11comp_targetILNS1_3genE9ELNS1_11target_archE1100ELNS1_3gpuE3ELNS1_3repE0EEENS1_30default_config_static_selectorELNS0_4arch9wavefront6targetE0EEEvSS_
		.amdhsa_group_segment_fixed_size 0
		.amdhsa_private_segment_fixed_size 0
		.amdhsa_kernarg_size 56
		.amdhsa_user_sgpr_count 2
		.amdhsa_user_sgpr_dispatch_ptr 0
		.amdhsa_user_sgpr_queue_ptr 0
		.amdhsa_user_sgpr_kernarg_segment_ptr 1
		.amdhsa_user_sgpr_dispatch_id 0
		.amdhsa_user_sgpr_private_segment_size 0
		.amdhsa_wavefront_size32 1
		.amdhsa_uses_dynamic_stack 0
		.amdhsa_enable_private_segment 0
		.amdhsa_system_sgpr_workgroup_id_x 1
		.amdhsa_system_sgpr_workgroup_id_y 0
		.amdhsa_system_sgpr_workgroup_id_z 0
		.amdhsa_system_sgpr_workgroup_info 0
		.amdhsa_system_vgpr_workitem_id 0
		.amdhsa_next_free_vgpr 1
		.amdhsa_next_free_sgpr 1
		.amdhsa_reserve_vcc 0
		.amdhsa_float_round_mode_32 0
		.amdhsa_float_round_mode_16_64 0
		.amdhsa_float_denorm_mode_32 3
		.amdhsa_float_denorm_mode_16_64 3
		.amdhsa_fp16_overflow 0
		.amdhsa_workgroup_processor_mode 1
		.amdhsa_memory_ordered 1
		.amdhsa_forward_progress 1
		.amdhsa_inst_pref_size 0
		.amdhsa_round_robin_scheduling 0
		.amdhsa_exception_fp_ieee_invalid_op 0
		.amdhsa_exception_fp_denorm_src 0
		.amdhsa_exception_fp_ieee_div_zero 0
		.amdhsa_exception_fp_ieee_overflow 0
		.amdhsa_exception_fp_ieee_underflow 0
		.amdhsa_exception_fp_ieee_inexact 0
		.amdhsa_exception_int_div_zero 0
	.end_amdhsa_kernel
	.section	.text._ZN7rocprim17ROCPRIM_400000_NS6detail17trampoline_kernelINS0_14default_configENS1_22reduce_config_selectorIiEEZNS1_11reduce_implILb1ES3_PiS7_iN6hipcub16HIPCUB_304000_NS6detail34convert_binary_result_type_wrapperINS9_3SumENS9_22TransformInputIteratorIbN2at6native12_GLOBAL__N_19NonZeroOpIN3c108BFloat16EEEPKSJ_lEEiEEEE10hipError_tPvRmT1_T2_T3_mT4_P12ihipStream_tbEUlT_E0_NS1_11comp_targetILNS1_3genE9ELNS1_11target_archE1100ELNS1_3gpuE3ELNS1_3repE0EEENS1_30default_config_static_selectorELNS0_4arch9wavefront6targetE0EEEvSS_,"axG",@progbits,_ZN7rocprim17ROCPRIM_400000_NS6detail17trampoline_kernelINS0_14default_configENS1_22reduce_config_selectorIiEEZNS1_11reduce_implILb1ES3_PiS7_iN6hipcub16HIPCUB_304000_NS6detail34convert_binary_result_type_wrapperINS9_3SumENS9_22TransformInputIteratorIbN2at6native12_GLOBAL__N_19NonZeroOpIN3c108BFloat16EEEPKSJ_lEEiEEEE10hipError_tPvRmT1_T2_T3_mT4_P12ihipStream_tbEUlT_E0_NS1_11comp_targetILNS1_3genE9ELNS1_11target_archE1100ELNS1_3gpuE3ELNS1_3repE0EEENS1_30default_config_static_selectorELNS0_4arch9wavefront6targetE0EEEvSS_,comdat
.Lfunc_end769:
	.size	_ZN7rocprim17ROCPRIM_400000_NS6detail17trampoline_kernelINS0_14default_configENS1_22reduce_config_selectorIiEEZNS1_11reduce_implILb1ES3_PiS7_iN6hipcub16HIPCUB_304000_NS6detail34convert_binary_result_type_wrapperINS9_3SumENS9_22TransformInputIteratorIbN2at6native12_GLOBAL__N_19NonZeroOpIN3c108BFloat16EEEPKSJ_lEEiEEEE10hipError_tPvRmT1_T2_T3_mT4_P12ihipStream_tbEUlT_E0_NS1_11comp_targetILNS1_3genE9ELNS1_11target_archE1100ELNS1_3gpuE3ELNS1_3repE0EEENS1_30default_config_static_selectorELNS0_4arch9wavefront6targetE0EEEvSS_, .Lfunc_end769-_ZN7rocprim17ROCPRIM_400000_NS6detail17trampoline_kernelINS0_14default_configENS1_22reduce_config_selectorIiEEZNS1_11reduce_implILb1ES3_PiS7_iN6hipcub16HIPCUB_304000_NS6detail34convert_binary_result_type_wrapperINS9_3SumENS9_22TransformInputIteratorIbN2at6native12_GLOBAL__N_19NonZeroOpIN3c108BFloat16EEEPKSJ_lEEiEEEE10hipError_tPvRmT1_T2_T3_mT4_P12ihipStream_tbEUlT_E0_NS1_11comp_targetILNS1_3genE9ELNS1_11target_archE1100ELNS1_3gpuE3ELNS1_3repE0EEENS1_30default_config_static_selectorELNS0_4arch9wavefront6targetE0EEEvSS_
                                        ; -- End function
	.set _ZN7rocprim17ROCPRIM_400000_NS6detail17trampoline_kernelINS0_14default_configENS1_22reduce_config_selectorIiEEZNS1_11reduce_implILb1ES3_PiS7_iN6hipcub16HIPCUB_304000_NS6detail34convert_binary_result_type_wrapperINS9_3SumENS9_22TransformInputIteratorIbN2at6native12_GLOBAL__N_19NonZeroOpIN3c108BFloat16EEEPKSJ_lEEiEEEE10hipError_tPvRmT1_T2_T3_mT4_P12ihipStream_tbEUlT_E0_NS1_11comp_targetILNS1_3genE9ELNS1_11target_archE1100ELNS1_3gpuE3ELNS1_3repE0EEENS1_30default_config_static_selectorELNS0_4arch9wavefront6targetE0EEEvSS_.num_vgpr, 0
	.set _ZN7rocprim17ROCPRIM_400000_NS6detail17trampoline_kernelINS0_14default_configENS1_22reduce_config_selectorIiEEZNS1_11reduce_implILb1ES3_PiS7_iN6hipcub16HIPCUB_304000_NS6detail34convert_binary_result_type_wrapperINS9_3SumENS9_22TransformInputIteratorIbN2at6native12_GLOBAL__N_19NonZeroOpIN3c108BFloat16EEEPKSJ_lEEiEEEE10hipError_tPvRmT1_T2_T3_mT4_P12ihipStream_tbEUlT_E0_NS1_11comp_targetILNS1_3genE9ELNS1_11target_archE1100ELNS1_3gpuE3ELNS1_3repE0EEENS1_30default_config_static_selectorELNS0_4arch9wavefront6targetE0EEEvSS_.num_agpr, 0
	.set _ZN7rocprim17ROCPRIM_400000_NS6detail17trampoline_kernelINS0_14default_configENS1_22reduce_config_selectorIiEEZNS1_11reduce_implILb1ES3_PiS7_iN6hipcub16HIPCUB_304000_NS6detail34convert_binary_result_type_wrapperINS9_3SumENS9_22TransformInputIteratorIbN2at6native12_GLOBAL__N_19NonZeroOpIN3c108BFloat16EEEPKSJ_lEEiEEEE10hipError_tPvRmT1_T2_T3_mT4_P12ihipStream_tbEUlT_E0_NS1_11comp_targetILNS1_3genE9ELNS1_11target_archE1100ELNS1_3gpuE3ELNS1_3repE0EEENS1_30default_config_static_selectorELNS0_4arch9wavefront6targetE0EEEvSS_.numbered_sgpr, 0
	.set _ZN7rocprim17ROCPRIM_400000_NS6detail17trampoline_kernelINS0_14default_configENS1_22reduce_config_selectorIiEEZNS1_11reduce_implILb1ES3_PiS7_iN6hipcub16HIPCUB_304000_NS6detail34convert_binary_result_type_wrapperINS9_3SumENS9_22TransformInputIteratorIbN2at6native12_GLOBAL__N_19NonZeroOpIN3c108BFloat16EEEPKSJ_lEEiEEEE10hipError_tPvRmT1_T2_T3_mT4_P12ihipStream_tbEUlT_E0_NS1_11comp_targetILNS1_3genE9ELNS1_11target_archE1100ELNS1_3gpuE3ELNS1_3repE0EEENS1_30default_config_static_selectorELNS0_4arch9wavefront6targetE0EEEvSS_.num_named_barrier, 0
	.set _ZN7rocprim17ROCPRIM_400000_NS6detail17trampoline_kernelINS0_14default_configENS1_22reduce_config_selectorIiEEZNS1_11reduce_implILb1ES3_PiS7_iN6hipcub16HIPCUB_304000_NS6detail34convert_binary_result_type_wrapperINS9_3SumENS9_22TransformInputIteratorIbN2at6native12_GLOBAL__N_19NonZeroOpIN3c108BFloat16EEEPKSJ_lEEiEEEE10hipError_tPvRmT1_T2_T3_mT4_P12ihipStream_tbEUlT_E0_NS1_11comp_targetILNS1_3genE9ELNS1_11target_archE1100ELNS1_3gpuE3ELNS1_3repE0EEENS1_30default_config_static_selectorELNS0_4arch9wavefront6targetE0EEEvSS_.private_seg_size, 0
	.set _ZN7rocprim17ROCPRIM_400000_NS6detail17trampoline_kernelINS0_14default_configENS1_22reduce_config_selectorIiEEZNS1_11reduce_implILb1ES3_PiS7_iN6hipcub16HIPCUB_304000_NS6detail34convert_binary_result_type_wrapperINS9_3SumENS9_22TransformInputIteratorIbN2at6native12_GLOBAL__N_19NonZeroOpIN3c108BFloat16EEEPKSJ_lEEiEEEE10hipError_tPvRmT1_T2_T3_mT4_P12ihipStream_tbEUlT_E0_NS1_11comp_targetILNS1_3genE9ELNS1_11target_archE1100ELNS1_3gpuE3ELNS1_3repE0EEENS1_30default_config_static_selectorELNS0_4arch9wavefront6targetE0EEEvSS_.uses_vcc, 0
	.set _ZN7rocprim17ROCPRIM_400000_NS6detail17trampoline_kernelINS0_14default_configENS1_22reduce_config_selectorIiEEZNS1_11reduce_implILb1ES3_PiS7_iN6hipcub16HIPCUB_304000_NS6detail34convert_binary_result_type_wrapperINS9_3SumENS9_22TransformInputIteratorIbN2at6native12_GLOBAL__N_19NonZeroOpIN3c108BFloat16EEEPKSJ_lEEiEEEE10hipError_tPvRmT1_T2_T3_mT4_P12ihipStream_tbEUlT_E0_NS1_11comp_targetILNS1_3genE9ELNS1_11target_archE1100ELNS1_3gpuE3ELNS1_3repE0EEENS1_30default_config_static_selectorELNS0_4arch9wavefront6targetE0EEEvSS_.uses_flat_scratch, 0
	.set _ZN7rocprim17ROCPRIM_400000_NS6detail17trampoline_kernelINS0_14default_configENS1_22reduce_config_selectorIiEEZNS1_11reduce_implILb1ES3_PiS7_iN6hipcub16HIPCUB_304000_NS6detail34convert_binary_result_type_wrapperINS9_3SumENS9_22TransformInputIteratorIbN2at6native12_GLOBAL__N_19NonZeroOpIN3c108BFloat16EEEPKSJ_lEEiEEEE10hipError_tPvRmT1_T2_T3_mT4_P12ihipStream_tbEUlT_E0_NS1_11comp_targetILNS1_3genE9ELNS1_11target_archE1100ELNS1_3gpuE3ELNS1_3repE0EEENS1_30default_config_static_selectorELNS0_4arch9wavefront6targetE0EEEvSS_.has_dyn_sized_stack, 0
	.set _ZN7rocprim17ROCPRIM_400000_NS6detail17trampoline_kernelINS0_14default_configENS1_22reduce_config_selectorIiEEZNS1_11reduce_implILb1ES3_PiS7_iN6hipcub16HIPCUB_304000_NS6detail34convert_binary_result_type_wrapperINS9_3SumENS9_22TransformInputIteratorIbN2at6native12_GLOBAL__N_19NonZeroOpIN3c108BFloat16EEEPKSJ_lEEiEEEE10hipError_tPvRmT1_T2_T3_mT4_P12ihipStream_tbEUlT_E0_NS1_11comp_targetILNS1_3genE9ELNS1_11target_archE1100ELNS1_3gpuE3ELNS1_3repE0EEENS1_30default_config_static_selectorELNS0_4arch9wavefront6targetE0EEEvSS_.has_recursion, 0
	.set _ZN7rocprim17ROCPRIM_400000_NS6detail17trampoline_kernelINS0_14default_configENS1_22reduce_config_selectorIiEEZNS1_11reduce_implILb1ES3_PiS7_iN6hipcub16HIPCUB_304000_NS6detail34convert_binary_result_type_wrapperINS9_3SumENS9_22TransformInputIteratorIbN2at6native12_GLOBAL__N_19NonZeroOpIN3c108BFloat16EEEPKSJ_lEEiEEEE10hipError_tPvRmT1_T2_T3_mT4_P12ihipStream_tbEUlT_E0_NS1_11comp_targetILNS1_3genE9ELNS1_11target_archE1100ELNS1_3gpuE3ELNS1_3repE0EEENS1_30default_config_static_selectorELNS0_4arch9wavefront6targetE0EEEvSS_.has_indirect_call, 0
	.section	.AMDGPU.csdata,"",@progbits
; Kernel info:
; codeLenInByte = 0
; TotalNumSgprs: 0
; NumVgprs: 0
; ScratchSize: 0
; MemoryBound: 0
; FloatMode: 240
; IeeeMode: 1
; LDSByteSize: 0 bytes/workgroup (compile time only)
; SGPRBlocks: 0
; VGPRBlocks: 0
; NumSGPRsForWavesPerEU: 1
; NumVGPRsForWavesPerEU: 1
; Occupancy: 16
; WaveLimiterHint : 0
; COMPUTE_PGM_RSRC2:SCRATCH_EN: 0
; COMPUTE_PGM_RSRC2:USER_SGPR: 2
; COMPUTE_PGM_RSRC2:TRAP_HANDLER: 0
; COMPUTE_PGM_RSRC2:TGID_X_EN: 1
; COMPUTE_PGM_RSRC2:TGID_Y_EN: 0
; COMPUTE_PGM_RSRC2:TGID_Z_EN: 0
; COMPUTE_PGM_RSRC2:TIDIG_COMP_CNT: 0
	.section	.text._ZN7rocprim17ROCPRIM_400000_NS6detail17trampoline_kernelINS0_14default_configENS1_22reduce_config_selectorIiEEZNS1_11reduce_implILb1ES3_PiS7_iN6hipcub16HIPCUB_304000_NS6detail34convert_binary_result_type_wrapperINS9_3SumENS9_22TransformInputIteratorIbN2at6native12_GLOBAL__N_19NonZeroOpIN3c108BFloat16EEEPKSJ_lEEiEEEE10hipError_tPvRmT1_T2_T3_mT4_P12ihipStream_tbEUlT_E0_NS1_11comp_targetILNS1_3genE8ELNS1_11target_archE1030ELNS1_3gpuE2ELNS1_3repE0EEENS1_30default_config_static_selectorELNS0_4arch9wavefront6targetE0EEEvSS_,"axG",@progbits,_ZN7rocprim17ROCPRIM_400000_NS6detail17trampoline_kernelINS0_14default_configENS1_22reduce_config_selectorIiEEZNS1_11reduce_implILb1ES3_PiS7_iN6hipcub16HIPCUB_304000_NS6detail34convert_binary_result_type_wrapperINS9_3SumENS9_22TransformInputIteratorIbN2at6native12_GLOBAL__N_19NonZeroOpIN3c108BFloat16EEEPKSJ_lEEiEEEE10hipError_tPvRmT1_T2_T3_mT4_P12ihipStream_tbEUlT_E0_NS1_11comp_targetILNS1_3genE8ELNS1_11target_archE1030ELNS1_3gpuE2ELNS1_3repE0EEENS1_30default_config_static_selectorELNS0_4arch9wavefront6targetE0EEEvSS_,comdat
	.globl	_ZN7rocprim17ROCPRIM_400000_NS6detail17trampoline_kernelINS0_14default_configENS1_22reduce_config_selectorIiEEZNS1_11reduce_implILb1ES3_PiS7_iN6hipcub16HIPCUB_304000_NS6detail34convert_binary_result_type_wrapperINS9_3SumENS9_22TransformInputIteratorIbN2at6native12_GLOBAL__N_19NonZeroOpIN3c108BFloat16EEEPKSJ_lEEiEEEE10hipError_tPvRmT1_T2_T3_mT4_P12ihipStream_tbEUlT_E0_NS1_11comp_targetILNS1_3genE8ELNS1_11target_archE1030ELNS1_3gpuE2ELNS1_3repE0EEENS1_30default_config_static_selectorELNS0_4arch9wavefront6targetE0EEEvSS_ ; -- Begin function _ZN7rocprim17ROCPRIM_400000_NS6detail17trampoline_kernelINS0_14default_configENS1_22reduce_config_selectorIiEEZNS1_11reduce_implILb1ES3_PiS7_iN6hipcub16HIPCUB_304000_NS6detail34convert_binary_result_type_wrapperINS9_3SumENS9_22TransformInputIteratorIbN2at6native12_GLOBAL__N_19NonZeroOpIN3c108BFloat16EEEPKSJ_lEEiEEEE10hipError_tPvRmT1_T2_T3_mT4_P12ihipStream_tbEUlT_E0_NS1_11comp_targetILNS1_3genE8ELNS1_11target_archE1030ELNS1_3gpuE2ELNS1_3repE0EEENS1_30default_config_static_selectorELNS0_4arch9wavefront6targetE0EEEvSS_
	.p2align	8
	.type	_ZN7rocprim17ROCPRIM_400000_NS6detail17trampoline_kernelINS0_14default_configENS1_22reduce_config_selectorIiEEZNS1_11reduce_implILb1ES3_PiS7_iN6hipcub16HIPCUB_304000_NS6detail34convert_binary_result_type_wrapperINS9_3SumENS9_22TransformInputIteratorIbN2at6native12_GLOBAL__N_19NonZeroOpIN3c108BFloat16EEEPKSJ_lEEiEEEE10hipError_tPvRmT1_T2_T3_mT4_P12ihipStream_tbEUlT_E0_NS1_11comp_targetILNS1_3genE8ELNS1_11target_archE1030ELNS1_3gpuE2ELNS1_3repE0EEENS1_30default_config_static_selectorELNS0_4arch9wavefront6targetE0EEEvSS_,@function
_ZN7rocprim17ROCPRIM_400000_NS6detail17trampoline_kernelINS0_14default_configENS1_22reduce_config_selectorIiEEZNS1_11reduce_implILb1ES3_PiS7_iN6hipcub16HIPCUB_304000_NS6detail34convert_binary_result_type_wrapperINS9_3SumENS9_22TransformInputIteratorIbN2at6native12_GLOBAL__N_19NonZeroOpIN3c108BFloat16EEEPKSJ_lEEiEEEE10hipError_tPvRmT1_T2_T3_mT4_P12ihipStream_tbEUlT_E0_NS1_11comp_targetILNS1_3genE8ELNS1_11target_archE1030ELNS1_3gpuE2ELNS1_3repE0EEENS1_30default_config_static_selectorELNS0_4arch9wavefront6targetE0EEEvSS_: ; @_ZN7rocprim17ROCPRIM_400000_NS6detail17trampoline_kernelINS0_14default_configENS1_22reduce_config_selectorIiEEZNS1_11reduce_implILb1ES3_PiS7_iN6hipcub16HIPCUB_304000_NS6detail34convert_binary_result_type_wrapperINS9_3SumENS9_22TransformInputIteratorIbN2at6native12_GLOBAL__N_19NonZeroOpIN3c108BFloat16EEEPKSJ_lEEiEEEE10hipError_tPvRmT1_T2_T3_mT4_P12ihipStream_tbEUlT_E0_NS1_11comp_targetILNS1_3genE8ELNS1_11target_archE1030ELNS1_3gpuE2ELNS1_3repE0EEENS1_30default_config_static_selectorELNS0_4arch9wavefront6targetE0EEEvSS_
; %bb.0:
	.section	.rodata,"a",@progbits
	.p2align	6, 0x0
	.amdhsa_kernel _ZN7rocprim17ROCPRIM_400000_NS6detail17trampoline_kernelINS0_14default_configENS1_22reduce_config_selectorIiEEZNS1_11reduce_implILb1ES3_PiS7_iN6hipcub16HIPCUB_304000_NS6detail34convert_binary_result_type_wrapperINS9_3SumENS9_22TransformInputIteratorIbN2at6native12_GLOBAL__N_19NonZeroOpIN3c108BFloat16EEEPKSJ_lEEiEEEE10hipError_tPvRmT1_T2_T3_mT4_P12ihipStream_tbEUlT_E0_NS1_11comp_targetILNS1_3genE8ELNS1_11target_archE1030ELNS1_3gpuE2ELNS1_3repE0EEENS1_30default_config_static_selectorELNS0_4arch9wavefront6targetE0EEEvSS_
		.amdhsa_group_segment_fixed_size 0
		.amdhsa_private_segment_fixed_size 0
		.amdhsa_kernarg_size 56
		.amdhsa_user_sgpr_count 2
		.amdhsa_user_sgpr_dispatch_ptr 0
		.amdhsa_user_sgpr_queue_ptr 0
		.amdhsa_user_sgpr_kernarg_segment_ptr 1
		.amdhsa_user_sgpr_dispatch_id 0
		.amdhsa_user_sgpr_private_segment_size 0
		.amdhsa_wavefront_size32 1
		.amdhsa_uses_dynamic_stack 0
		.amdhsa_enable_private_segment 0
		.amdhsa_system_sgpr_workgroup_id_x 1
		.amdhsa_system_sgpr_workgroup_id_y 0
		.amdhsa_system_sgpr_workgroup_id_z 0
		.amdhsa_system_sgpr_workgroup_info 0
		.amdhsa_system_vgpr_workitem_id 0
		.amdhsa_next_free_vgpr 1
		.amdhsa_next_free_sgpr 1
		.amdhsa_reserve_vcc 0
		.amdhsa_float_round_mode_32 0
		.amdhsa_float_round_mode_16_64 0
		.amdhsa_float_denorm_mode_32 3
		.amdhsa_float_denorm_mode_16_64 3
		.amdhsa_fp16_overflow 0
		.amdhsa_workgroup_processor_mode 1
		.amdhsa_memory_ordered 1
		.amdhsa_forward_progress 1
		.amdhsa_inst_pref_size 0
		.amdhsa_round_robin_scheduling 0
		.amdhsa_exception_fp_ieee_invalid_op 0
		.amdhsa_exception_fp_denorm_src 0
		.amdhsa_exception_fp_ieee_div_zero 0
		.amdhsa_exception_fp_ieee_overflow 0
		.amdhsa_exception_fp_ieee_underflow 0
		.amdhsa_exception_fp_ieee_inexact 0
		.amdhsa_exception_int_div_zero 0
	.end_amdhsa_kernel
	.section	.text._ZN7rocprim17ROCPRIM_400000_NS6detail17trampoline_kernelINS0_14default_configENS1_22reduce_config_selectorIiEEZNS1_11reduce_implILb1ES3_PiS7_iN6hipcub16HIPCUB_304000_NS6detail34convert_binary_result_type_wrapperINS9_3SumENS9_22TransformInputIteratorIbN2at6native12_GLOBAL__N_19NonZeroOpIN3c108BFloat16EEEPKSJ_lEEiEEEE10hipError_tPvRmT1_T2_T3_mT4_P12ihipStream_tbEUlT_E0_NS1_11comp_targetILNS1_3genE8ELNS1_11target_archE1030ELNS1_3gpuE2ELNS1_3repE0EEENS1_30default_config_static_selectorELNS0_4arch9wavefront6targetE0EEEvSS_,"axG",@progbits,_ZN7rocprim17ROCPRIM_400000_NS6detail17trampoline_kernelINS0_14default_configENS1_22reduce_config_selectorIiEEZNS1_11reduce_implILb1ES3_PiS7_iN6hipcub16HIPCUB_304000_NS6detail34convert_binary_result_type_wrapperINS9_3SumENS9_22TransformInputIteratorIbN2at6native12_GLOBAL__N_19NonZeroOpIN3c108BFloat16EEEPKSJ_lEEiEEEE10hipError_tPvRmT1_T2_T3_mT4_P12ihipStream_tbEUlT_E0_NS1_11comp_targetILNS1_3genE8ELNS1_11target_archE1030ELNS1_3gpuE2ELNS1_3repE0EEENS1_30default_config_static_selectorELNS0_4arch9wavefront6targetE0EEEvSS_,comdat
.Lfunc_end770:
	.size	_ZN7rocprim17ROCPRIM_400000_NS6detail17trampoline_kernelINS0_14default_configENS1_22reduce_config_selectorIiEEZNS1_11reduce_implILb1ES3_PiS7_iN6hipcub16HIPCUB_304000_NS6detail34convert_binary_result_type_wrapperINS9_3SumENS9_22TransformInputIteratorIbN2at6native12_GLOBAL__N_19NonZeroOpIN3c108BFloat16EEEPKSJ_lEEiEEEE10hipError_tPvRmT1_T2_T3_mT4_P12ihipStream_tbEUlT_E0_NS1_11comp_targetILNS1_3genE8ELNS1_11target_archE1030ELNS1_3gpuE2ELNS1_3repE0EEENS1_30default_config_static_selectorELNS0_4arch9wavefront6targetE0EEEvSS_, .Lfunc_end770-_ZN7rocprim17ROCPRIM_400000_NS6detail17trampoline_kernelINS0_14default_configENS1_22reduce_config_selectorIiEEZNS1_11reduce_implILb1ES3_PiS7_iN6hipcub16HIPCUB_304000_NS6detail34convert_binary_result_type_wrapperINS9_3SumENS9_22TransformInputIteratorIbN2at6native12_GLOBAL__N_19NonZeroOpIN3c108BFloat16EEEPKSJ_lEEiEEEE10hipError_tPvRmT1_T2_T3_mT4_P12ihipStream_tbEUlT_E0_NS1_11comp_targetILNS1_3genE8ELNS1_11target_archE1030ELNS1_3gpuE2ELNS1_3repE0EEENS1_30default_config_static_selectorELNS0_4arch9wavefront6targetE0EEEvSS_
                                        ; -- End function
	.set _ZN7rocprim17ROCPRIM_400000_NS6detail17trampoline_kernelINS0_14default_configENS1_22reduce_config_selectorIiEEZNS1_11reduce_implILb1ES3_PiS7_iN6hipcub16HIPCUB_304000_NS6detail34convert_binary_result_type_wrapperINS9_3SumENS9_22TransformInputIteratorIbN2at6native12_GLOBAL__N_19NonZeroOpIN3c108BFloat16EEEPKSJ_lEEiEEEE10hipError_tPvRmT1_T2_T3_mT4_P12ihipStream_tbEUlT_E0_NS1_11comp_targetILNS1_3genE8ELNS1_11target_archE1030ELNS1_3gpuE2ELNS1_3repE0EEENS1_30default_config_static_selectorELNS0_4arch9wavefront6targetE0EEEvSS_.num_vgpr, 0
	.set _ZN7rocprim17ROCPRIM_400000_NS6detail17trampoline_kernelINS0_14default_configENS1_22reduce_config_selectorIiEEZNS1_11reduce_implILb1ES3_PiS7_iN6hipcub16HIPCUB_304000_NS6detail34convert_binary_result_type_wrapperINS9_3SumENS9_22TransformInputIteratorIbN2at6native12_GLOBAL__N_19NonZeroOpIN3c108BFloat16EEEPKSJ_lEEiEEEE10hipError_tPvRmT1_T2_T3_mT4_P12ihipStream_tbEUlT_E0_NS1_11comp_targetILNS1_3genE8ELNS1_11target_archE1030ELNS1_3gpuE2ELNS1_3repE0EEENS1_30default_config_static_selectorELNS0_4arch9wavefront6targetE0EEEvSS_.num_agpr, 0
	.set _ZN7rocprim17ROCPRIM_400000_NS6detail17trampoline_kernelINS0_14default_configENS1_22reduce_config_selectorIiEEZNS1_11reduce_implILb1ES3_PiS7_iN6hipcub16HIPCUB_304000_NS6detail34convert_binary_result_type_wrapperINS9_3SumENS9_22TransformInputIteratorIbN2at6native12_GLOBAL__N_19NonZeroOpIN3c108BFloat16EEEPKSJ_lEEiEEEE10hipError_tPvRmT1_T2_T3_mT4_P12ihipStream_tbEUlT_E0_NS1_11comp_targetILNS1_3genE8ELNS1_11target_archE1030ELNS1_3gpuE2ELNS1_3repE0EEENS1_30default_config_static_selectorELNS0_4arch9wavefront6targetE0EEEvSS_.numbered_sgpr, 0
	.set _ZN7rocprim17ROCPRIM_400000_NS6detail17trampoline_kernelINS0_14default_configENS1_22reduce_config_selectorIiEEZNS1_11reduce_implILb1ES3_PiS7_iN6hipcub16HIPCUB_304000_NS6detail34convert_binary_result_type_wrapperINS9_3SumENS9_22TransformInputIteratorIbN2at6native12_GLOBAL__N_19NonZeroOpIN3c108BFloat16EEEPKSJ_lEEiEEEE10hipError_tPvRmT1_T2_T3_mT4_P12ihipStream_tbEUlT_E0_NS1_11comp_targetILNS1_3genE8ELNS1_11target_archE1030ELNS1_3gpuE2ELNS1_3repE0EEENS1_30default_config_static_selectorELNS0_4arch9wavefront6targetE0EEEvSS_.num_named_barrier, 0
	.set _ZN7rocprim17ROCPRIM_400000_NS6detail17trampoline_kernelINS0_14default_configENS1_22reduce_config_selectorIiEEZNS1_11reduce_implILb1ES3_PiS7_iN6hipcub16HIPCUB_304000_NS6detail34convert_binary_result_type_wrapperINS9_3SumENS9_22TransformInputIteratorIbN2at6native12_GLOBAL__N_19NonZeroOpIN3c108BFloat16EEEPKSJ_lEEiEEEE10hipError_tPvRmT1_T2_T3_mT4_P12ihipStream_tbEUlT_E0_NS1_11comp_targetILNS1_3genE8ELNS1_11target_archE1030ELNS1_3gpuE2ELNS1_3repE0EEENS1_30default_config_static_selectorELNS0_4arch9wavefront6targetE0EEEvSS_.private_seg_size, 0
	.set _ZN7rocprim17ROCPRIM_400000_NS6detail17trampoline_kernelINS0_14default_configENS1_22reduce_config_selectorIiEEZNS1_11reduce_implILb1ES3_PiS7_iN6hipcub16HIPCUB_304000_NS6detail34convert_binary_result_type_wrapperINS9_3SumENS9_22TransformInputIteratorIbN2at6native12_GLOBAL__N_19NonZeroOpIN3c108BFloat16EEEPKSJ_lEEiEEEE10hipError_tPvRmT1_T2_T3_mT4_P12ihipStream_tbEUlT_E0_NS1_11comp_targetILNS1_3genE8ELNS1_11target_archE1030ELNS1_3gpuE2ELNS1_3repE0EEENS1_30default_config_static_selectorELNS0_4arch9wavefront6targetE0EEEvSS_.uses_vcc, 0
	.set _ZN7rocprim17ROCPRIM_400000_NS6detail17trampoline_kernelINS0_14default_configENS1_22reduce_config_selectorIiEEZNS1_11reduce_implILb1ES3_PiS7_iN6hipcub16HIPCUB_304000_NS6detail34convert_binary_result_type_wrapperINS9_3SumENS9_22TransformInputIteratorIbN2at6native12_GLOBAL__N_19NonZeroOpIN3c108BFloat16EEEPKSJ_lEEiEEEE10hipError_tPvRmT1_T2_T3_mT4_P12ihipStream_tbEUlT_E0_NS1_11comp_targetILNS1_3genE8ELNS1_11target_archE1030ELNS1_3gpuE2ELNS1_3repE0EEENS1_30default_config_static_selectorELNS0_4arch9wavefront6targetE0EEEvSS_.uses_flat_scratch, 0
	.set _ZN7rocprim17ROCPRIM_400000_NS6detail17trampoline_kernelINS0_14default_configENS1_22reduce_config_selectorIiEEZNS1_11reduce_implILb1ES3_PiS7_iN6hipcub16HIPCUB_304000_NS6detail34convert_binary_result_type_wrapperINS9_3SumENS9_22TransformInputIteratorIbN2at6native12_GLOBAL__N_19NonZeroOpIN3c108BFloat16EEEPKSJ_lEEiEEEE10hipError_tPvRmT1_T2_T3_mT4_P12ihipStream_tbEUlT_E0_NS1_11comp_targetILNS1_3genE8ELNS1_11target_archE1030ELNS1_3gpuE2ELNS1_3repE0EEENS1_30default_config_static_selectorELNS0_4arch9wavefront6targetE0EEEvSS_.has_dyn_sized_stack, 0
	.set _ZN7rocprim17ROCPRIM_400000_NS6detail17trampoline_kernelINS0_14default_configENS1_22reduce_config_selectorIiEEZNS1_11reduce_implILb1ES3_PiS7_iN6hipcub16HIPCUB_304000_NS6detail34convert_binary_result_type_wrapperINS9_3SumENS9_22TransformInputIteratorIbN2at6native12_GLOBAL__N_19NonZeroOpIN3c108BFloat16EEEPKSJ_lEEiEEEE10hipError_tPvRmT1_T2_T3_mT4_P12ihipStream_tbEUlT_E0_NS1_11comp_targetILNS1_3genE8ELNS1_11target_archE1030ELNS1_3gpuE2ELNS1_3repE0EEENS1_30default_config_static_selectorELNS0_4arch9wavefront6targetE0EEEvSS_.has_recursion, 0
	.set _ZN7rocprim17ROCPRIM_400000_NS6detail17trampoline_kernelINS0_14default_configENS1_22reduce_config_selectorIiEEZNS1_11reduce_implILb1ES3_PiS7_iN6hipcub16HIPCUB_304000_NS6detail34convert_binary_result_type_wrapperINS9_3SumENS9_22TransformInputIteratorIbN2at6native12_GLOBAL__N_19NonZeroOpIN3c108BFloat16EEEPKSJ_lEEiEEEE10hipError_tPvRmT1_T2_T3_mT4_P12ihipStream_tbEUlT_E0_NS1_11comp_targetILNS1_3genE8ELNS1_11target_archE1030ELNS1_3gpuE2ELNS1_3repE0EEENS1_30default_config_static_selectorELNS0_4arch9wavefront6targetE0EEEvSS_.has_indirect_call, 0
	.section	.AMDGPU.csdata,"",@progbits
; Kernel info:
; codeLenInByte = 0
; TotalNumSgprs: 0
; NumVgprs: 0
; ScratchSize: 0
; MemoryBound: 0
; FloatMode: 240
; IeeeMode: 1
; LDSByteSize: 0 bytes/workgroup (compile time only)
; SGPRBlocks: 0
; VGPRBlocks: 0
; NumSGPRsForWavesPerEU: 1
; NumVGPRsForWavesPerEU: 1
; Occupancy: 16
; WaveLimiterHint : 0
; COMPUTE_PGM_RSRC2:SCRATCH_EN: 0
; COMPUTE_PGM_RSRC2:USER_SGPR: 2
; COMPUTE_PGM_RSRC2:TRAP_HANDLER: 0
; COMPUTE_PGM_RSRC2:TGID_X_EN: 1
; COMPUTE_PGM_RSRC2:TGID_Y_EN: 0
; COMPUTE_PGM_RSRC2:TGID_Z_EN: 0
; COMPUTE_PGM_RSRC2:TIDIG_COMP_CNT: 0
	.section	.text._ZN7rocprim17ROCPRIM_400000_NS6detail17trampoline_kernelINS0_14default_configENS1_22reduce_config_selectorIiEEZNS1_11reduce_implILb1ES3_PiS7_iN6hipcub16HIPCUB_304000_NS6detail34convert_binary_result_type_wrapperINS9_3SumENS9_22TransformInputIteratorIbN2at6native12_GLOBAL__N_19NonZeroOpIN3c108BFloat16EEEPKSJ_lEEiEEEE10hipError_tPvRmT1_T2_T3_mT4_P12ihipStream_tbEUlT_E1_NS1_11comp_targetILNS1_3genE0ELNS1_11target_archE4294967295ELNS1_3gpuE0ELNS1_3repE0EEENS1_30default_config_static_selectorELNS0_4arch9wavefront6targetE0EEEvSS_,"axG",@progbits,_ZN7rocprim17ROCPRIM_400000_NS6detail17trampoline_kernelINS0_14default_configENS1_22reduce_config_selectorIiEEZNS1_11reduce_implILb1ES3_PiS7_iN6hipcub16HIPCUB_304000_NS6detail34convert_binary_result_type_wrapperINS9_3SumENS9_22TransformInputIteratorIbN2at6native12_GLOBAL__N_19NonZeroOpIN3c108BFloat16EEEPKSJ_lEEiEEEE10hipError_tPvRmT1_T2_T3_mT4_P12ihipStream_tbEUlT_E1_NS1_11comp_targetILNS1_3genE0ELNS1_11target_archE4294967295ELNS1_3gpuE0ELNS1_3repE0EEENS1_30default_config_static_selectorELNS0_4arch9wavefront6targetE0EEEvSS_,comdat
	.globl	_ZN7rocprim17ROCPRIM_400000_NS6detail17trampoline_kernelINS0_14default_configENS1_22reduce_config_selectorIiEEZNS1_11reduce_implILb1ES3_PiS7_iN6hipcub16HIPCUB_304000_NS6detail34convert_binary_result_type_wrapperINS9_3SumENS9_22TransformInputIteratorIbN2at6native12_GLOBAL__N_19NonZeroOpIN3c108BFloat16EEEPKSJ_lEEiEEEE10hipError_tPvRmT1_T2_T3_mT4_P12ihipStream_tbEUlT_E1_NS1_11comp_targetILNS1_3genE0ELNS1_11target_archE4294967295ELNS1_3gpuE0ELNS1_3repE0EEENS1_30default_config_static_selectorELNS0_4arch9wavefront6targetE0EEEvSS_ ; -- Begin function _ZN7rocprim17ROCPRIM_400000_NS6detail17trampoline_kernelINS0_14default_configENS1_22reduce_config_selectorIiEEZNS1_11reduce_implILb1ES3_PiS7_iN6hipcub16HIPCUB_304000_NS6detail34convert_binary_result_type_wrapperINS9_3SumENS9_22TransformInputIteratorIbN2at6native12_GLOBAL__N_19NonZeroOpIN3c108BFloat16EEEPKSJ_lEEiEEEE10hipError_tPvRmT1_T2_T3_mT4_P12ihipStream_tbEUlT_E1_NS1_11comp_targetILNS1_3genE0ELNS1_11target_archE4294967295ELNS1_3gpuE0ELNS1_3repE0EEENS1_30default_config_static_selectorELNS0_4arch9wavefront6targetE0EEEvSS_
	.p2align	8
	.type	_ZN7rocprim17ROCPRIM_400000_NS6detail17trampoline_kernelINS0_14default_configENS1_22reduce_config_selectorIiEEZNS1_11reduce_implILb1ES3_PiS7_iN6hipcub16HIPCUB_304000_NS6detail34convert_binary_result_type_wrapperINS9_3SumENS9_22TransformInputIteratorIbN2at6native12_GLOBAL__N_19NonZeroOpIN3c108BFloat16EEEPKSJ_lEEiEEEE10hipError_tPvRmT1_T2_T3_mT4_P12ihipStream_tbEUlT_E1_NS1_11comp_targetILNS1_3genE0ELNS1_11target_archE4294967295ELNS1_3gpuE0ELNS1_3repE0EEENS1_30default_config_static_selectorELNS0_4arch9wavefront6targetE0EEEvSS_,@function
_ZN7rocprim17ROCPRIM_400000_NS6detail17trampoline_kernelINS0_14default_configENS1_22reduce_config_selectorIiEEZNS1_11reduce_implILb1ES3_PiS7_iN6hipcub16HIPCUB_304000_NS6detail34convert_binary_result_type_wrapperINS9_3SumENS9_22TransformInputIteratorIbN2at6native12_GLOBAL__N_19NonZeroOpIN3c108BFloat16EEEPKSJ_lEEiEEEE10hipError_tPvRmT1_T2_T3_mT4_P12ihipStream_tbEUlT_E1_NS1_11comp_targetILNS1_3genE0ELNS1_11target_archE4294967295ELNS1_3gpuE0ELNS1_3repE0EEENS1_30default_config_static_selectorELNS0_4arch9wavefront6targetE0EEEvSS_: ; @_ZN7rocprim17ROCPRIM_400000_NS6detail17trampoline_kernelINS0_14default_configENS1_22reduce_config_selectorIiEEZNS1_11reduce_implILb1ES3_PiS7_iN6hipcub16HIPCUB_304000_NS6detail34convert_binary_result_type_wrapperINS9_3SumENS9_22TransformInputIteratorIbN2at6native12_GLOBAL__N_19NonZeroOpIN3c108BFloat16EEEPKSJ_lEEiEEEE10hipError_tPvRmT1_T2_T3_mT4_P12ihipStream_tbEUlT_E1_NS1_11comp_targetILNS1_3genE0ELNS1_11target_archE4294967295ELNS1_3gpuE0ELNS1_3repE0EEENS1_30default_config_static_selectorELNS0_4arch9wavefront6targetE0EEEvSS_
; %bb.0:
	.section	.rodata,"a",@progbits
	.p2align	6, 0x0
	.amdhsa_kernel _ZN7rocprim17ROCPRIM_400000_NS6detail17trampoline_kernelINS0_14default_configENS1_22reduce_config_selectorIiEEZNS1_11reduce_implILb1ES3_PiS7_iN6hipcub16HIPCUB_304000_NS6detail34convert_binary_result_type_wrapperINS9_3SumENS9_22TransformInputIteratorIbN2at6native12_GLOBAL__N_19NonZeroOpIN3c108BFloat16EEEPKSJ_lEEiEEEE10hipError_tPvRmT1_T2_T3_mT4_P12ihipStream_tbEUlT_E1_NS1_11comp_targetILNS1_3genE0ELNS1_11target_archE4294967295ELNS1_3gpuE0ELNS1_3repE0EEENS1_30default_config_static_selectorELNS0_4arch9wavefront6targetE0EEEvSS_
		.amdhsa_group_segment_fixed_size 0
		.amdhsa_private_segment_fixed_size 0
		.amdhsa_kernarg_size 40
		.amdhsa_user_sgpr_count 2
		.amdhsa_user_sgpr_dispatch_ptr 0
		.amdhsa_user_sgpr_queue_ptr 0
		.amdhsa_user_sgpr_kernarg_segment_ptr 1
		.amdhsa_user_sgpr_dispatch_id 0
		.amdhsa_user_sgpr_private_segment_size 0
		.amdhsa_wavefront_size32 1
		.amdhsa_uses_dynamic_stack 0
		.amdhsa_enable_private_segment 0
		.amdhsa_system_sgpr_workgroup_id_x 1
		.amdhsa_system_sgpr_workgroup_id_y 0
		.amdhsa_system_sgpr_workgroup_id_z 0
		.amdhsa_system_sgpr_workgroup_info 0
		.amdhsa_system_vgpr_workitem_id 0
		.amdhsa_next_free_vgpr 1
		.amdhsa_next_free_sgpr 1
		.amdhsa_reserve_vcc 0
		.amdhsa_float_round_mode_32 0
		.amdhsa_float_round_mode_16_64 0
		.amdhsa_float_denorm_mode_32 3
		.amdhsa_float_denorm_mode_16_64 3
		.amdhsa_fp16_overflow 0
		.amdhsa_workgroup_processor_mode 1
		.amdhsa_memory_ordered 1
		.amdhsa_forward_progress 1
		.amdhsa_inst_pref_size 0
		.amdhsa_round_robin_scheduling 0
		.amdhsa_exception_fp_ieee_invalid_op 0
		.amdhsa_exception_fp_denorm_src 0
		.amdhsa_exception_fp_ieee_div_zero 0
		.amdhsa_exception_fp_ieee_overflow 0
		.amdhsa_exception_fp_ieee_underflow 0
		.amdhsa_exception_fp_ieee_inexact 0
		.amdhsa_exception_int_div_zero 0
	.end_amdhsa_kernel
	.section	.text._ZN7rocprim17ROCPRIM_400000_NS6detail17trampoline_kernelINS0_14default_configENS1_22reduce_config_selectorIiEEZNS1_11reduce_implILb1ES3_PiS7_iN6hipcub16HIPCUB_304000_NS6detail34convert_binary_result_type_wrapperINS9_3SumENS9_22TransformInputIteratorIbN2at6native12_GLOBAL__N_19NonZeroOpIN3c108BFloat16EEEPKSJ_lEEiEEEE10hipError_tPvRmT1_T2_T3_mT4_P12ihipStream_tbEUlT_E1_NS1_11comp_targetILNS1_3genE0ELNS1_11target_archE4294967295ELNS1_3gpuE0ELNS1_3repE0EEENS1_30default_config_static_selectorELNS0_4arch9wavefront6targetE0EEEvSS_,"axG",@progbits,_ZN7rocprim17ROCPRIM_400000_NS6detail17trampoline_kernelINS0_14default_configENS1_22reduce_config_selectorIiEEZNS1_11reduce_implILb1ES3_PiS7_iN6hipcub16HIPCUB_304000_NS6detail34convert_binary_result_type_wrapperINS9_3SumENS9_22TransformInputIteratorIbN2at6native12_GLOBAL__N_19NonZeroOpIN3c108BFloat16EEEPKSJ_lEEiEEEE10hipError_tPvRmT1_T2_T3_mT4_P12ihipStream_tbEUlT_E1_NS1_11comp_targetILNS1_3genE0ELNS1_11target_archE4294967295ELNS1_3gpuE0ELNS1_3repE0EEENS1_30default_config_static_selectorELNS0_4arch9wavefront6targetE0EEEvSS_,comdat
.Lfunc_end771:
	.size	_ZN7rocprim17ROCPRIM_400000_NS6detail17trampoline_kernelINS0_14default_configENS1_22reduce_config_selectorIiEEZNS1_11reduce_implILb1ES3_PiS7_iN6hipcub16HIPCUB_304000_NS6detail34convert_binary_result_type_wrapperINS9_3SumENS9_22TransformInputIteratorIbN2at6native12_GLOBAL__N_19NonZeroOpIN3c108BFloat16EEEPKSJ_lEEiEEEE10hipError_tPvRmT1_T2_T3_mT4_P12ihipStream_tbEUlT_E1_NS1_11comp_targetILNS1_3genE0ELNS1_11target_archE4294967295ELNS1_3gpuE0ELNS1_3repE0EEENS1_30default_config_static_selectorELNS0_4arch9wavefront6targetE0EEEvSS_, .Lfunc_end771-_ZN7rocprim17ROCPRIM_400000_NS6detail17trampoline_kernelINS0_14default_configENS1_22reduce_config_selectorIiEEZNS1_11reduce_implILb1ES3_PiS7_iN6hipcub16HIPCUB_304000_NS6detail34convert_binary_result_type_wrapperINS9_3SumENS9_22TransformInputIteratorIbN2at6native12_GLOBAL__N_19NonZeroOpIN3c108BFloat16EEEPKSJ_lEEiEEEE10hipError_tPvRmT1_T2_T3_mT4_P12ihipStream_tbEUlT_E1_NS1_11comp_targetILNS1_3genE0ELNS1_11target_archE4294967295ELNS1_3gpuE0ELNS1_3repE0EEENS1_30default_config_static_selectorELNS0_4arch9wavefront6targetE0EEEvSS_
                                        ; -- End function
	.set _ZN7rocprim17ROCPRIM_400000_NS6detail17trampoline_kernelINS0_14default_configENS1_22reduce_config_selectorIiEEZNS1_11reduce_implILb1ES3_PiS7_iN6hipcub16HIPCUB_304000_NS6detail34convert_binary_result_type_wrapperINS9_3SumENS9_22TransformInputIteratorIbN2at6native12_GLOBAL__N_19NonZeroOpIN3c108BFloat16EEEPKSJ_lEEiEEEE10hipError_tPvRmT1_T2_T3_mT4_P12ihipStream_tbEUlT_E1_NS1_11comp_targetILNS1_3genE0ELNS1_11target_archE4294967295ELNS1_3gpuE0ELNS1_3repE0EEENS1_30default_config_static_selectorELNS0_4arch9wavefront6targetE0EEEvSS_.num_vgpr, 0
	.set _ZN7rocprim17ROCPRIM_400000_NS6detail17trampoline_kernelINS0_14default_configENS1_22reduce_config_selectorIiEEZNS1_11reduce_implILb1ES3_PiS7_iN6hipcub16HIPCUB_304000_NS6detail34convert_binary_result_type_wrapperINS9_3SumENS9_22TransformInputIteratorIbN2at6native12_GLOBAL__N_19NonZeroOpIN3c108BFloat16EEEPKSJ_lEEiEEEE10hipError_tPvRmT1_T2_T3_mT4_P12ihipStream_tbEUlT_E1_NS1_11comp_targetILNS1_3genE0ELNS1_11target_archE4294967295ELNS1_3gpuE0ELNS1_3repE0EEENS1_30default_config_static_selectorELNS0_4arch9wavefront6targetE0EEEvSS_.num_agpr, 0
	.set _ZN7rocprim17ROCPRIM_400000_NS6detail17trampoline_kernelINS0_14default_configENS1_22reduce_config_selectorIiEEZNS1_11reduce_implILb1ES3_PiS7_iN6hipcub16HIPCUB_304000_NS6detail34convert_binary_result_type_wrapperINS9_3SumENS9_22TransformInputIteratorIbN2at6native12_GLOBAL__N_19NonZeroOpIN3c108BFloat16EEEPKSJ_lEEiEEEE10hipError_tPvRmT1_T2_T3_mT4_P12ihipStream_tbEUlT_E1_NS1_11comp_targetILNS1_3genE0ELNS1_11target_archE4294967295ELNS1_3gpuE0ELNS1_3repE0EEENS1_30default_config_static_selectorELNS0_4arch9wavefront6targetE0EEEvSS_.numbered_sgpr, 0
	.set _ZN7rocprim17ROCPRIM_400000_NS6detail17trampoline_kernelINS0_14default_configENS1_22reduce_config_selectorIiEEZNS1_11reduce_implILb1ES3_PiS7_iN6hipcub16HIPCUB_304000_NS6detail34convert_binary_result_type_wrapperINS9_3SumENS9_22TransformInputIteratorIbN2at6native12_GLOBAL__N_19NonZeroOpIN3c108BFloat16EEEPKSJ_lEEiEEEE10hipError_tPvRmT1_T2_T3_mT4_P12ihipStream_tbEUlT_E1_NS1_11comp_targetILNS1_3genE0ELNS1_11target_archE4294967295ELNS1_3gpuE0ELNS1_3repE0EEENS1_30default_config_static_selectorELNS0_4arch9wavefront6targetE0EEEvSS_.num_named_barrier, 0
	.set _ZN7rocprim17ROCPRIM_400000_NS6detail17trampoline_kernelINS0_14default_configENS1_22reduce_config_selectorIiEEZNS1_11reduce_implILb1ES3_PiS7_iN6hipcub16HIPCUB_304000_NS6detail34convert_binary_result_type_wrapperINS9_3SumENS9_22TransformInputIteratorIbN2at6native12_GLOBAL__N_19NonZeroOpIN3c108BFloat16EEEPKSJ_lEEiEEEE10hipError_tPvRmT1_T2_T3_mT4_P12ihipStream_tbEUlT_E1_NS1_11comp_targetILNS1_3genE0ELNS1_11target_archE4294967295ELNS1_3gpuE0ELNS1_3repE0EEENS1_30default_config_static_selectorELNS0_4arch9wavefront6targetE0EEEvSS_.private_seg_size, 0
	.set _ZN7rocprim17ROCPRIM_400000_NS6detail17trampoline_kernelINS0_14default_configENS1_22reduce_config_selectorIiEEZNS1_11reduce_implILb1ES3_PiS7_iN6hipcub16HIPCUB_304000_NS6detail34convert_binary_result_type_wrapperINS9_3SumENS9_22TransformInputIteratorIbN2at6native12_GLOBAL__N_19NonZeroOpIN3c108BFloat16EEEPKSJ_lEEiEEEE10hipError_tPvRmT1_T2_T3_mT4_P12ihipStream_tbEUlT_E1_NS1_11comp_targetILNS1_3genE0ELNS1_11target_archE4294967295ELNS1_3gpuE0ELNS1_3repE0EEENS1_30default_config_static_selectorELNS0_4arch9wavefront6targetE0EEEvSS_.uses_vcc, 0
	.set _ZN7rocprim17ROCPRIM_400000_NS6detail17trampoline_kernelINS0_14default_configENS1_22reduce_config_selectorIiEEZNS1_11reduce_implILb1ES3_PiS7_iN6hipcub16HIPCUB_304000_NS6detail34convert_binary_result_type_wrapperINS9_3SumENS9_22TransformInputIteratorIbN2at6native12_GLOBAL__N_19NonZeroOpIN3c108BFloat16EEEPKSJ_lEEiEEEE10hipError_tPvRmT1_T2_T3_mT4_P12ihipStream_tbEUlT_E1_NS1_11comp_targetILNS1_3genE0ELNS1_11target_archE4294967295ELNS1_3gpuE0ELNS1_3repE0EEENS1_30default_config_static_selectorELNS0_4arch9wavefront6targetE0EEEvSS_.uses_flat_scratch, 0
	.set _ZN7rocprim17ROCPRIM_400000_NS6detail17trampoline_kernelINS0_14default_configENS1_22reduce_config_selectorIiEEZNS1_11reduce_implILb1ES3_PiS7_iN6hipcub16HIPCUB_304000_NS6detail34convert_binary_result_type_wrapperINS9_3SumENS9_22TransformInputIteratorIbN2at6native12_GLOBAL__N_19NonZeroOpIN3c108BFloat16EEEPKSJ_lEEiEEEE10hipError_tPvRmT1_T2_T3_mT4_P12ihipStream_tbEUlT_E1_NS1_11comp_targetILNS1_3genE0ELNS1_11target_archE4294967295ELNS1_3gpuE0ELNS1_3repE0EEENS1_30default_config_static_selectorELNS0_4arch9wavefront6targetE0EEEvSS_.has_dyn_sized_stack, 0
	.set _ZN7rocprim17ROCPRIM_400000_NS6detail17trampoline_kernelINS0_14default_configENS1_22reduce_config_selectorIiEEZNS1_11reduce_implILb1ES3_PiS7_iN6hipcub16HIPCUB_304000_NS6detail34convert_binary_result_type_wrapperINS9_3SumENS9_22TransformInputIteratorIbN2at6native12_GLOBAL__N_19NonZeroOpIN3c108BFloat16EEEPKSJ_lEEiEEEE10hipError_tPvRmT1_T2_T3_mT4_P12ihipStream_tbEUlT_E1_NS1_11comp_targetILNS1_3genE0ELNS1_11target_archE4294967295ELNS1_3gpuE0ELNS1_3repE0EEENS1_30default_config_static_selectorELNS0_4arch9wavefront6targetE0EEEvSS_.has_recursion, 0
	.set _ZN7rocprim17ROCPRIM_400000_NS6detail17trampoline_kernelINS0_14default_configENS1_22reduce_config_selectorIiEEZNS1_11reduce_implILb1ES3_PiS7_iN6hipcub16HIPCUB_304000_NS6detail34convert_binary_result_type_wrapperINS9_3SumENS9_22TransformInputIteratorIbN2at6native12_GLOBAL__N_19NonZeroOpIN3c108BFloat16EEEPKSJ_lEEiEEEE10hipError_tPvRmT1_T2_T3_mT4_P12ihipStream_tbEUlT_E1_NS1_11comp_targetILNS1_3genE0ELNS1_11target_archE4294967295ELNS1_3gpuE0ELNS1_3repE0EEENS1_30default_config_static_selectorELNS0_4arch9wavefront6targetE0EEEvSS_.has_indirect_call, 0
	.section	.AMDGPU.csdata,"",@progbits
; Kernel info:
; codeLenInByte = 0
; TotalNumSgprs: 0
; NumVgprs: 0
; ScratchSize: 0
; MemoryBound: 0
; FloatMode: 240
; IeeeMode: 1
; LDSByteSize: 0 bytes/workgroup (compile time only)
; SGPRBlocks: 0
; VGPRBlocks: 0
; NumSGPRsForWavesPerEU: 1
; NumVGPRsForWavesPerEU: 1
; Occupancy: 16
; WaveLimiterHint : 0
; COMPUTE_PGM_RSRC2:SCRATCH_EN: 0
; COMPUTE_PGM_RSRC2:USER_SGPR: 2
; COMPUTE_PGM_RSRC2:TRAP_HANDLER: 0
; COMPUTE_PGM_RSRC2:TGID_X_EN: 1
; COMPUTE_PGM_RSRC2:TGID_Y_EN: 0
; COMPUTE_PGM_RSRC2:TGID_Z_EN: 0
; COMPUTE_PGM_RSRC2:TIDIG_COMP_CNT: 0
	.section	.text._ZN7rocprim17ROCPRIM_400000_NS6detail17trampoline_kernelINS0_14default_configENS1_22reduce_config_selectorIiEEZNS1_11reduce_implILb1ES3_PiS7_iN6hipcub16HIPCUB_304000_NS6detail34convert_binary_result_type_wrapperINS9_3SumENS9_22TransformInputIteratorIbN2at6native12_GLOBAL__N_19NonZeroOpIN3c108BFloat16EEEPKSJ_lEEiEEEE10hipError_tPvRmT1_T2_T3_mT4_P12ihipStream_tbEUlT_E1_NS1_11comp_targetILNS1_3genE5ELNS1_11target_archE942ELNS1_3gpuE9ELNS1_3repE0EEENS1_30default_config_static_selectorELNS0_4arch9wavefront6targetE0EEEvSS_,"axG",@progbits,_ZN7rocprim17ROCPRIM_400000_NS6detail17trampoline_kernelINS0_14default_configENS1_22reduce_config_selectorIiEEZNS1_11reduce_implILb1ES3_PiS7_iN6hipcub16HIPCUB_304000_NS6detail34convert_binary_result_type_wrapperINS9_3SumENS9_22TransformInputIteratorIbN2at6native12_GLOBAL__N_19NonZeroOpIN3c108BFloat16EEEPKSJ_lEEiEEEE10hipError_tPvRmT1_T2_T3_mT4_P12ihipStream_tbEUlT_E1_NS1_11comp_targetILNS1_3genE5ELNS1_11target_archE942ELNS1_3gpuE9ELNS1_3repE0EEENS1_30default_config_static_selectorELNS0_4arch9wavefront6targetE0EEEvSS_,comdat
	.globl	_ZN7rocprim17ROCPRIM_400000_NS6detail17trampoline_kernelINS0_14default_configENS1_22reduce_config_selectorIiEEZNS1_11reduce_implILb1ES3_PiS7_iN6hipcub16HIPCUB_304000_NS6detail34convert_binary_result_type_wrapperINS9_3SumENS9_22TransformInputIteratorIbN2at6native12_GLOBAL__N_19NonZeroOpIN3c108BFloat16EEEPKSJ_lEEiEEEE10hipError_tPvRmT1_T2_T3_mT4_P12ihipStream_tbEUlT_E1_NS1_11comp_targetILNS1_3genE5ELNS1_11target_archE942ELNS1_3gpuE9ELNS1_3repE0EEENS1_30default_config_static_selectorELNS0_4arch9wavefront6targetE0EEEvSS_ ; -- Begin function _ZN7rocprim17ROCPRIM_400000_NS6detail17trampoline_kernelINS0_14default_configENS1_22reduce_config_selectorIiEEZNS1_11reduce_implILb1ES3_PiS7_iN6hipcub16HIPCUB_304000_NS6detail34convert_binary_result_type_wrapperINS9_3SumENS9_22TransformInputIteratorIbN2at6native12_GLOBAL__N_19NonZeroOpIN3c108BFloat16EEEPKSJ_lEEiEEEE10hipError_tPvRmT1_T2_T3_mT4_P12ihipStream_tbEUlT_E1_NS1_11comp_targetILNS1_3genE5ELNS1_11target_archE942ELNS1_3gpuE9ELNS1_3repE0EEENS1_30default_config_static_selectorELNS0_4arch9wavefront6targetE0EEEvSS_
	.p2align	8
	.type	_ZN7rocprim17ROCPRIM_400000_NS6detail17trampoline_kernelINS0_14default_configENS1_22reduce_config_selectorIiEEZNS1_11reduce_implILb1ES3_PiS7_iN6hipcub16HIPCUB_304000_NS6detail34convert_binary_result_type_wrapperINS9_3SumENS9_22TransformInputIteratorIbN2at6native12_GLOBAL__N_19NonZeroOpIN3c108BFloat16EEEPKSJ_lEEiEEEE10hipError_tPvRmT1_T2_T3_mT4_P12ihipStream_tbEUlT_E1_NS1_11comp_targetILNS1_3genE5ELNS1_11target_archE942ELNS1_3gpuE9ELNS1_3repE0EEENS1_30default_config_static_selectorELNS0_4arch9wavefront6targetE0EEEvSS_,@function
_ZN7rocprim17ROCPRIM_400000_NS6detail17trampoline_kernelINS0_14default_configENS1_22reduce_config_selectorIiEEZNS1_11reduce_implILb1ES3_PiS7_iN6hipcub16HIPCUB_304000_NS6detail34convert_binary_result_type_wrapperINS9_3SumENS9_22TransformInputIteratorIbN2at6native12_GLOBAL__N_19NonZeroOpIN3c108BFloat16EEEPKSJ_lEEiEEEE10hipError_tPvRmT1_T2_T3_mT4_P12ihipStream_tbEUlT_E1_NS1_11comp_targetILNS1_3genE5ELNS1_11target_archE942ELNS1_3gpuE9ELNS1_3repE0EEENS1_30default_config_static_selectorELNS0_4arch9wavefront6targetE0EEEvSS_: ; @_ZN7rocprim17ROCPRIM_400000_NS6detail17trampoline_kernelINS0_14default_configENS1_22reduce_config_selectorIiEEZNS1_11reduce_implILb1ES3_PiS7_iN6hipcub16HIPCUB_304000_NS6detail34convert_binary_result_type_wrapperINS9_3SumENS9_22TransformInputIteratorIbN2at6native12_GLOBAL__N_19NonZeroOpIN3c108BFloat16EEEPKSJ_lEEiEEEE10hipError_tPvRmT1_T2_T3_mT4_P12ihipStream_tbEUlT_E1_NS1_11comp_targetILNS1_3genE5ELNS1_11target_archE942ELNS1_3gpuE9ELNS1_3repE0EEENS1_30default_config_static_selectorELNS0_4arch9wavefront6targetE0EEEvSS_
; %bb.0:
	.section	.rodata,"a",@progbits
	.p2align	6, 0x0
	.amdhsa_kernel _ZN7rocprim17ROCPRIM_400000_NS6detail17trampoline_kernelINS0_14default_configENS1_22reduce_config_selectorIiEEZNS1_11reduce_implILb1ES3_PiS7_iN6hipcub16HIPCUB_304000_NS6detail34convert_binary_result_type_wrapperINS9_3SumENS9_22TransformInputIteratorIbN2at6native12_GLOBAL__N_19NonZeroOpIN3c108BFloat16EEEPKSJ_lEEiEEEE10hipError_tPvRmT1_T2_T3_mT4_P12ihipStream_tbEUlT_E1_NS1_11comp_targetILNS1_3genE5ELNS1_11target_archE942ELNS1_3gpuE9ELNS1_3repE0EEENS1_30default_config_static_selectorELNS0_4arch9wavefront6targetE0EEEvSS_
		.amdhsa_group_segment_fixed_size 0
		.amdhsa_private_segment_fixed_size 0
		.amdhsa_kernarg_size 40
		.amdhsa_user_sgpr_count 2
		.amdhsa_user_sgpr_dispatch_ptr 0
		.amdhsa_user_sgpr_queue_ptr 0
		.amdhsa_user_sgpr_kernarg_segment_ptr 1
		.amdhsa_user_sgpr_dispatch_id 0
		.amdhsa_user_sgpr_private_segment_size 0
		.amdhsa_wavefront_size32 1
		.amdhsa_uses_dynamic_stack 0
		.amdhsa_enable_private_segment 0
		.amdhsa_system_sgpr_workgroup_id_x 1
		.amdhsa_system_sgpr_workgroup_id_y 0
		.amdhsa_system_sgpr_workgroup_id_z 0
		.amdhsa_system_sgpr_workgroup_info 0
		.amdhsa_system_vgpr_workitem_id 0
		.amdhsa_next_free_vgpr 1
		.amdhsa_next_free_sgpr 1
		.amdhsa_reserve_vcc 0
		.amdhsa_float_round_mode_32 0
		.amdhsa_float_round_mode_16_64 0
		.amdhsa_float_denorm_mode_32 3
		.amdhsa_float_denorm_mode_16_64 3
		.amdhsa_fp16_overflow 0
		.amdhsa_workgroup_processor_mode 1
		.amdhsa_memory_ordered 1
		.amdhsa_forward_progress 1
		.amdhsa_inst_pref_size 0
		.amdhsa_round_robin_scheduling 0
		.amdhsa_exception_fp_ieee_invalid_op 0
		.amdhsa_exception_fp_denorm_src 0
		.amdhsa_exception_fp_ieee_div_zero 0
		.amdhsa_exception_fp_ieee_overflow 0
		.amdhsa_exception_fp_ieee_underflow 0
		.amdhsa_exception_fp_ieee_inexact 0
		.amdhsa_exception_int_div_zero 0
	.end_amdhsa_kernel
	.section	.text._ZN7rocprim17ROCPRIM_400000_NS6detail17trampoline_kernelINS0_14default_configENS1_22reduce_config_selectorIiEEZNS1_11reduce_implILb1ES3_PiS7_iN6hipcub16HIPCUB_304000_NS6detail34convert_binary_result_type_wrapperINS9_3SumENS9_22TransformInputIteratorIbN2at6native12_GLOBAL__N_19NonZeroOpIN3c108BFloat16EEEPKSJ_lEEiEEEE10hipError_tPvRmT1_T2_T3_mT4_P12ihipStream_tbEUlT_E1_NS1_11comp_targetILNS1_3genE5ELNS1_11target_archE942ELNS1_3gpuE9ELNS1_3repE0EEENS1_30default_config_static_selectorELNS0_4arch9wavefront6targetE0EEEvSS_,"axG",@progbits,_ZN7rocprim17ROCPRIM_400000_NS6detail17trampoline_kernelINS0_14default_configENS1_22reduce_config_selectorIiEEZNS1_11reduce_implILb1ES3_PiS7_iN6hipcub16HIPCUB_304000_NS6detail34convert_binary_result_type_wrapperINS9_3SumENS9_22TransformInputIteratorIbN2at6native12_GLOBAL__N_19NonZeroOpIN3c108BFloat16EEEPKSJ_lEEiEEEE10hipError_tPvRmT1_T2_T3_mT4_P12ihipStream_tbEUlT_E1_NS1_11comp_targetILNS1_3genE5ELNS1_11target_archE942ELNS1_3gpuE9ELNS1_3repE0EEENS1_30default_config_static_selectorELNS0_4arch9wavefront6targetE0EEEvSS_,comdat
.Lfunc_end772:
	.size	_ZN7rocprim17ROCPRIM_400000_NS6detail17trampoline_kernelINS0_14default_configENS1_22reduce_config_selectorIiEEZNS1_11reduce_implILb1ES3_PiS7_iN6hipcub16HIPCUB_304000_NS6detail34convert_binary_result_type_wrapperINS9_3SumENS9_22TransformInputIteratorIbN2at6native12_GLOBAL__N_19NonZeroOpIN3c108BFloat16EEEPKSJ_lEEiEEEE10hipError_tPvRmT1_T2_T3_mT4_P12ihipStream_tbEUlT_E1_NS1_11comp_targetILNS1_3genE5ELNS1_11target_archE942ELNS1_3gpuE9ELNS1_3repE0EEENS1_30default_config_static_selectorELNS0_4arch9wavefront6targetE0EEEvSS_, .Lfunc_end772-_ZN7rocprim17ROCPRIM_400000_NS6detail17trampoline_kernelINS0_14default_configENS1_22reduce_config_selectorIiEEZNS1_11reduce_implILb1ES3_PiS7_iN6hipcub16HIPCUB_304000_NS6detail34convert_binary_result_type_wrapperINS9_3SumENS9_22TransformInputIteratorIbN2at6native12_GLOBAL__N_19NonZeroOpIN3c108BFloat16EEEPKSJ_lEEiEEEE10hipError_tPvRmT1_T2_T3_mT4_P12ihipStream_tbEUlT_E1_NS1_11comp_targetILNS1_3genE5ELNS1_11target_archE942ELNS1_3gpuE9ELNS1_3repE0EEENS1_30default_config_static_selectorELNS0_4arch9wavefront6targetE0EEEvSS_
                                        ; -- End function
	.set _ZN7rocprim17ROCPRIM_400000_NS6detail17trampoline_kernelINS0_14default_configENS1_22reduce_config_selectorIiEEZNS1_11reduce_implILb1ES3_PiS7_iN6hipcub16HIPCUB_304000_NS6detail34convert_binary_result_type_wrapperINS9_3SumENS9_22TransformInputIteratorIbN2at6native12_GLOBAL__N_19NonZeroOpIN3c108BFloat16EEEPKSJ_lEEiEEEE10hipError_tPvRmT1_T2_T3_mT4_P12ihipStream_tbEUlT_E1_NS1_11comp_targetILNS1_3genE5ELNS1_11target_archE942ELNS1_3gpuE9ELNS1_3repE0EEENS1_30default_config_static_selectorELNS0_4arch9wavefront6targetE0EEEvSS_.num_vgpr, 0
	.set _ZN7rocprim17ROCPRIM_400000_NS6detail17trampoline_kernelINS0_14default_configENS1_22reduce_config_selectorIiEEZNS1_11reduce_implILb1ES3_PiS7_iN6hipcub16HIPCUB_304000_NS6detail34convert_binary_result_type_wrapperINS9_3SumENS9_22TransformInputIteratorIbN2at6native12_GLOBAL__N_19NonZeroOpIN3c108BFloat16EEEPKSJ_lEEiEEEE10hipError_tPvRmT1_T2_T3_mT4_P12ihipStream_tbEUlT_E1_NS1_11comp_targetILNS1_3genE5ELNS1_11target_archE942ELNS1_3gpuE9ELNS1_3repE0EEENS1_30default_config_static_selectorELNS0_4arch9wavefront6targetE0EEEvSS_.num_agpr, 0
	.set _ZN7rocprim17ROCPRIM_400000_NS6detail17trampoline_kernelINS0_14default_configENS1_22reduce_config_selectorIiEEZNS1_11reduce_implILb1ES3_PiS7_iN6hipcub16HIPCUB_304000_NS6detail34convert_binary_result_type_wrapperINS9_3SumENS9_22TransformInputIteratorIbN2at6native12_GLOBAL__N_19NonZeroOpIN3c108BFloat16EEEPKSJ_lEEiEEEE10hipError_tPvRmT1_T2_T3_mT4_P12ihipStream_tbEUlT_E1_NS1_11comp_targetILNS1_3genE5ELNS1_11target_archE942ELNS1_3gpuE9ELNS1_3repE0EEENS1_30default_config_static_selectorELNS0_4arch9wavefront6targetE0EEEvSS_.numbered_sgpr, 0
	.set _ZN7rocprim17ROCPRIM_400000_NS6detail17trampoline_kernelINS0_14default_configENS1_22reduce_config_selectorIiEEZNS1_11reduce_implILb1ES3_PiS7_iN6hipcub16HIPCUB_304000_NS6detail34convert_binary_result_type_wrapperINS9_3SumENS9_22TransformInputIteratorIbN2at6native12_GLOBAL__N_19NonZeroOpIN3c108BFloat16EEEPKSJ_lEEiEEEE10hipError_tPvRmT1_T2_T3_mT4_P12ihipStream_tbEUlT_E1_NS1_11comp_targetILNS1_3genE5ELNS1_11target_archE942ELNS1_3gpuE9ELNS1_3repE0EEENS1_30default_config_static_selectorELNS0_4arch9wavefront6targetE0EEEvSS_.num_named_barrier, 0
	.set _ZN7rocprim17ROCPRIM_400000_NS6detail17trampoline_kernelINS0_14default_configENS1_22reduce_config_selectorIiEEZNS1_11reduce_implILb1ES3_PiS7_iN6hipcub16HIPCUB_304000_NS6detail34convert_binary_result_type_wrapperINS9_3SumENS9_22TransformInputIteratorIbN2at6native12_GLOBAL__N_19NonZeroOpIN3c108BFloat16EEEPKSJ_lEEiEEEE10hipError_tPvRmT1_T2_T3_mT4_P12ihipStream_tbEUlT_E1_NS1_11comp_targetILNS1_3genE5ELNS1_11target_archE942ELNS1_3gpuE9ELNS1_3repE0EEENS1_30default_config_static_selectorELNS0_4arch9wavefront6targetE0EEEvSS_.private_seg_size, 0
	.set _ZN7rocprim17ROCPRIM_400000_NS6detail17trampoline_kernelINS0_14default_configENS1_22reduce_config_selectorIiEEZNS1_11reduce_implILb1ES3_PiS7_iN6hipcub16HIPCUB_304000_NS6detail34convert_binary_result_type_wrapperINS9_3SumENS9_22TransformInputIteratorIbN2at6native12_GLOBAL__N_19NonZeroOpIN3c108BFloat16EEEPKSJ_lEEiEEEE10hipError_tPvRmT1_T2_T3_mT4_P12ihipStream_tbEUlT_E1_NS1_11comp_targetILNS1_3genE5ELNS1_11target_archE942ELNS1_3gpuE9ELNS1_3repE0EEENS1_30default_config_static_selectorELNS0_4arch9wavefront6targetE0EEEvSS_.uses_vcc, 0
	.set _ZN7rocprim17ROCPRIM_400000_NS6detail17trampoline_kernelINS0_14default_configENS1_22reduce_config_selectorIiEEZNS1_11reduce_implILb1ES3_PiS7_iN6hipcub16HIPCUB_304000_NS6detail34convert_binary_result_type_wrapperINS9_3SumENS9_22TransformInputIteratorIbN2at6native12_GLOBAL__N_19NonZeroOpIN3c108BFloat16EEEPKSJ_lEEiEEEE10hipError_tPvRmT1_T2_T3_mT4_P12ihipStream_tbEUlT_E1_NS1_11comp_targetILNS1_3genE5ELNS1_11target_archE942ELNS1_3gpuE9ELNS1_3repE0EEENS1_30default_config_static_selectorELNS0_4arch9wavefront6targetE0EEEvSS_.uses_flat_scratch, 0
	.set _ZN7rocprim17ROCPRIM_400000_NS6detail17trampoline_kernelINS0_14default_configENS1_22reduce_config_selectorIiEEZNS1_11reduce_implILb1ES3_PiS7_iN6hipcub16HIPCUB_304000_NS6detail34convert_binary_result_type_wrapperINS9_3SumENS9_22TransformInputIteratorIbN2at6native12_GLOBAL__N_19NonZeroOpIN3c108BFloat16EEEPKSJ_lEEiEEEE10hipError_tPvRmT1_T2_T3_mT4_P12ihipStream_tbEUlT_E1_NS1_11comp_targetILNS1_3genE5ELNS1_11target_archE942ELNS1_3gpuE9ELNS1_3repE0EEENS1_30default_config_static_selectorELNS0_4arch9wavefront6targetE0EEEvSS_.has_dyn_sized_stack, 0
	.set _ZN7rocprim17ROCPRIM_400000_NS6detail17trampoline_kernelINS0_14default_configENS1_22reduce_config_selectorIiEEZNS1_11reduce_implILb1ES3_PiS7_iN6hipcub16HIPCUB_304000_NS6detail34convert_binary_result_type_wrapperINS9_3SumENS9_22TransformInputIteratorIbN2at6native12_GLOBAL__N_19NonZeroOpIN3c108BFloat16EEEPKSJ_lEEiEEEE10hipError_tPvRmT1_T2_T3_mT4_P12ihipStream_tbEUlT_E1_NS1_11comp_targetILNS1_3genE5ELNS1_11target_archE942ELNS1_3gpuE9ELNS1_3repE0EEENS1_30default_config_static_selectorELNS0_4arch9wavefront6targetE0EEEvSS_.has_recursion, 0
	.set _ZN7rocprim17ROCPRIM_400000_NS6detail17trampoline_kernelINS0_14default_configENS1_22reduce_config_selectorIiEEZNS1_11reduce_implILb1ES3_PiS7_iN6hipcub16HIPCUB_304000_NS6detail34convert_binary_result_type_wrapperINS9_3SumENS9_22TransformInputIteratorIbN2at6native12_GLOBAL__N_19NonZeroOpIN3c108BFloat16EEEPKSJ_lEEiEEEE10hipError_tPvRmT1_T2_T3_mT4_P12ihipStream_tbEUlT_E1_NS1_11comp_targetILNS1_3genE5ELNS1_11target_archE942ELNS1_3gpuE9ELNS1_3repE0EEENS1_30default_config_static_selectorELNS0_4arch9wavefront6targetE0EEEvSS_.has_indirect_call, 0
	.section	.AMDGPU.csdata,"",@progbits
; Kernel info:
; codeLenInByte = 0
; TotalNumSgprs: 0
; NumVgprs: 0
; ScratchSize: 0
; MemoryBound: 0
; FloatMode: 240
; IeeeMode: 1
; LDSByteSize: 0 bytes/workgroup (compile time only)
; SGPRBlocks: 0
; VGPRBlocks: 0
; NumSGPRsForWavesPerEU: 1
; NumVGPRsForWavesPerEU: 1
; Occupancy: 16
; WaveLimiterHint : 0
; COMPUTE_PGM_RSRC2:SCRATCH_EN: 0
; COMPUTE_PGM_RSRC2:USER_SGPR: 2
; COMPUTE_PGM_RSRC2:TRAP_HANDLER: 0
; COMPUTE_PGM_RSRC2:TGID_X_EN: 1
; COMPUTE_PGM_RSRC2:TGID_Y_EN: 0
; COMPUTE_PGM_RSRC2:TGID_Z_EN: 0
; COMPUTE_PGM_RSRC2:TIDIG_COMP_CNT: 0
	.section	.text._ZN7rocprim17ROCPRIM_400000_NS6detail17trampoline_kernelINS0_14default_configENS1_22reduce_config_selectorIiEEZNS1_11reduce_implILb1ES3_PiS7_iN6hipcub16HIPCUB_304000_NS6detail34convert_binary_result_type_wrapperINS9_3SumENS9_22TransformInputIteratorIbN2at6native12_GLOBAL__N_19NonZeroOpIN3c108BFloat16EEEPKSJ_lEEiEEEE10hipError_tPvRmT1_T2_T3_mT4_P12ihipStream_tbEUlT_E1_NS1_11comp_targetILNS1_3genE4ELNS1_11target_archE910ELNS1_3gpuE8ELNS1_3repE0EEENS1_30default_config_static_selectorELNS0_4arch9wavefront6targetE0EEEvSS_,"axG",@progbits,_ZN7rocprim17ROCPRIM_400000_NS6detail17trampoline_kernelINS0_14default_configENS1_22reduce_config_selectorIiEEZNS1_11reduce_implILb1ES3_PiS7_iN6hipcub16HIPCUB_304000_NS6detail34convert_binary_result_type_wrapperINS9_3SumENS9_22TransformInputIteratorIbN2at6native12_GLOBAL__N_19NonZeroOpIN3c108BFloat16EEEPKSJ_lEEiEEEE10hipError_tPvRmT1_T2_T3_mT4_P12ihipStream_tbEUlT_E1_NS1_11comp_targetILNS1_3genE4ELNS1_11target_archE910ELNS1_3gpuE8ELNS1_3repE0EEENS1_30default_config_static_selectorELNS0_4arch9wavefront6targetE0EEEvSS_,comdat
	.globl	_ZN7rocprim17ROCPRIM_400000_NS6detail17trampoline_kernelINS0_14default_configENS1_22reduce_config_selectorIiEEZNS1_11reduce_implILb1ES3_PiS7_iN6hipcub16HIPCUB_304000_NS6detail34convert_binary_result_type_wrapperINS9_3SumENS9_22TransformInputIteratorIbN2at6native12_GLOBAL__N_19NonZeroOpIN3c108BFloat16EEEPKSJ_lEEiEEEE10hipError_tPvRmT1_T2_T3_mT4_P12ihipStream_tbEUlT_E1_NS1_11comp_targetILNS1_3genE4ELNS1_11target_archE910ELNS1_3gpuE8ELNS1_3repE0EEENS1_30default_config_static_selectorELNS0_4arch9wavefront6targetE0EEEvSS_ ; -- Begin function _ZN7rocprim17ROCPRIM_400000_NS6detail17trampoline_kernelINS0_14default_configENS1_22reduce_config_selectorIiEEZNS1_11reduce_implILb1ES3_PiS7_iN6hipcub16HIPCUB_304000_NS6detail34convert_binary_result_type_wrapperINS9_3SumENS9_22TransformInputIteratorIbN2at6native12_GLOBAL__N_19NonZeroOpIN3c108BFloat16EEEPKSJ_lEEiEEEE10hipError_tPvRmT1_T2_T3_mT4_P12ihipStream_tbEUlT_E1_NS1_11comp_targetILNS1_3genE4ELNS1_11target_archE910ELNS1_3gpuE8ELNS1_3repE0EEENS1_30default_config_static_selectorELNS0_4arch9wavefront6targetE0EEEvSS_
	.p2align	8
	.type	_ZN7rocprim17ROCPRIM_400000_NS6detail17trampoline_kernelINS0_14default_configENS1_22reduce_config_selectorIiEEZNS1_11reduce_implILb1ES3_PiS7_iN6hipcub16HIPCUB_304000_NS6detail34convert_binary_result_type_wrapperINS9_3SumENS9_22TransformInputIteratorIbN2at6native12_GLOBAL__N_19NonZeroOpIN3c108BFloat16EEEPKSJ_lEEiEEEE10hipError_tPvRmT1_T2_T3_mT4_P12ihipStream_tbEUlT_E1_NS1_11comp_targetILNS1_3genE4ELNS1_11target_archE910ELNS1_3gpuE8ELNS1_3repE0EEENS1_30default_config_static_selectorELNS0_4arch9wavefront6targetE0EEEvSS_,@function
_ZN7rocprim17ROCPRIM_400000_NS6detail17trampoline_kernelINS0_14default_configENS1_22reduce_config_selectorIiEEZNS1_11reduce_implILb1ES3_PiS7_iN6hipcub16HIPCUB_304000_NS6detail34convert_binary_result_type_wrapperINS9_3SumENS9_22TransformInputIteratorIbN2at6native12_GLOBAL__N_19NonZeroOpIN3c108BFloat16EEEPKSJ_lEEiEEEE10hipError_tPvRmT1_T2_T3_mT4_P12ihipStream_tbEUlT_E1_NS1_11comp_targetILNS1_3genE4ELNS1_11target_archE910ELNS1_3gpuE8ELNS1_3repE0EEENS1_30default_config_static_selectorELNS0_4arch9wavefront6targetE0EEEvSS_: ; @_ZN7rocprim17ROCPRIM_400000_NS6detail17trampoline_kernelINS0_14default_configENS1_22reduce_config_selectorIiEEZNS1_11reduce_implILb1ES3_PiS7_iN6hipcub16HIPCUB_304000_NS6detail34convert_binary_result_type_wrapperINS9_3SumENS9_22TransformInputIteratorIbN2at6native12_GLOBAL__N_19NonZeroOpIN3c108BFloat16EEEPKSJ_lEEiEEEE10hipError_tPvRmT1_T2_T3_mT4_P12ihipStream_tbEUlT_E1_NS1_11comp_targetILNS1_3genE4ELNS1_11target_archE910ELNS1_3gpuE8ELNS1_3repE0EEENS1_30default_config_static_selectorELNS0_4arch9wavefront6targetE0EEEvSS_
; %bb.0:
	.section	.rodata,"a",@progbits
	.p2align	6, 0x0
	.amdhsa_kernel _ZN7rocprim17ROCPRIM_400000_NS6detail17trampoline_kernelINS0_14default_configENS1_22reduce_config_selectorIiEEZNS1_11reduce_implILb1ES3_PiS7_iN6hipcub16HIPCUB_304000_NS6detail34convert_binary_result_type_wrapperINS9_3SumENS9_22TransformInputIteratorIbN2at6native12_GLOBAL__N_19NonZeroOpIN3c108BFloat16EEEPKSJ_lEEiEEEE10hipError_tPvRmT1_T2_T3_mT4_P12ihipStream_tbEUlT_E1_NS1_11comp_targetILNS1_3genE4ELNS1_11target_archE910ELNS1_3gpuE8ELNS1_3repE0EEENS1_30default_config_static_selectorELNS0_4arch9wavefront6targetE0EEEvSS_
		.amdhsa_group_segment_fixed_size 0
		.amdhsa_private_segment_fixed_size 0
		.amdhsa_kernarg_size 40
		.amdhsa_user_sgpr_count 2
		.amdhsa_user_sgpr_dispatch_ptr 0
		.amdhsa_user_sgpr_queue_ptr 0
		.amdhsa_user_sgpr_kernarg_segment_ptr 1
		.amdhsa_user_sgpr_dispatch_id 0
		.amdhsa_user_sgpr_private_segment_size 0
		.amdhsa_wavefront_size32 1
		.amdhsa_uses_dynamic_stack 0
		.amdhsa_enable_private_segment 0
		.amdhsa_system_sgpr_workgroup_id_x 1
		.amdhsa_system_sgpr_workgroup_id_y 0
		.amdhsa_system_sgpr_workgroup_id_z 0
		.amdhsa_system_sgpr_workgroup_info 0
		.amdhsa_system_vgpr_workitem_id 0
		.amdhsa_next_free_vgpr 1
		.amdhsa_next_free_sgpr 1
		.amdhsa_reserve_vcc 0
		.amdhsa_float_round_mode_32 0
		.amdhsa_float_round_mode_16_64 0
		.amdhsa_float_denorm_mode_32 3
		.amdhsa_float_denorm_mode_16_64 3
		.amdhsa_fp16_overflow 0
		.amdhsa_workgroup_processor_mode 1
		.amdhsa_memory_ordered 1
		.amdhsa_forward_progress 1
		.amdhsa_inst_pref_size 0
		.amdhsa_round_robin_scheduling 0
		.amdhsa_exception_fp_ieee_invalid_op 0
		.amdhsa_exception_fp_denorm_src 0
		.amdhsa_exception_fp_ieee_div_zero 0
		.amdhsa_exception_fp_ieee_overflow 0
		.amdhsa_exception_fp_ieee_underflow 0
		.amdhsa_exception_fp_ieee_inexact 0
		.amdhsa_exception_int_div_zero 0
	.end_amdhsa_kernel
	.section	.text._ZN7rocprim17ROCPRIM_400000_NS6detail17trampoline_kernelINS0_14default_configENS1_22reduce_config_selectorIiEEZNS1_11reduce_implILb1ES3_PiS7_iN6hipcub16HIPCUB_304000_NS6detail34convert_binary_result_type_wrapperINS9_3SumENS9_22TransformInputIteratorIbN2at6native12_GLOBAL__N_19NonZeroOpIN3c108BFloat16EEEPKSJ_lEEiEEEE10hipError_tPvRmT1_T2_T3_mT4_P12ihipStream_tbEUlT_E1_NS1_11comp_targetILNS1_3genE4ELNS1_11target_archE910ELNS1_3gpuE8ELNS1_3repE0EEENS1_30default_config_static_selectorELNS0_4arch9wavefront6targetE0EEEvSS_,"axG",@progbits,_ZN7rocprim17ROCPRIM_400000_NS6detail17trampoline_kernelINS0_14default_configENS1_22reduce_config_selectorIiEEZNS1_11reduce_implILb1ES3_PiS7_iN6hipcub16HIPCUB_304000_NS6detail34convert_binary_result_type_wrapperINS9_3SumENS9_22TransformInputIteratorIbN2at6native12_GLOBAL__N_19NonZeroOpIN3c108BFloat16EEEPKSJ_lEEiEEEE10hipError_tPvRmT1_T2_T3_mT4_P12ihipStream_tbEUlT_E1_NS1_11comp_targetILNS1_3genE4ELNS1_11target_archE910ELNS1_3gpuE8ELNS1_3repE0EEENS1_30default_config_static_selectorELNS0_4arch9wavefront6targetE0EEEvSS_,comdat
.Lfunc_end773:
	.size	_ZN7rocprim17ROCPRIM_400000_NS6detail17trampoline_kernelINS0_14default_configENS1_22reduce_config_selectorIiEEZNS1_11reduce_implILb1ES3_PiS7_iN6hipcub16HIPCUB_304000_NS6detail34convert_binary_result_type_wrapperINS9_3SumENS9_22TransformInputIteratorIbN2at6native12_GLOBAL__N_19NonZeroOpIN3c108BFloat16EEEPKSJ_lEEiEEEE10hipError_tPvRmT1_T2_T3_mT4_P12ihipStream_tbEUlT_E1_NS1_11comp_targetILNS1_3genE4ELNS1_11target_archE910ELNS1_3gpuE8ELNS1_3repE0EEENS1_30default_config_static_selectorELNS0_4arch9wavefront6targetE0EEEvSS_, .Lfunc_end773-_ZN7rocprim17ROCPRIM_400000_NS6detail17trampoline_kernelINS0_14default_configENS1_22reduce_config_selectorIiEEZNS1_11reduce_implILb1ES3_PiS7_iN6hipcub16HIPCUB_304000_NS6detail34convert_binary_result_type_wrapperINS9_3SumENS9_22TransformInputIteratorIbN2at6native12_GLOBAL__N_19NonZeroOpIN3c108BFloat16EEEPKSJ_lEEiEEEE10hipError_tPvRmT1_T2_T3_mT4_P12ihipStream_tbEUlT_E1_NS1_11comp_targetILNS1_3genE4ELNS1_11target_archE910ELNS1_3gpuE8ELNS1_3repE0EEENS1_30default_config_static_selectorELNS0_4arch9wavefront6targetE0EEEvSS_
                                        ; -- End function
	.set _ZN7rocprim17ROCPRIM_400000_NS6detail17trampoline_kernelINS0_14default_configENS1_22reduce_config_selectorIiEEZNS1_11reduce_implILb1ES3_PiS7_iN6hipcub16HIPCUB_304000_NS6detail34convert_binary_result_type_wrapperINS9_3SumENS9_22TransformInputIteratorIbN2at6native12_GLOBAL__N_19NonZeroOpIN3c108BFloat16EEEPKSJ_lEEiEEEE10hipError_tPvRmT1_T2_T3_mT4_P12ihipStream_tbEUlT_E1_NS1_11comp_targetILNS1_3genE4ELNS1_11target_archE910ELNS1_3gpuE8ELNS1_3repE0EEENS1_30default_config_static_selectorELNS0_4arch9wavefront6targetE0EEEvSS_.num_vgpr, 0
	.set _ZN7rocprim17ROCPRIM_400000_NS6detail17trampoline_kernelINS0_14default_configENS1_22reduce_config_selectorIiEEZNS1_11reduce_implILb1ES3_PiS7_iN6hipcub16HIPCUB_304000_NS6detail34convert_binary_result_type_wrapperINS9_3SumENS9_22TransformInputIteratorIbN2at6native12_GLOBAL__N_19NonZeroOpIN3c108BFloat16EEEPKSJ_lEEiEEEE10hipError_tPvRmT1_T2_T3_mT4_P12ihipStream_tbEUlT_E1_NS1_11comp_targetILNS1_3genE4ELNS1_11target_archE910ELNS1_3gpuE8ELNS1_3repE0EEENS1_30default_config_static_selectorELNS0_4arch9wavefront6targetE0EEEvSS_.num_agpr, 0
	.set _ZN7rocprim17ROCPRIM_400000_NS6detail17trampoline_kernelINS0_14default_configENS1_22reduce_config_selectorIiEEZNS1_11reduce_implILb1ES3_PiS7_iN6hipcub16HIPCUB_304000_NS6detail34convert_binary_result_type_wrapperINS9_3SumENS9_22TransformInputIteratorIbN2at6native12_GLOBAL__N_19NonZeroOpIN3c108BFloat16EEEPKSJ_lEEiEEEE10hipError_tPvRmT1_T2_T3_mT4_P12ihipStream_tbEUlT_E1_NS1_11comp_targetILNS1_3genE4ELNS1_11target_archE910ELNS1_3gpuE8ELNS1_3repE0EEENS1_30default_config_static_selectorELNS0_4arch9wavefront6targetE0EEEvSS_.numbered_sgpr, 0
	.set _ZN7rocprim17ROCPRIM_400000_NS6detail17trampoline_kernelINS0_14default_configENS1_22reduce_config_selectorIiEEZNS1_11reduce_implILb1ES3_PiS7_iN6hipcub16HIPCUB_304000_NS6detail34convert_binary_result_type_wrapperINS9_3SumENS9_22TransformInputIteratorIbN2at6native12_GLOBAL__N_19NonZeroOpIN3c108BFloat16EEEPKSJ_lEEiEEEE10hipError_tPvRmT1_T2_T3_mT4_P12ihipStream_tbEUlT_E1_NS1_11comp_targetILNS1_3genE4ELNS1_11target_archE910ELNS1_3gpuE8ELNS1_3repE0EEENS1_30default_config_static_selectorELNS0_4arch9wavefront6targetE0EEEvSS_.num_named_barrier, 0
	.set _ZN7rocprim17ROCPRIM_400000_NS6detail17trampoline_kernelINS0_14default_configENS1_22reduce_config_selectorIiEEZNS1_11reduce_implILb1ES3_PiS7_iN6hipcub16HIPCUB_304000_NS6detail34convert_binary_result_type_wrapperINS9_3SumENS9_22TransformInputIteratorIbN2at6native12_GLOBAL__N_19NonZeroOpIN3c108BFloat16EEEPKSJ_lEEiEEEE10hipError_tPvRmT1_T2_T3_mT4_P12ihipStream_tbEUlT_E1_NS1_11comp_targetILNS1_3genE4ELNS1_11target_archE910ELNS1_3gpuE8ELNS1_3repE0EEENS1_30default_config_static_selectorELNS0_4arch9wavefront6targetE0EEEvSS_.private_seg_size, 0
	.set _ZN7rocprim17ROCPRIM_400000_NS6detail17trampoline_kernelINS0_14default_configENS1_22reduce_config_selectorIiEEZNS1_11reduce_implILb1ES3_PiS7_iN6hipcub16HIPCUB_304000_NS6detail34convert_binary_result_type_wrapperINS9_3SumENS9_22TransformInputIteratorIbN2at6native12_GLOBAL__N_19NonZeroOpIN3c108BFloat16EEEPKSJ_lEEiEEEE10hipError_tPvRmT1_T2_T3_mT4_P12ihipStream_tbEUlT_E1_NS1_11comp_targetILNS1_3genE4ELNS1_11target_archE910ELNS1_3gpuE8ELNS1_3repE0EEENS1_30default_config_static_selectorELNS0_4arch9wavefront6targetE0EEEvSS_.uses_vcc, 0
	.set _ZN7rocprim17ROCPRIM_400000_NS6detail17trampoline_kernelINS0_14default_configENS1_22reduce_config_selectorIiEEZNS1_11reduce_implILb1ES3_PiS7_iN6hipcub16HIPCUB_304000_NS6detail34convert_binary_result_type_wrapperINS9_3SumENS9_22TransformInputIteratorIbN2at6native12_GLOBAL__N_19NonZeroOpIN3c108BFloat16EEEPKSJ_lEEiEEEE10hipError_tPvRmT1_T2_T3_mT4_P12ihipStream_tbEUlT_E1_NS1_11comp_targetILNS1_3genE4ELNS1_11target_archE910ELNS1_3gpuE8ELNS1_3repE0EEENS1_30default_config_static_selectorELNS0_4arch9wavefront6targetE0EEEvSS_.uses_flat_scratch, 0
	.set _ZN7rocprim17ROCPRIM_400000_NS6detail17trampoline_kernelINS0_14default_configENS1_22reduce_config_selectorIiEEZNS1_11reduce_implILb1ES3_PiS7_iN6hipcub16HIPCUB_304000_NS6detail34convert_binary_result_type_wrapperINS9_3SumENS9_22TransformInputIteratorIbN2at6native12_GLOBAL__N_19NonZeroOpIN3c108BFloat16EEEPKSJ_lEEiEEEE10hipError_tPvRmT1_T2_T3_mT4_P12ihipStream_tbEUlT_E1_NS1_11comp_targetILNS1_3genE4ELNS1_11target_archE910ELNS1_3gpuE8ELNS1_3repE0EEENS1_30default_config_static_selectorELNS0_4arch9wavefront6targetE0EEEvSS_.has_dyn_sized_stack, 0
	.set _ZN7rocprim17ROCPRIM_400000_NS6detail17trampoline_kernelINS0_14default_configENS1_22reduce_config_selectorIiEEZNS1_11reduce_implILb1ES3_PiS7_iN6hipcub16HIPCUB_304000_NS6detail34convert_binary_result_type_wrapperINS9_3SumENS9_22TransformInputIteratorIbN2at6native12_GLOBAL__N_19NonZeroOpIN3c108BFloat16EEEPKSJ_lEEiEEEE10hipError_tPvRmT1_T2_T3_mT4_P12ihipStream_tbEUlT_E1_NS1_11comp_targetILNS1_3genE4ELNS1_11target_archE910ELNS1_3gpuE8ELNS1_3repE0EEENS1_30default_config_static_selectorELNS0_4arch9wavefront6targetE0EEEvSS_.has_recursion, 0
	.set _ZN7rocprim17ROCPRIM_400000_NS6detail17trampoline_kernelINS0_14default_configENS1_22reduce_config_selectorIiEEZNS1_11reduce_implILb1ES3_PiS7_iN6hipcub16HIPCUB_304000_NS6detail34convert_binary_result_type_wrapperINS9_3SumENS9_22TransformInputIteratorIbN2at6native12_GLOBAL__N_19NonZeroOpIN3c108BFloat16EEEPKSJ_lEEiEEEE10hipError_tPvRmT1_T2_T3_mT4_P12ihipStream_tbEUlT_E1_NS1_11comp_targetILNS1_3genE4ELNS1_11target_archE910ELNS1_3gpuE8ELNS1_3repE0EEENS1_30default_config_static_selectorELNS0_4arch9wavefront6targetE0EEEvSS_.has_indirect_call, 0
	.section	.AMDGPU.csdata,"",@progbits
; Kernel info:
; codeLenInByte = 0
; TotalNumSgprs: 0
; NumVgprs: 0
; ScratchSize: 0
; MemoryBound: 0
; FloatMode: 240
; IeeeMode: 1
; LDSByteSize: 0 bytes/workgroup (compile time only)
; SGPRBlocks: 0
; VGPRBlocks: 0
; NumSGPRsForWavesPerEU: 1
; NumVGPRsForWavesPerEU: 1
; Occupancy: 16
; WaveLimiterHint : 0
; COMPUTE_PGM_RSRC2:SCRATCH_EN: 0
; COMPUTE_PGM_RSRC2:USER_SGPR: 2
; COMPUTE_PGM_RSRC2:TRAP_HANDLER: 0
; COMPUTE_PGM_RSRC2:TGID_X_EN: 1
; COMPUTE_PGM_RSRC2:TGID_Y_EN: 0
; COMPUTE_PGM_RSRC2:TGID_Z_EN: 0
; COMPUTE_PGM_RSRC2:TIDIG_COMP_CNT: 0
	.section	.text._ZN7rocprim17ROCPRIM_400000_NS6detail17trampoline_kernelINS0_14default_configENS1_22reduce_config_selectorIiEEZNS1_11reduce_implILb1ES3_PiS7_iN6hipcub16HIPCUB_304000_NS6detail34convert_binary_result_type_wrapperINS9_3SumENS9_22TransformInputIteratorIbN2at6native12_GLOBAL__N_19NonZeroOpIN3c108BFloat16EEEPKSJ_lEEiEEEE10hipError_tPvRmT1_T2_T3_mT4_P12ihipStream_tbEUlT_E1_NS1_11comp_targetILNS1_3genE3ELNS1_11target_archE908ELNS1_3gpuE7ELNS1_3repE0EEENS1_30default_config_static_selectorELNS0_4arch9wavefront6targetE0EEEvSS_,"axG",@progbits,_ZN7rocprim17ROCPRIM_400000_NS6detail17trampoline_kernelINS0_14default_configENS1_22reduce_config_selectorIiEEZNS1_11reduce_implILb1ES3_PiS7_iN6hipcub16HIPCUB_304000_NS6detail34convert_binary_result_type_wrapperINS9_3SumENS9_22TransformInputIteratorIbN2at6native12_GLOBAL__N_19NonZeroOpIN3c108BFloat16EEEPKSJ_lEEiEEEE10hipError_tPvRmT1_T2_T3_mT4_P12ihipStream_tbEUlT_E1_NS1_11comp_targetILNS1_3genE3ELNS1_11target_archE908ELNS1_3gpuE7ELNS1_3repE0EEENS1_30default_config_static_selectorELNS0_4arch9wavefront6targetE0EEEvSS_,comdat
	.globl	_ZN7rocprim17ROCPRIM_400000_NS6detail17trampoline_kernelINS0_14default_configENS1_22reduce_config_selectorIiEEZNS1_11reduce_implILb1ES3_PiS7_iN6hipcub16HIPCUB_304000_NS6detail34convert_binary_result_type_wrapperINS9_3SumENS9_22TransformInputIteratorIbN2at6native12_GLOBAL__N_19NonZeroOpIN3c108BFloat16EEEPKSJ_lEEiEEEE10hipError_tPvRmT1_T2_T3_mT4_P12ihipStream_tbEUlT_E1_NS1_11comp_targetILNS1_3genE3ELNS1_11target_archE908ELNS1_3gpuE7ELNS1_3repE0EEENS1_30default_config_static_selectorELNS0_4arch9wavefront6targetE0EEEvSS_ ; -- Begin function _ZN7rocprim17ROCPRIM_400000_NS6detail17trampoline_kernelINS0_14default_configENS1_22reduce_config_selectorIiEEZNS1_11reduce_implILb1ES3_PiS7_iN6hipcub16HIPCUB_304000_NS6detail34convert_binary_result_type_wrapperINS9_3SumENS9_22TransformInputIteratorIbN2at6native12_GLOBAL__N_19NonZeroOpIN3c108BFloat16EEEPKSJ_lEEiEEEE10hipError_tPvRmT1_T2_T3_mT4_P12ihipStream_tbEUlT_E1_NS1_11comp_targetILNS1_3genE3ELNS1_11target_archE908ELNS1_3gpuE7ELNS1_3repE0EEENS1_30default_config_static_selectorELNS0_4arch9wavefront6targetE0EEEvSS_
	.p2align	8
	.type	_ZN7rocprim17ROCPRIM_400000_NS6detail17trampoline_kernelINS0_14default_configENS1_22reduce_config_selectorIiEEZNS1_11reduce_implILb1ES3_PiS7_iN6hipcub16HIPCUB_304000_NS6detail34convert_binary_result_type_wrapperINS9_3SumENS9_22TransformInputIteratorIbN2at6native12_GLOBAL__N_19NonZeroOpIN3c108BFloat16EEEPKSJ_lEEiEEEE10hipError_tPvRmT1_T2_T3_mT4_P12ihipStream_tbEUlT_E1_NS1_11comp_targetILNS1_3genE3ELNS1_11target_archE908ELNS1_3gpuE7ELNS1_3repE0EEENS1_30default_config_static_selectorELNS0_4arch9wavefront6targetE0EEEvSS_,@function
_ZN7rocprim17ROCPRIM_400000_NS6detail17trampoline_kernelINS0_14default_configENS1_22reduce_config_selectorIiEEZNS1_11reduce_implILb1ES3_PiS7_iN6hipcub16HIPCUB_304000_NS6detail34convert_binary_result_type_wrapperINS9_3SumENS9_22TransformInputIteratorIbN2at6native12_GLOBAL__N_19NonZeroOpIN3c108BFloat16EEEPKSJ_lEEiEEEE10hipError_tPvRmT1_T2_T3_mT4_P12ihipStream_tbEUlT_E1_NS1_11comp_targetILNS1_3genE3ELNS1_11target_archE908ELNS1_3gpuE7ELNS1_3repE0EEENS1_30default_config_static_selectorELNS0_4arch9wavefront6targetE0EEEvSS_: ; @_ZN7rocprim17ROCPRIM_400000_NS6detail17trampoline_kernelINS0_14default_configENS1_22reduce_config_selectorIiEEZNS1_11reduce_implILb1ES3_PiS7_iN6hipcub16HIPCUB_304000_NS6detail34convert_binary_result_type_wrapperINS9_3SumENS9_22TransformInputIteratorIbN2at6native12_GLOBAL__N_19NonZeroOpIN3c108BFloat16EEEPKSJ_lEEiEEEE10hipError_tPvRmT1_T2_T3_mT4_P12ihipStream_tbEUlT_E1_NS1_11comp_targetILNS1_3genE3ELNS1_11target_archE908ELNS1_3gpuE7ELNS1_3repE0EEENS1_30default_config_static_selectorELNS0_4arch9wavefront6targetE0EEEvSS_
; %bb.0:
	.section	.rodata,"a",@progbits
	.p2align	6, 0x0
	.amdhsa_kernel _ZN7rocprim17ROCPRIM_400000_NS6detail17trampoline_kernelINS0_14default_configENS1_22reduce_config_selectorIiEEZNS1_11reduce_implILb1ES3_PiS7_iN6hipcub16HIPCUB_304000_NS6detail34convert_binary_result_type_wrapperINS9_3SumENS9_22TransformInputIteratorIbN2at6native12_GLOBAL__N_19NonZeroOpIN3c108BFloat16EEEPKSJ_lEEiEEEE10hipError_tPvRmT1_T2_T3_mT4_P12ihipStream_tbEUlT_E1_NS1_11comp_targetILNS1_3genE3ELNS1_11target_archE908ELNS1_3gpuE7ELNS1_3repE0EEENS1_30default_config_static_selectorELNS0_4arch9wavefront6targetE0EEEvSS_
		.amdhsa_group_segment_fixed_size 0
		.amdhsa_private_segment_fixed_size 0
		.amdhsa_kernarg_size 40
		.amdhsa_user_sgpr_count 2
		.amdhsa_user_sgpr_dispatch_ptr 0
		.amdhsa_user_sgpr_queue_ptr 0
		.amdhsa_user_sgpr_kernarg_segment_ptr 1
		.amdhsa_user_sgpr_dispatch_id 0
		.amdhsa_user_sgpr_private_segment_size 0
		.amdhsa_wavefront_size32 1
		.amdhsa_uses_dynamic_stack 0
		.amdhsa_enable_private_segment 0
		.amdhsa_system_sgpr_workgroup_id_x 1
		.amdhsa_system_sgpr_workgroup_id_y 0
		.amdhsa_system_sgpr_workgroup_id_z 0
		.amdhsa_system_sgpr_workgroup_info 0
		.amdhsa_system_vgpr_workitem_id 0
		.amdhsa_next_free_vgpr 1
		.amdhsa_next_free_sgpr 1
		.amdhsa_reserve_vcc 0
		.amdhsa_float_round_mode_32 0
		.amdhsa_float_round_mode_16_64 0
		.amdhsa_float_denorm_mode_32 3
		.amdhsa_float_denorm_mode_16_64 3
		.amdhsa_fp16_overflow 0
		.amdhsa_workgroup_processor_mode 1
		.amdhsa_memory_ordered 1
		.amdhsa_forward_progress 1
		.amdhsa_inst_pref_size 0
		.amdhsa_round_robin_scheduling 0
		.amdhsa_exception_fp_ieee_invalid_op 0
		.amdhsa_exception_fp_denorm_src 0
		.amdhsa_exception_fp_ieee_div_zero 0
		.amdhsa_exception_fp_ieee_overflow 0
		.amdhsa_exception_fp_ieee_underflow 0
		.amdhsa_exception_fp_ieee_inexact 0
		.amdhsa_exception_int_div_zero 0
	.end_amdhsa_kernel
	.section	.text._ZN7rocprim17ROCPRIM_400000_NS6detail17trampoline_kernelINS0_14default_configENS1_22reduce_config_selectorIiEEZNS1_11reduce_implILb1ES3_PiS7_iN6hipcub16HIPCUB_304000_NS6detail34convert_binary_result_type_wrapperINS9_3SumENS9_22TransformInputIteratorIbN2at6native12_GLOBAL__N_19NonZeroOpIN3c108BFloat16EEEPKSJ_lEEiEEEE10hipError_tPvRmT1_T2_T3_mT4_P12ihipStream_tbEUlT_E1_NS1_11comp_targetILNS1_3genE3ELNS1_11target_archE908ELNS1_3gpuE7ELNS1_3repE0EEENS1_30default_config_static_selectorELNS0_4arch9wavefront6targetE0EEEvSS_,"axG",@progbits,_ZN7rocprim17ROCPRIM_400000_NS6detail17trampoline_kernelINS0_14default_configENS1_22reduce_config_selectorIiEEZNS1_11reduce_implILb1ES3_PiS7_iN6hipcub16HIPCUB_304000_NS6detail34convert_binary_result_type_wrapperINS9_3SumENS9_22TransformInputIteratorIbN2at6native12_GLOBAL__N_19NonZeroOpIN3c108BFloat16EEEPKSJ_lEEiEEEE10hipError_tPvRmT1_T2_T3_mT4_P12ihipStream_tbEUlT_E1_NS1_11comp_targetILNS1_3genE3ELNS1_11target_archE908ELNS1_3gpuE7ELNS1_3repE0EEENS1_30default_config_static_selectorELNS0_4arch9wavefront6targetE0EEEvSS_,comdat
.Lfunc_end774:
	.size	_ZN7rocprim17ROCPRIM_400000_NS6detail17trampoline_kernelINS0_14default_configENS1_22reduce_config_selectorIiEEZNS1_11reduce_implILb1ES3_PiS7_iN6hipcub16HIPCUB_304000_NS6detail34convert_binary_result_type_wrapperINS9_3SumENS9_22TransformInputIteratorIbN2at6native12_GLOBAL__N_19NonZeroOpIN3c108BFloat16EEEPKSJ_lEEiEEEE10hipError_tPvRmT1_T2_T3_mT4_P12ihipStream_tbEUlT_E1_NS1_11comp_targetILNS1_3genE3ELNS1_11target_archE908ELNS1_3gpuE7ELNS1_3repE0EEENS1_30default_config_static_selectorELNS0_4arch9wavefront6targetE0EEEvSS_, .Lfunc_end774-_ZN7rocprim17ROCPRIM_400000_NS6detail17trampoline_kernelINS0_14default_configENS1_22reduce_config_selectorIiEEZNS1_11reduce_implILb1ES3_PiS7_iN6hipcub16HIPCUB_304000_NS6detail34convert_binary_result_type_wrapperINS9_3SumENS9_22TransformInputIteratorIbN2at6native12_GLOBAL__N_19NonZeroOpIN3c108BFloat16EEEPKSJ_lEEiEEEE10hipError_tPvRmT1_T2_T3_mT4_P12ihipStream_tbEUlT_E1_NS1_11comp_targetILNS1_3genE3ELNS1_11target_archE908ELNS1_3gpuE7ELNS1_3repE0EEENS1_30default_config_static_selectorELNS0_4arch9wavefront6targetE0EEEvSS_
                                        ; -- End function
	.set _ZN7rocprim17ROCPRIM_400000_NS6detail17trampoline_kernelINS0_14default_configENS1_22reduce_config_selectorIiEEZNS1_11reduce_implILb1ES3_PiS7_iN6hipcub16HIPCUB_304000_NS6detail34convert_binary_result_type_wrapperINS9_3SumENS9_22TransformInputIteratorIbN2at6native12_GLOBAL__N_19NonZeroOpIN3c108BFloat16EEEPKSJ_lEEiEEEE10hipError_tPvRmT1_T2_T3_mT4_P12ihipStream_tbEUlT_E1_NS1_11comp_targetILNS1_3genE3ELNS1_11target_archE908ELNS1_3gpuE7ELNS1_3repE0EEENS1_30default_config_static_selectorELNS0_4arch9wavefront6targetE0EEEvSS_.num_vgpr, 0
	.set _ZN7rocprim17ROCPRIM_400000_NS6detail17trampoline_kernelINS0_14default_configENS1_22reduce_config_selectorIiEEZNS1_11reduce_implILb1ES3_PiS7_iN6hipcub16HIPCUB_304000_NS6detail34convert_binary_result_type_wrapperINS9_3SumENS9_22TransformInputIteratorIbN2at6native12_GLOBAL__N_19NonZeroOpIN3c108BFloat16EEEPKSJ_lEEiEEEE10hipError_tPvRmT1_T2_T3_mT4_P12ihipStream_tbEUlT_E1_NS1_11comp_targetILNS1_3genE3ELNS1_11target_archE908ELNS1_3gpuE7ELNS1_3repE0EEENS1_30default_config_static_selectorELNS0_4arch9wavefront6targetE0EEEvSS_.num_agpr, 0
	.set _ZN7rocprim17ROCPRIM_400000_NS6detail17trampoline_kernelINS0_14default_configENS1_22reduce_config_selectorIiEEZNS1_11reduce_implILb1ES3_PiS7_iN6hipcub16HIPCUB_304000_NS6detail34convert_binary_result_type_wrapperINS9_3SumENS9_22TransformInputIteratorIbN2at6native12_GLOBAL__N_19NonZeroOpIN3c108BFloat16EEEPKSJ_lEEiEEEE10hipError_tPvRmT1_T2_T3_mT4_P12ihipStream_tbEUlT_E1_NS1_11comp_targetILNS1_3genE3ELNS1_11target_archE908ELNS1_3gpuE7ELNS1_3repE0EEENS1_30default_config_static_selectorELNS0_4arch9wavefront6targetE0EEEvSS_.numbered_sgpr, 0
	.set _ZN7rocprim17ROCPRIM_400000_NS6detail17trampoline_kernelINS0_14default_configENS1_22reduce_config_selectorIiEEZNS1_11reduce_implILb1ES3_PiS7_iN6hipcub16HIPCUB_304000_NS6detail34convert_binary_result_type_wrapperINS9_3SumENS9_22TransformInputIteratorIbN2at6native12_GLOBAL__N_19NonZeroOpIN3c108BFloat16EEEPKSJ_lEEiEEEE10hipError_tPvRmT1_T2_T3_mT4_P12ihipStream_tbEUlT_E1_NS1_11comp_targetILNS1_3genE3ELNS1_11target_archE908ELNS1_3gpuE7ELNS1_3repE0EEENS1_30default_config_static_selectorELNS0_4arch9wavefront6targetE0EEEvSS_.num_named_barrier, 0
	.set _ZN7rocprim17ROCPRIM_400000_NS6detail17trampoline_kernelINS0_14default_configENS1_22reduce_config_selectorIiEEZNS1_11reduce_implILb1ES3_PiS7_iN6hipcub16HIPCUB_304000_NS6detail34convert_binary_result_type_wrapperINS9_3SumENS9_22TransformInputIteratorIbN2at6native12_GLOBAL__N_19NonZeroOpIN3c108BFloat16EEEPKSJ_lEEiEEEE10hipError_tPvRmT1_T2_T3_mT4_P12ihipStream_tbEUlT_E1_NS1_11comp_targetILNS1_3genE3ELNS1_11target_archE908ELNS1_3gpuE7ELNS1_3repE0EEENS1_30default_config_static_selectorELNS0_4arch9wavefront6targetE0EEEvSS_.private_seg_size, 0
	.set _ZN7rocprim17ROCPRIM_400000_NS6detail17trampoline_kernelINS0_14default_configENS1_22reduce_config_selectorIiEEZNS1_11reduce_implILb1ES3_PiS7_iN6hipcub16HIPCUB_304000_NS6detail34convert_binary_result_type_wrapperINS9_3SumENS9_22TransformInputIteratorIbN2at6native12_GLOBAL__N_19NonZeroOpIN3c108BFloat16EEEPKSJ_lEEiEEEE10hipError_tPvRmT1_T2_T3_mT4_P12ihipStream_tbEUlT_E1_NS1_11comp_targetILNS1_3genE3ELNS1_11target_archE908ELNS1_3gpuE7ELNS1_3repE0EEENS1_30default_config_static_selectorELNS0_4arch9wavefront6targetE0EEEvSS_.uses_vcc, 0
	.set _ZN7rocprim17ROCPRIM_400000_NS6detail17trampoline_kernelINS0_14default_configENS1_22reduce_config_selectorIiEEZNS1_11reduce_implILb1ES3_PiS7_iN6hipcub16HIPCUB_304000_NS6detail34convert_binary_result_type_wrapperINS9_3SumENS9_22TransformInputIteratorIbN2at6native12_GLOBAL__N_19NonZeroOpIN3c108BFloat16EEEPKSJ_lEEiEEEE10hipError_tPvRmT1_T2_T3_mT4_P12ihipStream_tbEUlT_E1_NS1_11comp_targetILNS1_3genE3ELNS1_11target_archE908ELNS1_3gpuE7ELNS1_3repE0EEENS1_30default_config_static_selectorELNS0_4arch9wavefront6targetE0EEEvSS_.uses_flat_scratch, 0
	.set _ZN7rocprim17ROCPRIM_400000_NS6detail17trampoline_kernelINS0_14default_configENS1_22reduce_config_selectorIiEEZNS1_11reduce_implILb1ES3_PiS7_iN6hipcub16HIPCUB_304000_NS6detail34convert_binary_result_type_wrapperINS9_3SumENS9_22TransformInputIteratorIbN2at6native12_GLOBAL__N_19NonZeroOpIN3c108BFloat16EEEPKSJ_lEEiEEEE10hipError_tPvRmT1_T2_T3_mT4_P12ihipStream_tbEUlT_E1_NS1_11comp_targetILNS1_3genE3ELNS1_11target_archE908ELNS1_3gpuE7ELNS1_3repE0EEENS1_30default_config_static_selectorELNS0_4arch9wavefront6targetE0EEEvSS_.has_dyn_sized_stack, 0
	.set _ZN7rocprim17ROCPRIM_400000_NS6detail17trampoline_kernelINS0_14default_configENS1_22reduce_config_selectorIiEEZNS1_11reduce_implILb1ES3_PiS7_iN6hipcub16HIPCUB_304000_NS6detail34convert_binary_result_type_wrapperINS9_3SumENS9_22TransformInputIteratorIbN2at6native12_GLOBAL__N_19NonZeroOpIN3c108BFloat16EEEPKSJ_lEEiEEEE10hipError_tPvRmT1_T2_T3_mT4_P12ihipStream_tbEUlT_E1_NS1_11comp_targetILNS1_3genE3ELNS1_11target_archE908ELNS1_3gpuE7ELNS1_3repE0EEENS1_30default_config_static_selectorELNS0_4arch9wavefront6targetE0EEEvSS_.has_recursion, 0
	.set _ZN7rocprim17ROCPRIM_400000_NS6detail17trampoline_kernelINS0_14default_configENS1_22reduce_config_selectorIiEEZNS1_11reduce_implILb1ES3_PiS7_iN6hipcub16HIPCUB_304000_NS6detail34convert_binary_result_type_wrapperINS9_3SumENS9_22TransformInputIteratorIbN2at6native12_GLOBAL__N_19NonZeroOpIN3c108BFloat16EEEPKSJ_lEEiEEEE10hipError_tPvRmT1_T2_T3_mT4_P12ihipStream_tbEUlT_E1_NS1_11comp_targetILNS1_3genE3ELNS1_11target_archE908ELNS1_3gpuE7ELNS1_3repE0EEENS1_30default_config_static_selectorELNS0_4arch9wavefront6targetE0EEEvSS_.has_indirect_call, 0
	.section	.AMDGPU.csdata,"",@progbits
; Kernel info:
; codeLenInByte = 0
; TotalNumSgprs: 0
; NumVgprs: 0
; ScratchSize: 0
; MemoryBound: 0
; FloatMode: 240
; IeeeMode: 1
; LDSByteSize: 0 bytes/workgroup (compile time only)
; SGPRBlocks: 0
; VGPRBlocks: 0
; NumSGPRsForWavesPerEU: 1
; NumVGPRsForWavesPerEU: 1
; Occupancy: 16
; WaveLimiterHint : 0
; COMPUTE_PGM_RSRC2:SCRATCH_EN: 0
; COMPUTE_PGM_RSRC2:USER_SGPR: 2
; COMPUTE_PGM_RSRC2:TRAP_HANDLER: 0
; COMPUTE_PGM_RSRC2:TGID_X_EN: 1
; COMPUTE_PGM_RSRC2:TGID_Y_EN: 0
; COMPUTE_PGM_RSRC2:TGID_Z_EN: 0
; COMPUTE_PGM_RSRC2:TIDIG_COMP_CNT: 0
	.section	.text._ZN7rocprim17ROCPRIM_400000_NS6detail17trampoline_kernelINS0_14default_configENS1_22reduce_config_selectorIiEEZNS1_11reduce_implILb1ES3_PiS7_iN6hipcub16HIPCUB_304000_NS6detail34convert_binary_result_type_wrapperINS9_3SumENS9_22TransformInputIteratorIbN2at6native12_GLOBAL__N_19NonZeroOpIN3c108BFloat16EEEPKSJ_lEEiEEEE10hipError_tPvRmT1_T2_T3_mT4_P12ihipStream_tbEUlT_E1_NS1_11comp_targetILNS1_3genE2ELNS1_11target_archE906ELNS1_3gpuE6ELNS1_3repE0EEENS1_30default_config_static_selectorELNS0_4arch9wavefront6targetE0EEEvSS_,"axG",@progbits,_ZN7rocprim17ROCPRIM_400000_NS6detail17trampoline_kernelINS0_14default_configENS1_22reduce_config_selectorIiEEZNS1_11reduce_implILb1ES3_PiS7_iN6hipcub16HIPCUB_304000_NS6detail34convert_binary_result_type_wrapperINS9_3SumENS9_22TransformInputIteratorIbN2at6native12_GLOBAL__N_19NonZeroOpIN3c108BFloat16EEEPKSJ_lEEiEEEE10hipError_tPvRmT1_T2_T3_mT4_P12ihipStream_tbEUlT_E1_NS1_11comp_targetILNS1_3genE2ELNS1_11target_archE906ELNS1_3gpuE6ELNS1_3repE0EEENS1_30default_config_static_selectorELNS0_4arch9wavefront6targetE0EEEvSS_,comdat
	.globl	_ZN7rocprim17ROCPRIM_400000_NS6detail17trampoline_kernelINS0_14default_configENS1_22reduce_config_selectorIiEEZNS1_11reduce_implILb1ES3_PiS7_iN6hipcub16HIPCUB_304000_NS6detail34convert_binary_result_type_wrapperINS9_3SumENS9_22TransformInputIteratorIbN2at6native12_GLOBAL__N_19NonZeroOpIN3c108BFloat16EEEPKSJ_lEEiEEEE10hipError_tPvRmT1_T2_T3_mT4_P12ihipStream_tbEUlT_E1_NS1_11comp_targetILNS1_3genE2ELNS1_11target_archE906ELNS1_3gpuE6ELNS1_3repE0EEENS1_30default_config_static_selectorELNS0_4arch9wavefront6targetE0EEEvSS_ ; -- Begin function _ZN7rocprim17ROCPRIM_400000_NS6detail17trampoline_kernelINS0_14default_configENS1_22reduce_config_selectorIiEEZNS1_11reduce_implILb1ES3_PiS7_iN6hipcub16HIPCUB_304000_NS6detail34convert_binary_result_type_wrapperINS9_3SumENS9_22TransformInputIteratorIbN2at6native12_GLOBAL__N_19NonZeroOpIN3c108BFloat16EEEPKSJ_lEEiEEEE10hipError_tPvRmT1_T2_T3_mT4_P12ihipStream_tbEUlT_E1_NS1_11comp_targetILNS1_3genE2ELNS1_11target_archE906ELNS1_3gpuE6ELNS1_3repE0EEENS1_30default_config_static_selectorELNS0_4arch9wavefront6targetE0EEEvSS_
	.p2align	8
	.type	_ZN7rocprim17ROCPRIM_400000_NS6detail17trampoline_kernelINS0_14default_configENS1_22reduce_config_selectorIiEEZNS1_11reduce_implILb1ES3_PiS7_iN6hipcub16HIPCUB_304000_NS6detail34convert_binary_result_type_wrapperINS9_3SumENS9_22TransformInputIteratorIbN2at6native12_GLOBAL__N_19NonZeroOpIN3c108BFloat16EEEPKSJ_lEEiEEEE10hipError_tPvRmT1_T2_T3_mT4_P12ihipStream_tbEUlT_E1_NS1_11comp_targetILNS1_3genE2ELNS1_11target_archE906ELNS1_3gpuE6ELNS1_3repE0EEENS1_30default_config_static_selectorELNS0_4arch9wavefront6targetE0EEEvSS_,@function
_ZN7rocprim17ROCPRIM_400000_NS6detail17trampoline_kernelINS0_14default_configENS1_22reduce_config_selectorIiEEZNS1_11reduce_implILb1ES3_PiS7_iN6hipcub16HIPCUB_304000_NS6detail34convert_binary_result_type_wrapperINS9_3SumENS9_22TransformInputIteratorIbN2at6native12_GLOBAL__N_19NonZeroOpIN3c108BFloat16EEEPKSJ_lEEiEEEE10hipError_tPvRmT1_T2_T3_mT4_P12ihipStream_tbEUlT_E1_NS1_11comp_targetILNS1_3genE2ELNS1_11target_archE906ELNS1_3gpuE6ELNS1_3repE0EEENS1_30default_config_static_selectorELNS0_4arch9wavefront6targetE0EEEvSS_: ; @_ZN7rocprim17ROCPRIM_400000_NS6detail17trampoline_kernelINS0_14default_configENS1_22reduce_config_selectorIiEEZNS1_11reduce_implILb1ES3_PiS7_iN6hipcub16HIPCUB_304000_NS6detail34convert_binary_result_type_wrapperINS9_3SumENS9_22TransformInputIteratorIbN2at6native12_GLOBAL__N_19NonZeroOpIN3c108BFloat16EEEPKSJ_lEEiEEEE10hipError_tPvRmT1_T2_T3_mT4_P12ihipStream_tbEUlT_E1_NS1_11comp_targetILNS1_3genE2ELNS1_11target_archE906ELNS1_3gpuE6ELNS1_3repE0EEENS1_30default_config_static_selectorELNS0_4arch9wavefront6targetE0EEEvSS_
; %bb.0:
	.section	.rodata,"a",@progbits
	.p2align	6, 0x0
	.amdhsa_kernel _ZN7rocprim17ROCPRIM_400000_NS6detail17trampoline_kernelINS0_14default_configENS1_22reduce_config_selectorIiEEZNS1_11reduce_implILb1ES3_PiS7_iN6hipcub16HIPCUB_304000_NS6detail34convert_binary_result_type_wrapperINS9_3SumENS9_22TransformInputIteratorIbN2at6native12_GLOBAL__N_19NonZeroOpIN3c108BFloat16EEEPKSJ_lEEiEEEE10hipError_tPvRmT1_T2_T3_mT4_P12ihipStream_tbEUlT_E1_NS1_11comp_targetILNS1_3genE2ELNS1_11target_archE906ELNS1_3gpuE6ELNS1_3repE0EEENS1_30default_config_static_selectorELNS0_4arch9wavefront6targetE0EEEvSS_
		.amdhsa_group_segment_fixed_size 0
		.amdhsa_private_segment_fixed_size 0
		.amdhsa_kernarg_size 40
		.amdhsa_user_sgpr_count 2
		.amdhsa_user_sgpr_dispatch_ptr 0
		.amdhsa_user_sgpr_queue_ptr 0
		.amdhsa_user_sgpr_kernarg_segment_ptr 1
		.amdhsa_user_sgpr_dispatch_id 0
		.amdhsa_user_sgpr_private_segment_size 0
		.amdhsa_wavefront_size32 1
		.amdhsa_uses_dynamic_stack 0
		.amdhsa_enable_private_segment 0
		.amdhsa_system_sgpr_workgroup_id_x 1
		.amdhsa_system_sgpr_workgroup_id_y 0
		.amdhsa_system_sgpr_workgroup_id_z 0
		.amdhsa_system_sgpr_workgroup_info 0
		.amdhsa_system_vgpr_workitem_id 0
		.amdhsa_next_free_vgpr 1
		.amdhsa_next_free_sgpr 1
		.amdhsa_reserve_vcc 0
		.amdhsa_float_round_mode_32 0
		.amdhsa_float_round_mode_16_64 0
		.amdhsa_float_denorm_mode_32 3
		.amdhsa_float_denorm_mode_16_64 3
		.amdhsa_fp16_overflow 0
		.amdhsa_workgroup_processor_mode 1
		.amdhsa_memory_ordered 1
		.amdhsa_forward_progress 1
		.amdhsa_inst_pref_size 0
		.amdhsa_round_robin_scheduling 0
		.amdhsa_exception_fp_ieee_invalid_op 0
		.amdhsa_exception_fp_denorm_src 0
		.amdhsa_exception_fp_ieee_div_zero 0
		.amdhsa_exception_fp_ieee_overflow 0
		.amdhsa_exception_fp_ieee_underflow 0
		.amdhsa_exception_fp_ieee_inexact 0
		.amdhsa_exception_int_div_zero 0
	.end_amdhsa_kernel
	.section	.text._ZN7rocprim17ROCPRIM_400000_NS6detail17trampoline_kernelINS0_14default_configENS1_22reduce_config_selectorIiEEZNS1_11reduce_implILb1ES3_PiS7_iN6hipcub16HIPCUB_304000_NS6detail34convert_binary_result_type_wrapperINS9_3SumENS9_22TransformInputIteratorIbN2at6native12_GLOBAL__N_19NonZeroOpIN3c108BFloat16EEEPKSJ_lEEiEEEE10hipError_tPvRmT1_T2_T3_mT4_P12ihipStream_tbEUlT_E1_NS1_11comp_targetILNS1_3genE2ELNS1_11target_archE906ELNS1_3gpuE6ELNS1_3repE0EEENS1_30default_config_static_selectorELNS0_4arch9wavefront6targetE0EEEvSS_,"axG",@progbits,_ZN7rocprim17ROCPRIM_400000_NS6detail17trampoline_kernelINS0_14default_configENS1_22reduce_config_selectorIiEEZNS1_11reduce_implILb1ES3_PiS7_iN6hipcub16HIPCUB_304000_NS6detail34convert_binary_result_type_wrapperINS9_3SumENS9_22TransformInputIteratorIbN2at6native12_GLOBAL__N_19NonZeroOpIN3c108BFloat16EEEPKSJ_lEEiEEEE10hipError_tPvRmT1_T2_T3_mT4_P12ihipStream_tbEUlT_E1_NS1_11comp_targetILNS1_3genE2ELNS1_11target_archE906ELNS1_3gpuE6ELNS1_3repE0EEENS1_30default_config_static_selectorELNS0_4arch9wavefront6targetE0EEEvSS_,comdat
.Lfunc_end775:
	.size	_ZN7rocprim17ROCPRIM_400000_NS6detail17trampoline_kernelINS0_14default_configENS1_22reduce_config_selectorIiEEZNS1_11reduce_implILb1ES3_PiS7_iN6hipcub16HIPCUB_304000_NS6detail34convert_binary_result_type_wrapperINS9_3SumENS9_22TransformInputIteratorIbN2at6native12_GLOBAL__N_19NonZeroOpIN3c108BFloat16EEEPKSJ_lEEiEEEE10hipError_tPvRmT1_T2_T3_mT4_P12ihipStream_tbEUlT_E1_NS1_11comp_targetILNS1_3genE2ELNS1_11target_archE906ELNS1_3gpuE6ELNS1_3repE0EEENS1_30default_config_static_selectorELNS0_4arch9wavefront6targetE0EEEvSS_, .Lfunc_end775-_ZN7rocprim17ROCPRIM_400000_NS6detail17trampoline_kernelINS0_14default_configENS1_22reduce_config_selectorIiEEZNS1_11reduce_implILb1ES3_PiS7_iN6hipcub16HIPCUB_304000_NS6detail34convert_binary_result_type_wrapperINS9_3SumENS9_22TransformInputIteratorIbN2at6native12_GLOBAL__N_19NonZeroOpIN3c108BFloat16EEEPKSJ_lEEiEEEE10hipError_tPvRmT1_T2_T3_mT4_P12ihipStream_tbEUlT_E1_NS1_11comp_targetILNS1_3genE2ELNS1_11target_archE906ELNS1_3gpuE6ELNS1_3repE0EEENS1_30default_config_static_selectorELNS0_4arch9wavefront6targetE0EEEvSS_
                                        ; -- End function
	.set _ZN7rocprim17ROCPRIM_400000_NS6detail17trampoline_kernelINS0_14default_configENS1_22reduce_config_selectorIiEEZNS1_11reduce_implILb1ES3_PiS7_iN6hipcub16HIPCUB_304000_NS6detail34convert_binary_result_type_wrapperINS9_3SumENS9_22TransformInputIteratorIbN2at6native12_GLOBAL__N_19NonZeroOpIN3c108BFloat16EEEPKSJ_lEEiEEEE10hipError_tPvRmT1_T2_T3_mT4_P12ihipStream_tbEUlT_E1_NS1_11comp_targetILNS1_3genE2ELNS1_11target_archE906ELNS1_3gpuE6ELNS1_3repE0EEENS1_30default_config_static_selectorELNS0_4arch9wavefront6targetE0EEEvSS_.num_vgpr, 0
	.set _ZN7rocprim17ROCPRIM_400000_NS6detail17trampoline_kernelINS0_14default_configENS1_22reduce_config_selectorIiEEZNS1_11reduce_implILb1ES3_PiS7_iN6hipcub16HIPCUB_304000_NS6detail34convert_binary_result_type_wrapperINS9_3SumENS9_22TransformInputIteratorIbN2at6native12_GLOBAL__N_19NonZeroOpIN3c108BFloat16EEEPKSJ_lEEiEEEE10hipError_tPvRmT1_T2_T3_mT4_P12ihipStream_tbEUlT_E1_NS1_11comp_targetILNS1_3genE2ELNS1_11target_archE906ELNS1_3gpuE6ELNS1_3repE0EEENS1_30default_config_static_selectorELNS0_4arch9wavefront6targetE0EEEvSS_.num_agpr, 0
	.set _ZN7rocprim17ROCPRIM_400000_NS6detail17trampoline_kernelINS0_14default_configENS1_22reduce_config_selectorIiEEZNS1_11reduce_implILb1ES3_PiS7_iN6hipcub16HIPCUB_304000_NS6detail34convert_binary_result_type_wrapperINS9_3SumENS9_22TransformInputIteratorIbN2at6native12_GLOBAL__N_19NonZeroOpIN3c108BFloat16EEEPKSJ_lEEiEEEE10hipError_tPvRmT1_T2_T3_mT4_P12ihipStream_tbEUlT_E1_NS1_11comp_targetILNS1_3genE2ELNS1_11target_archE906ELNS1_3gpuE6ELNS1_3repE0EEENS1_30default_config_static_selectorELNS0_4arch9wavefront6targetE0EEEvSS_.numbered_sgpr, 0
	.set _ZN7rocprim17ROCPRIM_400000_NS6detail17trampoline_kernelINS0_14default_configENS1_22reduce_config_selectorIiEEZNS1_11reduce_implILb1ES3_PiS7_iN6hipcub16HIPCUB_304000_NS6detail34convert_binary_result_type_wrapperINS9_3SumENS9_22TransformInputIteratorIbN2at6native12_GLOBAL__N_19NonZeroOpIN3c108BFloat16EEEPKSJ_lEEiEEEE10hipError_tPvRmT1_T2_T3_mT4_P12ihipStream_tbEUlT_E1_NS1_11comp_targetILNS1_3genE2ELNS1_11target_archE906ELNS1_3gpuE6ELNS1_3repE0EEENS1_30default_config_static_selectorELNS0_4arch9wavefront6targetE0EEEvSS_.num_named_barrier, 0
	.set _ZN7rocprim17ROCPRIM_400000_NS6detail17trampoline_kernelINS0_14default_configENS1_22reduce_config_selectorIiEEZNS1_11reduce_implILb1ES3_PiS7_iN6hipcub16HIPCUB_304000_NS6detail34convert_binary_result_type_wrapperINS9_3SumENS9_22TransformInputIteratorIbN2at6native12_GLOBAL__N_19NonZeroOpIN3c108BFloat16EEEPKSJ_lEEiEEEE10hipError_tPvRmT1_T2_T3_mT4_P12ihipStream_tbEUlT_E1_NS1_11comp_targetILNS1_3genE2ELNS1_11target_archE906ELNS1_3gpuE6ELNS1_3repE0EEENS1_30default_config_static_selectorELNS0_4arch9wavefront6targetE0EEEvSS_.private_seg_size, 0
	.set _ZN7rocprim17ROCPRIM_400000_NS6detail17trampoline_kernelINS0_14default_configENS1_22reduce_config_selectorIiEEZNS1_11reduce_implILb1ES3_PiS7_iN6hipcub16HIPCUB_304000_NS6detail34convert_binary_result_type_wrapperINS9_3SumENS9_22TransformInputIteratorIbN2at6native12_GLOBAL__N_19NonZeroOpIN3c108BFloat16EEEPKSJ_lEEiEEEE10hipError_tPvRmT1_T2_T3_mT4_P12ihipStream_tbEUlT_E1_NS1_11comp_targetILNS1_3genE2ELNS1_11target_archE906ELNS1_3gpuE6ELNS1_3repE0EEENS1_30default_config_static_selectorELNS0_4arch9wavefront6targetE0EEEvSS_.uses_vcc, 0
	.set _ZN7rocprim17ROCPRIM_400000_NS6detail17trampoline_kernelINS0_14default_configENS1_22reduce_config_selectorIiEEZNS1_11reduce_implILb1ES3_PiS7_iN6hipcub16HIPCUB_304000_NS6detail34convert_binary_result_type_wrapperINS9_3SumENS9_22TransformInputIteratorIbN2at6native12_GLOBAL__N_19NonZeroOpIN3c108BFloat16EEEPKSJ_lEEiEEEE10hipError_tPvRmT1_T2_T3_mT4_P12ihipStream_tbEUlT_E1_NS1_11comp_targetILNS1_3genE2ELNS1_11target_archE906ELNS1_3gpuE6ELNS1_3repE0EEENS1_30default_config_static_selectorELNS0_4arch9wavefront6targetE0EEEvSS_.uses_flat_scratch, 0
	.set _ZN7rocprim17ROCPRIM_400000_NS6detail17trampoline_kernelINS0_14default_configENS1_22reduce_config_selectorIiEEZNS1_11reduce_implILb1ES3_PiS7_iN6hipcub16HIPCUB_304000_NS6detail34convert_binary_result_type_wrapperINS9_3SumENS9_22TransformInputIteratorIbN2at6native12_GLOBAL__N_19NonZeroOpIN3c108BFloat16EEEPKSJ_lEEiEEEE10hipError_tPvRmT1_T2_T3_mT4_P12ihipStream_tbEUlT_E1_NS1_11comp_targetILNS1_3genE2ELNS1_11target_archE906ELNS1_3gpuE6ELNS1_3repE0EEENS1_30default_config_static_selectorELNS0_4arch9wavefront6targetE0EEEvSS_.has_dyn_sized_stack, 0
	.set _ZN7rocprim17ROCPRIM_400000_NS6detail17trampoline_kernelINS0_14default_configENS1_22reduce_config_selectorIiEEZNS1_11reduce_implILb1ES3_PiS7_iN6hipcub16HIPCUB_304000_NS6detail34convert_binary_result_type_wrapperINS9_3SumENS9_22TransformInputIteratorIbN2at6native12_GLOBAL__N_19NonZeroOpIN3c108BFloat16EEEPKSJ_lEEiEEEE10hipError_tPvRmT1_T2_T3_mT4_P12ihipStream_tbEUlT_E1_NS1_11comp_targetILNS1_3genE2ELNS1_11target_archE906ELNS1_3gpuE6ELNS1_3repE0EEENS1_30default_config_static_selectorELNS0_4arch9wavefront6targetE0EEEvSS_.has_recursion, 0
	.set _ZN7rocprim17ROCPRIM_400000_NS6detail17trampoline_kernelINS0_14default_configENS1_22reduce_config_selectorIiEEZNS1_11reduce_implILb1ES3_PiS7_iN6hipcub16HIPCUB_304000_NS6detail34convert_binary_result_type_wrapperINS9_3SumENS9_22TransformInputIteratorIbN2at6native12_GLOBAL__N_19NonZeroOpIN3c108BFloat16EEEPKSJ_lEEiEEEE10hipError_tPvRmT1_T2_T3_mT4_P12ihipStream_tbEUlT_E1_NS1_11comp_targetILNS1_3genE2ELNS1_11target_archE906ELNS1_3gpuE6ELNS1_3repE0EEENS1_30default_config_static_selectorELNS0_4arch9wavefront6targetE0EEEvSS_.has_indirect_call, 0
	.section	.AMDGPU.csdata,"",@progbits
; Kernel info:
; codeLenInByte = 0
; TotalNumSgprs: 0
; NumVgprs: 0
; ScratchSize: 0
; MemoryBound: 0
; FloatMode: 240
; IeeeMode: 1
; LDSByteSize: 0 bytes/workgroup (compile time only)
; SGPRBlocks: 0
; VGPRBlocks: 0
; NumSGPRsForWavesPerEU: 1
; NumVGPRsForWavesPerEU: 1
; Occupancy: 16
; WaveLimiterHint : 0
; COMPUTE_PGM_RSRC2:SCRATCH_EN: 0
; COMPUTE_PGM_RSRC2:USER_SGPR: 2
; COMPUTE_PGM_RSRC2:TRAP_HANDLER: 0
; COMPUTE_PGM_RSRC2:TGID_X_EN: 1
; COMPUTE_PGM_RSRC2:TGID_Y_EN: 0
; COMPUTE_PGM_RSRC2:TGID_Z_EN: 0
; COMPUTE_PGM_RSRC2:TIDIG_COMP_CNT: 0
	.section	.text._ZN7rocprim17ROCPRIM_400000_NS6detail17trampoline_kernelINS0_14default_configENS1_22reduce_config_selectorIiEEZNS1_11reduce_implILb1ES3_PiS7_iN6hipcub16HIPCUB_304000_NS6detail34convert_binary_result_type_wrapperINS9_3SumENS9_22TransformInputIteratorIbN2at6native12_GLOBAL__N_19NonZeroOpIN3c108BFloat16EEEPKSJ_lEEiEEEE10hipError_tPvRmT1_T2_T3_mT4_P12ihipStream_tbEUlT_E1_NS1_11comp_targetILNS1_3genE10ELNS1_11target_archE1201ELNS1_3gpuE5ELNS1_3repE0EEENS1_30default_config_static_selectorELNS0_4arch9wavefront6targetE0EEEvSS_,"axG",@progbits,_ZN7rocprim17ROCPRIM_400000_NS6detail17trampoline_kernelINS0_14default_configENS1_22reduce_config_selectorIiEEZNS1_11reduce_implILb1ES3_PiS7_iN6hipcub16HIPCUB_304000_NS6detail34convert_binary_result_type_wrapperINS9_3SumENS9_22TransformInputIteratorIbN2at6native12_GLOBAL__N_19NonZeroOpIN3c108BFloat16EEEPKSJ_lEEiEEEE10hipError_tPvRmT1_T2_T3_mT4_P12ihipStream_tbEUlT_E1_NS1_11comp_targetILNS1_3genE10ELNS1_11target_archE1201ELNS1_3gpuE5ELNS1_3repE0EEENS1_30default_config_static_selectorELNS0_4arch9wavefront6targetE0EEEvSS_,comdat
	.globl	_ZN7rocprim17ROCPRIM_400000_NS6detail17trampoline_kernelINS0_14default_configENS1_22reduce_config_selectorIiEEZNS1_11reduce_implILb1ES3_PiS7_iN6hipcub16HIPCUB_304000_NS6detail34convert_binary_result_type_wrapperINS9_3SumENS9_22TransformInputIteratorIbN2at6native12_GLOBAL__N_19NonZeroOpIN3c108BFloat16EEEPKSJ_lEEiEEEE10hipError_tPvRmT1_T2_T3_mT4_P12ihipStream_tbEUlT_E1_NS1_11comp_targetILNS1_3genE10ELNS1_11target_archE1201ELNS1_3gpuE5ELNS1_3repE0EEENS1_30default_config_static_selectorELNS0_4arch9wavefront6targetE0EEEvSS_ ; -- Begin function _ZN7rocprim17ROCPRIM_400000_NS6detail17trampoline_kernelINS0_14default_configENS1_22reduce_config_selectorIiEEZNS1_11reduce_implILb1ES3_PiS7_iN6hipcub16HIPCUB_304000_NS6detail34convert_binary_result_type_wrapperINS9_3SumENS9_22TransformInputIteratorIbN2at6native12_GLOBAL__N_19NonZeroOpIN3c108BFloat16EEEPKSJ_lEEiEEEE10hipError_tPvRmT1_T2_T3_mT4_P12ihipStream_tbEUlT_E1_NS1_11comp_targetILNS1_3genE10ELNS1_11target_archE1201ELNS1_3gpuE5ELNS1_3repE0EEENS1_30default_config_static_selectorELNS0_4arch9wavefront6targetE0EEEvSS_
	.p2align	8
	.type	_ZN7rocprim17ROCPRIM_400000_NS6detail17trampoline_kernelINS0_14default_configENS1_22reduce_config_selectorIiEEZNS1_11reduce_implILb1ES3_PiS7_iN6hipcub16HIPCUB_304000_NS6detail34convert_binary_result_type_wrapperINS9_3SumENS9_22TransformInputIteratorIbN2at6native12_GLOBAL__N_19NonZeroOpIN3c108BFloat16EEEPKSJ_lEEiEEEE10hipError_tPvRmT1_T2_T3_mT4_P12ihipStream_tbEUlT_E1_NS1_11comp_targetILNS1_3genE10ELNS1_11target_archE1201ELNS1_3gpuE5ELNS1_3repE0EEENS1_30default_config_static_selectorELNS0_4arch9wavefront6targetE0EEEvSS_,@function
_ZN7rocprim17ROCPRIM_400000_NS6detail17trampoline_kernelINS0_14default_configENS1_22reduce_config_selectorIiEEZNS1_11reduce_implILb1ES3_PiS7_iN6hipcub16HIPCUB_304000_NS6detail34convert_binary_result_type_wrapperINS9_3SumENS9_22TransformInputIteratorIbN2at6native12_GLOBAL__N_19NonZeroOpIN3c108BFloat16EEEPKSJ_lEEiEEEE10hipError_tPvRmT1_T2_T3_mT4_P12ihipStream_tbEUlT_E1_NS1_11comp_targetILNS1_3genE10ELNS1_11target_archE1201ELNS1_3gpuE5ELNS1_3repE0EEENS1_30default_config_static_selectorELNS0_4arch9wavefront6targetE0EEEvSS_: ; @_ZN7rocprim17ROCPRIM_400000_NS6detail17trampoline_kernelINS0_14default_configENS1_22reduce_config_selectorIiEEZNS1_11reduce_implILb1ES3_PiS7_iN6hipcub16HIPCUB_304000_NS6detail34convert_binary_result_type_wrapperINS9_3SumENS9_22TransformInputIteratorIbN2at6native12_GLOBAL__N_19NonZeroOpIN3c108BFloat16EEEPKSJ_lEEiEEEE10hipError_tPvRmT1_T2_T3_mT4_P12ihipStream_tbEUlT_E1_NS1_11comp_targetILNS1_3genE10ELNS1_11target_archE1201ELNS1_3gpuE5ELNS1_3repE0EEENS1_30default_config_static_selectorELNS0_4arch9wavefront6targetE0EEEvSS_
; %bb.0:
	s_clause 0x1
	s_load_b32 s33, s[0:1], 0x4
	s_load_b128 s[36:39], s[0:1], 0x8
	s_mov_b32 s34, ttmp9
	s_wait_kmcnt 0x0
	s_cmp_lt_i32 s33, 8
	s_cbranch_scc1 .LBB776_11
; %bb.1:
	s_cmp_gt_i32 s33, 15
	s_cbranch_scc0 .LBB776_12
; %bb.2:
	s_cmp_gt_i32 s33, 31
	s_cbranch_scc0 .LBB776_13
; %bb.3:
	s_cmp_eq_u32 s33, 32
	s_mov_b32 s42, 0
	s_cbranch_scc0 .LBB776_14
; %bb.4:
	s_mov_b32 s35, 0
	s_lshl_b32 s2, s34, 13
	s_mov_b32 s3, s35
	s_lshr_b64 s[4:5], s[38:39], 13
	s_lshl_b64 s[6:7], s[2:3], 2
	s_cmp_lg_u64 s[4:5], s[34:35]
	s_add_nc_u64 s[40:41], s[36:37], s[6:7]
	s_cbranch_scc0 .LBB776_23
; %bb.5:
	v_lshlrev_b32_e32 v1, 2, v0
	s_mov_b32 s3, exec_lo
	s_clause 0x1f
	global_load_b32 v2, v1, s[40:41]
	global_load_b32 v3, v1, s[40:41] offset:1024
	global_load_b32 v4, v1, s[40:41] offset:2048
	;; [unrolled: 1-line block ×31, first 2 shown]
	s_wait_loadcnt 0x1e
	v_add_nc_u32_e32 v2, v3, v2
	s_wait_loadcnt 0x1c
	s_delay_alu instid0(VALU_DEP_1) | instskip(SKIP_1) | instid1(VALU_DEP_1)
	v_add3_u32 v2, v2, v4, v5
	s_wait_loadcnt 0x1a
	v_add3_u32 v2, v2, v6, v7
	s_wait_loadcnt 0x18
	s_delay_alu instid0(VALU_DEP_1) | instskip(SKIP_1) | instid1(VALU_DEP_1)
	v_add3_u32 v2, v2, v8, v9
	s_wait_loadcnt 0x16
	v_add3_u32 v2, v2, v10, v11
	;; [unrolled: 5-line block ×7, first 2 shown]
	s_wait_loadcnt 0x0
	s_delay_alu instid0(VALU_DEP_1) | instskip(NEXT) | instid1(VALU_DEP_1)
	v_add3_u32 v1, v2, v32, v1
	v_mov_b32_dpp v2, v1 quad_perm:[1,0,3,2] row_mask:0xf bank_mask:0xf
	s_delay_alu instid0(VALU_DEP_1) | instskip(NEXT) | instid1(VALU_DEP_1)
	v_add_nc_u32_e32 v1, v2, v1
	v_mov_b32_dpp v2, v1 quad_perm:[2,3,0,1] row_mask:0xf bank_mask:0xf
	s_delay_alu instid0(VALU_DEP_1) | instskip(NEXT) | instid1(VALU_DEP_1)
	v_add_nc_u32_e32 v1, v1, v2
	v_mov_b32_dpp v2, v1 row_ror:4 row_mask:0xf bank_mask:0xf
	s_delay_alu instid0(VALU_DEP_1) | instskip(NEXT) | instid1(VALU_DEP_1)
	v_add_nc_u32_e32 v1, v1, v2
	v_mov_b32_dpp v2, v1 row_ror:8 row_mask:0xf bank_mask:0xf
	s_delay_alu instid0(VALU_DEP_1)
	v_add_nc_u32_e32 v1, v1, v2
	ds_swizzle_b32 v2, v1 offset:swizzle(BROADCAST,32,15)
	s_wait_dscnt 0x0
	v_dual_mov_b32 v2, 0 :: v_dual_add_nc_u32 v1, v1, v2
	ds_bpermute_b32 v1, v2, v1 offset:124
	v_mbcnt_lo_u32_b32 v2, -1, 0
	s_delay_alu instid0(VALU_DEP_1)
	v_cmpx_eq_u32_e32 0, v2
	s_cbranch_execz .LBB776_7
; %bb.6:
	v_lshrrev_b32_e32 v3, 3, v0
	s_delay_alu instid0(VALU_DEP_1)
	v_and_b32_e32 v3, 28, v3
	s_wait_dscnt 0x0
	ds_store_b32 v3, v1 offset:96
.LBB776_7:
	s_or_b32 exec_lo, exec_lo, s3
	s_delay_alu instid0(SALU_CYCLE_1)
	s_mov_b32 s3, exec_lo
	s_wait_dscnt 0x0
	s_barrier_signal -1
	s_barrier_wait -1
	global_inv scope:SCOPE_SE
	v_cmpx_gt_u32_e32 32, v0
	s_cbranch_execz .LBB776_9
; %bb.8:
	v_lshl_or_b32 v1, v2, 2, 0x60
	v_and_b32_e32 v3, 7, v2
	ds_load_b32 v1, v1
	v_cmp_ne_u32_e32 vcc_lo, 7, v3
	v_add_co_ci_u32_e64 v4, null, 0, v2, vcc_lo
	v_cmp_gt_u32_e32 vcc_lo, 6, v3
	s_delay_alu instid0(VALU_DEP_2) | instskip(SKIP_2) | instid1(VALU_DEP_1)
	v_lshlrev_b32_e32 v4, 2, v4
	s_wait_alu 0xfffd
	v_cndmask_b32_e64 v3, 0, 2, vcc_lo
	v_add_lshl_u32 v3, v3, v2, 2
	v_lshlrev_b32_e32 v2, 2, v2
	s_wait_dscnt 0x0
	ds_bpermute_b32 v4, v4, v1
	v_or_b32_e32 v2, 16, v2
	s_wait_dscnt 0x0
	v_add_nc_u32_e32 v1, v4, v1
	ds_bpermute_b32 v3, v3, v1
	s_wait_dscnt 0x0
	v_add_nc_u32_e32 v1, v3, v1
	ds_bpermute_b32 v2, v2, v1
	s_wait_dscnt 0x0
	v_add_nc_u32_e32 v1, v2, v1
.LBB776_9:
	s_or_b32 exec_lo, exec_lo, s3
.LBB776_10:
	v_cmp_eq_u32_e64 s2, 0, v0
	s_and_b32 vcc_lo, exec_lo, s42
	s_wait_alu 0xfffe
	s_cbranch_vccnz .LBB776_15
	s_branch .LBB776_93
.LBB776_11:
	s_mov_b32 s2, 0
                                        ; implicit-def: $vgpr1
	s_cbranch_execnz .LBB776_166
	s_branch .LBB776_224
.LBB776_12:
	s_mov_b32 s2, 0
                                        ; implicit-def: $vgpr1
	s_cbranch_execnz .LBB776_134
	s_branch .LBB776_142
.LBB776_13:
	s_mov_b32 s42, -1
.LBB776_14:
	s_mov_b32 s2, 0
                                        ; implicit-def: $vgpr1
	s_and_b32 vcc_lo, exec_lo, s42
	s_cbranch_vccz .LBB776_93
.LBB776_15:
	s_cmp_eq_u32 s33, 16
	s_cbranch_scc0 .LBB776_22
; %bb.16:
	s_mov_b32 s35, 0
	s_lshl_b32 s2, s34, 12
	s_mov_b32 s3, s35
	s_lshr_b64 s[4:5], s[38:39], 12
	s_wait_alu 0xfffe
	s_lshl_b64 s[6:7], s[2:3], 2
	s_cmp_lg_u64 s[4:5], s[34:35]
	s_wait_alu 0xfffe
	s_add_nc_u64 s[16:17], s[36:37], s[6:7]
	s_cbranch_scc0 .LBB776_94
; %bb.17:
	v_lshlrev_b32_e32 v1, 2, v0
	s_mov_b32 s3, exec_lo
	s_clause 0xf
	global_load_b32 v2, v1, s[16:17]
	global_load_b32 v3, v1, s[16:17] offset:1024
	global_load_b32 v4, v1, s[16:17] offset:2048
	;; [unrolled: 1-line block ×15, first 2 shown]
	s_wait_loadcnt 0xe
	v_add_nc_u32_e32 v2, v3, v2
	s_wait_loadcnt 0xc
	s_delay_alu instid0(VALU_DEP_1) | instskip(SKIP_1) | instid1(VALU_DEP_1)
	v_add3_u32 v2, v2, v4, v5
	s_wait_loadcnt 0xa
	v_add3_u32 v2, v2, v6, v7
	s_wait_loadcnt 0x8
	s_delay_alu instid0(VALU_DEP_1) | instskip(SKIP_1) | instid1(VALU_DEP_1)
	v_add3_u32 v2, v2, v8, v9
	s_wait_loadcnt 0x6
	v_add3_u32 v2, v2, v10, v11
	;; [unrolled: 5-line block ×3, first 2 shown]
	s_wait_loadcnt 0x0
	s_delay_alu instid0(VALU_DEP_1) | instskip(NEXT) | instid1(VALU_DEP_1)
	v_add3_u32 v1, v2, v16, v1
	v_mov_b32_dpp v2, v1 quad_perm:[1,0,3,2] row_mask:0xf bank_mask:0xf
	s_delay_alu instid0(VALU_DEP_1) | instskip(NEXT) | instid1(VALU_DEP_1)
	v_add_nc_u32_e32 v1, v2, v1
	v_mov_b32_dpp v2, v1 quad_perm:[2,3,0,1] row_mask:0xf bank_mask:0xf
	s_delay_alu instid0(VALU_DEP_1) | instskip(NEXT) | instid1(VALU_DEP_1)
	v_add_nc_u32_e32 v1, v1, v2
	v_mov_b32_dpp v2, v1 row_ror:4 row_mask:0xf bank_mask:0xf
	s_delay_alu instid0(VALU_DEP_1) | instskip(NEXT) | instid1(VALU_DEP_1)
	v_add_nc_u32_e32 v1, v1, v2
	v_mov_b32_dpp v2, v1 row_ror:8 row_mask:0xf bank_mask:0xf
	s_delay_alu instid0(VALU_DEP_1)
	v_add_nc_u32_e32 v1, v1, v2
	ds_swizzle_b32 v2, v1 offset:swizzle(BROADCAST,32,15)
	s_wait_dscnt 0x0
	v_dual_mov_b32 v2, 0 :: v_dual_add_nc_u32 v1, v1, v2
	ds_bpermute_b32 v1, v2, v1 offset:124
	v_mbcnt_lo_u32_b32 v2, -1, 0
	s_delay_alu instid0(VALU_DEP_1)
	v_cmpx_eq_u32_e32 0, v2
	s_cbranch_execz .LBB776_19
; %bb.18:
	v_lshrrev_b32_e32 v3, 3, v0
	s_delay_alu instid0(VALU_DEP_1)
	v_and_b32_e32 v3, 28, v3
	s_wait_dscnt 0x0
	ds_store_b32 v3, v1
.LBB776_19:
	s_wait_alu 0xfffe
	s_or_b32 exec_lo, exec_lo, s3
	s_delay_alu instid0(SALU_CYCLE_1)
	s_mov_b32 s3, exec_lo
	s_wait_dscnt 0x0
	s_barrier_signal -1
	s_barrier_wait -1
	global_inv scope:SCOPE_SE
	v_cmpx_gt_u32_e32 32, v0
	s_cbranch_execz .LBB776_21
; %bb.20:
	v_and_b32_e32 v1, 7, v2
	s_delay_alu instid0(VALU_DEP_1)
	v_lshlrev_b32_e32 v3, 2, v1
	v_cmp_ne_u32_e32 vcc_lo, 7, v1
	ds_load_b32 v3, v3
	s_wait_alu 0xfffd
	v_add_co_ci_u32_e64 v4, null, 0, v2, vcc_lo
	v_cmp_gt_u32_e32 vcc_lo, 6, v1
	s_delay_alu instid0(VALU_DEP_2) | instskip(SKIP_2) | instid1(VALU_DEP_1)
	v_lshlrev_b32_e32 v4, 2, v4
	s_wait_alu 0xfffd
	v_cndmask_b32_e64 v1, 0, 2, vcc_lo
	v_add_lshl_u32 v1, v1, v2, 2
	v_lshlrev_b32_e32 v2, 2, v2
	s_delay_alu instid0(VALU_DEP_1)
	v_or_b32_e32 v2, 16, v2
	s_wait_dscnt 0x0
	ds_bpermute_b32 v4, v4, v3
	s_wait_dscnt 0x0
	v_add_nc_u32_e32 v3, v4, v3
	ds_bpermute_b32 v1, v1, v3
	s_wait_dscnt 0x0
	v_add_nc_u32_e32 v1, v1, v3
	;; [unrolled: 3-line block ×3, first 2 shown]
.LBB776_21:
	s_wait_alu 0xfffe
	s_or_b32 exec_lo, exec_lo, s3
	s_mov_b32 s3, 0
	s_branch .LBB776_95
.LBB776_22:
                                        ; implicit-def: $vgpr1
	s_branch .LBB776_142
.LBB776_23:
                                        ; implicit-def: $vgpr1
	s_cbranch_execz .LBB776_10
; %bb.24:
	v_mov_b32_e32 v1, 0
	s_sub_co_i32 s43, s38, s2
	s_delay_alu instid0(SALU_CYCLE_1) | instskip(NEXT) | instid1(VALU_DEP_2)
	v_cmp_gt_u32_e32 vcc_lo, s43, v0
	v_dual_mov_b32 v2, v1 :: v_dual_mov_b32 v3, v1
	v_dual_mov_b32 v4, v1 :: v_dual_mov_b32 v5, v1
	;; [unrolled: 1-line block ×15, first 2 shown]
	v_mov_b32_e32 v32, v1
	s_and_saveexec_b32 s2, vcc_lo
	s_cbranch_execz .LBB776_26
; %bb.25:
	v_dual_mov_b32 v3, v1 :: v_dual_lshlrev_b32 v2, 2, v0
	v_dual_mov_b32 v32, v1 :: v_dual_mov_b32 v33, v1
	v_dual_mov_b32 v4, v1 :: v_dual_mov_b32 v5, v1
	global_load_b32 v2, v2, s[40:41]
	v_dual_mov_b32 v6, v1 :: v_dual_mov_b32 v7, v1
	v_dual_mov_b32 v8, v1 :: v_dual_mov_b32 v9, v1
	;; [unrolled: 1-line block ×13, first 2 shown]
	s_wait_loadcnt 0x0
	v_mov_b32_e32 v1, v2
	v_mov_b32_e32 v2, v3
	;; [unrolled: 1-line block ×32, first 2 shown]
.LBB776_26:
	s_or_b32 exec_lo, exec_lo, s2
	v_or_b32_e32 v33, 0x100, v0
	s_delay_alu instid0(VALU_DEP_1)
	v_cmp_gt_u32_e32 vcc_lo, s43, v33
	s_and_saveexec_b32 s2, vcc_lo
	s_cbranch_execz .LBB776_28
; %bb.27:
	v_lshlrev_b32_e32 v2, 2, v0
	global_load_b32 v2, v2, s[40:41] offset:1024
.LBB776_28:
	s_or_b32 exec_lo, exec_lo, s2
	v_or_b32_e32 v33, 0x200, v0
	s_delay_alu instid0(VALU_DEP_1)
	v_cmp_gt_u32_e64 s2, s43, v33
	s_and_saveexec_b32 s3, s2
	s_cbranch_execz .LBB776_30
; %bb.29:
	v_lshlrev_b32_e32 v3, 2, v0
	global_load_b32 v3, v3, s[40:41] offset:2048
.LBB776_30:
	s_or_b32 exec_lo, exec_lo, s3
	v_or_b32_e32 v33, 0x300, v0
	s_delay_alu instid0(VALU_DEP_1)
	v_cmp_gt_u32_e64 s3, s43, v33
	s_and_saveexec_b32 s4, s3
	;; [unrolled: 10-line block ×30, first 2 shown]
	s_cbranch_execz .LBB776_88
; %bb.87:
	v_lshlrev_b32_e32 v32, 2, v0
	global_load_b32 v32, v32, s[40:41] offset:31744
.LBB776_88:
	s_or_b32 exec_lo, exec_lo, s44
	s_wait_loadcnt 0x0
	v_cndmask_b32_e32 v2, 0, v2, vcc_lo
	v_cndmask_b32_e64 v3, 0, v3, s2
	v_cndmask_b32_e64 v4, 0, v4, s3
	s_min_u32 s2, s43, 0x100
	s_mov_b32 s3, exec_lo
	v_add_nc_u32_e32 v1, v2, v1
	v_cndmask_b32_e64 v2, 0, v5, s4
	v_cndmask_b32_e64 v5, 0, v6, s5
	;; [unrolled: 1-line block ×3, first 2 shown]
	s_delay_alu instid0(VALU_DEP_4) | instskip(SKIP_3) | instid1(VALU_DEP_4)
	v_add3_u32 v1, v1, v3, v4
	v_cndmask_b32_e64 v3, 0, v7, s6
	v_cndmask_b32_e64 v4, 0, v8, s7
	;; [unrolled: 1-line block ×3, first 2 shown]
	v_add3_u32 v1, v1, v2, v5
	v_cndmask_b32_e64 v2, 0, v9, s8
	v_cndmask_b32_e64 v5, 0, v10, s9
	s_delay_alu instid0(VALU_DEP_3) | instskip(SKIP_2) | instid1(VALU_DEP_3)
	v_add3_u32 v1, v1, v3, v4
	v_cndmask_b32_e64 v3, 0, v11, s10
	v_cndmask_b32_e64 v4, 0, v12, s11
	v_add3_u32 v1, v1, v2, v5
	v_cndmask_b32_e64 v2, 0, v13, s12
	v_cndmask_b32_e64 v5, 0, v14, s13
	s_delay_alu instid0(VALU_DEP_3) | instskip(SKIP_2) | instid1(VALU_DEP_3)
	v_add3_u32 v1, v1, v3, v4
	v_cndmask_b32_e64 v3, 0, v15, s14
	v_cndmask_b32_e64 v4, 0, v16, s15
	;; [unrolled: 7-line block ×5, first 2 shown]
	v_add3_u32 v1, v1, v2, v5
	v_mbcnt_lo_u32_b32 v2, -1, 0
	v_cndmask_b32_e64 v5, 0, v29, s28
	s_delay_alu instid0(VALU_DEP_3) | instskip(NEXT) | instid1(VALU_DEP_3)
	v_add3_u32 v1, v1, v3, v4
	v_cmp_ne_u32_e32 vcc_lo, 31, v2
	v_cndmask_b32_e64 v3, 0, v32, s31
	s_delay_alu instid0(VALU_DEP_3)
	v_add3_u32 v1, v1, v5, v6
	s_wait_alu 0xfffd
	v_add_co_ci_u32_e64 v4, null, 0, v2, vcc_lo
	v_add_nc_u32_e32 v5, 1, v2
	v_cmp_gt_u32_e32 vcc_lo, 30, v2
	v_add3_u32 v1, v1, v7, v3
	s_delay_alu instid0(VALU_DEP_4)
	v_lshlrev_b32_e32 v4, 2, v4
	s_wait_alu 0xfffd
	v_cndmask_b32_e64 v6, 0, 2, vcc_lo
	ds_bpermute_b32 v3, v4, v1
	v_and_b32_e32 v4, 0xe0, v0
	s_wait_alu 0xfffe
	s_delay_alu instid0(VALU_DEP_1) | instskip(NEXT) | instid1(VALU_DEP_1)
	v_sub_nc_u32_e64 v4, s2, v4 clamp
	v_cmp_lt_u32_e32 vcc_lo, v5, v4
	v_add_lshl_u32 v5, v6, v2, 2
	s_wait_dscnt 0x0
	s_wait_alu 0xfffd
	v_cndmask_b32_e32 v3, 0, v3, vcc_lo
	v_cmp_gt_u32_e32 vcc_lo, 28, v2
	s_delay_alu instid0(VALU_DEP_2) | instskip(SKIP_4) | instid1(VALU_DEP_1)
	v_add_nc_u32_e32 v1, v1, v3
	s_wait_alu 0xfffd
	v_cndmask_b32_e64 v6, 0, 4, vcc_lo
	ds_bpermute_b32 v3, v5, v1
	v_add_nc_u32_e32 v5, 2, v2
	v_cmp_lt_u32_e32 vcc_lo, v5, v4
	v_add_lshl_u32 v5, v6, v2, 2
	s_wait_dscnt 0x0
	s_wait_alu 0xfffd
	v_cndmask_b32_e32 v3, 0, v3, vcc_lo
	v_cmp_gt_u32_e32 vcc_lo, 24, v2
	s_delay_alu instid0(VALU_DEP_2) | instskip(SKIP_4) | instid1(VALU_DEP_1)
	v_add_nc_u32_e32 v1, v1, v3
	s_wait_alu 0xfffd
	v_cndmask_b32_e64 v6, 0, 8, vcc_lo
	ds_bpermute_b32 v3, v5, v1
	v_add_nc_u32_e32 v5, 4, v2
	v_cmp_lt_u32_e32 vcc_lo, v5, v4
	v_add_lshl_u32 v5, v6, v2, 2
	s_wait_dscnt 0x0
	s_wait_alu 0xfffd
	v_cndmask_b32_e32 v3, 0, v3, vcc_lo
	s_delay_alu instid0(VALU_DEP_1) | instskip(SKIP_3) | instid1(VALU_DEP_1)
	v_add_nc_u32_e32 v1, v1, v3
	v_lshlrev_b32_e32 v3, 2, v2
	ds_bpermute_b32 v5, v5, v1
	v_add_nc_u32_e32 v6, 8, v2
	v_cmp_lt_u32_e32 vcc_lo, v6, v4
	v_or_b32_e32 v6, 64, v3
	s_wait_dscnt 0x0
	s_wait_alu 0xfffd
	v_cndmask_b32_e32 v5, 0, v5, vcc_lo
	s_delay_alu instid0(VALU_DEP_1) | instskip(SKIP_2) | instid1(VALU_DEP_1)
	v_add_nc_u32_e32 v1, v1, v5
	ds_bpermute_b32 v5, v6, v1
	v_add_nc_u32_e32 v6, 16, v2
	v_cmp_lt_u32_e32 vcc_lo, v6, v4
	s_wait_dscnt 0x0
	s_wait_alu 0xfffd
	v_cndmask_b32_e32 v4, 0, v5, vcc_lo
	s_delay_alu instid0(VALU_DEP_1)
	v_add_nc_u32_e32 v1, v1, v4
	v_cmpx_eq_u32_e32 0, v2
; %bb.89:
	v_lshrrev_b32_e32 v4, 3, v0
	s_delay_alu instid0(VALU_DEP_1)
	v_and_b32_e32 v4, 28, v4
	ds_store_b32 v4, v1 offset:192
; %bb.90:
	s_or_b32 exec_lo, exec_lo, s3
	s_delay_alu instid0(SALU_CYCLE_1)
	s_mov_b32 s3, exec_lo
	s_wait_dscnt 0x0
	s_barrier_signal -1
	s_barrier_wait -1
	global_inv scope:SCOPE_SE
	v_cmpx_gt_u32_e32 8, v0
	s_cbranch_execz .LBB776_92
; %bb.91:
	ds_load_b32 v1, v3 offset:192
	v_and_b32_e32 v4, 7, v2
	s_add_co_i32 s2, s2, 31
	s_wait_alu 0xfffe
	s_lshr_b32 s2, s2, 5
	s_delay_alu instid0(VALU_DEP_1) | instskip(SKIP_4) | instid1(VALU_DEP_2)
	v_cmp_ne_u32_e32 vcc_lo, 7, v4
	v_add_nc_u32_e32 v6, 1, v4
	s_wait_alu 0xfffd
	v_add_co_ci_u32_e64 v5, null, 0, v2, vcc_lo
	v_cmp_gt_u32_e32 vcc_lo, 6, v4
	v_lshlrev_b32_e32 v5, 2, v5
	s_wait_alu 0xfffd
	v_cndmask_b32_e64 v7, 0, 2, vcc_lo
	s_wait_alu 0xfffe
	v_cmp_gt_u32_e32 vcc_lo, s2, v6
	s_wait_dscnt 0x0
	ds_bpermute_b32 v5, v5, v1
	v_add_lshl_u32 v2, v7, v2, 2
	s_wait_dscnt 0x0
	s_wait_alu 0xfffd
	v_cndmask_b32_e32 v5, 0, v5, vcc_lo
	s_delay_alu instid0(VALU_DEP_1)
	v_add_nc_u32_e32 v1, v5, v1
	v_add_nc_u32_e32 v5, 2, v4
	ds_bpermute_b32 v2, v2, v1
	v_cmp_gt_u32_e32 vcc_lo, s2, v5
	s_wait_dscnt 0x0
	s_wait_alu 0xfffd
	v_cndmask_b32_e32 v2, 0, v2, vcc_lo
	s_delay_alu instid0(VALU_DEP_1)
	v_add_nc_u32_e32 v1, v1, v2
	v_or_b32_e32 v2, 16, v3
	v_add_nc_u32_e32 v3, 4, v4
	ds_bpermute_b32 v2, v2, v1
	v_cmp_gt_u32_e32 vcc_lo, s2, v3
	s_wait_dscnt 0x0
	s_wait_alu 0xfffd
	v_cndmask_b32_e32 v2, 0, v2, vcc_lo
	s_delay_alu instid0(VALU_DEP_1)
	v_add_nc_u32_e32 v1, v1, v2
.LBB776_92:
	s_wait_alu 0xfffe
	s_or_b32 exec_lo, exec_lo, s3
	v_cmp_eq_u32_e64 s2, 0, v0
	s_and_b32 vcc_lo, exec_lo, s42
	s_wait_alu 0xfffe
	s_cbranch_vccnz .LBB776_15
.LBB776_93:
	s_branch .LBB776_142
.LBB776_94:
	s_mov_b32 s3, -1
                                        ; implicit-def: $vgpr1
.LBB776_95:
	s_wait_alu 0xfffe
	s_and_b32 vcc_lo, exec_lo, s3
	s_wait_alu 0xfffe
	s_cbranch_vccz .LBB776_133
; %bb.96:
	v_mov_b32_e32 v1, 0
	s_sub_co_i32 s18, s38, s2
	s_mov_b32 s2, exec_lo
	s_delay_alu instid0(VALU_DEP_1)
	v_dual_mov_b32 v2, v1 :: v_dual_mov_b32 v3, v1
	v_dual_mov_b32 v4, v1 :: v_dual_mov_b32 v5, v1
	;; [unrolled: 1-line block ×7, first 2 shown]
	v_mov_b32_e32 v16, v1
	s_wait_alu 0xfffe
	v_cmpx_gt_u32_e64 s18, v0
	s_cbranch_execz .LBB776_98
; %bb.97:
	v_dual_mov_b32 v3, v1 :: v_dual_lshlrev_b32 v2, 2, v0
	v_dual_mov_b32 v16, v1 :: v_dual_mov_b32 v17, v1
	v_dual_mov_b32 v4, v1 :: v_dual_mov_b32 v5, v1
	global_load_b32 v2, v2, s[16:17]
	v_dual_mov_b32 v6, v1 :: v_dual_mov_b32 v7, v1
	v_dual_mov_b32 v8, v1 :: v_dual_mov_b32 v9, v1
	;; [unrolled: 1-line block ×5, first 2 shown]
	s_wait_loadcnt 0x0
	v_mov_b32_e32 v1, v2
	v_mov_b32_e32 v2, v3
	;; [unrolled: 1-line block ×16, first 2 shown]
.LBB776_98:
	s_or_b32 exec_lo, exec_lo, s2
	v_or_b32_e32 v17, 0x100, v0
	s_delay_alu instid0(VALU_DEP_1)
	v_cmp_gt_u32_e32 vcc_lo, s18, v17
	s_and_saveexec_b32 s2, vcc_lo
	s_cbranch_execz .LBB776_100
; %bb.99:
	v_lshlrev_b32_e32 v2, 2, v0
	global_load_b32 v2, v2, s[16:17] offset:1024
.LBB776_100:
	s_wait_alu 0xfffe
	s_or_b32 exec_lo, exec_lo, s2
	v_or_b32_e32 v17, 0x200, v0
	s_delay_alu instid0(VALU_DEP_1)
	v_cmp_gt_u32_e64 s2, s18, v17
	s_and_saveexec_b32 s3, s2
	s_cbranch_execz .LBB776_102
; %bb.101:
	v_lshlrev_b32_e32 v3, 2, v0
	global_load_b32 v3, v3, s[16:17] offset:2048
.LBB776_102:
	s_wait_alu 0xfffe
	s_or_b32 exec_lo, exec_lo, s3
	v_or_b32_e32 v17, 0x300, v0
	s_delay_alu instid0(VALU_DEP_1)
	v_cmp_gt_u32_e64 s3, s18, v17
	s_and_saveexec_b32 s4, s3
	;; [unrolled: 11-line block ×14, first 2 shown]
	s_cbranch_execz .LBB776_128
; %bb.127:
	v_lshlrev_b32_e32 v16, 2, v0
	global_load_b32 v16, v16, s[16:17] offset:15360
.LBB776_128:
	s_wait_alu 0xfffe
	s_or_b32 exec_lo, exec_lo, s19
	s_wait_loadcnt 0x0
	v_cndmask_b32_e32 v2, 0, v2, vcc_lo
	v_cndmask_b32_e64 v3, 0, v3, s2
	v_cndmask_b32_e64 v4, 0, v4, s3
	s_min_u32 s2, s18, 0x100
	s_mov_b32 s3, exec_lo
	v_add_nc_u32_e32 v1, v2, v1
	v_cndmask_b32_e64 v2, 0, v5, s4
	v_cndmask_b32_e64 v5, 0, v6, s5
	;; [unrolled: 1-line block ×3, first 2 shown]
	s_delay_alu instid0(VALU_DEP_4) | instskip(SKIP_3) | instid1(VALU_DEP_4)
	v_add3_u32 v1, v1, v3, v4
	v_cndmask_b32_e64 v3, 0, v7, s6
	v_cndmask_b32_e64 v4, 0, v8, s7
	;; [unrolled: 1-line block ×3, first 2 shown]
	v_add3_u32 v1, v1, v2, v5
	v_cndmask_b32_e64 v2, 0, v9, s8
	v_cndmask_b32_e64 v5, 0, v10, s9
	s_delay_alu instid0(VALU_DEP_3) | instskip(SKIP_2) | instid1(VALU_DEP_3)
	v_add3_u32 v1, v1, v3, v4
	v_cndmask_b32_e64 v3, 0, v11, s10
	v_cndmask_b32_e64 v4, 0, v12, s11
	v_add3_u32 v1, v1, v2, v5
	v_mbcnt_lo_u32_b32 v2, -1, 0
	v_cndmask_b32_e64 v5, 0, v13, s12
	s_delay_alu instid0(VALU_DEP_3) | instskip(NEXT) | instid1(VALU_DEP_3)
	v_add3_u32 v1, v1, v3, v4
	v_cmp_ne_u32_e32 vcc_lo, 31, v2
	v_cndmask_b32_e64 v3, 0, v16, s15
	s_delay_alu instid0(VALU_DEP_3)
	v_add3_u32 v1, v1, v5, v6
	s_wait_alu 0xfffd
	v_add_co_ci_u32_e64 v4, null, 0, v2, vcc_lo
	v_add_nc_u32_e32 v5, 1, v2
	v_cmp_gt_u32_e32 vcc_lo, 30, v2
	v_add3_u32 v1, v1, v7, v3
	s_delay_alu instid0(VALU_DEP_4)
	v_lshlrev_b32_e32 v4, 2, v4
	s_wait_alu 0xfffd
	v_cndmask_b32_e64 v6, 0, 2, vcc_lo
	ds_bpermute_b32 v3, v4, v1
	v_and_b32_e32 v4, 0xe0, v0
	s_wait_alu 0xfffe
	s_delay_alu instid0(VALU_DEP_1) | instskip(NEXT) | instid1(VALU_DEP_1)
	v_sub_nc_u32_e64 v4, s2, v4 clamp
	v_cmp_lt_u32_e32 vcc_lo, v5, v4
	v_add_lshl_u32 v5, v6, v2, 2
	s_wait_dscnt 0x0
	s_wait_alu 0xfffd
	v_cndmask_b32_e32 v3, 0, v3, vcc_lo
	v_cmp_gt_u32_e32 vcc_lo, 28, v2
	s_delay_alu instid0(VALU_DEP_2) | instskip(SKIP_4) | instid1(VALU_DEP_1)
	v_add_nc_u32_e32 v1, v1, v3
	s_wait_alu 0xfffd
	v_cndmask_b32_e64 v6, 0, 4, vcc_lo
	ds_bpermute_b32 v3, v5, v1
	v_add_nc_u32_e32 v5, 2, v2
	v_cmp_lt_u32_e32 vcc_lo, v5, v4
	v_add_lshl_u32 v5, v6, v2, 2
	s_wait_dscnt 0x0
	s_wait_alu 0xfffd
	v_cndmask_b32_e32 v3, 0, v3, vcc_lo
	v_cmp_gt_u32_e32 vcc_lo, 24, v2
	s_delay_alu instid0(VALU_DEP_2) | instskip(SKIP_4) | instid1(VALU_DEP_1)
	v_add_nc_u32_e32 v1, v1, v3
	s_wait_alu 0xfffd
	v_cndmask_b32_e64 v6, 0, 8, vcc_lo
	ds_bpermute_b32 v3, v5, v1
	v_add_nc_u32_e32 v5, 4, v2
	v_cmp_lt_u32_e32 vcc_lo, v5, v4
	v_add_lshl_u32 v5, v6, v2, 2
	s_wait_dscnt 0x0
	s_wait_alu 0xfffd
	v_cndmask_b32_e32 v3, 0, v3, vcc_lo
	s_delay_alu instid0(VALU_DEP_1) | instskip(SKIP_3) | instid1(VALU_DEP_1)
	v_add_nc_u32_e32 v1, v1, v3
	v_lshlrev_b32_e32 v3, 2, v2
	ds_bpermute_b32 v5, v5, v1
	v_add_nc_u32_e32 v6, 8, v2
	v_cmp_lt_u32_e32 vcc_lo, v6, v4
	v_or_b32_e32 v6, 64, v3
	s_wait_dscnt 0x0
	s_wait_alu 0xfffd
	v_cndmask_b32_e32 v5, 0, v5, vcc_lo
	s_delay_alu instid0(VALU_DEP_1) | instskip(SKIP_2) | instid1(VALU_DEP_1)
	v_add_nc_u32_e32 v1, v1, v5
	ds_bpermute_b32 v5, v6, v1
	v_add_nc_u32_e32 v6, 16, v2
	v_cmp_lt_u32_e32 vcc_lo, v6, v4
	s_wait_dscnt 0x0
	s_wait_alu 0xfffd
	v_cndmask_b32_e32 v4, 0, v5, vcc_lo
	s_delay_alu instid0(VALU_DEP_1)
	v_add_nc_u32_e32 v1, v1, v4
	v_cmpx_eq_u32_e32 0, v2
; %bb.129:
	v_lshrrev_b32_e32 v4, 3, v0
	s_delay_alu instid0(VALU_DEP_1)
	v_and_b32_e32 v4, 28, v4
	ds_store_b32 v4, v1 offset:192
; %bb.130:
	s_or_b32 exec_lo, exec_lo, s3
	s_delay_alu instid0(SALU_CYCLE_1)
	s_mov_b32 s3, exec_lo
	s_wait_dscnt 0x0
	s_barrier_signal -1
	s_barrier_wait -1
	global_inv scope:SCOPE_SE
	v_cmpx_gt_u32_e32 8, v0
	s_cbranch_execz .LBB776_132
; %bb.131:
	ds_load_b32 v1, v3 offset:192
	v_and_b32_e32 v4, 7, v2
	s_add_co_i32 s2, s2, 31
	s_wait_alu 0xfffe
	s_lshr_b32 s2, s2, 5
	s_delay_alu instid0(VALU_DEP_1) | instskip(SKIP_4) | instid1(VALU_DEP_2)
	v_cmp_ne_u32_e32 vcc_lo, 7, v4
	v_add_nc_u32_e32 v6, 1, v4
	s_wait_alu 0xfffd
	v_add_co_ci_u32_e64 v5, null, 0, v2, vcc_lo
	v_cmp_gt_u32_e32 vcc_lo, 6, v4
	v_lshlrev_b32_e32 v5, 2, v5
	s_wait_alu 0xfffd
	v_cndmask_b32_e64 v7, 0, 2, vcc_lo
	s_wait_alu 0xfffe
	v_cmp_gt_u32_e32 vcc_lo, s2, v6
	s_wait_dscnt 0x0
	ds_bpermute_b32 v5, v5, v1
	v_add_lshl_u32 v2, v7, v2, 2
	s_wait_dscnt 0x0
	s_wait_alu 0xfffd
	v_cndmask_b32_e32 v5, 0, v5, vcc_lo
	s_delay_alu instid0(VALU_DEP_1)
	v_add_nc_u32_e32 v1, v5, v1
	v_add_nc_u32_e32 v5, 2, v4
	ds_bpermute_b32 v2, v2, v1
	v_cmp_gt_u32_e32 vcc_lo, s2, v5
	s_wait_dscnt 0x0
	s_wait_alu 0xfffd
	v_cndmask_b32_e32 v2, 0, v2, vcc_lo
	s_delay_alu instid0(VALU_DEP_1)
	v_add_nc_u32_e32 v1, v1, v2
	v_or_b32_e32 v2, 16, v3
	v_add_nc_u32_e32 v3, 4, v4
	ds_bpermute_b32 v2, v2, v1
	v_cmp_gt_u32_e32 vcc_lo, s2, v3
	s_wait_dscnt 0x0
	s_wait_alu 0xfffd
	v_cndmask_b32_e32 v2, 0, v2, vcc_lo
	s_delay_alu instid0(VALU_DEP_1)
	v_add_nc_u32_e32 v1, v1, v2
.LBB776_132:
	s_wait_alu 0xfffe
	s_or_b32 exec_lo, exec_lo, s3
.LBB776_133:
	v_cmp_eq_u32_e64 s2, 0, v0
	s_branch .LBB776_142
.LBB776_134:
	s_cmp_eq_u32 s33, 8
	s_cbranch_scc0 .LBB776_141
; %bb.135:
	s_mov_b32 s35, 0
	s_lshl_b32 s2, s34, 11
	s_mov_b32 s3, s35
	s_lshr_b64 s[4:5], s[38:39], 11
	s_lshl_b64 s[6:7], s[2:3], 2
	s_cmp_lg_u64 s[4:5], s[34:35]
	s_add_nc_u64 s[8:9], s[36:37], s[6:7]
	s_cbranch_scc0 .LBB776_143
; %bb.136:
	v_lshlrev_b32_e32 v1, 2, v0
	s_mov_b32 s3, exec_lo
	s_clause 0x7
	global_load_b32 v2, v1, s[8:9]
	global_load_b32 v3, v1, s[8:9] offset:1024
	global_load_b32 v4, v1, s[8:9] offset:2048
	;; [unrolled: 1-line block ×7, first 2 shown]
	s_wait_loadcnt 0x6
	v_add_nc_u32_e32 v2, v3, v2
	s_wait_loadcnt 0x4
	s_delay_alu instid0(VALU_DEP_1) | instskip(SKIP_1) | instid1(VALU_DEP_1)
	v_add3_u32 v2, v2, v4, v5
	s_wait_loadcnt 0x2
	v_add3_u32 v2, v2, v6, v7
	s_wait_loadcnt 0x0
	s_delay_alu instid0(VALU_DEP_1) | instskip(NEXT) | instid1(VALU_DEP_1)
	v_add3_u32 v1, v2, v8, v1
	v_mov_b32_dpp v2, v1 quad_perm:[1,0,3,2] row_mask:0xf bank_mask:0xf
	s_delay_alu instid0(VALU_DEP_1) | instskip(NEXT) | instid1(VALU_DEP_1)
	v_add_nc_u32_e32 v1, v2, v1
	v_mov_b32_dpp v2, v1 quad_perm:[2,3,0,1] row_mask:0xf bank_mask:0xf
	s_delay_alu instid0(VALU_DEP_1) | instskip(NEXT) | instid1(VALU_DEP_1)
	v_add_nc_u32_e32 v1, v1, v2
	v_mov_b32_dpp v2, v1 row_ror:4 row_mask:0xf bank_mask:0xf
	s_delay_alu instid0(VALU_DEP_1) | instskip(NEXT) | instid1(VALU_DEP_1)
	v_add_nc_u32_e32 v1, v1, v2
	v_mov_b32_dpp v2, v1 row_ror:8 row_mask:0xf bank_mask:0xf
	s_delay_alu instid0(VALU_DEP_1)
	v_add_nc_u32_e32 v1, v1, v2
	ds_swizzle_b32 v2, v1 offset:swizzle(BROADCAST,32,15)
	s_wait_dscnt 0x0
	v_dual_mov_b32 v2, 0 :: v_dual_add_nc_u32 v1, v1, v2
	ds_bpermute_b32 v1, v2, v1 offset:124
	v_mbcnt_lo_u32_b32 v2, -1, 0
	s_delay_alu instid0(VALU_DEP_1)
	v_cmpx_eq_u32_e32 0, v2
	s_cbranch_execz .LBB776_138
; %bb.137:
	v_lshrrev_b32_e32 v3, 3, v0
	s_delay_alu instid0(VALU_DEP_1)
	v_and_b32_e32 v3, 28, v3
	s_wait_dscnt 0x0
	ds_store_b32 v3, v1 offset:160
.LBB776_138:
	s_or_b32 exec_lo, exec_lo, s3
	s_delay_alu instid0(SALU_CYCLE_1)
	s_mov_b32 s3, exec_lo
	s_wait_dscnt 0x0
	s_barrier_signal -1
	s_barrier_wait -1
	global_inv scope:SCOPE_SE
	v_cmpx_gt_u32_e32 32, v0
	s_cbranch_execz .LBB776_140
; %bb.139:
	v_and_b32_e32 v1, 7, v2
	s_delay_alu instid0(VALU_DEP_1) | instskip(SKIP_4) | instid1(VALU_DEP_2)
	v_lshlrev_b32_e32 v3, 2, v1
	v_cmp_ne_u32_e32 vcc_lo, 7, v1
	ds_load_b32 v3, v3 offset:160
	v_add_co_ci_u32_e64 v4, null, 0, v2, vcc_lo
	v_cmp_gt_u32_e32 vcc_lo, 6, v1
	v_lshlrev_b32_e32 v4, 2, v4
	s_wait_alu 0xfffd
	v_cndmask_b32_e64 v1, 0, 2, vcc_lo
	s_delay_alu instid0(VALU_DEP_1) | instskip(SKIP_1) | instid1(VALU_DEP_1)
	v_add_lshl_u32 v1, v1, v2, 2
	v_lshlrev_b32_e32 v2, 2, v2
	v_or_b32_e32 v2, 16, v2
	s_wait_dscnt 0x0
	ds_bpermute_b32 v4, v4, v3
	s_wait_dscnt 0x0
	v_add_nc_u32_e32 v3, v4, v3
	ds_bpermute_b32 v1, v1, v3
	s_wait_dscnt 0x0
	v_add_nc_u32_e32 v1, v1, v3
	;; [unrolled: 3-line block ×3, first 2 shown]
.LBB776_140:
	s_or_b32 exec_lo, exec_lo, s3
	s_branch .LBB776_165
.LBB776_141:
                                        ; implicit-def: $vgpr1
.LBB776_142:
	s_branch .LBB776_224
.LBB776_143:
                                        ; implicit-def: $vgpr1
	s_cbranch_execz .LBB776_165
; %bb.144:
	v_mov_b32_e32 v1, 0
	s_sub_co_i32 s10, s38, s2
	s_mov_b32 s2, exec_lo
	s_delay_alu instid0(VALU_DEP_1)
	v_dual_mov_b32 v2, v1 :: v_dual_mov_b32 v3, v1
	v_dual_mov_b32 v4, v1 :: v_dual_mov_b32 v5, v1
	;; [unrolled: 1-line block ×3, first 2 shown]
	v_mov_b32_e32 v8, v1
	v_cmpx_gt_u32_e64 s10, v0
	s_cbranch_execz .LBB776_146
; %bb.145:
	v_dual_mov_b32 v3, v1 :: v_dual_lshlrev_b32 v2, 2, v0
	v_dual_mov_b32 v8, v1 :: v_dual_mov_b32 v9, v1
	v_dual_mov_b32 v4, v1 :: v_dual_mov_b32 v5, v1
	global_load_b32 v2, v2, s[8:9]
	v_dual_mov_b32 v6, v1 :: v_dual_mov_b32 v7, v1
	s_wait_loadcnt 0x0
	v_mov_b32_e32 v1, v2
	v_mov_b32_e32 v2, v3
	;; [unrolled: 1-line block ×8, first 2 shown]
.LBB776_146:
	s_or_b32 exec_lo, exec_lo, s2
	v_or_b32_e32 v9, 0x100, v0
	s_delay_alu instid0(VALU_DEP_1)
	v_cmp_gt_u32_e32 vcc_lo, s10, v9
	s_and_saveexec_b32 s2, vcc_lo
	s_cbranch_execz .LBB776_148
; %bb.147:
	v_lshlrev_b32_e32 v2, 2, v0
	global_load_b32 v2, v2, s[8:9] offset:1024
.LBB776_148:
	s_or_b32 exec_lo, exec_lo, s2
	v_or_b32_e32 v9, 0x200, v0
	s_delay_alu instid0(VALU_DEP_1)
	v_cmp_gt_u32_e64 s2, s10, v9
	s_and_saveexec_b32 s3, s2
	s_cbranch_execz .LBB776_150
; %bb.149:
	v_lshlrev_b32_e32 v3, 2, v0
	global_load_b32 v3, v3, s[8:9] offset:2048
.LBB776_150:
	s_or_b32 exec_lo, exec_lo, s3
	v_or_b32_e32 v9, 0x300, v0
	s_delay_alu instid0(VALU_DEP_1)
	v_cmp_gt_u32_e64 s3, s10, v9
	s_and_saveexec_b32 s4, s3
	;; [unrolled: 10-line block ×6, first 2 shown]
	s_cbranch_execz .LBB776_160
; %bb.159:
	v_lshlrev_b32_e32 v8, 2, v0
	global_load_b32 v8, v8, s[8:9] offset:7168
.LBB776_160:
	s_wait_alu 0xfffe
	s_or_b32 exec_lo, exec_lo, s11
	s_wait_loadcnt 0x0
	v_cndmask_b32_e32 v2, 0, v2, vcc_lo
	v_cndmask_b32_e64 v3, 0, v3, s2
	v_cndmask_b32_e64 v4, 0, v4, s3
	;; [unrolled: 1-line block ×4, first 2 shown]
	v_add_nc_u32_e32 v1, v2, v1
	v_mbcnt_lo_u32_b32 v2, -1, 0
	v_cndmask_b32_e64 v7, 0, v7, s6
	s_min_u32 s2, s10, 0x100
	s_mov_b32 s3, exec_lo
	v_add3_u32 v1, v1, v3, v4
	v_cmp_ne_u32_e32 vcc_lo, 31, v2
	v_cndmask_b32_e64 v3, 0, v8, s7
	s_delay_alu instid0(VALU_DEP_3)
	v_add3_u32 v1, v1, v5, v6
	s_wait_alu 0xfffd
	v_add_co_ci_u32_e64 v4, null, 0, v2, vcc_lo
	v_add_nc_u32_e32 v5, 1, v2
	v_cmp_gt_u32_e32 vcc_lo, 30, v2
	v_add3_u32 v1, v1, v7, v3
	s_delay_alu instid0(VALU_DEP_4)
	v_lshlrev_b32_e32 v4, 2, v4
	s_wait_alu 0xfffd
	v_cndmask_b32_e64 v6, 0, 2, vcc_lo
	ds_bpermute_b32 v3, v4, v1
	v_and_b32_e32 v4, 0xe0, v0
	s_wait_alu 0xfffe
	s_delay_alu instid0(VALU_DEP_1) | instskip(NEXT) | instid1(VALU_DEP_1)
	v_sub_nc_u32_e64 v4, s2, v4 clamp
	v_cmp_lt_u32_e32 vcc_lo, v5, v4
	v_add_lshl_u32 v5, v6, v2, 2
	s_wait_dscnt 0x0
	s_wait_alu 0xfffd
	v_cndmask_b32_e32 v3, 0, v3, vcc_lo
	v_cmp_gt_u32_e32 vcc_lo, 28, v2
	s_delay_alu instid0(VALU_DEP_2) | instskip(SKIP_4) | instid1(VALU_DEP_1)
	v_add_nc_u32_e32 v1, v1, v3
	s_wait_alu 0xfffd
	v_cndmask_b32_e64 v6, 0, 4, vcc_lo
	ds_bpermute_b32 v3, v5, v1
	v_add_nc_u32_e32 v5, 2, v2
	v_cmp_lt_u32_e32 vcc_lo, v5, v4
	v_add_lshl_u32 v5, v6, v2, 2
	s_wait_dscnt 0x0
	s_wait_alu 0xfffd
	v_cndmask_b32_e32 v3, 0, v3, vcc_lo
	v_cmp_gt_u32_e32 vcc_lo, 24, v2
	s_delay_alu instid0(VALU_DEP_2) | instskip(SKIP_4) | instid1(VALU_DEP_1)
	v_add_nc_u32_e32 v1, v1, v3
	s_wait_alu 0xfffd
	v_cndmask_b32_e64 v6, 0, 8, vcc_lo
	ds_bpermute_b32 v3, v5, v1
	v_add_nc_u32_e32 v5, 4, v2
	v_cmp_lt_u32_e32 vcc_lo, v5, v4
	v_add_lshl_u32 v5, v6, v2, 2
	s_wait_dscnt 0x0
	s_wait_alu 0xfffd
	v_cndmask_b32_e32 v3, 0, v3, vcc_lo
	s_delay_alu instid0(VALU_DEP_1) | instskip(SKIP_3) | instid1(VALU_DEP_1)
	v_add_nc_u32_e32 v1, v1, v3
	v_lshlrev_b32_e32 v3, 2, v2
	ds_bpermute_b32 v5, v5, v1
	v_add_nc_u32_e32 v6, 8, v2
	v_cmp_lt_u32_e32 vcc_lo, v6, v4
	v_or_b32_e32 v6, 64, v3
	s_wait_dscnt 0x0
	s_wait_alu 0xfffd
	v_cndmask_b32_e32 v5, 0, v5, vcc_lo
	s_delay_alu instid0(VALU_DEP_1) | instskip(SKIP_2) | instid1(VALU_DEP_1)
	v_add_nc_u32_e32 v1, v1, v5
	ds_bpermute_b32 v5, v6, v1
	v_add_nc_u32_e32 v6, 16, v2
	v_cmp_lt_u32_e32 vcc_lo, v6, v4
	s_wait_dscnt 0x0
	s_wait_alu 0xfffd
	v_cndmask_b32_e32 v4, 0, v5, vcc_lo
	s_delay_alu instid0(VALU_DEP_1)
	v_add_nc_u32_e32 v1, v1, v4
	v_cmpx_eq_u32_e32 0, v2
; %bb.161:
	v_lshrrev_b32_e32 v4, 3, v0
	s_delay_alu instid0(VALU_DEP_1)
	v_and_b32_e32 v4, 28, v4
	ds_store_b32 v4, v1 offset:192
; %bb.162:
	s_or_b32 exec_lo, exec_lo, s3
	s_delay_alu instid0(SALU_CYCLE_1)
	s_mov_b32 s3, exec_lo
	s_wait_dscnt 0x0
	s_barrier_signal -1
	s_barrier_wait -1
	global_inv scope:SCOPE_SE
	v_cmpx_gt_u32_e32 8, v0
	s_cbranch_execz .LBB776_164
; %bb.163:
	ds_load_b32 v1, v3 offset:192
	v_and_b32_e32 v4, 7, v2
	s_add_co_i32 s2, s2, 31
	s_wait_alu 0xfffe
	s_lshr_b32 s2, s2, 5
	s_delay_alu instid0(VALU_DEP_1) | instskip(SKIP_4) | instid1(VALU_DEP_2)
	v_cmp_ne_u32_e32 vcc_lo, 7, v4
	v_add_nc_u32_e32 v6, 1, v4
	s_wait_alu 0xfffd
	v_add_co_ci_u32_e64 v5, null, 0, v2, vcc_lo
	v_cmp_gt_u32_e32 vcc_lo, 6, v4
	v_lshlrev_b32_e32 v5, 2, v5
	s_wait_alu 0xfffd
	v_cndmask_b32_e64 v7, 0, 2, vcc_lo
	s_wait_alu 0xfffe
	v_cmp_gt_u32_e32 vcc_lo, s2, v6
	s_wait_dscnt 0x0
	ds_bpermute_b32 v5, v5, v1
	v_add_lshl_u32 v2, v7, v2, 2
	s_wait_dscnt 0x0
	s_wait_alu 0xfffd
	v_cndmask_b32_e32 v5, 0, v5, vcc_lo
	s_delay_alu instid0(VALU_DEP_1)
	v_add_nc_u32_e32 v1, v5, v1
	v_add_nc_u32_e32 v5, 2, v4
	ds_bpermute_b32 v2, v2, v1
	v_cmp_gt_u32_e32 vcc_lo, s2, v5
	s_wait_dscnt 0x0
	s_wait_alu 0xfffd
	v_cndmask_b32_e32 v2, 0, v2, vcc_lo
	s_delay_alu instid0(VALU_DEP_1)
	v_add_nc_u32_e32 v1, v1, v2
	v_or_b32_e32 v2, 16, v3
	v_add_nc_u32_e32 v3, 4, v4
	ds_bpermute_b32 v2, v2, v1
	v_cmp_gt_u32_e32 vcc_lo, s2, v3
	s_wait_dscnt 0x0
	s_wait_alu 0xfffd
	v_cndmask_b32_e32 v2, 0, v2, vcc_lo
	s_delay_alu instid0(VALU_DEP_1)
	v_add_nc_u32_e32 v1, v1, v2
.LBB776_164:
	s_wait_alu 0xfffe
	s_or_b32 exec_lo, exec_lo, s3
.LBB776_165:
	v_cmp_eq_u32_e64 s2, 0, v0
	s_branch .LBB776_224
.LBB776_166:
	s_cmp_gt_i32 s33, 1
	s_cbranch_scc0 .LBB776_175
; %bb.167:
	s_cmp_gt_i32 s33, 3
	s_cbranch_scc0 .LBB776_176
; %bb.168:
	s_cmp_eq_u32 s33, 4
	s_cbranch_scc0 .LBB776_177
; %bb.169:
	s_mov_b32 s35, 0
	s_lshl_b32 s2, s34, 10
	s_mov_b32 s3, s35
	s_lshr_b64 s[4:5], s[38:39], 10
	s_lshl_b64 s[6:7], s[2:3], 2
	s_cmp_lg_u64 s[4:5], s[34:35]
	s_add_nc_u64 s[4:5], s[36:37], s[6:7]
	s_cbranch_scc0 .LBB776_179
; %bb.170:
	v_lshlrev_b32_e32 v1, 2, v0
	s_mov_b32 s3, exec_lo
	s_clause 0x3
	global_load_b32 v2, v1, s[4:5]
	global_load_b32 v3, v1, s[4:5] offset:1024
	global_load_b32 v4, v1, s[4:5] offset:2048
	;; [unrolled: 1-line block ×3, first 2 shown]
	s_wait_loadcnt 0x2
	v_add_nc_u32_e32 v2, v3, v2
	s_wait_loadcnt 0x0
	s_delay_alu instid0(VALU_DEP_1) | instskip(NEXT) | instid1(VALU_DEP_1)
	v_add3_u32 v1, v2, v4, v1
	v_mov_b32_dpp v2, v1 quad_perm:[1,0,3,2] row_mask:0xf bank_mask:0xf
	s_delay_alu instid0(VALU_DEP_1) | instskip(NEXT) | instid1(VALU_DEP_1)
	v_add_nc_u32_e32 v1, v2, v1
	v_mov_b32_dpp v2, v1 quad_perm:[2,3,0,1] row_mask:0xf bank_mask:0xf
	s_delay_alu instid0(VALU_DEP_1) | instskip(NEXT) | instid1(VALU_DEP_1)
	v_add_nc_u32_e32 v1, v1, v2
	v_mov_b32_dpp v2, v1 row_ror:4 row_mask:0xf bank_mask:0xf
	s_delay_alu instid0(VALU_DEP_1) | instskip(NEXT) | instid1(VALU_DEP_1)
	v_add_nc_u32_e32 v1, v1, v2
	v_mov_b32_dpp v2, v1 row_ror:8 row_mask:0xf bank_mask:0xf
	s_delay_alu instid0(VALU_DEP_1)
	v_add_nc_u32_e32 v1, v1, v2
	ds_swizzle_b32 v2, v1 offset:swizzle(BROADCAST,32,15)
	s_wait_dscnt 0x0
	v_dual_mov_b32 v2, 0 :: v_dual_add_nc_u32 v1, v1, v2
	ds_bpermute_b32 v1, v2, v1 offset:124
	v_mbcnt_lo_u32_b32 v2, -1, 0
	s_delay_alu instid0(VALU_DEP_1)
	v_cmpx_eq_u32_e32 0, v2
	s_cbranch_execz .LBB776_172
; %bb.171:
	v_lshrrev_b32_e32 v3, 3, v0
	s_delay_alu instid0(VALU_DEP_1)
	v_and_b32_e32 v3, 28, v3
	s_wait_dscnt 0x0
	ds_store_b32 v3, v1 offset:128
.LBB776_172:
	s_or_b32 exec_lo, exec_lo, s3
	s_delay_alu instid0(SALU_CYCLE_1)
	s_mov_b32 s3, exec_lo
	s_wait_dscnt 0x0
	s_barrier_signal -1
	s_barrier_wait -1
	global_inv scope:SCOPE_SE
	v_cmpx_gt_u32_e32 32, v0
	s_cbranch_execz .LBB776_174
; %bb.173:
	v_and_b32_e32 v1, 7, v2
	s_delay_alu instid0(VALU_DEP_1) | instskip(SKIP_4) | instid1(VALU_DEP_2)
	v_lshlrev_b32_e32 v3, 2, v1
	v_cmp_ne_u32_e32 vcc_lo, 7, v1
	ds_load_b32 v3, v3 offset:128
	v_add_co_ci_u32_e64 v4, null, 0, v2, vcc_lo
	v_cmp_gt_u32_e32 vcc_lo, 6, v1
	v_lshlrev_b32_e32 v4, 2, v4
	s_wait_alu 0xfffd
	v_cndmask_b32_e64 v1, 0, 2, vcc_lo
	s_delay_alu instid0(VALU_DEP_1) | instskip(SKIP_1) | instid1(VALU_DEP_1)
	v_add_lshl_u32 v1, v1, v2, 2
	v_lshlrev_b32_e32 v2, 2, v2
	v_or_b32_e32 v2, 16, v2
	s_wait_dscnt 0x0
	ds_bpermute_b32 v4, v4, v3
	s_wait_dscnt 0x0
	v_add_nc_u32_e32 v3, v4, v3
	ds_bpermute_b32 v1, v1, v3
	s_wait_dscnt 0x0
	v_add_nc_u32_e32 v1, v1, v3
	;; [unrolled: 3-line block ×3, first 2 shown]
.LBB776_174:
	s_or_b32 exec_lo, exec_lo, s3
	s_mov_b32 s3, 0
	s_branch .LBB776_180
.LBB776_175:
                                        ; implicit-def: $vgpr1
	s_cbranch_execnz .LBB776_215
	s_branch .LBB776_224
.LBB776_176:
                                        ; implicit-def: $vgpr1
	s_cbranch_execz .LBB776_178
	s_branch .LBB776_195
.LBB776_177:
                                        ; implicit-def: $vgpr1
.LBB776_178:
	s_branch .LBB776_224
.LBB776_179:
	s_mov_b32 s3, -1
                                        ; implicit-def: $vgpr1
.LBB776_180:
	s_delay_alu instid0(SALU_CYCLE_1)
	s_and_b32 vcc_lo, exec_lo, s3
	s_wait_alu 0xfffe
	s_cbranch_vccz .LBB776_194
; %bb.181:
	v_mov_b32_e32 v1, 0
	s_sub_co_i32 s6, s38, s2
	s_mov_b32 s2, exec_lo
	s_delay_alu instid0(VALU_DEP_1)
	v_dual_mov_b32 v2, v1 :: v_dual_mov_b32 v3, v1
	v_mov_b32_e32 v4, v1
	v_cmpx_gt_u32_e64 s6, v0
	s_cbranch_execz .LBB776_183
; %bb.182:
	v_dual_mov_b32 v3, v1 :: v_dual_lshlrev_b32 v2, 2, v0
	v_dual_mov_b32 v4, v1 :: v_dual_mov_b32 v5, v1
	global_load_b32 v2, v2, s[4:5]
	s_wait_loadcnt 0x0
	v_mov_b32_e32 v1, v2
	v_mov_b32_e32 v2, v3
	v_mov_b32_e32 v3, v4
	v_mov_b32_e32 v4, v5
.LBB776_183:
	s_or_b32 exec_lo, exec_lo, s2
	v_or_b32_e32 v5, 0x100, v0
	s_delay_alu instid0(VALU_DEP_1)
	v_cmp_gt_u32_e32 vcc_lo, s6, v5
	s_and_saveexec_b32 s2, vcc_lo
	s_cbranch_execz .LBB776_185
; %bb.184:
	v_lshlrev_b32_e32 v2, 2, v0
	global_load_b32 v2, v2, s[4:5] offset:1024
.LBB776_185:
	s_or_b32 exec_lo, exec_lo, s2
	v_or_b32_e32 v5, 0x200, v0
	s_delay_alu instid0(VALU_DEP_1)
	v_cmp_gt_u32_e64 s2, s6, v5
	s_and_saveexec_b32 s3, s2
	s_cbranch_execz .LBB776_187
; %bb.186:
	v_lshlrev_b32_e32 v3, 2, v0
	global_load_b32 v3, v3, s[4:5] offset:2048
.LBB776_187:
	s_or_b32 exec_lo, exec_lo, s3
	v_or_b32_e32 v5, 0x300, v0
	s_delay_alu instid0(VALU_DEP_1)
	v_cmp_gt_u32_e64 s3, s6, v5
	s_and_saveexec_b32 s7, s3
	s_cbranch_execz .LBB776_189
; %bb.188:
	v_lshlrev_b32_e32 v4, 2, v0
	global_load_b32 v4, v4, s[4:5] offset:3072
.LBB776_189:
	s_wait_alu 0xfffe
	s_or_b32 exec_lo, exec_lo, s7
	s_wait_loadcnt 0x0
	v_cndmask_b32_e32 v5, 0, v2, vcc_lo
	v_mbcnt_lo_u32_b32 v2, -1, 0
	v_cndmask_b32_e64 v3, 0, v3, s2
	v_cndmask_b32_e64 v4, 0, v4, s3
	s_min_u32 s2, s6, 0x100
	v_add_nc_u32_e32 v1, v5, v1
	v_cmp_ne_u32_e32 vcc_lo, 31, v2
	s_mov_b32 s3, exec_lo
	s_delay_alu instid0(VALU_DEP_2) | instskip(SKIP_4) | instid1(VALU_DEP_3)
	v_add3_u32 v1, v1, v3, v4
	s_wait_alu 0xfffd
	v_add_co_ci_u32_e64 v5, null, 0, v2, vcc_lo
	v_and_b32_e32 v4, 0xe0, v0
	v_cmp_gt_u32_e32 vcc_lo, 30, v2
	v_lshlrev_b32_e32 v3, 2, v5
	v_add_nc_u32_e32 v5, 1, v2
	s_wait_alu 0xfffe
	v_sub_nc_u32_e64 v4, s2, v4 clamp
	s_wait_alu 0xfffd
	v_cndmask_b32_e64 v6, 0, 2, vcc_lo
	ds_bpermute_b32 v3, v3, v1
	v_cmp_lt_u32_e32 vcc_lo, v5, v4
	v_add_lshl_u32 v5, v6, v2, 2
	s_wait_dscnt 0x0
	s_wait_alu 0xfffd
	v_cndmask_b32_e32 v3, 0, v3, vcc_lo
	v_cmp_gt_u32_e32 vcc_lo, 28, v2
	s_delay_alu instid0(VALU_DEP_2) | instskip(SKIP_4) | instid1(VALU_DEP_1)
	v_add_nc_u32_e32 v1, v3, v1
	s_wait_alu 0xfffd
	v_cndmask_b32_e64 v6, 0, 4, vcc_lo
	ds_bpermute_b32 v3, v5, v1
	v_add_nc_u32_e32 v5, 2, v2
	v_cmp_lt_u32_e32 vcc_lo, v5, v4
	v_add_lshl_u32 v5, v6, v2, 2
	s_wait_dscnt 0x0
	s_wait_alu 0xfffd
	v_cndmask_b32_e32 v3, 0, v3, vcc_lo
	v_cmp_gt_u32_e32 vcc_lo, 24, v2
	s_delay_alu instid0(VALU_DEP_2) | instskip(SKIP_4) | instid1(VALU_DEP_1)
	v_add_nc_u32_e32 v1, v1, v3
	s_wait_alu 0xfffd
	v_cndmask_b32_e64 v6, 0, 8, vcc_lo
	ds_bpermute_b32 v3, v5, v1
	v_add_nc_u32_e32 v5, 4, v2
	v_cmp_lt_u32_e32 vcc_lo, v5, v4
	v_add_lshl_u32 v5, v6, v2, 2
	s_wait_dscnt 0x0
	s_wait_alu 0xfffd
	v_dual_cndmask_b32 v3, 0, v3 :: v_dual_add_nc_u32 v6, 8, v2
	s_delay_alu instid0(VALU_DEP_1) | instskip(NEXT) | instid1(VALU_DEP_2)
	v_cmp_lt_u32_e32 vcc_lo, v6, v4
	v_add_nc_u32_e32 v1, v1, v3
	v_lshlrev_b32_e32 v3, 2, v2
	ds_bpermute_b32 v5, v5, v1
	v_or_b32_e32 v6, 64, v3
	s_wait_dscnt 0x0
	s_wait_alu 0xfffd
	v_cndmask_b32_e32 v5, 0, v5, vcc_lo
	s_delay_alu instid0(VALU_DEP_1) | instskip(SKIP_2) | instid1(VALU_DEP_1)
	v_add_nc_u32_e32 v1, v1, v5
	ds_bpermute_b32 v5, v6, v1
	v_add_nc_u32_e32 v6, 16, v2
	v_cmp_lt_u32_e32 vcc_lo, v6, v4
	s_wait_dscnt 0x0
	s_wait_alu 0xfffd
	v_cndmask_b32_e32 v4, 0, v5, vcc_lo
	s_delay_alu instid0(VALU_DEP_1)
	v_add_nc_u32_e32 v1, v1, v4
	v_cmpx_eq_u32_e32 0, v2
; %bb.190:
	v_lshrrev_b32_e32 v4, 3, v0
	s_delay_alu instid0(VALU_DEP_1)
	v_and_b32_e32 v4, 28, v4
	ds_store_b32 v4, v1 offset:192
; %bb.191:
	s_or_b32 exec_lo, exec_lo, s3
	s_delay_alu instid0(SALU_CYCLE_1)
	s_mov_b32 s3, exec_lo
	s_wait_dscnt 0x0
	s_barrier_signal -1
	s_barrier_wait -1
	global_inv scope:SCOPE_SE
	v_cmpx_gt_u32_e32 8, v0
	s_cbranch_execz .LBB776_193
; %bb.192:
	ds_load_b32 v1, v3 offset:192
	v_and_b32_e32 v4, 7, v2
	s_add_co_i32 s2, s2, 31
	s_wait_alu 0xfffe
	s_lshr_b32 s2, s2, 5
	s_delay_alu instid0(VALU_DEP_1) | instskip(SKIP_4) | instid1(VALU_DEP_2)
	v_cmp_ne_u32_e32 vcc_lo, 7, v4
	v_add_nc_u32_e32 v6, 1, v4
	s_wait_alu 0xfffd
	v_add_co_ci_u32_e64 v5, null, 0, v2, vcc_lo
	v_cmp_gt_u32_e32 vcc_lo, 6, v4
	v_lshlrev_b32_e32 v5, 2, v5
	s_wait_alu 0xfffd
	v_cndmask_b32_e64 v7, 0, 2, vcc_lo
	s_wait_alu 0xfffe
	v_cmp_gt_u32_e32 vcc_lo, s2, v6
	s_wait_dscnt 0x0
	ds_bpermute_b32 v5, v5, v1
	v_add_lshl_u32 v2, v7, v2, 2
	s_wait_dscnt 0x0
	s_wait_alu 0xfffd
	v_cndmask_b32_e32 v5, 0, v5, vcc_lo
	s_delay_alu instid0(VALU_DEP_1)
	v_add_nc_u32_e32 v1, v5, v1
	v_add_nc_u32_e32 v5, 2, v4
	ds_bpermute_b32 v2, v2, v1
	v_cmp_gt_u32_e32 vcc_lo, s2, v5
	s_wait_dscnt 0x0
	s_wait_alu 0xfffd
	v_cndmask_b32_e32 v2, 0, v2, vcc_lo
	s_delay_alu instid0(VALU_DEP_1)
	v_add_nc_u32_e32 v1, v1, v2
	v_or_b32_e32 v2, 16, v3
	v_add_nc_u32_e32 v3, 4, v4
	ds_bpermute_b32 v2, v2, v1
	v_cmp_gt_u32_e32 vcc_lo, s2, v3
	s_wait_dscnt 0x0
	s_wait_alu 0xfffd
	v_cndmask_b32_e32 v2, 0, v2, vcc_lo
	s_delay_alu instid0(VALU_DEP_1)
	v_add_nc_u32_e32 v1, v1, v2
.LBB776_193:
	s_wait_alu 0xfffe
	s_or_b32 exec_lo, exec_lo, s3
.LBB776_194:
	v_cmp_eq_u32_e64 s2, 0, v0
	s_branch .LBB776_178
.LBB776_195:
	s_cmp_eq_u32 s33, 2
	s_cbranch_scc0 .LBB776_202
; %bb.196:
	s_mov_b32 s35, 0
	s_lshl_b32 s4, s34, 9
	s_mov_b32 s5, s35
	s_lshr_b64 s[2:3], s[38:39], 9
	s_lshl_b64 s[6:7], s[4:5], 2
	s_cmp_lg_u64 s[2:3], s[34:35]
	s_add_nc_u64 s[2:3], s[36:37], s[6:7]
	s_cbranch_scc0 .LBB776_203
; %bb.197:
	v_lshlrev_b32_e32 v1, 2, v0
	s_mov_b32 s5, exec_lo
	s_clause 0x1
	global_load_b32 v2, v1, s[2:3]
	global_load_b32 v1, v1, s[2:3] offset:1024
	s_wait_loadcnt 0x0
	v_add_nc_u32_e32 v1, v1, v2
	s_delay_alu instid0(VALU_DEP_1) | instskip(NEXT) | instid1(VALU_DEP_1)
	v_mov_b32_dpp v2, v1 quad_perm:[1,0,3,2] row_mask:0xf bank_mask:0xf
	v_add_nc_u32_e32 v1, v2, v1
	s_delay_alu instid0(VALU_DEP_1) | instskip(NEXT) | instid1(VALU_DEP_1)
	v_mov_b32_dpp v2, v1 quad_perm:[2,3,0,1] row_mask:0xf bank_mask:0xf
	v_add_nc_u32_e32 v1, v1, v2
	s_delay_alu instid0(VALU_DEP_1) | instskip(NEXT) | instid1(VALU_DEP_1)
	v_mov_b32_dpp v2, v1 row_ror:4 row_mask:0xf bank_mask:0xf
	v_add_nc_u32_e32 v1, v1, v2
	s_delay_alu instid0(VALU_DEP_1) | instskip(NEXT) | instid1(VALU_DEP_1)
	v_mov_b32_dpp v2, v1 row_ror:8 row_mask:0xf bank_mask:0xf
	v_add_nc_u32_e32 v1, v1, v2
	ds_swizzle_b32 v2, v1 offset:swizzle(BROADCAST,32,15)
	s_wait_dscnt 0x0
	v_dual_mov_b32 v2, 0 :: v_dual_add_nc_u32 v1, v1, v2
	ds_bpermute_b32 v1, v2, v1 offset:124
	v_mbcnt_lo_u32_b32 v2, -1, 0
	s_delay_alu instid0(VALU_DEP_1)
	v_cmpx_eq_u32_e32 0, v2
	s_cbranch_execz .LBB776_199
; %bb.198:
	v_lshrrev_b32_e32 v3, 3, v0
	s_delay_alu instid0(VALU_DEP_1)
	v_and_b32_e32 v3, 28, v3
	s_wait_dscnt 0x0
	ds_store_b32 v3, v1 offset:64
.LBB776_199:
	s_or_b32 exec_lo, exec_lo, s5
	s_delay_alu instid0(SALU_CYCLE_1)
	s_mov_b32 s5, exec_lo
	s_wait_dscnt 0x0
	s_barrier_signal -1
	s_barrier_wait -1
	global_inv scope:SCOPE_SE
	v_cmpx_gt_u32_e32 32, v0
	s_cbranch_execz .LBB776_201
; %bb.200:
	v_and_b32_e32 v1, 7, v2
	s_delay_alu instid0(VALU_DEP_1) | instskip(SKIP_4) | instid1(VALU_DEP_2)
	v_lshlrev_b32_e32 v3, 2, v1
	v_cmp_ne_u32_e32 vcc_lo, 7, v1
	ds_load_b32 v3, v3 offset:64
	v_add_co_ci_u32_e64 v4, null, 0, v2, vcc_lo
	v_cmp_gt_u32_e32 vcc_lo, 6, v1
	v_lshlrev_b32_e32 v4, 2, v4
	s_wait_alu 0xfffd
	v_cndmask_b32_e64 v1, 0, 2, vcc_lo
	s_delay_alu instid0(VALU_DEP_1) | instskip(SKIP_1) | instid1(VALU_DEP_1)
	v_add_lshl_u32 v1, v1, v2, 2
	v_lshlrev_b32_e32 v2, 2, v2
	v_or_b32_e32 v2, 16, v2
	s_wait_dscnt 0x0
	ds_bpermute_b32 v4, v4, v3
	s_wait_dscnt 0x0
	v_add_nc_u32_e32 v3, v4, v3
	ds_bpermute_b32 v1, v1, v3
	s_wait_dscnt 0x0
	v_add_nc_u32_e32 v1, v1, v3
	;; [unrolled: 3-line block ×3, first 2 shown]
.LBB776_201:
	s_or_b32 exec_lo, exec_lo, s5
	s_mov_b32 s5, 0
	s_branch .LBB776_204
.LBB776_202:
                                        ; implicit-def: $vgpr1
	s_branch .LBB776_224
.LBB776_203:
	s_mov_b32 s5, -1
                                        ; implicit-def: $vgpr1
.LBB776_204:
	s_delay_alu instid0(SALU_CYCLE_1)
	s_and_b32 vcc_lo, exec_lo, s5
	s_wait_alu 0xfffe
	s_cbranch_vccz .LBB776_214
; %bb.205:
	v_mov_b32_e32 v1, 0
	s_sub_co_i32 s4, s38, s4
	s_mov_b32 s5, exec_lo
	s_delay_alu instid0(VALU_DEP_1)
	v_mov_b32_e32 v2, v1
	v_cmpx_gt_u32_e64 s4, v0
	s_cbranch_execz .LBB776_207
; %bb.206:
	v_dual_mov_b32 v3, v1 :: v_dual_lshlrev_b32 v2, 2, v0
	global_load_b32 v2, v2, s[2:3]
	s_wait_loadcnt 0x0
	v_mov_b32_e32 v1, v2
	v_mov_b32_e32 v2, v3
.LBB776_207:
	s_or_b32 exec_lo, exec_lo, s5
	v_or_b32_e32 v3, 0x100, v0
	s_delay_alu instid0(VALU_DEP_1)
	v_cmp_gt_u32_e32 vcc_lo, s4, v3
	s_and_saveexec_b32 s5, vcc_lo
	s_cbranch_execz .LBB776_209
; %bb.208:
	v_lshlrev_b32_e32 v2, 2, v0
	global_load_b32 v2, v2, s[2:3] offset:1024
.LBB776_209:
	s_wait_alu 0xfffe
	s_or_b32 exec_lo, exec_lo, s5
	v_mbcnt_lo_u32_b32 v3, -1, 0
	s_wait_loadcnt 0x0
	v_cndmask_b32_e32 v2, 0, v2, vcc_lo
	s_min_u32 s2, s4, 0x100
	s_mov_b32 s3, exec_lo
	v_cmp_ne_u32_e32 vcc_lo, 31, v3
	v_add_nc_u32_e32 v5, 1, v3
	v_add_nc_u32_e32 v1, v2, v1
	s_wait_alu 0xfffd
	v_add_co_ci_u32_e64 v4, null, 0, v3, vcc_lo
	v_cmp_gt_u32_e32 vcc_lo, 30, v3
	s_delay_alu instid0(VALU_DEP_2)
	v_lshlrev_b32_e32 v2, 2, v4
	v_and_b32_e32 v4, 0xe0, v0
	s_wait_alu 0xfffd
	v_cndmask_b32_e64 v6, 0, 2, vcc_lo
	ds_bpermute_b32 v2, v2, v1
	v_sub_nc_u32_e64 v4, s2, v4 clamp
	s_delay_alu instid0(VALU_DEP_1)
	v_cmp_lt_u32_e32 vcc_lo, v5, v4
	v_add_lshl_u32 v5, v6, v3, 2
	s_wait_dscnt 0x0
	s_wait_alu 0xfffd
	v_cndmask_b32_e32 v2, 0, v2, vcc_lo
	v_cmp_gt_u32_e32 vcc_lo, 28, v3
	s_delay_alu instid0(VALU_DEP_2) | instskip(SKIP_4) | instid1(VALU_DEP_1)
	v_add_nc_u32_e32 v1, v2, v1
	s_wait_alu 0xfffd
	v_cndmask_b32_e64 v6, 0, 4, vcc_lo
	ds_bpermute_b32 v2, v5, v1
	v_add_nc_u32_e32 v5, 2, v3
	v_cmp_lt_u32_e32 vcc_lo, v5, v4
	v_add_lshl_u32 v5, v6, v3, 2
	s_wait_dscnt 0x0
	s_wait_alu 0xfffd
	v_cndmask_b32_e32 v2, 0, v2, vcc_lo
	v_cmp_gt_u32_e32 vcc_lo, 24, v3
	s_delay_alu instid0(VALU_DEP_2) | instskip(SKIP_4) | instid1(VALU_DEP_1)
	v_add_nc_u32_e32 v1, v1, v2
	s_wait_alu 0xfffd
	v_cndmask_b32_e64 v6, 0, 8, vcc_lo
	ds_bpermute_b32 v2, v5, v1
	v_add_nc_u32_e32 v5, 4, v3
	v_cmp_lt_u32_e32 vcc_lo, v5, v4
	v_add_lshl_u32 v5, v6, v3, 2
	v_add_nc_u32_e32 v6, 8, v3
	s_wait_dscnt 0x0
	s_wait_alu 0xfffd
	v_cndmask_b32_e32 v2, 0, v2, vcc_lo
	s_delay_alu instid0(VALU_DEP_2) | instskip(NEXT) | instid1(VALU_DEP_2)
	v_cmp_lt_u32_e32 vcc_lo, v6, v4
	v_add_nc_u32_e32 v1, v1, v2
	v_lshlrev_b32_e32 v2, 2, v3
	ds_bpermute_b32 v5, v5, v1
	v_or_b32_e32 v6, 64, v2
	s_wait_dscnt 0x0
	s_wait_alu 0xfffd
	v_cndmask_b32_e32 v5, 0, v5, vcc_lo
	s_delay_alu instid0(VALU_DEP_1) | instskip(SKIP_2) | instid1(VALU_DEP_1)
	v_add_nc_u32_e32 v1, v1, v5
	ds_bpermute_b32 v5, v6, v1
	v_add_nc_u32_e32 v6, 16, v3
	v_cmp_lt_u32_e32 vcc_lo, v6, v4
	s_wait_dscnt 0x0
	s_wait_alu 0xfffd
	v_cndmask_b32_e32 v4, 0, v5, vcc_lo
	s_delay_alu instid0(VALU_DEP_1)
	v_add_nc_u32_e32 v1, v1, v4
	v_cmpx_eq_u32_e32 0, v3
; %bb.210:
	v_lshrrev_b32_e32 v4, 3, v0
	s_delay_alu instid0(VALU_DEP_1)
	v_and_b32_e32 v4, 28, v4
	ds_store_b32 v4, v1 offset:192
; %bb.211:
	s_or_b32 exec_lo, exec_lo, s3
	s_delay_alu instid0(SALU_CYCLE_1)
	s_mov_b32 s3, exec_lo
	s_wait_dscnt 0x0
	s_barrier_signal -1
	s_barrier_wait -1
	global_inv scope:SCOPE_SE
	v_cmpx_gt_u32_e32 8, v0
	s_cbranch_execz .LBB776_213
; %bb.212:
	ds_load_b32 v1, v2 offset:192
	v_and_b32_e32 v4, 7, v3
	s_add_co_i32 s2, s2, 31
	v_or_b32_e32 v2, 16, v2
	s_wait_alu 0xfffe
	s_lshr_b32 s2, s2, 5
	v_cmp_ne_u32_e32 vcc_lo, 7, v4
	v_add_nc_u32_e32 v6, 1, v4
	s_wait_alu 0xfffd
	v_add_co_ci_u32_e64 v5, null, 0, v3, vcc_lo
	v_cmp_gt_u32_e32 vcc_lo, 6, v4
	s_delay_alu instid0(VALU_DEP_2)
	v_lshlrev_b32_e32 v5, 2, v5
	s_wait_alu 0xfffd
	v_cndmask_b32_e64 v7, 0, 2, vcc_lo
	s_wait_alu 0xfffe
	v_cmp_gt_u32_e32 vcc_lo, s2, v6
	s_wait_dscnt 0x0
	ds_bpermute_b32 v5, v5, v1
	v_add_lshl_u32 v3, v7, v3, 2
	s_wait_dscnt 0x0
	s_wait_alu 0xfffd
	v_cndmask_b32_e32 v5, 0, v5, vcc_lo
	s_delay_alu instid0(VALU_DEP_1)
	v_add_nc_u32_e32 v1, v5, v1
	v_add_nc_u32_e32 v5, 2, v4
	ds_bpermute_b32 v3, v3, v1
	v_cmp_gt_u32_e32 vcc_lo, s2, v5
	s_wait_dscnt 0x0
	s_wait_alu 0xfffd
	v_cndmask_b32_e32 v3, 0, v3, vcc_lo
	s_delay_alu instid0(VALU_DEP_1)
	v_add_nc_u32_e32 v1, v1, v3
	v_add_nc_u32_e32 v3, 4, v4
	ds_bpermute_b32 v2, v2, v1
	v_cmp_gt_u32_e32 vcc_lo, s2, v3
	s_wait_dscnt 0x0
	s_wait_alu 0xfffd
	v_cndmask_b32_e32 v2, 0, v2, vcc_lo
	s_delay_alu instid0(VALU_DEP_1)
	v_add_nc_u32_e32 v1, v1, v2
.LBB776_213:
	s_wait_alu 0xfffe
	s_or_b32 exec_lo, exec_lo, s3
.LBB776_214:
	v_cmp_eq_u32_e64 s2, 0, v0
	s_branch .LBB776_224
.LBB776_215:
	s_cmp_eq_u32 s33, 1
	s_cbranch_scc0 .LBB776_223
; %bb.216:
	s_mov_b32 s3, 0
	v_mbcnt_lo_u32_b32 v2, -1, 0
	s_lshr_b64 s[4:5], s[38:39], 8
	s_mov_b32 s35, s3
	s_lshl_b32 s2, s34, 8
	s_cmp_lg_u64 s[4:5], s[34:35]
	s_cbranch_scc0 .LBB776_227
; %bb.217:
	v_lshlrev_b32_e32 v1, 2, v0
	s_lshl_b64 s[4:5], s[2:3], 2
	s_delay_alu instid0(SALU_CYCLE_1) | instskip(SKIP_4) | instid1(VALU_DEP_1)
	s_add_nc_u64 s[4:5], s[36:37], s[4:5]
	global_load_b32 v1, v1, s[4:5]
	s_mov_b32 s4, exec_lo
	s_wait_loadcnt 0x0
	v_mov_b32_dpp v3, v1 quad_perm:[1,0,3,2] row_mask:0xf bank_mask:0xf
	v_add_nc_u32_e32 v1, v3, v1
	s_delay_alu instid0(VALU_DEP_1) | instskip(NEXT) | instid1(VALU_DEP_1)
	v_mov_b32_dpp v3, v1 quad_perm:[2,3,0,1] row_mask:0xf bank_mask:0xf
	v_add_nc_u32_e32 v1, v1, v3
	s_delay_alu instid0(VALU_DEP_1) | instskip(NEXT) | instid1(VALU_DEP_1)
	v_mov_b32_dpp v3, v1 row_ror:4 row_mask:0xf bank_mask:0xf
	v_add_nc_u32_e32 v1, v1, v3
	s_delay_alu instid0(VALU_DEP_1) | instskip(NEXT) | instid1(VALU_DEP_1)
	v_mov_b32_dpp v3, v1 row_ror:8 row_mask:0xf bank_mask:0xf
	v_add_nc_u32_e32 v1, v1, v3
	ds_swizzle_b32 v3, v1 offset:swizzle(BROADCAST,32,15)
	s_wait_dscnt 0x0
	v_add_nc_u32_e32 v1, v1, v3
	v_mov_b32_e32 v3, 0
	ds_bpermute_b32 v1, v3, v1 offset:124
	v_cmpx_eq_u32_e32 0, v2
	s_cbranch_execz .LBB776_219
; %bb.218:
	v_lshrrev_b32_e32 v3, 3, v0
	s_delay_alu instid0(VALU_DEP_1)
	v_and_b32_e32 v3, 28, v3
	s_wait_dscnt 0x0
	ds_store_b32 v3, v1 offset:32
.LBB776_219:
	s_or_b32 exec_lo, exec_lo, s4
	s_delay_alu instid0(SALU_CYCLE_1)
	s_mov_b32 s4, exec_lo
	s_wait_dscnt 0x0
	s_barrier_signal -1
	s_barrier_wait -1
	global_inv scope:SCOPE_SE
	v_cmpx_gt_u32_e32 32, v0
	s_cbranch_execz .LBB776_221
; %bb.220:
	v_and_b32_e32 v1, 7, v2
	s_delay_alu instid0(VALU_DEP_1) | instskip(SKIP_4) | instid1(VALU_DEP_2)
	v_lshlrev_b32_e32 v3, 2, v1
	v_cmp_ne_u32_e32 vcc_lo, 7, v1
	ds_load_b32 v3, v3 offset:32
	v_add_co_ci_u32_e64 v4, null, 0, v2, vcc_lo
	v_cmp_gt_u32_e32 vcc_lo, 6, v1
	v_lshlrev_b32_e32 v4, 2, v4
	s_wait_alu 0xfffd
	v_cndmask_b32_e64 v1, 0, 2, vcc_lo
	s_delay_alu instid0(VALU_DEP_1)
	v_add_lshl_u32 v1, v1, v2, 2
	s_wait_dscnt 0x0
	ds_bpermute_b32 v4, v4, v3
	s_wait_dscnt 0x0
	v_add_nc_u32_e32 v3, v4, v3
	v_lshlrev_b32_e32 v4, 2, v2
	ds_bpermute_b32 v1, v1, v3
	s_wait_dscnt 0x0
	v_add_nc_u32_e32 v1, v1, v3
	v_or_b32_e32 v3, 16, v4
	ds_bpermute_b32 v3, v3, v1
	s_wait_dscnt 0x0
	v_add_nc_u32_e32 v1, v3, v1
.LBB776_221:
	s_or_b32 exec_lo, exec_lo, s4
.LBB776_222:
	v_cmp_eq_u32_e64 s2, 0, v0
	s_and_saveexec_b32 s3, s2
	s_cbranch_execnz .LBB776_225
	s_branch .LBB776_226
.LBB776_223:
                                        ; implicit-def: $vgpr1
                                        ; implicit-def: $sgpr34_sgpr35
.LBB776_224:
	s_delay_alu instid0(VALU_DEP_1)
	s_and_saveexec_b32 s3, s2
	s_cbranch_execz .LBB776_226
.LBB776_225:
	s_load_b96 s[0:2], s[0:1], 0x18
	s_lshl_b64 s[4:5], s[34:35], 2
	s_cmp_lg_u64 s[38:39], 0
	s_cselect_b32 vcc_lo, -1, 0
	s_wait_alu 0xfffe
	v_dual_cndmask_b32 v0, 0, v1 :: v_dual_mov_b32 v1, 0
	s_wait_kmcnt 0x0
	s_delay_alu instid0(VALU_DEP_1)
	v_add_nc_u32_e32 v0, s2, v0
	s_add_nc_u64 s[0:1], s[0:1], s[4:5]
	global_store_b32 v1, v0, s[0:1]
.LBB776_226:
	s_endpgm
.LBB776_227:
                                        ; implicit-def: $vgpr1
	s_cbranch_execz .LBB776_222
; %bb.228:
	s_sub_co_i32 s4, s38, s2
	s_mov_b32 s5, exec_lo
                                        ; implicit-def: $vgpr1
	v_cmpx_gt_u32_e64 s4, v0
	s_cbranch_execz .LBB776_230
; %bb.229:
	v_lshlrev_b32_e32 v1, 2, v0
	s_lshl_b64 s[2:3], s[2:3], 2
	s_delay_alu instid0(SALU_CYCLE_1)
	s_add_nc_u64 s[2:3], s[36:37], s[2:3]
	global_load_b32 v1, v1, s[2:3]
.LBB776_230:
	s_or_b32 exec_lo, exec_lo, s5
	v_cmp_ne_u32_e32 vcc_lo, 31, v2
	s_min_u32 s2, s4, 0x100
	v_add_nc_u32_e32 v5, 1, v2
	s_mov_b32 s3, exec_lo
	v_add_co_ci_u32_e64 v3, null, 0, v2, vcc_lo
	v_cmp_gt_u32_e32 vcc_lo, 30, v2
	s_delay_alu instid0(VALU_DEP_2)
	v_lshlrev_b32_e32 v3, 2, v3
	s_wait_alu 0xfffd
	v_cndmask_b32_e64 v6, 0, 2, vcc_lo
	s_wait_loadcnt 0x0
	ds_bpermute_b32 v3, v3, v1
	v_and_b32_e32 v4, 0xe0, v0
	s_delay_alu instid0(VALU_DEP_1) | instskip(NEXT) | instid1(VALU_DEP_1)
	v_sub_nc_u32_e64 v4, s2, v4 clamp
	v_cmp_lt_u32_e32 vcc_lo, v5, v4
	v_add_lshl_u32 v5, v6, v2, 2
	s_wait_dscnt 0x0
	s_wait_alu 0xfffd
	v_cndmask_b32_e32 v3, 0, v3, vcc_lo
	v_cmp_gt_u32_e32 vcc_lo, 28, v2
	s_delay_alu instid0(VALU_DEP_2) | instskip(SKIP_4) | instid1(VALU_DEP_1)
	v_add_nc_u32_e32 v1, v3, v1
	s_wait_alu 0xfffd
	v_cndmask_b32_e64 v6, 0, 4, vcc_lo
	ds_bpermute_b32 v3, v5, v1
	v_add_nc_u32_e32 v5, 2, v2
	v_cmp_lt_u32_e32 vcc_lo, v5, v4
	v_add_lshl_u32 v5, v6, v2, 2
	s_wait_dscnt 0x0
	s_wait_alu 0xfffd
	v_cndmask_b32_e32 v3, 0, v3, vcc_lo
	v_cmp_gt_u32_e32 vcc_lo, 24, v2
	s_delay_alu instid0(VALU_DEP_2) | instskip(SKIP_4) | instid1(VALU_DEP_1)
	v_add_nc_u32_e32 v1, v1, v3
	s_wait_alu 0xfffd
	v_cndmask_b32_e64 v6, 0, 8, vcc_lo
	ds_bpermute_b32 v3, v5, v1
	v_add_nc_u32_e32 v5, 4, v2
	v_cmp_lt_u32_e32 vcc_lo, v5, v4
	v_add_lshl_u32 v5, v6, v2, 2
	s_wait_dscnt 0x0
	s_wait_alu 0xfffd
	v_dual_cndmask_b32 v3, 0, v3 :: v_dual_add_nc_u32 v6, 8, v2
	s_delay_alu instid0(VALU_DEP_1) | instskip(NEXT) | instid1(VALU_DEP_2)
	v_cmp_lt_u32_e32 vcc_lo, v6, v4
	v_add_nc_u32_e32 v1, v1, v3
	v_lshlrev_b32_e32 v3, 2, v2
	ds_bpermute_b32 v5, v5, v1
	v_or_b32_e32 v6, 64, v3
	s_wait_dscnt 0x0
	s_wait_alu 0xfffd
	v_cndmask_b32_e32 v5, 0, v5, vcc_lo
	s_delay_alu instid0(VALU_DEP_1) | instskip(SKIP_2) | instid1(VALU_DEP_1)
	v_add_nc_u32_e32 v1, v1, v5
	ds_bpermute_b32 v5, v6, v1
	v_add_nc_u32_e32 v6, 16, v2
	v_cmp_lt_u32_e32 vcc_lo, v6, v4
	s_wait_dscnt 0x0
	s_wait_alu 0xfffd
	v_cndmask_b32_e32 v4, 0, v5, vcc_lo
	s_delay_alu instid0(VALU_DEP_1)
	v_add_nc_u32_e32 v1, v1, v4
	v_cmpx_eq_u32_e32 0, v2
; %bb.231:
	v_lshrrev_b32_e32 v4, 3, v0
	s_delay_alu instid0(VALU_DEP_1)
	v_and_b32_e32 v4, 28, v4
	ds_store_b32 v4, v1 offset:192
; %bb.232:
	s_or_b32 exec_lo, exec_lo, s3
	s_delay_alu instid0(SALU_CYCLE_1)
	s_mov_b32 s3, exec_lo
	s_wait_dscnt 0x0
	s_barrier_signal -1
	s_barrier_wait -1
	global_inv scope:SCOPE_SE
	v_cmpx_gt_u32_e32 8, v0
	s_cbranch_execz .LBB776_234
; %bb.233:
	ds_load_b32 v1, v3 offset:192
	v_and_b32_e32 v4, 7, v2
	s_add_co_i32 s2, s2, 31
	s_wait_alu 0xfffe
	s_lshr_b32 s2, s2, 5
	s_delay_alu instid0(VALU_DEP_1) | instskip(SKIP_4) | instid1(VALU_DEP_2)
	v_cmp_ne_u32_e32 vcc_lo, 7, v4
	v_add_nc_u32_e32 v6, 1, v4
	s_wait_alu 0xfffd
	v_add_co_ci_u32_e64 v5, null, 0, v2, vcc_lo
	v_cmp_gt_u32_e32 vcc_lo, 6, v4
	v_lshlrev_b32_e32 v5, 2, v5
	s_wait_alu 0xfffd
	v_cndmask_b32_e64 v7, 0, 2, vcc_lo
	s_wait_alu 0xfffe
	v_cmp_gt_u32_e32 vcc_lo, s2, v6
	s_wait_dscnt 0x0
	ds_bpermute_b32 v5, v5, v1
	v_add_lshl_u32 v2, v7, v2, 2
	s_wait_dscnt 0x0
	s_wait_alu 0xfffd
	v_cndmask_b32_e32 v5, 0, v5, vcc_lo
	s_delay_alu instid0(VALU_DEP_1)
	v_add_nc_u32_e32 v1, v5, v1
	v_add_nc_u32_e32 v5, 2, v4
	ds_bpermute_b32 v2, v2, v1
	v_cmp_gt_u32_e32 vcc_lo, s2, v5
	s_wait_dscnt 0x0
	s_wait_alu 0xfffd
	v_cndmask_b32_e32 v2, 0, v2, vcc_lo
	s_delay_alu instid0(VALU_DEP_1)
	v_add_nc_u32_e32 v1, v1, v2
	v_or_b32_e32 v2, 16, v3
	v_add_nc_u32_e32 v3, 4, v4
	ds_bpermute_b32 v2, v2, v1
	v_cmp_gt_u32_e32 vcc_lo, s2, v3
	s_wait_dscnt 0x0
	s_wait_alu 0xfffd
	v_cndmask_b32_e32 v2, 0, v2, vcc_lo
	s_delay_alu instid0(VALU_DEP_1)
	v_add_nc_u32_e32 v1, v1, v2
.LBB776_234:
	s_wait_alu 0xfffe
	s_or_b32 exec_lo, exec_lo, s3
	v_cmp_eq_u32_e64 s2, 0, v0
	s_and_saveexec_b32 s3, s2
	s_cbranch_execnz .LBB776_225
	s_branch .LBB776_226
	.section	.rodata,"a",@progbits
	.p2align	6, 0x0
	.amdhsa_kernel _ZN7rocprim17ROCPRIM_400000_NS6detail17trampoline_kernelINS0_14default_configENS1_22reduce_config_selectorIiEEZNS1_11reduce_implILb1ES3_PiS7_iN6hipcub16HIPCUB_304000_NS6detail34convert_binary_result_type_wrapperINS9_3SumENS9_22TransformInputIteratorIbN2at6native12_GLOBAL__N_19NonZeroOpIN3c108BFloat16EEEPKSJ_lEEiEEEE10hipError_tPvRmT1_T2_T3_mT4_P12ihipStream_tbEUlT_E1_NS1_11comp_targetILNS1_3genE10ELNS1_11target_archE1201ELNS1_3gpuE5ELNS1_3repE0EEENS1_30default_config_static_selectorELNS0_4arch9wavefront6targetE0EEEvSS_
		.amdhsa_group_segment_fixed_size 224
		.amdhsa_private_segment_fixed_size 0
		.amdhsa_kernarg_size 40
		.amdhsa_user_sgpr_count 2
		.amdhsa_user_sgpr_dispatch_ptr 0
		.amdhsa_user_sgpr_queue_ptr 0
		.amdhsa_user_sgpr_kernarg_segment_ptr 1
		.amdhsa_user_sgpr_dispatch_id 0
		.amdhsa_user_sgpr_private_segment_size 0
		.amdhsa_wavefront_size32 1
		.amdhsa_uses_dynamic_stack 0
		.amdhsa_enable_private_segment 0
		.amdhsa_system_sgpr_workgroup_id_x 1
		.amdhsa_system_sgpr_workgroup_id_y 0
		.amdhsa_system_sgpr_workgroup_id_z 0
		.amdhsa_system_sgpr_workgroup_info 0
		.amdhsa_system_vgpr_workitem_id 0
		.amdhsa_next_free_vgpr 34
		.amdhsa_next_free_sgpr 45
		.amdhsa_reserve_vcc 1
		.amdhsa_float_round_mode_32 0
		.amdhsa_float_round_mode_16_64 0
		.amdhsa_float_denorm_mode_32 3
		.amdhsa_float_denorm_mode_16_64 3
		.amdhsa_fp16_overflow 0
		.amdhsa_workgroup_processor_mode 1
		.amdhsa_memory_ordered 1
		.amdhsa_forward_progress 1
		.amdhsa_inst_pref_size 93
		.amdhsa_round_robin_scheduling 0
		.amdhsa_exception_fp_ieee_invalid_op 0
		.amdhsa_exception_fp_denorm_src 0
		.amdhsa_exception_fp_ieee_div_zero 0
		.amdhsa_exception_fp_ieee_overflow 0
		.amdhsa_exception_fp_ieee_underflow 0
		.amdhsa_exception_fp_ieee_inexact 0
		.amdhsa_exception_int_div_zero 0
	.end_amdhsa_kernel
	.section	.text._ZN7rocprim17ROCPRIM_400000_NS6detail17trampoline_kernelINS0_14default_configENS1_22reduce_config_selectorIiEEZNS1_11reduce_implILb1ES3_PiS7_iN6hipcub16HIPCUB_304000_NS6detail34convert_binary_result_type_wrapperINS9_3SumENS9_22TransformInputIteratorIbN2at6native12_GLOBAL__N_19NonZeroOpIN3c108BFloat16EEEPKSJ_lEEiEEEE10hipError_tPvRmT1_T2_T3_mT4_P12ihipStream_tbEUlT_E1_NS1_11comp_targetILNS1_3genE10ELNS1_11target_archE1201ELNS1_3gpuE5ELNS1_3repE0EEENS1_30default_config_static_selectorELNS0_4arch9wavefront6targetE0EEEvSS_,"axG",@progbits,_ZN7rocprim17ROCPRIM_400000_NS6detail17trampoline_kernelINS0_14default_configENS1_22reduce_config_selectorIiEEZNS1_11reduce_implILb1ES3_PiS7_iN6hipcub16HIPCUB_304000_NS6detail34convert_binary_result_type_wrapperINS9_3SumENS9_22TransformInputIteratorIbN2at6native12_GLOBAL__N_19NonZeroOpIN3c108BFloat16EEEPKSJ_lEEiEEEE10hipError_tPvRmT1_T2_T3_mT4_P12ihipStream_tbEUlT_E1_NS1_11comp_targetILNS1_3genE10ELNS1_11target_archE1201ELNS1_3gpuE5ELNS1_3repE0EEENS1_30default_config_static_selectorELNS0_4arch9wavefront6targetE0EEEvSS_,comdat
.Lfunc_end776:
	.size	_ZN7rocprim17ROCPRIM_400000_NS6detail17trampoline_kernelINS0_14default_configENS1_22reduce_config_selectorIiEEZNS1_11reduce_implILb1ES3_PiS7_iN6hipcub16HIPCUB_304000_NS6detail34convert_binary_result_type_wrapperINS9_3SumENS9_22TransformInputIteratorIbN2at6native12_GLOBAL__N_19NonZeroOpIN3c108BFloat16EEEPKSJ_lEEiEEEE10hipError_tPvRmT1_T2_T3_mT4_P12ihipStream_tbEUlT_E1_NS1_11comp_targetILNS1_3genE10ELNS1_11target_archE1201ELNS1_3gpuE5ELNS1_3repE0EEENS1_30default_config_static_selectorELNS0_4arch9wavefront6targetE0EEEvSS_, .Lfunc_end776-_ZN7rocprim17ROCPRIM_400000_NS6detail17trampoline_kernelINS0_14default_configENS1_22reduce_config_selectorIiEEZNS1_11reduce_implILb1ES3_PiS7_iN6hipcub16HIPCUB_304000_NS6detail34convert_binary_result_type_wrapperINS9_3SumENS9_22TransformInputIteratorIbN2at6native12_GLOBAL__N_19NonZeroOpIN3c108BFloat16EEEPKSJ_lEEiEEEE10hipError_tPvRmT1_T2_T3_mT4_P12ihipStream_tbEUlT_E1_NS1_11comp_targetILNS1_3genE10ELNS1_11target_archE1201ELNS1_3gpuE5ELNS1_3repE0EEENS1_30default_config_static_selectorELNS0_4arch9wavefront6targetE0EEEvSS_
                                        ; -- End function
	.set _ZN7rocprim17ROCPRIM_400000_NS6detail17trampoline_kernelINS0_14default_configENS1_22reduce_config_selectorIiEEZNS1_11reduce_implILb1ES3_PiS7_iN6hipcub16HIPCUB_304000_NS6detail34convert_binary_result_type_wrapperINS9_3SumENS9_22TransformInputIteratorIbN2at6native12_GLOBAL__N_19NonZeroOpIN3c108BFloat16EEEPKSJ_lEEiEEEE10hipError_tPvRmT1_T2_T3_mT4_P12ihipStream_tbEUlT_E1_NS1_11comp_targetILNS1_3genE10ELNS1_11target_archE1201ELNS1_3gpuE5ELNS1_3repE0EEENS1_30default_config_static_selectorELNS0_4arch9wavefront6targetE0EEEvSS_.num_vgpr, 34
	.set _ZN7rocprim17ROCPRIM_400000_NS6detail17trampoline_kernelINS0_14default_configENS1_22reduce_config_selectorIiEEZNS1_11reduce_implILb1ES3_PiS7_iN6hipcub16HIPCUB_304000_NS6detail34convert_binary_result_type_wrapperINS9_3SumENS9_22TransformInputIteratorIbN2at6native12_GLOBAL__N_19NonZeroOpIN3c108BFloat16EEEPKSJ_lEEiEEEE10hipError_tPvRmT1_T2_T3_mT4_P12ihipStream_tbEUlT_E1_NS1_11comp_targetILNS1_3genE10ELNS1_11target_archE1201ELNS1_3gpuE5ELNS1_3repE0EEENS1_30default_config_static_selectorELNS0_4arch9wavefront6targetE0EEEvSS_.num_agpr, 0
	.set _ZN7rocprim17ROCPRIM_400000_NS6detail17trampoline_kernelINS0_14default_configENS1_22reduce_config_selectorIiEEZNS1_11reduce_implILb1ES3_PiS7_iN6hipcub16HIPCUB_304000_NS6detail34convert_binary_result_type_wrapperINS9_3SumENS9_22TransformInputIteratorIbN2at6native12_GLOBAL__N_19NonZeroOpIN3c108BFloat16EEEPKSJ_lEEiEEEE10hipError_tPvRmT1_T2_T3_mT4_P12ihipStream_tbEUlT_E1_NS1_11comp_targetILNS1_3genE10ELNS1_11target_archE1201ELNS1_3gpuE5ELNS1_3repE0EEENS1_30default_config_static_selectorELNS0_4arch9wavefront6targetE0EEEvSS_.numbered_sgpr, 45
	.set _ZN7rocprim17ROCPRIM_400000_NS6detail17trampoline_kernelINS0_14default_configENS1_22reduce_config_selectorIiEEZNS1_11reduce_implILb1ES3_PiS7_iN6hipcub16HIPCUB_304000_NS6detail34convert_binary_result_type_wrapperINS9_3SumENS9_22TransformInputIteratorIbN2at6native12_GLOBAL__N_19NonZeroOpIN3c108BFloat16EEEPKSJ_lEEiEEEE10hipError_tPvRmT1_T2_T3_mT4_P12ihipStream_tbEUlT_E1_NS1_11comp_targetILNS1_3genE10ELNS1_11target_archE1201ELNS1_3gpuE5ELNS1_3repE0EEENS1_30default_config_static_selectorELNS0_4arch9wavefront6targetE0EEEvSS_.num_named_barrier, 0
	.set _ZN7rocprim17ROCPRIM_400000_NS6detail17trampoline_kernelINS0_14default_configENS1_22reduce_config_selectorIiEEZNS1_11reduce_implILb1ES3_PiS7_iN6hipcub16HIPCUB_304000_NS6detail34convert_binary_result_type_wrapperINS9_3SumENS9_22TransformInputIteratorIbN2at6native12_GLOBAL__N_19NonZeroOpIN3c108BFloat16EEEPKSJ_lEEiEEEE10hipError_tPvRmT1_T2_T3_mT4_P12ihipStream_tbEUlT_E1_NS1_11comp_targetILNS1_3genE10ELNS1_11target_archE1201ELNS1_3gpuE5ELNS1_3repE0EEENS1_30default_config_static_selectorELNS0_4arch9wavefront6targetE0EEEvSS_.private_seg_size, 0
	.set _ZN7rocprim17ROCPRIM_400000_NS6detail17trampoline_kernelINS0_14default_configENS1_22reduce_config_selectorIiEEZNS1_11reduce_implILb1ES3_PiS7_iN6hipcub16HIPCUB_304000_NS6detail34convert_binary_result_type_wrapperINS9_3SumENS9_22TransformInputIteratorIbN2at6native12_GLOBAL__N_19NonZeroOpIN3c108BFloat16EEEPKSJ_lEEiEEEE10hipError_tPvRmT1_T2_T3_mT4_P12ihipStream_tbEUlT_E1_NS1_11comp_targetILNS1_3genE10ELNS1_11target_archE1201ELNS1_3gpuE5ELNS1_3repE0EEENS1_30default_config_static_selectorELNS0_4arch9wavefront6targetE0EEEvSS_.uses_vcc, 1
	.set _ZN7rocprim17ROCPRIM_400000_NS6detail17trampoline_kernelINS0_14default_configENS1_22reduce_config_selectorIiEEZNS1_11reduce_implILb1ES3_PiS7_iN6hipcub16HIPCUB_304000_NS6detail34convert_binary_result_type_wrapperINS9_3SumENS9_22TransformInputIteratorIbN2at6native12_GLOBAL__N_19NonZeroOpIN3c108BFloat16EEEPKSJ_lEEiEEEE10hipError_tPvRmT1_T2_T3_mT4_P12ihipStream_tbEUlT_E1_NS1_11comp_targetILNS1_3genE10ELNS1_11target_archE1201ELNS1_3gpuE5ELNS1_3repE0EEENS1_30default_config_static_selectorELNS0_4arch9wavefront6targetE0EEEvSS_.uses_flat_scratch, 0
	.set _ZN7rocprim17ROCPRIM_400000_NS6detail17trampoline_kernelINS0_14default_configENS1_22reduce_config_selectorIiEEZNS1_11reduce_implILb1ES3_PiS7_iN6hipcub16HIPCUB_304000_NS6detail34convert_binary_result_type_wrapperINS9_3SumENS9_22TransformInputIteratorIbN2at6native12_GLOBAL__N_19NonZeroOpIN3c108BFloat16EEEPKSJ_lEEiEEEE10hipError_tPvRmT1_T2_T3_mT4_P12ihipStream_tbEUlT_E1_NS1_11comp_targetILNS1_3genE10ELNS1_11target_archE1201ELNS1_3gpuE5ELNS1_3repE0EEENS1_30default_config_static_selectorELNS0_4arch9wavefront6targetE0EEEvSS_.has_dyn_sized_stack, 0
	.set _ZN7rocprim17ROCPRIM_400000_NS6detail17trampoline_kernelINS0_14default_configENS1_22reduce_config_selectorIiEEZNS1_11reduce_implILb1ES3_PiS7_iN6hipcub16HIPCUB_304000_NS6detail34convert_binary_result_type_wrapperINS9_3SumENS9_22TransformInputIteratorIbN2at6native12_GLOBAL__N_19NonZeroOpIN3c108BFloat16EEEPKSJ_lEEiEEEE10hipError_tPvRmT1_T2_T3_mT4_P12ihipStream_tbEUlT_E1_NS1_11comp_targetILNS1_3genE10ELNS1_11target_archE1201ELNS1_3gpuE5ELNS1_3repE0EEENS1_30default_config_static_selectorELNS0_4arch9wavefront6targetE0EEEvSS_.has_recursion, 0
	.set _ZN7rocprim17ROCPRIM_400000_NS6detail17trampoline_kernelINS0_14default_configENS1_22reduce_config_selectorIiEEZNS1_11reduce_implILb1ES3_PiS7_iN6hipcub16HIPCUB_304000_NS6detail34convert_binary_result_type_wrapperINS9_3SumENS9_22TransformInputIteratorIbN2at6native12_GLOBAL__N_19NonZeroOpIN3c108BFloat16EEEPKSJ_lEEiEEEE10hipError_tPvRmT1_T2_T3_mT4_P12ihipStream_tbEUlT_E1_NS1_11comp_targetILNS1_3genE10ELNS1_11target_archE1201ELNS1_3gpuE5ELNS1_3repE0EEENS1_30default_config_static_selectorELNS0_4arch9wavefront6targetE0EEEvSS_.has_indirect_call, 0
	.section	.AMDGPU.csdata,"",@progbits
; Kernel info:
; codeLenInByte = 11904
; TotalNumSgprs: 47
; NumVgprs: 34
; ScratchSize: 0
; MemoryBound: 0
; FloatMode: 240
; IeeeMode: 1
; LDSByteSize: 224 bytes/workgroup (compile time only)
; SGPRBlocks: 0
; VGPRBlocks: 4
; NumSGPRsForWavesPerEU: 47
; NumVGPRsForWavesPerEU: 34
; Occupancy: 16
; WaveLimiterHint : 1
; COMPUTE_PGM_RSRC2:SCRATCH_EN: 0
; COMPUTE_PGM_RSRC2:USER_SGPR: 2
; COMPUTE_PGM_RSRC2:TRAP_HANDLER: 0
; COMPUTE_PGM_RSRC2:TGID_X_EN: 1
; COMPUTE_PGM_RSRC2:TGID_Y_EN: 0
; COMPUTE_PGM_RSRC2:TGID_Z_EN: 0
; COMPUTE_PGM_RSRC2:TIDIG_COMP_CNT: 0
	.section	.text._ZN7rocprim17ROCPRIM_400000_NS6detail17trampoline_kernelINS0_14default_configENS1_22reduce_config_selectorIiEEZNS1_11reduce_implILb1ES3_PiS7_iN6hipcub16HIPCUB_304000_NS6detail34convert_binary_result_type_wrapperINS9_3SumENS9_22TransformInputIteratorIbN2at6native12_GLOBAL__N_19NonZeroOpIN3c108BFloat16EEEPKSJ_lEEiEEEE10hipError_tPvRmT1_T2_T3_mT4_P12ihipStream_tbEUlT_E1_NS1_11comp_targetILNS1_3genE10ELNS1_11target_archE1200ELNS1_3gpuE4ELNS1_3repE0EEENS1_30default_config_static_selectorELNS0_4arch9wavefront6targetE0EEEvSS_,"axG",@progbits,_ZN7rocprim17ROCPRIM_400000_NS6detail17trampoline_kernelINS0_14default_configENS1_22reduce_config_selectorIiEEZNS1_11reduce_implILb1ES3_PiS7_iN6hipcub16HIPCUB_304000_NS6detail34convert_binary_result_type_wrapperINS9_3SumENS9_22TransformInputIteratorIbN2at6native12_GLOBAL__N_19NonZeroOpIN3c108BFloat16EEEPKSJ_lEEiEEEE10hipError_tPvRmT1_T2_T3_mT4_P12ihipStream_tbEUlT_E1_NS1_11comp_targetILNS1_3genE10ELNS1_11target_archE1200ELNS1_3gpuE4ELNS1_3repE0EEENS1_30default_config_static_selectorELNS0_4arch9wavefront6targetE0EEEvSS_,comdat
	.globl	_ZN7rocprim17ROCPRIM_400000_NS6detail17trampoline_kernelINS0_14default_configENS1_22reduce_config_selectorIiEEZNS1_11reduce_implILb1ES3_PiS7_iN6hipcub16HIPCUB_304000_NS6detail34convert_binary_result_type_wrapperINS9_3SumENS9_22TransformInputIteratorIbN2at6native12_GLOBAL__N_19NonZeroOpIN3c108BFloat16EEEPKSJ_lEEiEEEE10hipError_tPvRmT1_T2_T3_mT4_P12ihipStream_tbEUlT_E1_NS1_11comp_targetILNS1_3genE10ELNS1_11target_archE1200ELNS1_3gpuE4ELNS1_3repE0EEENS1_30default_config_static_selectorELNS0_4arch9wavefront6targetE0EEEvSS_ ; -- Begin function _ZN7rocprim17ROCPRIM_400000_NS6detail17trampoline_kernelINS0_14default_configENS1_22reduce_config_selectorIiEEZNS1_11reduce_implILb1ES3_PiS7_iN6hipcub16HIPCUB_304000_NS6detail34convert_binary_result_type_wrapperINS9_3SumENS9_22TransformInputIteratorIbN2at6native12_GLOBAL__N_19NonZeroOpIN3c108BFloat16EEEPKSJ_lEEiEEEE10hipError_tPvRmT1_T2_T3_mT4_P12ihipStream_tbEUlT_E1_NS1_11comp_targetILNS1_3genE10ELNS1_11target_archE1200ELNS1_3gpuE4ELNS1_3repE0EEENS1_30default_config_static_selectorELNS0_4arch9wavefront6targetE0EEEvSS_
	.p2align	8
	.type	_ZN7rocprim17ROCPRIM_400000_NS6detail17trampoline_kernelINS0_14default_configENS1_22reduce_config_selectorIiEEZNS1_11reduce_implILb1ES3_PiS7_iN6hipcub16HIPCUB_304000_NS6detail34convert_binary_result_type_wrapperINS9_3SumENS9_22TransformInputIteratorIbN2at6native12_GLOBAL__N_19NonZeroOpIN3c108BFloat16EEEPKSJ_lEEiEEEE10hipError_tPvRmT1_T2_T3_mT4_P12ihipStream_tbEUlT_E1_NS1_11comp_targetILNS1_3genE10ELNS1_11target_archE1200ELNS1_3gpuE4ELNS1_3repE0EEENS1_30default_config_static_selectorELNS0_4arch9wavefront6targetE0EEEvSS_,@function
_ZN7rocprim17ROCPRIM_400000_NS6detail17trampoline_kernelINS0_14default_configENS1_22reduce_config_selectorIiEEZNS1_11reduce_implILb1ES3_PiS7_iN6hipcub16HIPCUB_304000_NS6detail34convert_binary_result_type_wrapperINS9_3SumENS9_22TransformInputIteratorIbN2at6native12_GLOBAL__N_19NonZeroOpIN3c108BFloat16EEEPKSJ_lEEiEEEE10hipError_tPvRmT1_T2_T3_mT4_P12ihipStream_tbEUlT_E1_NS1_11comp_targetILNS1_3genE10ELNS1_11target_archE1200ELNS1_3gpuE4ELNS1_3repE0EEENS1_30default_config_static_selectorELNS0_4arch9wavefront6targetE0EEEvSS_: ; @_ZN7rocprim17ROCPRIM_400000_NS6detail17trampoline_kernelINS0_14default_configENS1_22reduce_config_selectorIiEEZNS1_11reduce_implILb1ES3_PiS7_iN6hipcub16HIPCUB_304000_NS6detail34convert_binary_result_type_wrapperINS9_3SumENS9_22TransformInputIteratorIbN2at6native12_GLOBAL__N_19NonZeroOpIN3c108BFloat16EEEPKSJ_lEEiEEEE10hipError_tPvRmT1_T2_T3_mT4_P12ihipStream_tbEUlT_E1_NS1_11comp_targetILNS1_3genE10ELNS1_11target_archE1200ELNS1_3gpuE4ELNS1_3repE0EEENS1_30default_config_static_selectorELNS0_4arch9wavefront6targetE0EEEvSS_
; %bb.0:
	.section	.rodata,"a",@progbits
	.p2align	6, 0x0
	.amdhsa_kernel _ZN7rocprim17ROCPRIM_400000_NS6detail17trampoline_kernelINS0_14default_configENS1_22reduce_config_selectorIiEEZNS1_11reduce_implILb1ES3_PiS7_iN6hipcub16HIPCUB_304000_NS6detail34convert_binary_result_type_wrapperINS9_3SumENS9_22TransformInputIteratorIbN2at6native12_GLOBAL__N_19NonZeroOpIN3c108BFloat16EEEPKSJ_lEEiEEEE10hipError_tPvRmT1_T2_T3_mT4_P12ihipStream_tbEUlT_E1_NS1_11comp_targetILNS1_3genE10ELNS1_11target_archE1200ELNS1_3gpuE4ELNS1_3repE0EEENS1_30default_config_static_selectorELNS0_4arch9wavefront6targetE0EEEvSS_
		.amdhsa_group_segment_fixed_size 0
		.amdhsa_private_segment_fixed_size 0
		.amdhsa_kernarg_size 40
		.amdhsa_user_sgpr_count 2
		.amdhsa_user_sgpr_dispatch_ptr 0
		.amdhsa_user_sgpr_queue_ptr 0
		.amdhsa_user_sgpr_kernarg_segment_ptr 1
		.amdhsa_user_sgpr_dispatch_id 0
		.amdhsa_user_sgpr_private_segment_size 0
		.amdhsa_wavefront_size32 1
		.amdhsa_uses_dynamic_stack 0
		.amdhsa_enable_private_segment 0
		.amdhsa_system_sgpr_workgroup_id_x 1
		.amdhsa_system_sgpr_workgroup_id_y 0
		.amdhsa_system_sgpr_workgroup_id_z 0
		.amdhsa_system_sgpr_workgroup_info 0
		.amdhsa_system_vgpr_workitem_id 0
		.amdhsa_next_free_vgpr 1
		.amdhsa_next_free_sgpr 1
		.amdhsa_reserve_vcc 0
		.amdhsa_float_round_mode_32 0
		.amdhsa_float_round_mode_16_64 0
		.amdhsa_float_denorm_mode_32 3
		.amdhsa_float_denorm_mode_16_64 3
		.amdhsa_fp16_overflow 0
		.amdhsa_workgroup_processor_mode 1
		.amdhsa_memory_ordered 1
		.amdhsa_forward_progress 1
		.amdhsa_inst_pref_size 0
		.amdhsa_round_robin_scheduling 0
		.amdhsa_exception_fp_ieee_invalid_op 0
		.amdhsa_exception_fp_denorm_src 0
		.amdhsa_exception_fp_ieee_div_zero 0
		.amdhsa_exception_fp_ieee_overflow 0
		.amdhsa_exception_fp_ieee_underflow 0
		.amdhsa_exception_fp_ieee_inexact 0
		.amdhsa_exception_int_div_zero 0
	.end_amdhsa_kernel
	.section	.text._ZN7rocprim17ROCPRIM_400000_NS6detail17trampoline_kernelINS0_14default_configENS1_22reduce_config_selectorIiEEZNS1_11reduce_implILb1ES3_PiS7_iN6hipcub16HIPCUB_304000_NS6detail34convert_binary_result_type_wrapperINS9_3SumENS9_22TransformInputIteratorIbN2at6native12_GLOBAL__N_19NonZeroOpIN3c108BFloat16EEEPKSJ_lEEiEEEE10hipError_tPvRmT1_T2_T3_mT4_P12ihipStream_tbEUlT_E1_NS1_11comp_targetILNS1_3genE10ELNS1_11target_archE1200ELNS1_3gpuE4ELNS1_3repE0EEENS1_30default_config_static_selectorELNS0_4arch9wavefront6targetE0EEEvSS_,"axG",@progbits,_ZN7rocprim17ROCPRIM_400000_NS6detail17trampoline_kernelINS0_14default_configENS1_22reduce_config_selectorIiEEZNS1_11reduce_implILb1ES3_PiS7_iN6hipcub16HIPCUB_304000_NS6detail34convert_binary_result_type_wrapperINS9_3SumENS9_22TransformInputIteratorIbN2at6native12_GLOBAL__N_19NonZeroOpIN3c108BFloat16EEEPKSJ_lEEiEEEE10hipError_tPvRmT1_T2_T3_mT4_P12ihipStream_tbEUlT_E1_NS1_11comp_targetILNS1_3genE10ELNS1_11target_archE1200ELNS1_3gpuE4ELNS1_3repE0EEENS1_30default_config_static_selectorELNS0_4arch9wavefront6targetE0EEEvSS_,comdat
.Lfunc_end777:
	.size	_ZN7rocprim17ROCPRIM_400000_NS6detail17trampoline_kernelINS0_14default_configENS1_22reduce_config_selectorIiEEZNS1_11reduce_implILb1ES3_PiS7_iN6hipcub16HIPCUB_304000_NS6detail34convert_binary_result_type_wrapperINS9_3SumENS9_22TransformInputIteratorIbN2at6native12_GLOBAL__N_19NonZeroOpIN3c108BFloat16EEEPKSJ_lEEiEEEE10hipError_tPvRmT1_T2_T3_mT4_P12ihipStream_tbEUlT_E1_NS1_11comp_targetILNS1_3genE10ELNS1_11target_archE1200ELNS1_3gpuE4ELNS1_3repE0EEENS1_30default_config_static_selectorELNS0_4arch9wavefront6targetE0EEEvSS_, .Lfunc_end777-_ZN7rocprim17ROCPRIM_400000_NS6detail17trampoline_kernelINS0_14default_configENS1_22reduce_config_selectorIiEEZNS1_11reduce_implILb1ES3_PiS7_iN6hipcub16HIPCUB_304000_NS6detail34convert_binary_result_type_wrapperINS9_3SumENS9_22TransformInputIteratorIbN2at6native12_GLOBAL__N_19NonZeroOpIN3c108BFloat16EEEPKSJ_lEEiEEEE10hipError_tPvRmT1_T2_T3_mT4_P12ihipStream_tbEUlT_E1_NS1_11comp_targetILNS1_3genE10ELNS1_11target_archE1200ELNS1_3gpuE4ELNS1_3repE0EEENS1_30default_config_static_selectorELNS0_4arch9wavefront6targetE0EEEvSS_
                                        ; -- End function
	.set _ZN7rocprim17ROCPRIM_400000_NS6detail17trampoline_kernelINS0_14default_configENS1_22reduce_config_selectorIiEEZNS1_11reduce_implILb1ES3_PiS7_iN6hipcub16HIPCUB_304000_NS6detail34convert_binary_result_type_wrapperINS9_3SumENS9_22TransformInputIteratorIbN2at6native12_GLOBAL__N_19NonZeroOpIN3c108BFloat16EEEPKSJ_lEEiEEEE10hipError_tPvRmT1_T2_T3_mT4_P12ihipStream_tbEUlT_E1_NS1_11comp_targetILNS1_3genE10ELNS1_11target_archE1200ELNS1_3gpuE4ELNS1_3repE0EEENS1_30default_config_static_selectorELNS0_4arch9wavefront6targetE0EEEvSS_.num_vgpr, 0
	.set _ZN7rocprim17ROCPRIM_400000_NS6detail17trampoline_kernelINS0_14default_configENS1_22reduce_config_selectorIiEEZNS1_11reduce_implILb1ES3_PiS7_iN6hipcub16HIPCUB_304000_NS6detail34convert_binary_result_type_wrapperINS9_3SumENS9_22TransformInputIteratorIbN2at6native12_GLOBAL__N_19NonZeroOpIN3c108BFloat16EEEPKSJ_lEEiEEEE10hipError_tPvRmT1_T2_T3_mT4_P12ihipStream_tbEUlT_E1_NS1_11comp_targetILNS1_3genE10ELNS1_11target_archE1200ELNS1_3gpuE4ELNS1_3repE0EEENS1_30default_config_static_selectorELNS0_4arch9wavefront6targetE0EEEvSS_.num_agpr, 0
	.set _ZN7rocprim17ROCPRIM_400000_NS6detail17trampoline_kernelINS0_14default_configENS1_22reduce_config_selectorIiEEZNS1_11reduce_implILb1ES3_PiS7_iN6hipcub16HIPCUB_304000_NS6detail34convert_binary_result_type_wrapperINS9_3SumENS9_22TransformInputIteratorIbN2at6native12_GLOBAL__N_19NonZeroOpIN3c108BFloat16EEEPKSJ_lEEiEEEE10hipError_tPvRmT1_T2_T3_mT4_P12ihipStream_tbEUlT_E1_NS1_11comp_targetILNS1_3genE10ELNS1_11target_archE1200ELNS1_3gpuE4ELNS1_3repE0EEENS1_30default_config_static_selectorELNS0_4arch9wavefront6targetE0EEEvSS_.numbered_sgpr, 0
	.set _ZN7rocprim17ROCPRIM_400000_NS6detail17trampoline_kernelINS0_14default_configENS1_22reduce_config_selectorIiEEZNS1_11reduce_implILb1ES3_PiS7_iN6hipcub16HIPCUB_304000_NS6detail34convert_binary_result_type_wrapperINS9_3SumENS9_22TransformInputIteratorIbN2at6native12_GLOBAL__N_19NonZeroOpIN3c108BFloat16EEEPKSJ_lEEiEEEE10hipError_tPvRmT1_T2_T3_mT4_P12ihipStream_tbEUlT_E1_NS1_11comp_targetILNS1_3genE10ELNS1_11target_archE1200ELNS1_3gpuE4ELNS1_3repE0EEENS1_30default_config_static_selectorELNS0_4arch9wavefront6targetE0EEEvSS_.num_named_barrier, 0
	.set _ZN7rocprim17ROCPRIM_400000_NS6detail17trampoline_kernelINS0_14default_configENS1_22reduce_config_selectorIiEEZNS1_11reduce_implILb1ES3_PiS7_iN6hipcub16HIPCUB_304000_NS6detail34convert_binary_result_type_wrapperINS9_3SumENS9_22TransformInputIteratorIbN2at6native12_GLOBAL__N_19NonZeroOpIN3c108BFloat16EEEPKSJ_lEEiEEEE10hipError_tPvRmT1_T2_T3_mT4_P12ihipStream_tbEUlT_E1_NS1_11comp_targetILNS1_3genE10ELNS1_11target_archE1200ELNS1_3gpuE4ELNS1_3repE0EEENS1_30default_config_static_selectorELNS0_4arch9wavefront6targetE0EEEvSS_.private_seg_size, 0
	.set _ZN7rocprim17ROCPRIM_400000_NS6detail17trampoline_kernelINS0_14default_configENS1_22reduce_config_selectorIiEEZNS1_11reduce_implILb1ES3_PiS7_iN6hipcub16HIPCUB_304000_NS6detail34convert_binary_result_type_wrapperINS9_3SumENS9_22TransformInputIteratorIbN2at6native12_GLOBAL__N_19NonZeroOpIN3c108BFloat16EEEPKSJ_lEEiEEEE10hipError_tPvRmT1_T2_T3_mT4_P12ihipStream_tbEUlT_E1_NS1_11comp_targetILNS1_3genE10ELNS1_11target_archE1200ELNS1_3gpuE4ELNS1_3repE0EEENS1_30default_config_static_selectorELNS0_4arch9wavefront6targetE0EEEvSS_.uses_vcc, 0
	.set _ZN7rocprim17ROCPRIM_400000_NS6detail17trampoline_kernelINS0_14default_configENS1_22reduce_config_selectorIiEEZNS1_11reduce_implILb1ES3_PiS7_iN6hipcub16HIPCUB_304000_NS6detail34convert_binary_result_type_wrapperINS9_3SumENS9_22TransformInputIteratorIbN2at6native12_GLOBAL__N_19NonZeroOpIN3c108BFloat16EEEPKSJ_lEEiEEEE10hipError_tPvRmT1_T2_T3_mT4_P12ihipStream_tbEUlT_E1_NS1_11comp_targetILNS1_3genE10ELNS1_11target_archE1200ELNS1_3gpuE4ELNS1_3repE0EEENS1_30default_config_static_selectorELNS0_4arch9wavefront6targetE0EEEvSS_.uses_flat_scratch, 0
	.set _ZN7rocprim17ROCPRIM_400000_NS6detail17trampoline_kernelINS0_14default_configENS1_22reduce_config_selectorIiEEZNS1_11reduce_implILb1ES3_PiS7_iN6hipcub16HIPCUB_304000_NS6detail34convert_binary_result_type_wrapperINS9_3SumENS9_22TransformInputIteratorIbN2at6native12_GLOBAL__N_19NonZeroOpIN3c108BFloat16EEEPKSJ_lEEiEEEE10hipError_tPvRmT1_T2_T3_mT4_P12ihipStream_tbEUlT_E1_NS1_11comp_targetILNS1_3genE10ELNS1_11target_archE1200ELNS1_3gpuE4ELNS1_3repE0EEENS1_30default_config_static_selectorELNS0_4arch9wavefront6targetE0EEEvSS_.has_dyn_sized_stack, 0
	.set _ZN7rocprim17ROCPRIM_400000_NS6detail17trampoline_kernelINS0_14default_configENS1_22reduce_config_selectorIiEEZNS1_11reduce_implILb1ES3_PiS7_iN6hipcub16HIPCUB_304000_NS6detail34convert_binary_result_type_wrapperINS9_3SumENS9_22TransformInputIteratorIbN2at6native12_GLOBAL__N_19NonZeroOpIN3c108BFloat16EEEPKSJ_lEEiEEEE10hipError_tPvRmT1_T2_T3_mT4_P12ihipStream_tbEUlT_E1_NS1_11comp_targetILNS1_3genE10ELNS1_11target_archE1200ELNS1_3gpuE4ELNS1_3repE0EEENS1_30default_config_static_selectorELNS0_4arch9wavefront6targetE0EEEvSS_.has_recursion, 0
	.set _ZN7rocprim17ROCPRIM_400000_NS6detail17trampoline_kernelINS0_14default_configENS1_22reduce_config_selectorIiEEZNS1_11reduce_implILb1ES3_PiS7_iN6hipcub16HIPCUB_304000_NS6detail34convert_binary_result_type_wrapperINS9_3SumENS9_22TransformInputIteratorIbN2at6native12_GLOBAL__N_19NonZeroOpIN3c108BFloat16EEEPKSJ_lEEiEEEE10hipError_tPvRmT1_T2_T3_mT4_P12ihipStream_tbEUlT_E1_NS1_11comp_targetILNS1_3genE10ELNS1_11target_archE1200ELNS1_3gpuE4ELNS1_3repE0EEENS1_30default_config_static_selectorELNS0_4arch9wavefront6targetE0EEEvSS_.has_indirect_call, 0
	.section	.AMDGPU.csdata,"",@progbits
; Kernel info:
; codeLenInByte = 0
; TotalNumSgprs: 0
; NumVgprs: 0
; ScratchSize: 0
; MemoryBound: 0
; FloatMode: 240
; IeeeMode: 1
; LDSByteSize: 0 bytes/workgroup (compile time only)
; SGPRBlocks: 0
; VGPRBlocks: 0
; NumSGPRsForWavesPerEU: 1
; NumVGPRsForWavesPerEU: 1
; Occupancy: 16
; WaveLimiterHint : 0
; COMPUTE_PGM_RSRC2:SCRATCH_EN: 0
; COMPUTE_PGM_RSRC2:USER_SGPR: 2
; COMPUTE_PGM_RSRC2:TRAP_HANDLER: 0
; COMPUTE_PGM_RSRC2:TGID_X_EN: 1
; COMPUTE_PGM_RSRC2:TGID_Y_EN: 0
; COMPUTE_PGM_RSRC2:TGID_Z_EN: 0
; COMPUTE_PGM_RSRC2:TIDIG_COMP_CNT: 0
	.section	.text._ZN7rocprim17ROCPRIM_400000_NS6detail17trampoline_kernelINS0_14default_configENS1_22reduce_config_selectorIiEEZNS1_11reduce_implILb1ES3_PiS7_iN6hipcub16HIPCUB_304000_NS6detail34convert_binary_result_type_wrapperINS9_3SumENS9_22TransformInputIteratorIbN2at6native12_GLOBAL__N_19NonZeroOpIN3c108BFloat16EEEPKSJ_lEEiEEEE10hipError_tPvRmT1_T2_T3_mT4_P12ihipStream_tbEUlT_E1_NS1_11comp_targetILNS1_3genE9ELNS1_11target_archE1100ELNS1_3gpuE3ELNS1_3repE0EEENS1_30default_config_static_selectorELNS0_4arch9wavefront6targetE0EEEvSS_,"axG",@progbits,_ZN7rocprim17ROCPRIM_400000_NS6detail17trampoline_kernelINS0_14default_configENS1_22reduce_config_selectorIiEEZNS1_11reduce_implILb1ES3_PiS7_iN6hipcub16HIPCUB_304000_NS6detail34convert_binary_result_type_wrapperINS9_3SumENS9_22TransformInputIteratorIbN2at6native12_GLOBAL__N_19NonZeroOpIN3c108BFloat16EEEPKSJ_lEEiEEEE10hipError_tPvRmT1_T2_T3_mT4_P12ihipStream_tbEUlT_E1_NS1_11comp_targetILNS1_3genE9ELNS1_11target_archE1100ELNS1_3gpuE3ELNS1_3repE0EEENS1_30default_config_static_selectorELNS0_4arch9wavefront6targetE0EEEvSS_,comdat
	.globl	_ZN7rocprim17ROCPRIM_400000_NS6detail17trampoline_kernelINS0_14default_configENS1_22reduce_config_selectorIiEEZNS1_11reduce_implILb1ES3_PiS7_iN6hipcub16HIPCUB_304000_NS6detail34convert_binary_result_type_wrapperINS9_3SumENS9_22TransformInputIteratorIbN2at6native12_GLOBAL__N_19NonZeroOpIN3c108BFloat16EEEPKSJ_lEEiEEEE10hipError_tPvRmT1_T2_T3_mT4_P12ihipStream_tbEUlT_E1_NS1_11comp_targetILNS1_3genE9ELNS1_11target_archE1100ELNS1_3gpuE3ELNS1_3repE0EEENS1_30default_config_static_selectorELNS0_4arch9wavefront6targetE0EEEvSS_ ; -- Begin function _ZN7rocprim17ROCPRIM_400000_NS6detail17trampoline_kernelINS0_14default_configENS1_22reduce_config_selectorIiEEZNS1_11reduce_implILb1ES3_PiS7_iN6hipcub16HIPCUB_304000_NS6detail34convert_binary_result_type_wrapperINS9_3SumENS9_22TransformInputIteratorIbN2at6native12_GLOBAL__N_19NonZeroOpIN3c108BFloat16EEEPKSJ_lEEiEEEE10hipError_tPvRmT1_T2_T3_mT4_P12ihipStream_tbEUlT_E1_NS1_11comp_targetILNS1_3genE9ELNS1_11target_archE1100ELNS1_3gpuE3ELNS1_3repE0EEENS1_30default_config_static_selectorELNS0_4arch9wavefront6targetE0EEEvSS_
	.p2align	8
	.type	_ZN7rocprim17ROCPRIM_400000_NS6detail17trampoline_kernelINS0_14default_configENS1_22reduce_config_selectorIiEEZNS1_11reduce_implILb1ES3_PiS7_iN6hipcub16HIPCUB_304000_NS6detail34convert_binary_result_type_wrapperINS9_3SumENS9_22TransformInputIteratorIbN2at6native12_GLOBAL__N_19NonZeroOpIN3c108BFloat16EEEPKSJ_lEEiEEEE10hipError_tPvRmT1_T2_T3_mT4_P12ihipStream_tbEUlT_E1_NS1_11comp_targetILNS1_3genE9ELNS1_11target_archE1100ELNS1_3gpuE3ELNS1_3repE0EEENS1_30default_config_static_selectorELNS0_4arch9wavefront6targetE0EEEvSS_,@function
_ZN7rocprim17ROCPRIM_400000_NS6detail17trampoline_kernelINS0_14default_configENS1_22reduce_config_selectorIiEEZNS1_11reduce_implILb1ES3_PiS7_iN6hipcub16HIPCUB_304000_NS6detail34convert_binary_result_type_wrapperINS9_3SumENS9_22TransformInputIteratorIbN2at6native12_GLOBAL__N_19NonZeroOpIN3c108BFloat16EEEPKSJ_lEEiEEEE10hipError_tPvRmT1_T2_T3_mT4_P12ihipStream_tbEUlT_E1_NS1_11comp_targetILNS1_3genE9ELNS1_11target_archE1100ELNS1_3gpuE3ELNS1_3repE0EEENS1_30default_config_static_selectorELNS0_4arch9wavefront6targetE0EEEvSS_: ; @_ZN7rocprim17ROCPRIM_400000_NS6detail17trampoline_kernelINS0_14default_configENS1_22reduce_config_selectorIiEEZNS1_11reduce_implILb1ES3_PiS7_iN6hipcub16HIPCUB_304000_NS6detail34convert_binary_result_type_wrapperINS9_3SumENS9_22TransformInputIteratorIbN2at6native12_GLOBAL__N_19NonZeroOpIN3c108BFloat16EEEPKSJ_lEEiEEEE10hipError_tPvRmT1_T2_T3_mT4_P12ihipStream_tbEUlT_E1_NS1_11comp_targetILNS1_3genE9ELNS1_11target_archE1100ELNS1_3gpuE3ELNS1_3repE0EEENS1_30default_config_static_selectorELNS0_4arch9wavefront6targetE0EEEvSS_
; %bb.0:
	.section	.rodata,"a",@progbits
	.p2align	6, 0x0
	.amdhsa_kernel _ZN7rocprim17ROCPRIM_400000_NS6detail17trampoline_kernelINS0_14default_configENS1_22reduce_config_selectorIiEEZNS1_11reduce_implILb1ES3_PiS7_iN6hipcub16HIPCUB_304000_NS6detail34convert_binary_result_type_wrapperINS9_3SumENS9_22TransformInputIteratorIbN2at6native12_GLOBAL__N_19NonZeroOpIN3c108BFloat16EEEPKSJ_lEEiEEEE10hipError_tPvRmT1_T2_T3_mT4_P12ihipStream_tbEUlT_E1_NS1_11comp_targetILNS1_3genE9ELNS1_11target_archE1100ELNS1_3gpuE3ELNS1_3repE0EEENS1_30default_config_static_selectorELNS0_4arch9wavefront6targetE0EEEvSS_
		.amdhsa_group_segment_fixed_size 0
		.amdhsa_private_segment_fixed_size 0
		.amdhsa_kernarg_size 40
		.amdhsa_user_sgpr_count 2
		.amdhsa_user_sgpr_dispatch_ptr 0
		.amdhsa_user_sgpr_queue_ptr 0
		.amdhsa_user_sgpr_kernarg_segment_ptr 1
		.amdhsa_user_sgpr_dispatch_id 0
		.amdhsa_user_sgpr_private_segment_size 0
		.amdhsa_wavefront_size32 1
		.amdhsa_uses_dynamic_stack 0
		.amdhsa_enable_private_segment 0
		.amdhsa_system_sgpr_workgroup_id_x 1
		.amdhsa_system_sgpr_workgroup_id_y 0
		.amdhsa_system_sgpr_workgroup_id_z 0
		.amdhsa_system_sgpr_workgroup_info 0
		.amdhsa_system_vgpr_workitem_id 0
		.amdhsa_next_free_vgpr 1
		.amdhsa_next_free_sgpr 1
		.amdhsa_reserve_vcc 0
		.amdhsa_float_round_mode_32 0
		.amdhsa_float_round_mode_16_64 0
		.amdhsa_float_denorm_mode_32 3
		.amdhsa_float_denorm_mode_16_64 3
		.amdhsa_fp16_overflow 0
		.amdhsa_workgroup_processor_mode 1
		.amdhsa_memory_ordered 1
		.amdhsa_forward_progress 1
		.amdhsa_inst_pref_size 0
		.amdhsa_round_robin_scheduling 0
		.amdhsa_exception_fp_ieee_invalid_op 0
		.amdhsa_exception_fp_denorm_src 0
		.amdhsa_exception_fp_ieee_div_zero 0
		.amdhsa_exception_fp_ieee_overflow 0
		.amdhsa_exception_fp_ieee_underflow 0
		.amdhsa_exception_fp_ieee_inexact 0
		.amdhsa_exception_int_div_zero 0
	.end_amdhsa_kernel
	.section	.text._ZN7rocprim17ROCPRIM_400000_NS6detail17trampoline_kernelINS0_14default_configENS1_22reduce_config_selectorIiEEZNS1_11reduce_implILb1ES3_PiS7_iN6hipcub16HIPCUB_304000_NS6detail34convert_binary_result_type_wrapperINS9_3SumENS9_22TransformInputIteratorIbN2at6native12_GLOBAL__N_19NonZeroOpIN3c108BFloat16EEEPKSJ_lEEiEEEE10hipError_tPvRmT1_T2_T3_mT4_P12ihipStream_tbEUlT_E1_NS1_11comp_targetILNS1_3genE9ELNS1_11target_archE1100ELNS1_3gpuE3ELNS1_3repE0EEENS1_30default_config_static_selectorELNS0_4arch9wavefront6targetE0EEEvSS_,"axG",@progbits,_ZN7rocprim17ROCPRIM_400000_NS6detail17trampoline_kernelINS0_14default_configENS1_22reduce_config_selectorIiEEZNS1_11reduce_implILb1ES3_PiS7_iN6hipcub16HIPCUB_304000_NS6detail34convert_binary_result_type_wrapperINS9_3SumENS9_22TransformInputIteratorIbN2at6native12_GLOBAL__N_19NonZeroOpIN3c108BFloat16EEEPKSJ_lEEiEEEE10hipError_tPvRmT1_T2_T3_mT4_P12ihipStream_tbEUlT_E1_NS1_11comp_targetILNS1_3genE9ELNS1_11target_archE1100ELNS1_3gpuE3ELNS1_3repE0EEENS1_30default_config_static_selectorELNS0_4arch9wavefront6targetE0EEEvSS_,comdat
.Lfunc_end778:
	.size	_ZN7rocprim17ROCPRIM_400000_NS6detail17trampoline_kernelINS0_14default_configENS1_22reduce_config_selectorIiEEZNS1_11reduce_implILb1ES3_PiS7_iN6hipcub16HIPCUB_304000_NS6detail34convert_binary_result_type_wrapperINS9_3SumENS9_22TransformInputIteratorIbN2at6native12_GLOBAL__N_19NonZeroOpIN3c108BFloat16EEEPKSJ_lEEiEEEE10hipError_tPvRmT1_T2_T3_mT4_P12ihipStream_tbEUlT_E1_NS1_11comp_targetILNS1_3genE9ELNS1_11target_archE1100ELNS1_3gpuE3ELNS1_3repE0EEENS1_30default_config_static_selectorELNS0_4arch9wavefront6targetE0EEEvSS_, .Lfunc_end778-_ZN7rocprim17ROCPRIM_400000_NS6detail17trampoline_kernelINS0_14default_configENS1_22reduce_config_selectorIiEEZNS1_11reduce_implILb1ES3_PiS7_iN6hipcub16HIPCUB_304000_NS6detail34convert_binary_result_type_wrapperINS9_3SumENS9_22TransformInputIteratorIbN2at6native12_GLOBAL__N_19NonZeroOpIN3c108BFloat16EEEPKSJ_lEEiEEEE10hipError_tPvRmT1_T2_T3_mT4_P12ihipStream_tbEUlT_E1_NS1_11comp_targetILNS1_3genE9ELNS1_11target_archE1100ELNS1_3gpuE3ELNS1_3repE0EEENS1_30default_config_static_selectorELNS0_4arch9wavefront6targetE0EEEvSS_
                                        ; -- End function
	.set _ZN7rocprim17ROCPRIM_400000_NS6detail17trampoline_kernelINS0_14default_configENS1_22reduce_config_selectorIiEEZNS1_11reduce_implILb1ES3_PiS7_iN6hipcub16HIPCUB_304000_NS6detail34convert_binary_result_type_wrapperINS9_3SumENS9_22TransformInputIteratorIbN2at6native12_GLOBAL__N_19NonZeroOpIN3c108BFloat16EEEPKSJ_lEEiEEEE10hipError_tPvRmT1_T2_T3_mT4_P12ihipStream_tbEUlT_E1_NS1_11comp_targetILNS1_3genE9ELNS1_11target_archE1100ELNS1_3gpuE3ELNS1_3repE0EEENS1_30default_config_static_selectorELNS0_4arch9wavefront6targetE0EEEvSS_.num_vgpr, 0
	.set _ZN7rocprim17ROCPRIM_400000_NS6detail17trampoline_kernelINS0_14default_configENS1_22reduce_config_selectorIiEEZNS1_11reduce_implILb1ES3_PiS7_iN6hipcub16HIPCUB_304000_NS6detail34convert_binary_result_type_wrapperINS9_3SumENS9_22TransformInputIteratorIbN2at6native12_GLOBAL__N_19NonZeroOpIN3c108BFloat16EEEPKSJ_lEEiEEEE10hipError_tPvRmT1_T2_T3_mT4_P12ihipStream_tbEUlT_E1_NS1_11comp_targetILNS1_3genE9ELNS1_11target_archE1100ELNS1_3gpuE3ELNS1_3repE0EEENS1_30default_config_static_selectorELNS0_4arch9wavefront6targetE0EEEvSS_.num_agpr, 0
	.set _ZN7rocprim17ROCPRIM_400000_NS6detail17trampoline_kernelINS0_14default_configENS1_22reduce_config_selectorIiEEZNS1_11reduce_implILb1ES3_PiS7_iN6hipcub16HIPCUB_304000_NS6detail34convert_binary_result_type_wrapperINS9_3SumENS9_22TransformInputIteratorIbN2at6native12_GLOBAL__N_19NonZeroOpIN3c108BFloat16EEEPKSJ_lEEiEEEE10hipError_tPvRmT1_T2_T3_mT4_P12ihipStream_tbEUlT_E1_NS1_11comp_targetILNS1_3genE9ELNS1_11target_archE1100ELNS1_3gpuE3ELNS1_3repE0EEENS1_30default_config_static_selectorELNS0_4arch9wavefront6targetE0EEEvSS_.numbered_sgpr, 0
	.set _ZN7rocprim17ROCPRIM_400000_NS6detail17trampoline_kernelINS0_14default_configENS1_22reduce_config_selectorIiEEZNS1_11reduce_implILb1ES3_PiS7_iN6hipcub16HIPCUB_304000_NS6detail34convert_binary_result_type_wrapperINS9_3SumENS9_22TransformInputIteratorIbN2at6native12_GLOBAL__N_19NonZeroOpIN3c108BFloat16EEEPKSJ_lEEiEEEE10hipError_tPvRmT1_T2_T3_mT4_P12ihipStream_tbEUlT_E1_NS1_11comp_targetILNS1_3genE9ELNS1_11target_archE1100ELNS1_3gpuE3ELNS1_3repE0EEENS1_30default_config_static_selectorELNS0_4arch9wavefront6targetE0EEEvSS_.num_named_barrier, 0
	.set _ZN7rocprim17ROCPRIM_400000_NS6detail17trampoline_kernelINS0_14default_configENS1_22reduce_config_selectorIiEEZNS1_11reduce_implILb1ES3_PiS7_iN6hipcub16HIPCUB_304000_NS6detail34convert_binary_result_type_wrapperINS9_3SumENS9_22TransformInputIteratorIbN2at6native12_GLOBAL__N_19NonZeroOpIN3c108BFloat16EEEPKSJ_lEEiEEEE10hipError_tPvRmT1_T2_T3_mT4_P12ihipStream_tbEUlT_E1_NS1_11comp_targetILNS1_3genE9ELNS1_11target_archE1100ELNS1_3gpuE3ELNS1_3repE0EEENS1_30default_config_static_selectorELNS0_4arch9wavefront6targetE0EEEvSS_.private_seg_size, 0
	.set _ZN7rocprim17ROCPRIM_400000_NS6detail17trampoline_kernelINS0_14default_configENS1_22reduce_config_selectorIiEEZNS1_11reduce_implILb1ES3_PiS7_iN6hipcub16HIPCUB_304000_NS6detail34convert_binary_result_type_wrapperINS9_3SumENS9_22TransformInputIteratorIbN2at6native12_GLOBAL__N_19NonZeroOpIN3c108BFloat16EEEPKSJ_lEEiEEEE10hipError_tPvRmT1_T2_T3_mT4_P12ihipStream_tbEUlT_E1_NS1_11comp_targetILNS1_3genE9ELNS1_11target_archE1100ELNS1_3gpuE3ELNS1_3repE0EEENS1_30default_config_static_selectorELNS0_4arch9wavefront6targetE0EEEvSS_.uses_vcc, 0
	.set _ZN7rocprim17ROCPRIM_400000_NS6detail17trampoline_kernelINS0_14default_configENS1_22reduce_config_selectorIiEEZNS1_11reduce_implILb1ES3_PiS7_iN6hipcub16HIPCUB_304000_NS6detail34convert_binary_result_type_wrapperINS9_3SumENS9_22TransformInputIteratorIbN2at6native12_GLOBAL__N_19NonZeroOpIN3c108BFloat16EEEPKSJ_lEEiEEEE10hipError_tPvRmT1_T2_T3_mT4_P12ihipStream_tbEUlT_E1_NS1_11comp_targetILNS1_3genE9ELNS1_11target_archE1100ELNS1_3gpuE3ELNS1_3repE0EEENS1_30default_config_static_selectorELNS0_4arch9wavefront6targetE0EEEvSS_.uses_flat_scratch, 0
	.set _ZN7rocprim17ROCPRIM_400000_NS6detail17trampoline_kernelINS0_14default_configENS1_22reduce_config_selectorIiEEZNS1_11reduce_implILb1ES3_PiS7_iN6hipcub16HIPCUB_304000_NS6detail34convert_binary_result_type_wrapperINS9_3SumENS9_22TransformInputIteratorIbN2at6native12_GLOBAL__N_19NonZeroOpIN3c108BFloat16EEEPKSJ_lEEiEEEE10hipError_tPvRmT1_T2_T3_mT4_P12ihipStream_tbEUlT_E1_NS1_11comp_targetILNS1_3genE9ELNS1_11target_archE1100ELNS1_3gpuE3ELNS1_3repE0EEENS1_30default_config_static_selectorELNS0_4arch9wavefront6targetE0EEEvSS_.has_dyn_sized_stack, 0
	.set _ZN7rocprim17ROCPRIM_400000_NS6detail17trampoline_kernelINS0_14default_configENS1_22reduce_config_selectorIiEEZNS1_11reduce_implILb1ES3_PiS7_iN6hipcub16HIPCUB_304000_NS6detail34convert_binary_result_type_wrapperINS9_3SumENS9_22TransformInputIteratorIbN2at6native12_GLOBAL__N_19NonZeroOpIN3c108BFloat16EEEPKSJ_lEEiEEEE10hipError_tPvRmT1_T2_T3_mT4_P12ihipStream_tbEUlT_E1_NS1_11comp_targetILNS1_3genE9ELNS1_11target_archE1100ELNS1_3gpuE3ELNS1_3repE0EEENS1_30default_config_static_selectorELNS0_4arch9wavefront6targetE0EEEvSS_.has_recursion, 0
	.set _ZN7rocprim17ROCPRIM_400000_NS6detail17trampoline_kernelINS0_14default_configENS1_22reduce_config_selectorIiEEZNS1_11reduce_implILb1ES3_PiS7_iN6hipcub16HIPCUB_304000_NS6detail34convert_binary_result_type_wrapperINS9_3SumENS9_22TransformInputIteratorIbN2at6native12_GLOBAL__N_19NonZeroOpIN3c108BFloat16EEEPKSJ_lEEiEEEE10hipError_tPvRmT1_T2_T3_mT4_P12ihipStream_tbEUlT_E1_NS1_11comp_targetILNS1_3genE9ELNS1_11target_archE1100ELNS1_3gpuE3ELNS1_3repE0EEENS1_30default_config_static_selectorELNS0_4arch9wavefront6targetE0EEEvSS_.has_indirect_call, 0
	.section	.AMDGPU.csdata,"",@progbits
; Kernel info:
; codeLenInByte = 0
; TotalNumSgprs: 0
; NumVgprs: 0
; ScratchSize: 0
; MemoryBound: 0
; FloatMode: 240
; IeeeMode: 1
; LDSByteSize: 0 bytes/workgroup (compile time only)
; SGPRBlocks: 0
; VGPRBlocks: 0
; NumSGPRsForWavesPerEU: 1
; NumVGPRsForWavesPerEU: 1
; Occupancy: 16
; WaveLimiterHint : 0
; COMPUTE_PGM_RSRC2:SCRATCH_EN: 0
; COMPUTE_PGM_RSRC2:USER_SGPR: 2
; COMPUTE_PGM_RSRC2:TRAP_HANDLER: 0
; COMPUTE_PGM_RSRC2:TGID_X_EN: 1
; COMPUTE_PGM_RSRC2:TGID_Y_EN: 0
; COMPUTE_PGM_RSRC2:TGID_Z_EN: 0
; COMPUTE_PGM_RSRC2:TIDIG_COMP_CNT: 0
	.section	.text._ZN7rocprim17ROCPRIM_400000_NS6detail17trampoline_kernelINS0_14default_configENS1_22reduce_config_selectorIiEEZNS1_11reduce_implILb1ES3_PiS7_iN6hipcub16HIPCUB_304000_NS6detail34convert_binary_result_type_wrapperINS9_3SumENS9_22TransformInputIteratorIbN2at6native12_GLOBAL__N_19NonZeroOpIN3c108BFloat16EEEPKSJ_lEEiEEEE10hipError_tPvRmT1_T2_T3_mT4_P12ihipStream_tbEUlT_E1_NS1_11comp_targetILNS1_3genE8ELNS1_11target_archE1030ELNS1_3gpuE2ELNS1_3repE0EEENS1_30default_config_static_selectorELNS0_4arch9wavefront6targetE0EEEvSS_,"axG",@progbits,_ZN7rocprim17ROCPRIM_400000_NS6detail17trampoline_kernelINS0_14default_configENS1_22reduce_config_selectorIiEEZNS1_11reduce_implILb1ES3_PiS7_iN6hipcub16HIPCUB_304000_NS6detail34convert_binary_result_type_wrapperINS9_3SumENS9_22TransformInputIteratorIbN2at6native12_GLOBAL__N_19NonZeroOpIN3c108BFloat16EEEPKSJ_lEEiEEEE10hipError_tPvRmT1_T2_T3_mT4_P12ihipStream_tbEUlT_E1_NS1_11comp_targetILNS1_3genE8ELNS1_11target_archE1030ELNS1_3gpuE2ELNS1_3repE0EEENS1_30default_config_static_selectorELNS0_4arch9wavefront6targetE0EEEvSS_,comdat
	.globl	_ZN7rocprim17ROCPRIM_400000_NS6detail17trampoline_kernelINS0_14default_configENS1_22reduce_config_selectorIiEEZNS1_11reduce_implILb1ES3_PiS7_iN6hipcub16HIPCUB_304000_NS6detail34convert_binary_result_type_wrapperINS9_3SumENS9_22TransformInputIteratorIbN2at6native12_GLOBAL__N_19NonZeroOpIN3c108BFloat16EEEPKSJ_lEEiEEEE10hipError_tPvRmT1_T2_T3_mT4_P12ihipStream_tbEUlT_E1_NS1_11comp_targetILNS1_3genE8ELNS1_11target_archE1030ELNS1_3gpuE2ELNS1_3repE0EEENS1_30default_config_static_selectorELNS0_4arch9wavefront6targetE0EEEvSS_ ; -- Begin function _ZN7rocprim17ROCPRIM_400000_NS6detail17trampoline_kernelINS0_14default_configENS1_22reduce_config_selectorIiEEZNS1_11reduce_implILb1ES3_PiS7_iN6hipcub16HIPCUB_304000_NS6detail34convert_binary_result_type_wrapperINS9_3SumENS9_22TransformInputIteratorIbN2at6native12_GLOBAL__N_19NonZeroOpIN3c108BFloat16EEEPKSJ_lEEiEEEE10hipError_tPvRmT1_T2_T3_mT4_P12ihipStream_tbEUlT_E1_NS1_11comp_targetILNS1_3genE8ELNS1_11target_archE1030ELNS1_3gpuE2ELNS1_3repE0EEENS1_30default_config_static_selectorELNS0_4arch9wavefront6targetE0EEEvSS_
	.p2align	8
	.type	_ZN7rocprim17ROCPRIM_400000_NS6detail17trampoline_kernelINS0_14default_configENS1_22reduce_config_selectorIiEEZNS1_11reduce_implILb1ES3_PiS7_iN6hipcub16HIPCUB_304000_NS6detail34convert_binary_result_type_wrapperINS9_3SumENS9_22TransformInputIteratorIbN2at6native12_GLOBAL__N_19NonZeroOpIN3c108BFloat16EEEPKSJ_lEEiEEEE10hipError_tPvRmT1_T2_T3_mT4_P12ihipStream_tbEUlT_E1_NS1_11comp_targetILNS1_3genE8ELNS1_11target_archE1030ELNS1_3gpuE2ELNS1_3repE0EEENS1_30default_config_static_selectorELNS0_4arch9wavefront6targetE0EEEvSS_,@function
_ZN7rocprim17ROCPRIM_400000_NS6detail17trampoline_kernelINS0_14default_configENS1_22reduce_config_selectorIiEEZNS1_11reduce_implILb1ES3_PiS7_iN6hipcub16HIPCUB_304000_NS6detail34convert_binary_result_type_wrapperINS9_3SumENS9_22TransformInputIteratorIbN2at6native12_GLOBAL__N_19NonZeroOpIN3c108BFloat16EEEPKSJ_lEEiEEEE10hipError_tPvRmT1_T2_T3_mT4_P12ihipStream_tbEUlT_E1_NS1_11comp_targetILNS1_3genE8ELNS1_11target_archE1030ELNS1_3gpuE2ELNS1_3repE0EEENS1_30default_config_static_selectorELNS0_4arch9wavefront6targetE0EEEvSS_: ; @_ZN7rocprim17ROCPRIM_400000_NS6detail17trampoline_kernelINS0_14default_configENS1_22reduce_config_selectorIiEEZNS1_11reduce_implILb1ES3_PiS7_iN6hipcub16HIPCUB_304000_NS6detail34convert_binary_result_type_wrapperINS9_3SumENS9_22TransformInputIteratorIbN2at6native12_GLOBAL__N_19NonZeroOpIN3c108BFloat16EEEPKSJ_lEEiEEEE10hipError_tPvRmT1_T2_T3_mT4_P12ihipStream_tbEUlT_E1_NS1_11comp_targetILNS1_3genE8ELNS1_11target_archE1030ELNS1_3gpuE2ELNS1_3repE0EEENS1_30default_config_static_selectorELNS0_4arch9wavefront6targetE0EEEvSS_
; %bb.0:
	.section	.rodata,"a",@progbits
	.p2align	6, 0x0
	.amdhsa_kernel _ZN7rocprim17ROCPRIM_400000_NS6detail17trampoline_kernelINS0_14default_configENS1_22reduce_config_selectorIiEEZNS1_11reduce_implILb1ES3_PiS7_iN6hipcub16HIPCUB_304000_NS6detail34convert_binary_result_type_wrapperINS9_3SumENS9_22TransformInputIteratorIbN2at6native12_GLOBAL__N_19NonZeroOpIN3c108BFloat16EEEPKSJ_lEEiEEEE10hipError_tPvRmT1_T2_T3_mT4_P12ihipStream_tbEUlT_E1_NS1_11comp_targetILNS1_3genE8ELNS1_11target_archE1030ELNS1_3gpuE2ELNS1_3repE0EEENS1_30default_config_static_selectorELNS0_4arch9wavefront6targetE0EEEvSS_
		.amdhsa_group_segment_fixed_size 0
		.amdhsa_private_segment_fixed_size 0
		.amdhsa_kernarg_size 40
		.amdhsa_user_sgpr_count 2
		.amdhsa_user_sgpr_dispatch_ptr 0
		.amdhsa_user_sgpr_queue_ptr 0
		.amdhsa_user_sgpr_kernarg_segment_ptr 1
		.amdhsa_user_sgpr_dispatch_id 0
		.amdhsa_user_sgpr_private_segment_size 0
		.amdhsa_wavefront_size32 1
		.amdhsa_uses_dynamic_stack 0
		.amdhsa_enable_private_segment 0
		.amdhsa_system_sgpr_workgroup_id_x 1
		.amdhsa_system_sgpr_workgroup_id_y 0
		.amdhsa_system_sgpr_workgroup_id_z 0
		.amdhsa_system_sgpr_workgroup_info 0
		.amdhsa_system_vgpr_workitem_id 0
		.amdhsa_next_free_vgpr 1
		.amdhsa_next_free_sgpr 1
		.amdhsa_reserve_vcc 0
		.amdhsa_float_round_mode_32 0
		.amdhsa_float_round_mode_16_64 0
		.amdhsa_float_denorm_mode_32 3
		.amdhsa_float_denorm_mode_16_64 3
		.amdhsa_fp16_overflow 0
		.amdhsa_workgroup_processor_mode 1
		.amdhsa_memory_ordered 1
		.amdhsa_forward_progress 1
		.amdhsa_inst_pref_size 0
		.amdhsa_round_robin_scheduling 0
		.amdhsa_exception_fp_ieee_invalid_op 0
		.amdhsa_exception_fp_denorm_src 0
		.amdhsa_exception_fp_ieee_div_zero 0
		.amdhsa_exception_fp_ieee_overflow 0
		.amdhsa_exception_fp_ieee_underflow 0
		.amdhsa_exception_fp_ieee_inexact 0
		.amdhsa_exception_int_div_zero 0
	.end_amdhsa_kernel
	.section	.text._ZN7rocprim17ROCPRIM_400000_NS6detail17trampoline_kernelINS0_14default_configENS1_22reduce_config_selectorIiEEZNS1_11reduce_implILb1ES3_PiS7_iN6hipcub16HIPCUB_304000_NS6detail34convert_binary_result_type_wrapperINS9_3SumENS9_22TransformInputIteratorIbN2at6native12_GLOBAL__N_19NonZeroOpIN3c108BFloat16EEEPKSJ_lEEiEEEE10hipError_tPvRmT1_T2_T3_mT4_P12ihipStream_tbEUlT_E1_NS1_11comp_targetILNS1_3genE8ELNS1_11target_archE1030ELNS1_3gpuE2ELNS1_3repE0EEENS1_30default_config_static_selectorELNS0_4arch9wavefront6targetE0EEEvSS_,"axG",@progbits,_ZN7rocprim17ROCPRIM_400000_NS6detail17trampoline_kernelINS0_14default_configENS1_22reduce_config_selectorIiEEZNS1_11reduce_implILb1ES3_PiS7_iN6hipcub16HIPCUB_304000_NS6detail34convert_binary_result_type_wrapperINS9_3SumENS9_22TransformInputIteratorIbN2at6native12_GLOBAL__N_19NonZeroOpIN3c108BFloat16EEEPKSJ_lEEiEEEE10hipError_tPvRmT1_T2_T3_mT4_P12ihipStream_tbEUlT_E1_NS1_11comp_targetILNS1_3genE8ELNS1_11target_archE1030ELNS1_3gpuE2ELNS1_3repE0EEENS1_30default_config_static_selectorELNS0_4arch9wavefront6targetE0EEEvSS_,comdat
.Lfunc_end779:
	.size	_ZN7rocprim17ROCPRIM_400000_NS6detail17trampoline_kernelINS0_14default_configENS1_22reduce_config_selectorIiEEZNS1_11reduce_implILb1ES3_PiS7_iN6hipcub16HIPCUB_304000_NS6detail34convert_binary_result_type_wrapperINS9_3SumENS9_22TransformInputIteratorIbN2at6native12_GLOBAL__N_19NonZeroOpIN3c108BFloat16EEEPKSJ_lEEiEEEE10hipError_tPvRmT1_T2_T3_mT4_P12ihipStream_tbEUlT_E1_NS1_11comp_targetILNS1_3genE8ELNS1_11target_archE1030ELNS1_3gpuE2ELNS1_3repE0EEENS1_30default_config_static_selectorELNS0_4arch9wavefront6targetE0EEEvSS_, .Lfunc_end779-_ZN7rocprim17ROCPRIM_400000_NS6detail17trampoline_kernelINS0_14default_configENS1_22reduce_config_selectorIiEEZNS1_11reduce_implILb1ES3_PiS7_iN6hipcub16HIPCUB_304000_NS6detail34convert_binary_result_type_wrapperINS9_3SumENS9_22TransformInputIteratorIbN2at6native12_GLOBAL__N_19NonZeroOpIN3c108BFloat16EEEPKSJ_lEEiEEEE10hipError_tPvRmT1_T2_T3_mT4_P12ihipStream_tbEUlT_E1_NS1_11comp_targetILNS1_3genE8ELNS1_11target_archE1030ELNS1_3gpuE2ELNS1_3repE0EEENS1_30default_config_static_selectorELNS0_4arch9wavefront6targetE0EEEvSS_
                                        ; -- End function
	.set _ZN7rocprim17ROCPRIM_400000_NS6detail17trampoline_kernelINS0_14default_configENS1_22reduce_config_selectorIiEEZNS1_11reduce_implILb1ES3_PiS7_iN6hipcub16HIPCUB_304000_NS6detail34convert_binary_result_type_wrapperINS9_3SumENS9_22TransformInputIteratorIbN2at6native12_GLOBAL__N_19NonZeroOpIN3c108BFloat16EEEPKSJ_lEEiEEEE10hipError_tPvRmT1_T2_T3_mT4_P12ihipStream_tbEUlT_E1_NS1_11comp_targetILNS1_3genE8ELNS1_11target_archE1030ELNS1_3gpuE2ELNS1_3repE0EEENS1_30default_config_static_selectorELNS0_4arch9wavefront6targetE0EEEvSS_.num_vgpr, 0
	.set _ZN7rocprim17ROCPRIM_400000_NS6detail17trampoline_kernelINS0_14default_configENS1_22reduce_config_selectorIiEEZNS1_11reduce_implILb1ES3_PiS7_iN6hipcub16HIPCUB_304000_NS6detail34convert_binary_result_type_wrapperINS9_3SumENS9_22TransformInputIteratorIbN2at6native12_GLOBAL__N_19NonZeroOpIN3c108BFloat16EEEPKSJ_lEEiEEEE10hipError_tPvRmT1_T2_T3_mT4_P12ihipStream_tbEUlT_E1_NS1_11comp_targetILNS1_3genE8ELNS1_11target_archE1030ELNS1_3gpuE2ELNS1_3repE0EEENS1_30default_config_static_selectorELNS0_4arch9wavefront6targetE0EEEvSS_.num_agpr, 0
	.set _ZN7rocprim17ROCPRIM_400000_NS6detail17trampoline_kernelINS0_14default_configENS1_22reduce_config_selectorIiEEZNS1_11reduce_implILb1ES3_PiS7_iN6hipcub16HIPCUB_304000_NS6detail34convert_binary_result_type_wrapperINS9_3SumENS9_22TransformInputIteratorIbN2at6native12_GLOBAL__N_19NonZeroOpIN3c108BFloat16EEEPKSJ_lEEiEEEE10hipError_tPvRmT1_T2_T3_mT4_P12ihipStream_tbEUlT_E1_NS1_11comp_targetILNS1_3genE8ELNS1_11target_archE1030ELNS1_3gpuE2ELNS1_3repE0EEENS1_30default_config_static_selectorELNS0_4arch9wavefront6targetE0EEEvSS_.numbered_sgpr, 0
	.set _ZN7rocprim17ROCPRIM_400000_NS6detail17trampoline_kernelINS0_14default_configENS1_22reduce_config_selectorIiEEZNS1_11reduce_implILb1ES3_PiS7_iN6hipcub16HIPCUB_304000_NS6detail34convert_binary_result_type_wrapperINS9_3SumENS9_22TransformInputIteratorIbN2at6native12_GLOBAL__N_19NonZeroOpIN3c108BFloat16EEEPKSJ_lEEiEEEE10hipError_tPvRmT1_T2_T3_mT4_P12ihipStream_tbEUlT_E1_NS1_11comp_targetILNS1_3genE8ELNS1_11target_archE1030ELNS1_3gpuE2ELNS1_3repE0EEENS1_30default_config_static_selectorELNS0_4arch9wavefront6targetE0EEEvSS_.num_named_barrier, 0
	.set _ZN7rocprim17ROCPRIM_400000_NS6detail17trampoline_kernelINS0_14default_configENS1_22reduce_config_selectorIiEEZNS1_11reduce_implILb1ES3_PiS7_iN6hipcub16HIPCUB_304000_NS6detail34convert_binary_result_type_wrapperINS9_3SumENS9_22TransformInputIteratorIbN2at6native12_GLOBAL__N_19NonZeroOpIN3c108BFloat16EEEPKSJ_lEEiEEEE10hipError_tPvRmT1_T2_T3_mT4_P12ihipStream_tbEUlT_E1_NS1_11comp_targetILNS1_3genE8ELNS1_11target_archE1030ELNS1_3gpuE2ELNS1_3repE0EEENS1_30default_config_static_selectorELNS0_4arch9wavefront6targetE0EEEvSS_.private_seg_size, 0
	.set _ZN7rocprim17ROCPRIM_400000_NS6detail17trampoline_kernelINS0_14default_configENS1_22reduce_config_selectorIiEEZNS1_11reduce_implILb1ES3_PiS7_iN6hipcub16HIPCUB_304000_NS6detail34convert_binary_result_type_wrapperINS9_3SumENS9_22TransformInputIteratorIbN2at6native12_GLOBAL__N_19NonZeroOpIN3c108BFloat16EEEPKSJ_lEEiEEEE10hipError_tPvRmT1_T2_T3_mT4_P12ihipStream_tbEUlT_E1_NS1_11comp_targetILNS1_3genE8ELNS1_11target_archE1030ELNS1_3gpuE2ELNS1_3repE0EEENS1_30default_config_static_selectorELNS0_4arch9wavefront6targetE0EEEvSS_.uses_vcc, 0
	.set _ZN7rocprim17ROCPRIM_400000_NS6detail17trampoline_kernelINS0_14default_configENS1_22reduce_config_selectorIiEEZNS1_11reduce_implILb1ES3_PiS7_iN6hipcub16HIPCUB_304000_NS6detail34convert_binary_result_type_wrapperINS9_3SumENS9_22TransformInputIteratorIbN2at6native12_GLOBAL__N_19NonZeroOpIN3c108BFloat16EEEPKSJ_lEEiEEEE10hipError_tPvRmT1_T2_T3_mT4_P12ihipStream_tbEUlT_E1_NS1_11comp_targetILNS1_3genE8ELNS1_11target_archE1030ELNS1_3gpuE2ELNS1_3repE0EEENS1_30default_config_static_selectorELNS0_4arch9wavefront6targetE0EEEvSS_.uses_flat_scratch, 0
	.set _ZN7rocprim17ROCPRIM_400000_NS6detail17trampoline_kernelINS0_14default_configENS1_22reduce_config_selectorIiEEZNS1_11reduce_implILb1ES3_PiS7_iN6hipcub16HIPCUB_304000_NS6detail34convert_binary_result_type_wrapperINS9_3SumENS9_22TransformInputIteratorIbN2at6native12_GLOBAL__N_19NonZeroOpIN3c108BFloat16EEEPKSJ_lEEiEEEE10hipError_tPvRmT1_T2_T3_mT4_P12ihipStream_tbEUlT_E1_NS1_11comp_targetILNS1_3genE8ELNS1_11target_archE1030ELNS1_3gpuE2ELNS1_3repE0EEENS1_30default_config_static_selectorELNS0_4arch9wavefront6targetE0EEEvSS_.has_dyn_sized_stack, 0
	.set _ZN7rocprim17ROCPRIM_400000_NS6detail17trampoline_kernelINS0_14default_configENS1_22reduce_config_selectorIiEEZNS1_11reduce_implILb1ES3_PiS7_iN6hipcub16HIPCUB_304000_NS6detail34convert_binary_result_type_wrapperINS9_3SumENS9_22TransformInputIteratorIbN2at6native12_GLOBAL__N_19NonZeroOpIN3c108BFloat16EEEPKSJ_lEEiEEEE10hipError_tPvRmT1_T2_T3_mT4_P12ihipStream_tbEUlT_E1_NS1_11comp_targetILNS1_3genE8ELNS1_11target_archE1030ELNS1_3gpuE2ELNS1_3repE0EEENS1_30default_config_static_selectorELNS0_4arch9wavefront6targetE0EEEvSS_.has_recursion, 0
	.set _ZN7rocprim17ROCPRIM_400000_NS6detail17trampoline_kernelINS0_14default_configENS1_22reduce_config_selectorIiEEZNS1_11reduce_implILb1ES3_PiS7_iN6hipcub16HIPCUB_304000_NS6detail34convert_binary_result_type_wrapperINS9_3SumENS9_22TransformInputIteratorIbN2at6native12_GLOBAL__N_19NonZeroOpIN3c108BFloat16EEEPKSJ_lEEiEEEE10hipError_tPvRmT1_T2_T3_mT4_P12ihipStream_tbEUlT_E1_NS1_11comp_targetILNS1_3genE8ELNS1_11target_archE1030ELNS1_3gpuE2ELNS1_3repE0EEENS1_30default_config_static_selectorELNS0_4arch9wavefront6targetE0EEEvSS_.has_indirect_call, 0
	.section	.AMDGPU.csdata,"",@progbits
; Kernel info:
; codeLenInByte = 0
; TotalNumSgprs: 0
; NumVgprs: 0
; ScratchSize: 0
; MemoryBound: 0
; FloatMode: 240
; IeeeMode: 1
; LDSByteSize: 0 bytes/workgroup (compile time only)
; SGPRBlocks: 0
; VGPRBlocks: 0
; NumSGPRsForWavesPerEU: 1
; NumVGPRsForWavesPerEU: 1
; Occupancy: 16
; WaveLimiterHint : 0
; COMPUTE_PGM_RSRC2:SCRATCH_EN: 0
; COMPUTE_PGM_RSRC2:USER_SGPR: 2
; COMPUTE_PGM_RSRC2:TRAP_HANDLER: 0
; COMPUTE_PGM_RSRC2:TGID_X_EN: 1
; COMPUTE_PGM_RSRC2:TGID_Y_EN: 0
; COMPUTE_PGM_RSRC2:TGID_Z_EN: 0
; COMPUTE_PGM_RSRC2:TIDIG_COMP_CNT: 0
	.section	.text._ZN7rocprim17ROCPRIM_400000_NS6detail17trampoline_kernelINS0_14default_configENS1_22reduce_config_selectorIbEEZNS1_11reduce_implILb1ES3_N6hipcub16HIPCUB_304000_NS22TransformInputIteratorIbN2at6native12_GLOBAL__N_19NonZeroOpIN3c108BFloat16EEEPKSF_lEEPiiNS8_6detail34convert_binary_result_type_wrapperINS8_3SumESJ_iEEEE10hipError_tPvRmT1_T2_T3_mT4_P12ihipStream_tbEUlT_E0_NS1_11comp_targetILNS1_3genE0ELNS1_11target_archE4294967295ELNS1_3gpuE0ELNS1_3repE0EEENS1_30default_config_static_selectorELNS0_4arch9wavefront6targetE0EEEvSS_,"axG",@progbits,_ZN7rocprim17ROCPRIM_400000_NS6detail17trampoline_kernelINS0_14default_configENS1_22reduce_config_selectorIbEEZNS1_11reduce_implILb1ES3_N6hipcub16HIPCUB_304000_NS22TransformInputIteratorIbN2at6native12_GLOBAL__N_19NonZeroOpIN3c108BFloat16EEEPKSF_lEEPiiNS8_6detail34convert_binary_result_type_wrapperINS8_3SumESJ_iEEEE10hipError_tPvRmT1_T2_T3_mT4_P12ihipStream_tbEUlT_E0_NS1_11comp_targetILNS1_3genE0ELNS1_11target_archE4294967295ELNS1_3gpuE0ELNS1_3repE0EEENS1_30default_config_static_selectorELNS0_4arch9wavefront6targetE0EEEvSS_,comdat
	.globl	_ZN7rocprim17ROCPRIM_400000_NS6detail17trampoline_kernelINS0_14default_configENS1_22reduce_config_selectorIbEEZNS1_11reduce_implILb1ES3_N6hipcub16HIPCUB_304000_NS22TransformInputIteratorIbN2at6native12_GLOBAL__N_19NonZeroOpIN3c108BFloat16EEEPKSF_lEEPiiNS8_6detail34convert_binary_result_type_wrapperINS8_3SumESJ_iEEEE10hipError_tPvRmT1_T2_T3_mT4_P12ihipStream_tbEUlT_E0_NS1_11comp_targetILNS1_3genE0ELNS1_11target_archE4294967295ELNS1_3gpuE0ELNS1_3repE0EEENS1_30default_config_static_selectorELNS0_4arch9wavefront6targetE0EEEvSS_ ; -- Begin function _ZN7rocprim17ROCPRIM_400000_NS6detail17trampoline_kernelINS0_14default_configENS1_22reduce_config_selectorIbEEZNS1_11reduce_implILb1ES3_N6hipcub16HIPCUB_304000_NS22TransformInputIteratorIbN2at6native12_GLOBAL__N_19NonZeroOpIN3c108BFloat16EEEPKSF_lEEPiiNS8_6detail34convert_binary_result_type_wrapperINS8_3SumESJ_iEEEE10hipError_tPvRmT1_T2_T3_mT4_P12ihipStream_tbEUlT_E0_NS1_11comp_targetILNS1_3genE0ELNS1_11target_archE4294967295ELNS1_3gpuE0ELNS1_3repE0EEENS1_30default_config_static_selectorELNS0_4arch9wavefront6targetE0EEEvSS_
	.p2align	8
	.type	_ZN7rocprim17ROCPRIM_400000_NS6detail17trampoline_kernelINS0_14default_configENS1_22reduce_config_selectorIbEEZNS1_11reduce_implILb1ES3_N6hipcub16HIPCUB_304000_NS22TransformInputIteratorIbN2at6native12_GLOBAL__N_19NonZeroOpIN3c108BFloat16EEEPKSF_lEEPiiNS8_6detail34convert_binary_result_type_wrapperINS8_3SumESJ_iEEEE10hipError_tPvRmT1_T2_T3_mT4_P12ihipStream_tbEUlT_E0_NS1_11comp_targetILNS1_3genE0ELNS1_11target_archE4294967295ELNS1_3gpuE0ELNS1_3repE0EEENS1_30default_config_static_selectorELNS0_4arch9wavefront6targetE0EEEvSS_,@function
_ZN7rocprim17ROCPRIM_400000_NS6detail17trampoline_kernelINS0_14default_configENS1_22reduce_config_selectorIbEEZNS1_11reduce_implILb1ES3_N6hipcub16HIPCUB_304000_NS22TransformInputIteratorIbN2at6native12_GLOBAL__N_19NonZeroOpIN3c108BFloat16EEEPKSF_lEEPiiNS8_6detail34convert_binary_result_type_wrapperINS8_3SumESJ_iEEEE10hipError_tPvRmT1_T2_T3_mT4_P12ihipStream_tbEUlT_E0_NS1_11comp_targetILNS1_3genE0ELNS1_11target_archE4294967295ELNS1_3gpuE0ELNS1_3repE0EEENS1_30default_config_static_selectorELNS0_4arch9wavefront6targetE0EEEvSS_: ; @_ZN7rocprim17ROCPRIM_400000_NS6detail17trampoline_kernelINS0_14default_configENS1_22reduce_config_selectorIbEEZNS1_11reduce_implILb1ES3_N6hipcub16HIPCUB_304000_NS22TransformInputIteratorIbN2at6native12_GLOBAL__N_19NonZeroOpIN3c108BFloat16EEEPKSF_lEEPiiNS8_6detail34convert_binary_result_type_wrapperINS8_3SumESJ_iEEEE10hipError_tPvRmT1_T2_T3_mT4_P12ihipStream_tbEUlT_E0_NS1_11comp_targetILNS1_3genE0ELNS1_11target_archE4294967295ELNS1_3gpuE0ELNS1_3repE0EEENS1_30default_config_static_selectorELNS0_4arch9wavefront6targetE0EEEvSS_
; %bb.0:
	.section	.rodata,"a",@progbits
	.p2align	6, 0x0
	.amdhsa_kernel _ZN7rocprim17ROCPRIM_400000_NS6detail17trampoline_kernelINS0_14default_configENS1_22reduce_config_selectorIbEEZNS1_11reduce_implILb1ES3_N6hipcub16HIPCUB_304000_NS22TransformInputIteratorIbN2at6native12_GLOBAL__N_19NonZeroOpIN3c108BFloat16EEEPKSF_lEEPiiNS8_6detail34convert_binary_result_type_wrapperINS8_3SumESJ_iEEEE10hipError_tPvRmT1_T2_T3_mT4_P12ihipStream_tbEUlT_E0_NS1_11comp_targetILNS1_3genE0ELNS1_11target_archE4294967295ELNS1_3gpuE0ELNS1_3repE0EEENS1_30default_config_static_selectorELNS0_4arch9wavefront6targetE0EEEvSS_
		.amdhsa_group_segment_fixed_size 0
		.amdhsa_private_segment_fixed_size 0
		.amdhsa_kernarg_size 64
		.amdhsa_user_sgpr_count 2
		.amdhsa_user_sgpr_dispatch_ptr 0
		.amdhsa_user_sgpr_queue_ptr 0
		.amdhsa_user_sgpr_kernarg_segment_ptr 1
		.amdhsa_user_sgpr_dispatch_id 0
		.amdhsa_user_sgpr_private_segment_size 0
		.amdhsa_wavefront_size32 1
		.amdhsa_uses_dynamic_stack 0
		.amdhsa_enable_private_segment 0
		.amdhsa_system_sgpr_workgroup_id_x 1
		.amdhsa_system_sgpr_workgroup_id_y 0
		.amdhsa_system_sgpr_workgroup_id_z 0
		.amdhsa_system_sgpr_workgroup_info 0
		.amdhsa_system_vgpr_workitem_id 0
		.amdhsa_next_free_vgpr 1
		.amdhsa_next_free_sgpr 1
		.amdhsa_reserve_vcc 0
		.amdhsa_float_round_mode_32 0
		.amdhsa_float_round_mode_16_64 0
		.amdhsa_float_denorm_mode_32 3
		.amdhsa_float_denorm_mode_16_64 3
		.amdhsa_fp16_overflow 0
		.amdhsa_workgroup_processor_mode 1
		.amdhsa_memory_ordered 1
		.amdhsa_forward_progress 1
		.amdhsa_inst_pref_size 0
		.amdhsa_round_robin_scheduling 0
		.amdhsa_exception_fp_ieee_invalid_op 0
		.amdhsa_exception_fp_denorm_src 0
		.amdhsa_exception_fp_ieee_div_zero 0
		.amdhsa_exception_fp_ieee_overflow 0
		.amdhsa_exception_fp_ieee_underflow 0
		.amdhsa_exception_fp_ieee_inexact 0
		.amdhsa_exception_int_div_zero 0
	.end_amdhsa_kernel
	.section	.text._ZN7rocprim17ROCPRIM_400000_NS6detail17trampoline_kernelINS0_14default_configENS1_22reduce_config_selectorIbEEZNS1_11reduce_implILb1ES3_N6hipcub16HIPCUB_304000_NS22TransformInputIteratorIbN2at6native12_GLOBAL__N_19NonZeroOpIN3c108BFloat16EEEPKSF_lEEPiiNS8_6detail34convert_binary_result_type_wrapperINS8_3SumESJ_iEEEE10hipError_tPvRmT1_T2_T3_mT4_P12ihipStream_tbEUlT_E0_NS1_11comp_targetILNS1_3genE0ELNS1_11target_archE4294967295ELNS1_3gpuE0ELNS1_3repE0EEENS1_30default_config_static_selectorELNS0_4arch9wavefront6targetE0EEEvSS_,"axG",@progbits,_ZN7rocprim17ROCPRIM_400000_NS6detail17trampoline_kernelINS0_14default_configENS1_22reduce_config_selectorIbEEZNS1_11reduce_implILb1ES3_N6hipcub16HIPCUB_304000_NS22TransformInputIteratorIbN2at6native12_GLOBAL__N_19NonZeroOpIN3c108BFloat16EEEPKSF_lEEPiiNS8_6detail34convert_binary_result_type_wrapperINS8_3SumESJ_iEEEE10hipError_tPvRmT1_T2_T3_mT4_P12ihipStream_tbEUlT_E0_NS1_11comp_targetILNS1_3genE0ELNS1_11target_archE4294967295ELNS1_3gpuE0ELNS1_3repE0EEENS1_30default_config_static_selectorELNS0_4arch9wavefront6targetE0EEEvSS_,comdat
.Lfunc_end780:
	.size	_ZN7rocprim17ROCPRIM_400000_NS6detail17trampoline_kernelINS0_14default_configENS1_22reduce_config_selectorIbEEZNS1_11reduce_implILb1ES3_N6hipcub16HIPCUB_304000_NS22TransformInputIteratorIbN2at6native12_GLOBAL__N_19NonZeroOpIN3c108BFloat16EEEPKSF_lEEPiiNS8_6detail34convert_binary_result_type_wrapperINS8_3SumESJ_iEEEE10hipError_tPvRmT1_T2_T3_mT4_P12ihipStream_tbEUlT_E0_NS1_11comp_targetILNS1_3genE0ELNS1_11target_archE4294967295ELNS1_3gpuE0ELNS1_3repE0EEENS1_30default_config_static_selectorELNS0_4arch9wavefront6targetE0EEEvSS_, .Lfunc_end780-_ZN7rocprim17ROCPRIM_400000_NS6detail17trampoline_kernelINS0_14default_configENS1_22reduce_config_selectorIbEEZNS1_11reduce_implILb1ES3_N6hipcub16HIPCUB_304000_NS22TransformInputIteratorIbN2at6native12_GLOBAL__N_19NonZeroOpIN3c108BFloat16EEEPKSF_lEEPiiNS8_6detail34convert_binary_result_type_wrapperINS8_3SumESJ_iEEEE10hipError_tPvRmT1_T2_T3_mT4_P12ihipStream_tbEUlT_E0_NS1_11comp_targetILNS1_3genE0ELNS1_11target_archE4294967295ELNS1_3gpuE0ELNS1_3repE0EEENS1_30default_config_static_selectorELNS0_4arch9wavefront6targetE0EEEvSS_
                                        ; -- End function
	.set _ZN7rocprim17ROCPRIM_400000_NS6detail17trampoline_kernelINS0_14default_configENS1_22reduce_config_selectorIbEEZNS1_11reduce_implILb1ES3_N6hipcub16HIPCUB_304000_NS22TransformInputIteratorIbN2at6native12_GLOBAL__N_19NonZeroOpIN3c108BFloat16EEEPKSF_lEEPiiNS8_6detail34convert_binary_result_type_wrapperINS8_3SumESJ_iEEEE10hipError_tPvRmT1_T2_T3_mT4_P12ihipStream_tbEUlT_E0_NS1_11comp_targetILNS1_3genE0ELNS1_11target_archE4294967295ELNS1_3gpuE0ELNS1_3repE0EEENS1_30default_config_static_selectorELNS0_4arch9wavefront6targetE0EEEvSS_.num_vgpr, 0
	.set _ZN7rocprim17ROCPRIM_400000_NS6detail17trampoline_kernelINS0_14default_configENS1_22reduce_config_selectorIbEEZNS1_11reduce_implILb1ES3_N6hipcub16HIPCUB_304000_NS22TransformInputIteratorIbN2at6native12_GLOBAL__N_19NonZeroOpIN3c108BFloat16EEEPKSF_lEEPiiNS8_6detail34convert_binary_result_type_wrapperINS8_3SumESJ_iEEEE10hipError_tPvRmT1_T2_T3_mT4_P12ihipStream_tbEUlT_E0_NS1_11comp_targetILNS1_3genE0ELNS1_11target_archE4294967295ELNS1_3gpuE0ELNS1_3repE0EEENS1_30default_config_static_selectorELNS0_4arch9wavefront6targetE0EEEvSS_.num_agpr, 0
	.set _ZN7rocprim17ROCPRIM_400000_NS6detail17trampoline_kernelINS0_14default_configENS1_22reduce_config_selectorIbEEZNS1_11reduce_implILb1ES3_N6hipcub16HIPCUB_304000_NS22TransformInputIteratorIbN2at6native12_GLOBAL__N_19NonZeroOpIN3c108BFloat16EEEPKSF_lEEPiiNS8_6detail34convert_binary_result_type_wrapperINS8_3SumESJ_iEEEE10hipError_tPvRmT1_T2_T3_mT4_P12ihipStream_tbEUlT_E0_NS1_11comp_targetILNS1_3genE0ELNS1_11target_archE4294967295ELNS1_3gpuE0ELNS1_3repE0EEENS1_30default_config_static_selectorELNS0_4arch9wavefront6targetE0EEEvSS_.numbered_sgpr, 0
	.set _ZN7rocprim17ROCPRIM_400000_NS6detail17trampoline_kernelINS0_14default_configENS1_22reduce_config_selectorIbEEZNS1_11reduce_implILb1ES3_N6hipcub16HIPCUB_304000_NS22TransformInputIteratorIbN2at6native12_GLOBAL__N_19NonZeroOpIN3c108BFloat16EEEPKSF_lEEPiiNS8_6detail34convert_binary_result_type_wrapperINS8_3SumESJ_iEEEE10hipError_tPvRmT1_T2_T3_mT4_P12ihipStream_tbEUlT_E0_NS1_11comp_targetILNS1_3genE0ELNS1_11target_archE4294967295ELNS1_3gpuE0ELNS1_3repE0EEENS1_30default_config_static_selectorELNS0_4arch9wavefront6targetE0EEEvSS_.num_named_barrier, 0
	.set _ZN7rocprim17ROCPRIM_400000_NS6detail17trampoline_kernelINS0_14default_configENS1_22reduce_config_selectorIbEEZNS1_11reduce_implILb1ES3_N6hipcub16HIPCUB_304000_NS22TransformInputIteratorIbN2at6native12_GLOBAL__N_19NonZeroOpIN3c108BFloat16EEEPKSF_lEEPiiNS8_6detail34convert_binary_result_type_wrapperINS8_3SumESJ_iEEEE10hipError_tPvRmT1_T2_T3_mT4_P12ihipStream_tbEUlT_E0_NS1_11comp_targetILNS1_3genE0ELNS1_11target_archE4294967295ELNS1_3gpuE0ELNS1_3repE0EEENS1_30default_config_static_selectorELNS0_4arch9wavefront6targetE0EEEvSS_.private_seg_size, 0
	.set _ZN7rocprim17ROCPRIM_400000_NS6detail17trampoline_kernelINS0_14default_configENS1_22reduce_config_selectorIbEEZNS1_11reduce_implILb1ES3_N6hipcub16HIPCUB_304000_NS22TransformInputIteratorIbN2at6native12_GLOBAL__N_19NonZeroOpIN3c108BFloat16EEEPKSF_lEEPiiNS8_6detail34convert_binary_result_type_wrapperINS8_3SumESJ_iEEEE10hipError_tPvRmT1_T2_T3_mT4_P12ihipStream_tbEUlT_E0_NS1_11comp_targetILNS1_3genE0ELNS1_11target_archE4294967295ELNS1_3gpuE0ELNS1_3repE0EEENS1_30default_config_static_selectorELNS0_4arch9wavefront6targetE0EEEvSS_.uses_vcc, 0
	.set _ZN7rocprim17ROCPRIM_400000_NS6detail17trampoline_kernelINS0_14default_configENS1_22reduce_config_selectorIbEEZNS1_11reduce_implILb1ES3_N6hipcub16HIPCUB_304000_NS22TransformInputIteratorIbN2at6native12_GLOBAL__N_19NonZeroOpIN3c108BFloat16EEEPKSF_lEEPiiNS8_6detail34convert_binary_result_type_wrapperINS8_3SumESJ_iEEEE10hipError_tPvRmT1_T2_T3_mT4_P12ihipStream_tbEUlT_E0_NS1_11comp_targetILNS1_3genE0ELNS1_11target_archE4294967295ELNS1_3gpuE0ELNS1_3repE0EEENS1_30default_config_static_selectorELNS0_4arch9wavefront6targetE0EEEvSS_.uses_flat_scratch, 0
	.set _ZN7rocprim17ROCPRIM_400000_NS6detail17trampoline_kernelINS0_14default_configENS1_22reduce_config_selectorIbEEZNS1_11reduce_implILb1ES3_N6hipcub16HIPCUB_304000_NS22TransformInputIteratorIbN2at6native12_GLOBAL__N_19NonZeroOpIN3c108BFloat16EEEPKSF_lEEPiiNS8_6detail34convert_binary_result_type_wrapperINS8_3SumESJ_iEEEE10hipError_tPvRmT1_T2_T3_mT4_P12ihipStream_tbEUlT_E0_NS1_11comp_targetILNS1_3genE0ELNS1_11target_archE4294967295ELNS1_3gpuE0ELNS1_3repE0EEENS1_30default_config_static_selectorELNS0_4arch9wavefront6targetE0EEEvSS_.has_dyn_sized_stack, 0
	.set _ZN7rocprim17ROCPRIM_400000_NS6detail17trampoline_kernelINS0_14default_configENS1_22reduce_config_selectorIbEEZNS1_11reduce_implILb1ES3_N6hipcub16HIPCUB_304000_NS22TransformInputIteratorIbN2at6native12_GLOBAL__N_19NonZeroOpIN3c108BFloat16EEEPKSF_lEEPiiNS8_6detail34convert_binary_result_type_wrapperINS8_3SumESJ_iEEEE10hipError_tPvRmT1_T2_T3_mT4_P12ihipStream_tbEUlT_E0_NS1_11comp_targetILNS1_3genE0ELNS1_11target_archE4294967295ELNS1_3gpuE0ELNS1_3repE0EEENS1_30default_config_static_selectorELNS0_4arch9wavefront6targetE0EEEvSS_.has_recursion, 0
	.set _ZN7rocprim17ROCPRIM_400000_NS6detail17trampoline_kernelINS0_14default_configENS1_22reduce_config_selectorIbEEZNS1_11reduce_implILb1ES3_N6hipcub16HIPCUB_304000_NS22TransformInputIteratorIbN2at6native12_GLOBAL__N_19NonZeroOpIN3c108BFloat16EEEPKSF_lEEPiiNS8_6detail34convert_binary_result_type_wrapperINS8_3SumESJ_iEEEE10hipError_tPvRmT1_T2_T3_mT4_P12ihipStream_tbEUlT_E0_NS1_11comp_targetILNS1_3genE0ELNS1_11target_archE4294967295ELNS1_3gpuE0ELNS1_3repE0EEENS1_30default_config_static_selectorELNS0_4arch9wavefront6targetE0EEEvSS_.has_indirect_call, 0
	.section	.AMDGPU.csdata,"",@progbits
; Kernel info:
; codeLenInByte = 0
; TotalNumSgprs: 0
; NumVgprs: 0
; ScratchSize: 0
; MemoryBound: 0
; FloatMode: 240
; IeeeMode: 1
; LDSByteSize: 0 bytes/workgroup (compile time only)
; SGPRBlocks: 0
; VGPRBlocks: 0
; NumSGPRsForWavesPerEU: 1
; NumVGPRsForWavesPerEU: 1
; Occupancy: 16
; WaveLimiterHint : 0
; COMPUTE_PGM_RSRC2:SCRATCH_EN: 0
; COMPUTE_PGM_RSRC2:USER_SGPR: 2
; COMPUTE_PGM_RSRC2:TRAP_HANDLER: 0
; COMPUTE_PGM_RSRC2:TGID_X_EN: 1
; COMPUTE_PGM_RSRC2:TGID_Y_EN: 0
; COMPUTE_PGM_RSRC2:TGID_Z_EN: 0
; COMPUTE_PGM_RSRC2:TIDIG_COMP_CNT: 0
	.section	.text._ZN7rocprim17ROCPRIM_400000_NS6detail17trampoline_kernelINS0_14default_configENS1_22reduce_config_selectorIbEEZNS1_11reduce_implILb1ES3_N6hipcub16HIPCUB_304000_NS22TransformInputIteratorIbN2at6native12_GLOBAL__N_19NonZeroOpIN3c108BFloat16EEEPKSF_lEEPiiNS8_6detail34convert_binary_result_type_wrapperINS8_3SumESJ_iEEEE10hipError_tPvRmT1_T2_T3_mT4_P12ihipStream_tbEUlT_E0_NS1_11comp_targetILNS1_3genE5ELNS1_11target_archE942ELNS1_3gpuE9ELNS1_3repE0EEENS1_30default_config_static_selectorELNS0_4arch9wavefront6targetE0EEEvSS_,"axG",@progbits,_ZN7rocprim17ROCPRIM_400000_NS6detail17trampoline_kernelINS0_14default_configENS1_22reduce_config_selectorIbEEZNS1_11reduce_implILb1ES3_N6hipcub16HIPCUB_304000_NS22TransformInputIteratorIbN2at6native12_GLOBAL__N_19NonZeroOpIN3c108BFloat16EEEPKSF_lEEPiiNS8_6detail34convert_binary_result_type_wrapperINS8_3SumESJ_iEEEE10hipError_tPvRmT1_T2_T3_mT4_P12ihipStream_tbEUlT_E0_NS1_11comp_targetILNS1_3genE5ELNS1_11target_archE942ELNS1_3gpuE9ELNS1_3repE0EEENS1_30default_config_static_selectorELNS0_4arch9wavefront6targetE0EEEvSS_,comdat
	.globl	_ZN7rocprim17ROCPRIM_400000_NS6detail17trampoline_kernelINS0_14default_configENS1_22reduce_config_selectorIbEEZNS1_11reduce_implILb1ES3_N6hipcub16HIPCUB_304000_NS22TransformInputIteratorIbN2at6native12_GLOBAL__N_19NonZeroOpIN3c108BFloat16EEEPKSF_lEEPiiNS8_6detail34convert_binary_result_type_wrapperINS8_3SumESJ_iEEEE10hipError_tPvRmT1_T2_T3_mT4_P12ihipStream_tbEUlT_E0_NS1_11comp_targetILNS1_3genE5ELNS1_11target_archE942ELNS1_3gpuE9ELNS1_3repE0EEENS1_30default_config_static_selectorELNS0_4arch9wavefront6targetE0EEEvSS_ ; -- Begin function _ZN7rocprim17ROCPRIM_400000_NS6detail17trampoline_kernelINS0_14default_configENS1_22reduce_config_selectorIbEEZNS1_11reduce_implILb1ES3_N6hipcub16HIPCUB_304000_NS22TransformInputIteratorIbN2at6native12_GLOBAL__N_19NonZeroOpIN3c108BFloat16EEEPKSF_lEEPiiNS8_6detail34convert_binary_result_type_wrapperINS8_3SumESJ_iEEEE10hipError_tPvRmT1_T2_T3_mT4_P12ihipStream_tbEUlT_E0_NS1_11comp_targetILNS1_3genE5ELNS1_11target_archE942ELNS1_3gpuE9ELNS1_3repE0EEENS1_30default_config_static_selectorELNS0_4arch9wavefront6targetE0EEEvSS_
	.p2align	8
	.type	_ZN7rocprim17ROCPRIM_400000_NS6detail17trampoline_kernelINS0_14default_configENS1_22reduce_config_selectorIbEEZNS1_11reduce_implILb1ES3_N6hipcub16HIPCUB_304000_NS22TransformInputIteratorIbN2at6native12_GLOBAL__N_19NonZeroOpIN3c108BFloat16EEEPKSF_lEEPiiNS8_6detail34convert_binary_result_type_wrapperINS8_3SumESJ_iEEEE10hipError_tPvRmT1_T2_T3_mT4_P12ihipStream_tbEUlT_E0_NS1_11comp_targetILNS1_3genE5ELNS1_11target_archE942ELNS1_3gpuE9ELNS1_3repE0EEENS1_30default_config_static_selectorELNS0_4arch9wavefront6targetE0EEEvSS_,@function
_ZN7rocprim17ROCPRIM_400000_NS6detail17trampoline_kernelINS0_14default_configENS1_22reduce_config_selectorIbEEZNS1_11reduce_implILb1ES3_N6hipcub16HIPCUB_304000_NS22TransformInputIteratorIbN2at6native12_GLOBAL__N_19NonZeroOpIN3c108BFloat16EEEPKSF_lEEPiiNS8_6detail34convert_binary_result_type_wrapperINS8_3SumESJ_iEEEE10hipError_tPvRmT1_T2_T3_mT4_P12ihipStream_tbEUlT_E0_NS1_11comp_targetILNS1_3genE5ELNS1_11target_archE942ELNS1_3gpuE9ELNS1_3repE0EEENS1_30default_config_static_selectorELNS0_4arch9wavefront6targetE0EEEvSS_: ; @_ZN7rocprim17ROCPRIM_400000_NS6detail17trampoline_kernelINS0_14default_configENS1_22reduce_config_selectorIbEEZNS1_11reduce_implILb1ES3_N6hipcub16HIPCUB_304000_NS22TransformInputIteratorIbN2at6native12_GLOBAL__N_19NonZeroOpIN3c108BFloat16EEEPKSF_lEEPiiNS8_6detail34convert_binary_result_type_wrapperINS8_3SumESJ_iEEEE10hipError_tPvRmT1_T2_T3_mT4_P12ihipStream_tbEUlT_E0_NS1_11comp_targetILNS1_3genE5ELNS1_11target_archE942ELNS1_3gpuE9ELNS1_3repE0EEENS1_30default_config_static_selectorELNS0_4arch9wavefront6targetE0EEEvSS_
; %bb.0:
	.section	.rodata,"a",@progbits
	.p2align	6, 0x0
	.amdhsa_kernel _ZN7rocprim17ROCPRIM_400000_NS6detail17trampoline_kernelINS0_14default_configENS1_22reduce_config_selectorIbEEZNS1_11reduce_implILb1ES3_N6hipcub16HIPCUB_304000_NS22TransformInputIteratorIbN2at6native12_GLOBAL__N_19NonZeroOpIN3c108BFloat16EEEPKSF_lEEPiiNS8_6detail34convert_binary_result_type_wrapperINS8_3SumESJ_iEEEE10hipError_tPvRmT1_T2_T3_mT4_P12ihipStream_tbEUlT_E0_NS1_11comp_targetILNS1_3genE5ELNS1_11target_archE942ELNS1_3gpuE9ELNS1_3repE0EEENS1_30default_config_static_selectorELNS0_4arch9wavefront6targetE0EEEvSS_
		.amdhsa_group_segment_fixed_size 0
		.amdhsa_private_segment_fixed_size 0
		.amdhsa_kernarg_size 64
		.amdhsa_user_sgpr_count 2
		.amdhsa_user_sgpr_dispatch_ptr 0
		.amdhsa_user_sgpr_queue_ptr 0
		.amdhsa_user_sgpr_kernarg_segment_ptr 1
		.amdhsa_user_sgpr_dispatch_id 0
		.amdhsa_user_sgpr_private_segment_size 0
		.amdhsa_wavefront_size32 1
		.amdhsa_uses_dynamic_stack 0
		.amdhsa_enable_private_segment 0
		.amdhsa_system_sgpr_workgroup_id_x 1
		.amdhsa_system_sgpr_workgroup_id_y 0
		.amdhsa_system_sgpr_workgroup_id_z 0
		.amdhsa_system_sgpr_workgroup_info 0
		.amdhsa_system_vgpr_workitem_id 0
		.amdhsa_next_free_vgpr 1
		.amdhsa_next_free_sgpr 1
		.amdhsa_reserve_vcc 0
		.amdhsa_float_round_mode_32 0
		.amdhsa_float_round_mode_16_64 0
		.amdhsa_float_denorm_mode_32 3
		.amdhsa_float_denorm_mode_16_64 3
		.amdhsa_fp16_overflow 0
		.amdhsa_workgroup_processor_mode 1
		.amdhsa_memory_ordered 1
		.amdhsa_forward_progress 1
		.amdhsa_inst_pref_size 0
		.amdhsa_round_robin_scheduling 0
		.amdhsa_exception_fp_ieee_invalid_op 0
		.amdhsa_exception_fp_denorm_src 0
		.amdhsa_exception_fp_ieee_div_zero 0
		.amdhsa_exception_fp_ieee_overflow 0
		.amdhsa_exception_fp_ieee_underflow 0
		.amdhsa_exception_fp_ieee_inexact 0
		.amdhsa_exception_int_div_zero 0
	.end_amdhsa_kernel
	.section	.text._ZN7rocprim17ROCPRIM_400000_NS6detail17trampoline_kernelINS0_14default_configENS1_22reduce_config_selectorIbEEZNS1_11reduce_implILb1ES3_N6hipcub16HIPCUB_304000_NS22TransformInputIteratorIbN2at6native12_GLOBAL__N_19NonZeroOpIN3c108BFloat16EEEPKSF_lEEPiiNS8_6detail34convert_binary_result_type_wrapperINS8_3SumESJ_iEEEE10hipError_tPvRmT1_T2_T3_mT4_P12ihipStream_tbEUlT_E0_NS1_11comp_targetILNS1_3genE5ELNS1_11target_archE942ELNS1_3gpuE9ELNS1_3repE0EEENS1_30default_config_static_selectorELNS0_4arch9wavefront6targetE0EEEvSS_,"axG",@progbits,_ZN7rocprim17ROCPRIM_400000_NS6detail17trampoline_kernelINS0_14default_configENS1_22reduce_config_selectorIbEEZNS1_11reduce_implILb1ES3_N6hipcub16HIPCUB_304000_NS22TransformInputIteratorIbN2at6native12_GLOBAL__N_19NonZeroOpIN3c108BFloat16EEEPKSF_lEEPiiNS8_6detail34convert_binary_result_type_wrapperINS8_3SumESJ_iEEEE10hipError_tPvRmT1_T2_T3_mT4_P12ihipStream_tbEUlT_E0_NS1_11comp_targetILNS1_3genE5ELNS1_11target_archE942ELNS1_3gpuE9ELNS1_3repE0EEENS1_30default_config_static_selectorELNS0_4arch9wavefront6targetE0EEEvSS_,comdat
.Lfunc_end781:
	.size	_ZN7rocprim17ROCPRIM_400000_NS6detail17trampoline_kernelINS0_14default_configENS1_22reduce_config_selectorIbEEZNS1_11reduce_implILb1ES3_N6hipcub16HIPCUB_304000_NS22TransformInputIteratorIbN2at6native12_GLOBAL__N_19NonZeroOpIN3c108BFloat16EEEPKSF_lEEPiiNS8_6detail34convert_binary_result_type_wrapperINS8_3SumESJ_iEEEE10hipError_tPvRmT1_T2_T3_mT4_P12ihipStream_tbEUlT_E0_NS1_11comp_targetILNS1_3genE5ELNS1_11target_archE942ELNS1_3gpuE9ELNS1_3repE0EEENS1_30default_config_static_selectorELNS0_4arch9wavefront6targetE0EEEvSS_, .Lfunc_end781-_ZN7rocprim17ROCPRIM_400000_NS6detail17trampoline_kernelINS0_14default_configENS1_22reduce_config_selectorIbEEZNS1_11reduce_implILb1ES3_N6hipcub16HIPCUB_304000_NS22TransformInputIteratorIbN2at6native12_GLOBAL__N_19NonZeroOpIN3c108BFloat16EEEPKSF_lEEPiiNS8_6detail34convert_binary_result_type_wrapperINS8_3SumESJ_iEEEE10hipError_tPvRmT1_T2_T3_mT4_P12ihipStream_tbEUlT_E0_NS1_11comp_targetILNS1_3genE5ELNS1_11target_archE942ELNS1_3gpuE9ELNS1_3repE0EEENS1_30default_config_static_selectorELNS0_4arch9wavefront6targetE0EEEvSS_
                                        ; -- End function
	.set _ZN7rocprim17ROCPRIM_400000_NS6detail17trampoline_kernelINS0_14default_configENS1_22reduce_config_selectorIbEEZNS1_11reduce_implILb1ES3_N6hipcub16HIPCUB_304000_NS22TransformInputIteratorIbN2at6native12_GLOBAL__N_19NonZeroOpIN3c108BFloat16EEEPKSF_lEEPiiNS8_6detail34convert_binary_result_type_wrapperINS8_3SumESJ_iEEEE10hipError_tPvRmT1_T2_T3_mT4_P12ihipStream_tbEUlT_E0_NS1_11comp_targetILNS1_3genE5ELNS1_11target_archE942ELNS1_3gpuE9ELNS1_3repE0EEENS1_30default_config_static_selectorELNS0_4arch9wavefront6targetE0EEEvSS_.num_vgpr, 0
	.set _ZN7rocprim17ROCPRIM_400000_NS6detail17trampoline_kernelINS0_14default_configENS1_22reduce_config_selectorIbEEZNS1_11reduce_implILb1ES3_N6hipcub16HIPCUB_304000_NS22TransformInputIteratorIbN2at6native12_GLOBAL__N_19NonZeroOpIN3c108BFloat16EEEPKSF_lEEPiiNS8_6detail34convert_binary_result_type_wrapperINS8_3SumESJ_iEEEE10hipError_tPvRmT1_T2_T3_mT4_P12ihipStream_tbEUlT_E0_NS1_11comp_targetILNS1_3genE5ELNS1_11target_archE942ELNS1_3gpuE9ELNS1_3repE0EEENS1_30default_config_static_selectorELNS0_4arch9wavefront6targetE0EEEvSS_.num_agpr, 0
	.set _ZN7rocprim17ROCPRIM_400000_NS6detail17trampoline_kernelINS0_14default_configENS1_22reduce_config_selectorIbEEZNS1_11reduce_implILb1ES3_N6hipcub16HIPCUB_304000_NS22TransformInputIteratorIbN2at6native12_GLOBAL__N_19NonZeroOpIN3c108BFloat16EEEPKSF_lEEPiiNS8_6detail34convert_binary_result_type_wrapperINS8_3SumESJ_iEEEE10hipError_tPvRmT1_T2_T3_mT4_P12ihipStream_tbEUlT_E0_NS1_11comp_targetILNS1_3genE5ELNS1_11target_archE942ELNS1_3gpuE9ELNS1_3repE0EEENS1_30default_config_static_selectorELNS0_4arch9wavefront6targetE0EEEvSS_.numbered_sgpr, 0
	.set _ZN7rocprim17ROCPRIM_400000_NS6detail17trampoline_kernelINS0_14default_configENS1_22reduce_config_selectorIbEEZNS1_11reduce_implILb1ES3_N6hipcub16HIPCUB_304000_NS22TransformInputIteratorIbN2at6native12_GLOBAL__N_19NonZeroOpIN3c108BFloat16EEEPKSF_lEEPiiNS8_6detail34convert_binary_result_type_wrapperINS8_3SumESJ_iEEEE10hipError_tPvRmT1_T2_T3_mT4_P12ihipStream_tbEUlT_E0_NS1_11comp_targetILNS1_3genE5ELNS1_11target_archE942ELNS1_3gpuE9ELNS1_3repE0EEENS1_30default_config_static_selectorELNS0_4arch9wavefront6targetE0EEEvSS_.num_named_barrier, 0
	.set _ZN7rocprim17ROCPRIM_400000_NS6detail17trampoline_kernelINS0_14default_configENS1_22reduce_config_selectorIbEEZNS1_11reduce_implILb1ES3_N6hipcub16HIPCUB_304000_NS22TransformInputIteratorIbN2at6native12_GLOBAL__N_19NonZeroOpIN3c108BFloat16EEEPKSF_lEEPiiNS8_6detail34convert_binary_result_type_wrapperINS8_3SumESJ_iEEEE10hipError_tPvRmT1_T2_T3_mT4_P12ihipStream_tbEUlT_E0_NS1_11comp_targetILNS1_3genE5ELNS1_11target_archE942ELNS1_3gpuE9ELNS1_3repE0EEENS1_30default_config_static_selectorELNS0_4arch9wavefront6targetE0EEEvSS_.private_seg_size, 0
	.set _ZN7rocprim17ROCPRIM_400000_NS6detail17trampoline_kernelINS0_14default_configENS1_22reduce_config_selectorIbEEZNS1_11reduce_implILb1ES3_N6hipcub16HIPCUB_304000_NS22TransformInputIteratorIbN2at6native12_GLOBAL__N_19NonZeroOpIN3c108BFloat16EEEPKSF_lEEPiiNS8_6detail34convert_binary_result_type_wrapperINS8_3SumESJ_iEEEE10hipError_tPvRmT1_T2_T3_mT4_P12ihipStream_tbEUlT_E0_NS1_11comp_targetILNS1_3genE5ELNS1_11target_archE942ELNS1_3gpuE9ELNS1_3repE0EEENS1_30default_config_static_selectorELNS0_4arch9wavefront6targetE0EEEvSS_.uses_vcc, 0
	.set _ZN7rocprim17ROCPRIM_400000_NS6detail17trampoline_kernelINS0_14default_configENS1_22reduce_config_selectorIbEEZNS1_11reduce_implILb1ES3_N6hipcub16HIPCUB_304000_NS22TransformInputIteratorIbN2at6native12_GLOBAL__N_19NonZeroOpIN3c108BFloat16EEEPKSF_lEEPiiNS8_6detail34convert_binary_result_type_wrapperINS8_3SumESJ_iEEEE10hipError_tPvRmT1_T2_T3_mT4_P12ihipStream_tbEUlT_E0_NS1_11comp_targetILNS1_3genE5ELNS1_11target_archE942ELNS1_3gpuE9ELNS1_3repE0EEENS1_30default_config_static_selectorELNS0_4arch9wavefront6targetE0EEEvSS_.uses_flat_scratch, 0
	.set _ZN7rocprim17ROCPRIM_400000_NS6detail17trampoline_kernelINS0_14default_configENS1_22reduce_config_selectorIbEEZNS1_11reduce_implILb1ES3_N6hipcub16HIPCUB_304000_NS22TransformInputIteratorIbN2at6native12_GLOBAL__N_19NonZeroOpIN3c108BFloat16EEEPKSF_lEEPiiNS8_6detail34convert_binary_result_type_wrapperINS8_3SumESJ_iEEEE10hipError_tPvRmT1_T2_T3_mT4_P12ihipStream_tbEUlT_E0_NS1_11comp_targetILNS1_3genE5ELNS1_11target_archE942ELNS1_3gpuE9ELNS1_3repE0EEENS1_30default_config_static_selectorELNS0_4arch9wavefront6targetE0EEEvSS_.has_dyn_sized_stack, 0
	.set _ZN7rocprim17ROCPRIM_400000_NS6detail17trampoline_kernelINS0_14default_configENS1_22reduce_config_selectorIbEEZNS1_11reduce_implILb1ES3_N6hipcub16HIPCUB_304000_NS22TransformInputIteratorIbN2at6native12_GLOBAL__N_19NonZeroOpIN3c108BFloat16EEEPKSF_lEEPiiNS8_6detail34convert_binary_result_type_wrapperINS8_3SumESJ_iEEEE10hipError_tPvRmT1_T2_T3_mT4_P12ihipStream_tbEUlT_E0_NS1_11comp_targetILNS1_3genE5ELNS1_11target_archE942ELNS1_3gpuE9ELNS1_3repE0EEENS1_30default_config_static_selectorELNS0_4arch9wavefront6targetE0EEEvSS_.has_recursion, 0
	.set _ZN7rocprim17ROCPRIM_400000_NS6detail17trampoline_kernelINS0_14default_configENS1_22reduce_config_selectorIbEEZNS1_11reduce_implILb1ES3_N6hipcub16HIPCUB_304000_NS22TransformInputIteratorIbN2at6native12_GLOBAL__N_19NonZeroOpIN3c108BFloat16EEEPKSF_lEEPiiNS8_6detail34convert_binary_result_type_wrapperINS8_3SumESJ_iEEEE10hipError_tPvRmT1_T2_T3_mT4_P12ihipStream_tbEUlT_E0_NS1_11comp_targetILNS1_3genE5ELNS1_11target_archE942ELNS1_3gpuE9ELNS1_3repE0EEENS1_30default_config_static_selectorELNS0_4arch9wavefront6targetE0EEEvSS_.has_indirect_call, 0
	.section	.AMDGPU.csdata,"",@progbits
; Kernel info:
; codeLenInByte = 0
; TotalNumSgprs: 0
; NumVgprs: 0
; ScratchSize: 0
; MemoryBound: 0
; FloatMode: 240
; IeeeMode: 1
; LDSByteSize: 0 bytes/workgroup (compile time only)
; SGPRBlocks: 0
; VGPRBlocks: 0
; NumSGPRsForWavesPerEU: 1
; NumVGPRsForWavesPerEU: 1
; Occupancy: 16
; WaveLimiterHint : 0
; COMPUTE_PGM_RSRC2:SCRATCH_EN: 0
; COMPUTE_PGM_RSRC2:USER_SGPR: 2
; COMPUTE_PGM_RSRC2:TRAP_HANDLER: 0
; COMPUTE_PGM_RSRC2:TGID_X_EN: 1
; COMPUTE_PGM_RSRC2:TGID_Y_EN: 0
; COMPUTE_PGM_RSRC2:TGID_Z_EN: 0
; COMPUTE_PGM_RSRC2:TIDIG_COMP_CNT: 0
	.section	.text._ZN7rocprim17ROCPRIM_400000_NS6detail17trampoline_kernelINS0_14default_configENS1_22reduce_config_selectorIbEEZNS1_11reduce_implILb1ES3_N6hipcub16HIPCUB_304000_NS22TransformInputIteratorIbN2at6native12_GLOBAL__N_19NonZeroOpIN3c108BFloat16EEEPKSF_lEEPiiNS8_6detail34convert_binary_result_type_wrapperINS8_3SumESJ_iEEEE10hipError_tPvRmT1_T2_T3_mT4_P12ihipStream_tbEUlT_E0_NS1_11comp_targetILNS1_3genE4ELNS1_11target_archE910ELNS1_3gpuE8ELNS1_3repE0EEENS1_30default_config_static_selectorELNS0_4arch9wavefront6targetE0EEEvSS_,"axG",@progbits,_ZN7rocprim17ROCPRIM_400000_NS6detail17trampoline_kernelINS0_14default_configENS1_22reduce_config_selectorIbEEZNS1_11reduce_implILb1ES3_N6hipcub16HIPCUB_304000_NS22TransformInputIteratorIbN2at6native12_GLOBAL__N_19NonZeroOpIN3c108BFloat16EEEPKSF_lEEPiiNS8_6detail34convert_binary_result_type_wrapperINS8_3SumESJ_iEEEE10hipError_tPvRmT1_T2_T3_mT4_P12ihipStream_tbEUlT_E0_NS1_11comp_targetILNS1_3genE4ELNS1_11target_archE910ELNS1_3gpuE8ELNS1_3repE0EEENS1_30default_config_static_selectorELNS0_4arch9wavefront6targetE0EEEvSS_,comdat
	.globl	_ZN7rocprim17ROCPRIM_400000_NS6detail17trampoline_kernelINS0_14default_configENS1_22reduce_config_selectorIbEEZNS1_11reduce_implILb1ES3_N6hipcub16HIPCUB_304000_NS22TransformInputIteratorIbN2at6native12_GLOBAL__N_19NonZeroOpIN3c108BFloat16EEEPKSF_lEEPiiNS8_6detail34convert_binary_result_type_wrapperINS8_3SumESJ_iEEEE10hipError_tPvRmT1_T2_T3_mT4_P12ihipStream_tbEUlT_E0_NS1_11comp_targetILNS1_3genE4ELNS1_11target_archE910ELNS1_3gpuE8ELNS1_3repE0EEENS1_30default_config_static_selectorELNS0_4arch9wavefront6targetE0EEEvSS_ ; -- Begin function _ZN7rocprim17ROCPRIM_400000_NS6detail17trampoline_kernelINS0_14default_configENS1_22reduce_config_selectorIbEEZNS1_11reduce_implILb1ES3_N6hipcub16HIPCUB_304000_NS22TransformInputIteratorIbN2at6native12_GLOBAL__N_19NonZeroOpIN3c108BFloat16EEEPKSF_lEEPiiNS8_6detail34convert_binary_result_type_wrapperINS8_3SumESJ_iEEEE10hipError_tPvRmT1_T2_T3_mT4_P12ihipStream_tbEUlT_E0_NS1_11comp_targetILNS1_3genE4ELNS1_11target_archE910ELNS1_3gpuE8ELNS1_3repE0EEENS1_30default_config_static_selectorELNS0_4arch9wavefront6targetE0EEEvSS_
	.p2align	8
	.type	_ZN7rocprim17ROCPRIM_400000_NS6detail17trampoline_kernelINS0_14default_configENS1_22reduce_config_selectorIbEEZNS1_11reduce_implILb1ES3_N6hipcub16HIPCUB_304000_NS22TransformInputIteratorIbN2at6native12_GLOBAL__N_19NonZeroOpIN3c108BFloat16EEEPKSF_lEEPiiNS8_6detail34convert_binary_result_type_wrapperINS8_3SumESJ_iEEEE10hipError_tPvRmT1_T2_T3_mT4_P12ihipStream_tbEUlT_E0_NS1_11comp_targetILNS1_3genE4ELNS1_11target_archE910ELNS1_3gpuE8ELNS1_3repE0EEENS1_30default_config_static_selectorELNS0_4arch9wavefront6targetE0EEEvSS_,@function
_ZN7rocprim17ROCPRIM_400000_NS6detail17trampoline_kernelINS0_14default_configENS1_22reduce_config_selectorIbEEZNS1_11reduce_implILb1ES3_N6hipcub16HIPCUB_304000_NS22TransformInputIteratorIbN2at6native12_GLOBAL__N_19NonZeroOpIN3c108BFloat16EEEPKSF_lEEPiiNS8_6detail34convert_binary_result_type_wrapperINS8_3SumESJ_iEEEE10hipError_tPvRmT1_T2_T3_mT4_P12ihipStream_tbEUlT_E0_NS1_11comp_targetILNS1_3genE4ELNS1_11target_archE910ELNS1_3gpuE8ELNS1_3repE0EEENS1_30default_config_static_selectorELNS0_4arch9wavefront6targetE0EEEvSS_: ; @_ZN7rocprim17ROCPRIM_400000_NS6detail17trampoline_kernelINS0_14default_configENS1_22reduce_config_selectorIbEEZNS1_11reduce_implILb1ES3_N6hipcub16HIPCUB_304000_NS22TransformInputIteratorIbN2at6native12_GLOBAL__N_19NonZeroOpIN3c108BFloat16EEEPKSF_lEEPiiNS8_6detail34convert_binary_result_type_wrapperINS8_3SumESJ_iEEEE10hipError_tPvRmT1_T2_T3_mT4_P12ihipStream_tbEUlT_E0_NS1_11comp_targetILNS1_3genE4ELNS1_11target_archE910ELNS1_3gpuE8ELNS1_3repE0EEENS1_30default_config_static_selectorELNS0_4arch9wavefront6targetE0EEEvSS_
; %bb.0:
	.section	.rodata,"a",@progbits
	.p2align	6, 0x0
	.amdhsa_kernel _ZN7rocprim17ROCPRIM_400000_NS6detail17trampoline_kernelINS0_14default_configENS1_22reduce_config_selectorIbEEZNS1_11reduce_implILb1ES3_N6hipcub16HIPCUB_304000_NS22TransformInputIteratorIbN2at6native12_GLOBAL__N_19NonZeroOpIN3c108BFloat16EEEPKSF_lEEPiiNS8_6detail34convert_binary_result_type_wrapperINS8_3SumESJ_iEEEE10hipError_tPvRmT1_T2_T3_mT4_P12ihipStream_tbEUlT_E0_NS1_11comp_targetILNS1_3genE4ELNS1_11target_archE910ELNS1_3gpuE8ELNS1_3repE0EEENS1_30default_config_static_selectorELNS0_4arch9wavefront6targetE0EEEvSS_
		.amdhsa_group_segment_fixed_size 0
		.amdhsa_private_segment_fixed_size 0
		.amdhsa_kernarg_size 64
		.amdhsa_user_sgpr_count 2
		.amdhsa_user_sgpr_dispatch_ptr 0
		.amdhsa_user_sgpr_queue_ptr 0
		.amdhsa_user_sgpr_kernarg_segment_ptr 1
		.amdhsa_user_sgpr_dispatch_id 0
		.amdhsa_user_sgpr_private_segment_size 0
		.amdhsa_wavefront_size32 1
		.amdhsa_uses_dynamic_stack 0
		.amdhsa_enable_private_segment 0
		.amdhsa_system_sgpr_workgroup_id_x 1
		.amdhsa_system_sgpr_workgroup_id_y 0
		.amdhsa_system_sgpr_workgroup_id_z 0
		.amdhsa_system_sgpr_workgroup_info 0
		.amdhsa_system_vgpr_workitem_id 0
		.amdhsa_next_free_vgpr 1
		.amdhsa_next_free_sgpr 1
		.amdhsa_reserve_vcc 0
		.amdhsa_float_round_mode_32 0
		.amdhsa_float_round_mode_16_64 0
		.amdhsa_float_denorm_mode_32 3
		.amdhsa_float_denorm_mode_16_64 3
		.amdhsa_fp16_overflow 0
		.amdhsa_workgroup_processor_mode 1
		.amdhsa_memory_ordered 1
		.amdhsa_forward_progress 1
		.amdhsa_inst_pref_size 0
		.amdhsa_round_robin_scheduling 0
		.amdhsa_exception_fp_ieee_invalid_op 0
		.amdhsa_exception_fp_denorm_src 0
		.amdhsa_exception_fp_ieee_div_zero 0
		.amdhsa_exception_fp_ieee_overflow 0
		.amdhsa_exception_fp_ieee_underflow 0
		.amdhsa_exception_fp_ieee_inexact 0
		.amdhsa_exception_int_div_zero 0
	.end_amdhsa_kernel
	.section	.text._ZN7rocprim17ROCPRIM_400000_NS6detail17trampoline_kernelINS0_14default_configENS1_22reduce_config_selectorIbEEZNS1_11reduce_implILb1ES3_N6hipcub16HIPCUB_304000_NS22TransformInputIteratorIbN2at6native12_GLOBAL__N_19NonZeroOpIN3c108BFloat16EEEPKSF_lEEPiiNS8_6detail34convert_binary_result_type_wrapperINS8_3SumESJ_iEEEE10hipError_tPvRmT1_T2_T3_mT4_P12ihipStream_tbEUlT_E0_NS1_11comp_targetILNS1_3genE4ELNS1_11target_archE910ELNS1_3gpuE8ELNS1_3repE0EEENS1_30default_config_static_selectorELNS0_4arch9wavefront6targetE0EEEvSS_,"axG",@progbits,_ZN7rocprim17ROCPRIM_400000_NS6detail17trampoline_kernelINS0_14default_configENS1_22reduce_config_selectorIbEEZNS1_11reduce_implILb1ES3_N6hipcub16HIPCUB_304000_NS22TransformInputIteratorIbN2at6native12_GLOBAL__N_19NonZeroOpIN3c108BFloat16EEEPKSF_lEEPiiNS8_6detail34convert_binary_result_type_wrapperINS8_3SumESJ_iEEEE10hipError_tPvRmT1_T2_T3_mT4_P12ihipStream_tbEUlT_E0_NS1_11comp_targetILNS1_3genE4ELNS1_11target_archE910ELNS1_3gpuE8ELNS1_3repE0EEENS1_30default_config_static_selectorELNS0_4arch9wavefront6targetE0EEEvSS_,comdat
.Lfunc_end782:
	.size	_ZN7rocprim17ROCPRIM_400000_NS6detail17trampoline_kernelINS0_14default_configENS1_22reduce_config_selectorIbEEZNS1_11reduce_implILb1ES3_N6hipcub16HIPCUB_304000_NS22TransformInputIteratorIbN2at6native12_GLOBAL__N_19NonZeroOpIN3c108BFloat16EEEPKSF_lEEPiiNS8_6detail34convert_binary_result_type_wrapperINS8_3SumESJ_iEEEE10hipError_tPvRmT1_T2_T3_mT4_P12ihipStream_tbEUlT_E0_NS1_11comp_targetILNS1_3genE4ELNS1_11target_archE910ELNS1_3gpuE8ELNS1_3repE0EEENS1_30default_config_static_selectorELNS0_4arch9wavefront6targetE0EEEvSS_, .Lfunc_end782-_ZN7rocprim17ROCPRIM_400000_NS6detail17trampoline_kernelINS0_14default_configENS1_22reduce_config_selectorIbEEZNS1_11reduce_implILb1ES3_N6hipcub16HIPCUB_304000_NS22TransformInputIteratorIbN2at6native12_GLOBAL__N_19NonZeroOpIN3c108BFloat16EEEPKSF_lEEPiiNS8_6detail34convert_binary_result_type_wrapperINS8_3SumESJ_iEEEE10hipError_tPvRmT1_T2_T3_mT4_P12ihipStream_tbEUlT_E0_NS1_11comp_targetILNS1_3genE4ELNS1_11target_archE910ELNS1_3gpuE8ELNS1_3repE0EEENS1_30default_config_static_selectorELNS0_4arch9wavefront6targetE0EEEvSS_
                                        ; -- End function
	.set _ZN7rocprim17ROCPRIM_400000_NS6detail17trampoline_kernelINS0_14default_configENS1_22reduce_config_selectorIbEEZNS1_11reduce_implILb1ES3_N6hipcub16HIPCUB_304000_NS22TransformInputIteratorIbN2at6native12_GLOBAL__N_19NonZeroOpIN3c108BFloat16EEEPKSF_lEEPiiNS8_6detail34convert_binary_result_type_wrapperINS8_3SumESJ_iEEEE10hipError_tPvRmT1_T2_T3_mT4_P12ihipStream_tbEUlT_E0_NS1_11comp_targetILNS1_3genE4ELNS1_11target_archE910ELNS1_3gpuE8ELNS1_3repE0EEENS1_30default_config_static_selectorELNS0_4arch9wavefront6targetE0EEEvSS_.num_vgpr, 0
	.set _ZN7rocprim17ROCPRIM_400000_NS6detail17trampoline_kernelINS0_14default_configENS1_22reduce_config_selectorIbEEZNS1_11reduce_implILb1ES3_N6hipcub16HIPCUB_304000_NS22TransformInputIteratorIbN2at6native12_GLOBAL__N_19NonZeroOpIN3c108BFloat16EEEPKSF_lEEPiiNS8_6detail34convert_binary_result_type_wrapperINS8_3SumESJ_iEEEE10hipError_tPvRmT1_T2_T3_mT4_P12ihipStream_tbEUlT_E0_NS1_11comp_targetILNS1_3genE4ELNS1_11target_archE910ELNS1_3gpuE8ELNS1_3repE0EEENS1_30default_config_static_selectorELNS0_4arch9wavefront6targetE0EEEvSS_.num_agpr, 0
	.set _ZN7rocprim17ROCPRIM_400000_NS6detail17trampoline_kernelINS0_14default_configENS1_22reduce_config_selectorIbEEZNS1_11reduce_implILb1ES3_N6hipcub16HIPCUB_304000_NS22TransformInputIteratorIbN2at6native12_GLOBAL__N_19NonZeroOpIN3c108BFloat16EEEPKSF_lEEPiiNS8_6detail34convert_binary_result_type_wrapperINS8_3SumESJ_iEEEE10hipError_tPvRmT1_T2_T3_mT4_P12ihipStream_tbEUlT_E0_NS1_11comp_targetILNS1_3genE4ELNS1_11target_archE910ELNS1_3gpuE8ELNS1_3repE0EEENS1_30default_config_static_selectorELNS0_4arch9wavefront6targetE0EEEvSS_.numbered_sgpr, 0
	.set _ZN7rocprim17ROCPRIM_400000_NS6detail17trampoline_kernelINS0_14default_configENS1_22reduce_config_selectorIbEEZNS1_11reduce_implILb1ES3_N6hipcub16HIPCUB_304000_NS22TransformInputIteratorIbN2at6native12_GLOBAL__N_19NonZeroOpIN3c108BFloat16EEEPKSF_lEEPiiNS8_6detail34convert_binary_result_type_wrapperINS8_3SumESJ_iEEEE10hipError_tPvRmT1_T2_T3_mT4_P12ihipStream_tbEUlT_E0_NS1_11comp_targetILNS1_3genE4ELNS1_11target_archE910ELNS1_3gpuE8ELNS1_3repE0EEENS1_30default_config_static_selectorELNS0_4arch9wavefront6targetE0EEEvSS_.num_named_barrier, 0
	.set _ZN7rocprim17ROCPRIM_400000_NS6detail17trampoline_kernelINS0_14default_configENS1_22reduce_config_selectorIbEEZNS1_11reduce_implILb1ES3_N6hipcub16HIPCUB_304000_NS22TransformInputIteratorIbN2at6native12_GLOBAL__N_19NonZeroOpIN3c108BFloat16EEEPKSF_lEEPiiNS8_6detail34convert_binary_result_type_wrapperINS8_3SumESJ_iEEEE10hipError_tPvRmT1_T2_T3_mT4_P12ihipStream_tbEUlT_E0_NS1_11comp_targetILNS1_3genE4ELNS1_11target_archE910ELNS1_3gpuE8ELNS1_3repE0EEENS1_30default_config_static_selectorELNS0_4arch9wavefront6targetE0EEEvSS_.private_seg_size, 0
	.set _ZN7rocprim17ROCPRIM_400000_NS6detail17trampoline_kernelINS0_14default_configENS1_22reduce_config_selectorIbEEZNS1_11reduce_implILb1ES3_N6hipcub16HIPCUB_304000_NS22TransformInputIteratorIbN2at6native12_GLOBAL__N_19NonZeroOpIN3c108BFloat16EEEPKSF_lEEPiiNS8_6detail34convert_binary_result_type_wrapperINS8_3SumESJ_iEEEE10hipError_tPvRmT1_T2_T3_mT4_P12ihipStream_tbEUlT_E0_NS1_11comp_targetILNS1_3genE4ELNS1_11target_archE910ELNS1_3gpuE8ELNS1_3repE0EEENS1_30default_config_static_selectorELNS0_4arch9wavefront6targetE0EEEvSS_.uses_vcc, 0
	.set _ZN7rocprim17ROCPRIM_400000_NS6detail17trampoline_kernelINS0_14default_configENS1_22reduce_config_selectorIbEEZNS1_11reduce_implILb1ES3_N6hipcub16HIPCUB_304000_NS22TransformInputIteratorIbN2at6native12_GLOBAL__N_19NonZeroOpIN3c108BFloat16EEEPKSF_lEEPiiNS8_6detail34convert_binary_result_type_wrapperINS8_3SumESJ_iEEEE10hipError_tPvRmT1_T2_T3_mT4_P12ihipStream_tbEUlT_E0_NS1_11comp_targetILNS1_3genE4ELNS1_11target_archE910ELNS1_3gpuE8ELNS1_3repE0EEENS1_30default_config_static_selectorELNS0_4arch9wavefront6targetE0EEEvSS_.uses_flat_scratch, 0
	.set _ZN7rocprim17ROCPRIM_400000_NS6detail17trampoline_kernelINS0_14default_configENS1_22reduce_config_selectorIbEEZNS1_11reduce_implILb1ES3_N6hipcub16HIPCUB_304000_NS22TransformInputIteratorIbN2at6native12_GLOBAL__N_19NonZeroOpIN3c108BFloat16EEEPKSF_lEEPiiNS8_6detail34convert_binary_result_type_wrapperINS8_3SumESJ_iEEEE10hipError_tPvRmT1_T2_T3_mT4_P12ihipStream_tbEUlT_E0_NS1_11comp_targetILNS1_3genE4ELNS1_11target_archE910ELNS1_3gpuE8ELNS1_3repE0EEENS1_30default_config_static_selectorELNS0_4arch9wavefront6targetE0EEEvSS_.has_dyn_sized_stack, 0
	.set _ZN7rocprim17ROCPRIM_400000_NS6detail17trampoline_kernelINS0_14default_configENS1_22reduce_config_selectorIbEEZNS1_11reduce_implILb1ES3_N6hipcub16HIPCUB_304000_NS22TransformInputIteratorIbN2at6native12_GLOBAL__N_19NonZeroOpIN3c108BFloat16EEEPKSF_lEEPiiNS8_6detail34convert_binary_result_type_wrapperINS8_3SumESJ_iEEEE10hipError_tPvRmT1_T2_T3_mT4_P12ihipStream_tbEUlT_E0_NS1_11comp_targetILNS1_3genE4ELNS1_11target_archE910ELNS1_3gpuE8ELNS1_3repE0EEENS1_30default_config_static_selectorELNS0_4arch9wavefront6targetE0EEEvSS_.has_recursion, 0
	.set _ZN7rocprim17ROCPRIM_400000_NS6detail17trampoline_kernelINS0_14default_configENS1_22reduce_config_selectorIbEEZNS1_11reduce_implILb1ES3_N6hipcub16HIPCUB_304000_NS22TransformInputIteratorIbN2at6native12_GLOBAL__N_19NonZeroOpIN3c108BFloat16EEEPKSF_lEEPiiNS8_6detail34convert_binary_result_type_wrapperINS8_3SumESJ_iEEEE10hipError_tPvRmT1_T2_T3_mT4_P12ihipStream_tbEUlT_E0_NS1_11comp_targetILNS1_3genE4ELNS1_11target_archE910ELNS1_3gpuE8ELNS1_3repE0EEENS1_30default_config_static_selectorELNS0_4arch9wavefront6targetE0EEEvSS_.has_indirect_call, 0
	.section	.AMDGPU.csdata,"",@progbits
; Kernel info:
; codeLenInByte = 0
; TotalNumSgprs: 0
; NumVgprs: 0
; ScratchSize: 0
; MemoryBound: 0
; FloatMode: 240
; IeeeMode: 1
; LDSByteSize: 0 bytes/workgroup (compile time only)
; SGPRBlocks: 0
; VGPRBlocks: 0
; NumSGPRsForWavesPerEU: 1
; NumVGPRsForWavesPerEU: 1
; Occupancy: 16
; WaveLimiterHint : 0
; COMPUTE_PGM_RSRC2:SCRATCH_EN: 0
; COMPUTE_PGM_RSRC2:USER_SGPR: 2
; COMPUTE_PGM_RSRC2:TRAP_HANDLER: 0
; COMPUTE_PGM_RSRC2:TGID_X_EN: 1
; COMPUTE_PGM_RSRC2:TGID_Y_EN: 0
; COMPUTE_PGM_RSRC2:TGID_Z_EN: 0
; COMPUTE_PGM_RSRC2:TIDIG_COMP_CNT: 0
	.section	.text._ZN7rocprim17ROCPRIM_400000_NS6detail17trampoline_kernelINS0_14default_configENS1_22reduce_config_selectorIbEEZNS1_11reduce_implILb1ES3_N6hipcub16HIPCUB_304000_NS22TransformInputIteratorIbN2at6native12_GLOBAL__N_19NonZeroOpIN3c108BFloat16EEEPKSF_lEEPiiNS8_6detail34convert_binary_result_type_wrapperINS8_3SumESJ_iEEEE10hipError_tPvRmT1_T2_T3_mT4_P12ihipStream_tbEUlT_E0_NS1_11comp_targetILNS1_3genE3ELNS1_11target_archE908ELNS1_3gpuE7ELNS1_3repE0EEENS1_30default_config_static_selectorELNS0_4arch9wavefront6targetE0EEEvSS_,"axG",@progbits,_ZN7rocprim17ROCPRIM_400000_NS6detail17trampoline_kernelINS0_14default_configENS1_22reduce_config_selectorIbEEZNS1_11reduce_implILb1ES3_N6hipcub16HIPCUB_304000_NS22TransformInputIteratorIbN2at6native12_GLOBAL__N_19NonZeroOpIN3c108BFloat16EEEPKSF_lEEPiiNS8_6detail34convert_binary_result_type_wrapperINS8_3SumESJ_iEEEE10hipError_tPvRmT1_T2_T3_mT4_P12ihipStream_tbEUlT_E0_NS1_11comp_targetILNS1_3genE3ELNS1_11target_archE908ELNS1_3gpuE7ELNS1_3repE0EEENS1_30default_config_static_selectorELNS0_4arch9wavefront6targetE0EEEvSS_,comdat
	.globl	_ZN7rocprim17ROCPRIM_400000_NS6detail17trampoline_kernelINS0_14default_configENS1_22reduce_config_selectorIbEEZNS1_11reduce_implILb1ES3_N6hipcub16HIPCUB_304000_NS22TransformInputIteratorIbN2at6native12_GLOBAL__N_19NonZeroOpIN3c108BFloat16EEEPKSF_lEEPiiNS8_6detail34convert_binary_result_type_wrapperINS8_3SumESJ_iEEEE10hipError_tPvRmT1_T2_T3_mT4_P12ihipStream_tbEUlT_E0_NS1_11comp_targetILNS1_3genE3ELNS1_11target_archE908ELNS1_3gpuE7ELNS1_3repE0EEENS1_30default_config_static_selectorELNS0_4arch9wavefront6targetE0EEEvSS_ ; -- Begin function _ZN7rocprim17ROCPRIM_400000_NS6detail17trampoline_kernelINS0_14default_configENS1_22reduce_config_selectorIbEEZNS1_11reduce_implILb1ES3_N6hipcub16HIPCUB_304000_NS22TransformInputIteratorIbN2at6native12_GLOBAL__N_19NonZeroOpIN3c108BFloat16EEEPKSF_lEEPiiNS8_6detail34convert_binary_result_type_wrapperINS8_3SumESJ_iEEEE10hipError_tPvRmT1_T2_T3_mT4_P12ihipStream_tbEUlT_E0_NS1_11comp_targetILNS1_3genE3ELNS1_11target_archE908ELNS1_3gpuE7ELNS1_3repE0EEENS1_30default_config_static_selectorELNS0_4arch9wavefront6targetE0EEEvSS_
	.p2align	8
	.type	_ZN7rocprim17ROCPRIM_400000_NS6detail17trampoline_kernelINS0_14default_configENS1_22reduce_config_selectorIbEEZNS1_11reduce_implILb1ES3_N6hipcub16HIPCUB_304000_NS22TransformInputIteratorIbN2at6native12_GLOBAL__N_19NonZeroOpIN3c108BFloat16EEEPKSF_lEEPiiNS8_6detail34convert_binary_result_type_wrapperINS8_3SumESJ_iEEEE10hipError_tPvRmT1_T2_T3_mT4_P12ihipStream_tbEUlT_E0_NS1_11comp_targetILNS1_3genE3ELNS1_11target_archE908ELNS1_3gpuE7ELNS1_3repE0EEENS1_30default_config_static_selectorELNS0_4arch9wavefront6targetE0EEEvSS_,@function
_ZN7rocprim17ROCPRIM_400000_NS6detail17trampoline_kernelINS0_14default_configENS1_22reduce_config_selectorIbEEZNS1_11reduce_implILb1ES3_N6hipcub16HIPCUB_304000_NS22TransformInputIteratorIbN2at6native12_GLOBAL__N_19NonZeroOpIN3c108BFloat16EEEPKSF_lEEPiiNS8_6detail34convert_binary_result_type_wrapperINS8_3SumESJ_iEEEE10hipError_tPvRmT1_T2_T3_mT4_P12ihipStream_tbEUlT_E0_NS1_11comp_targetILNS1_3genE3ELNS1_11target_archE908ELNS1_3gpuE7ELNS1_3repE0EEENS1_30default_config_static_selectorELNS0_4arch9wavefront6targetE0EEEvSS_: ; @_ZN7rocprim17ROCPRIM_400000_NS6detail17trampoline_kernelINS0_14default_configENS1_22reduce_config_selectorIbEEZNS1_11reduce_implILb1ES3_N6hipcub16HIPCUB_304000_NS22TransformInputIteratorIbN2at6native12_GLOBAL__N_19NonZeroOpIN3c108BFloat16EEEPKSF_lEEPiiNS8_6detail34convert_binary_result_type_wrapperINS8_3SumESJ_iEEEE10hipError_tPvRmT1_T2_T3_mT4_P12ihipStream_tbEUlT_E0_NS1_11comp_targetILNS1_3genE3ELNS1_11target_archE908ELNS1_3gpuE7ELNS1_3repE0EEENS1_30default_config_static_selectorELNS0_4arch9wavefront6targetE0EEEvSS_
; %bb.0:
	.section	.rodata,"a",@progbits
	.p2align	6, 0x0
	.amdhsa_kernel _ZN7rocprim17ROCPRIM_400000_NS6detail17trampoline_kernelINS0_14default_configENS1_22reduce_config_selectorIbEEZNS1_11reduce_implILb1ES3_N6hipcub16HIPCUB_304000_NS22TransformInputIteratorIbN2at6native12_GLOBAL__N_19NonZeroOpIN3c108BFloat16EEEPKSF_lEEPiiNS8_6detail34convert_binary_result_type_wrapperINS8_3SumESJ_iEEEE10hipError_tPvRmT1_T2_T3_mT4_P12ihipStream_tbEUlT_E0_NS1_11comp_targetILNS1_3genE3ELNS1_11target_archE908ELNS1_3gpuE7ELNS1_3repE0EEENS1_30default_config_static_selectorELNS0_4arch9wavefront6targetE0EEEvSS_
		.amdhsa_group_segment_fixed_size 0
		.amdhsa_private_segment_fixed_size 0
		.amdhsa_kernarg_size 64
		.amdhsa_user_sgpr_count 2
		.amdhsa_user_sgpr_dispatch_ptr 0
		.amdhsa_user_sgpr_queue_ptr 0
		.amdhsa_user_sgpr_kernarg_segment_ptr 1
		.amdhsa_user_sgpr_dispatch_id 0
		.amdhsa_user_sgpr_private_segment_size 0
		.amdhsa_wavefront_size32 1
		.amdhsa_uses_dynamic_stack 0
		.amdhsa_enable_private_segment 0
		.amdhsa_system_sgpr_workgroup_id_x 1
		.amdhsa_system_sgpr_workgroup_id_y 0
		.amdhsa_system_sgpr_workgroup_id_z 0
		.amdhsa_system_sgpr_workgroup_info 0
		.amdhsa_system_vgpr_workitem_id 0
		.amdhsa_next_free_vgpr 1
		.amdhsa_next_free_sgpr 1
		.amdhsa_reserve_vcc 0
		.amdhsa_float_round_mode_32 0
		.amdhsa_float_round_mode_16_64 0
		.amdhsa_float_denorm_mode_32 3
		.amdhsa_float_denorm_mode_16_64 3
		.amdhsa_fp16_overflow 0
		.amdhsa_workgroup_processor_mode 1
		.amdhsa_memory_ordered 1
		.amdhsa_forward_progress 1
		.amdhsa_inst_pref_size 0
		.amdhsa_round_robin_scheduling 0
		.amdhsa_exception_fp_ieee_invalid_op 0
		.amdhsa_exception_fp_denorm_src 0
		.amdhsa_exception_fp_ieee_div_zero 0
		.amdhsa_exception_fp_ieee_overflow 0
		.amdhsa_exception_fp_ieee_underflow 0
		.amdhsa_exception_fp_ieee_inexact 0
		.amdhsa_exception_int_div_zero 0
	.end_amdhsa_kernel
	.section	.text._ZN7rocprim17ROCPRIM_400000_NS6detail17trampoline_kernelINS0_14default_configENS1_22reduce_config_selectorIbEEZNS1_11reduce_implILb1ES3_N6hipcub16HIPCUB_304000_NS22TransformInputIteratorIbN2at6native12_GLOBAL__N_19NonZeroOpIN3c108BFloat16EEEPKSF_lEEPiiNS8_6detail34convert_binary_result_type_wrapperINS8_3SumESJ_iEEEE10hipError_tPvRmT1_T2_T3_mT4_P12ihipStream_tbEUlT_E0_NS1_11comp_targetILNS1_3genE3ELNS1_11target_archE908ELNS1_3gpuE7ELNS1_3repE0EEENS1_30default_config_static_selectorELNS0_4arch9wavefront6targetE0EEEvSS_,"axG",@progbits,_ZN7rocprim17ROCPRIM_400000_NS6detail17trampoline_kernelINS0_14default_configENS1_22reduce_config_selectorIbEEZNS1_11reduce_implILb1ES3_N6hipcub16HIPCUB_304000_NS22TransformInputIteratorIbN2at6native12_GLOBAL__N_19NonZeroOpIN3c108BFloat16EEEPKSF_lEEPiiNS8_6detail34convert_binary_result_type_wrapperINS8_3SumESJ_iEEEE10hipError_tPvRmT1_T2_T3_mT4_P12ihipStream_tbEUlT_E0_NS1_11comp_targetILNS1_3genE3ELNS1_11target_archE908ELNS1_3gpuE7ELNS1_3repE0EEENS1_30default_config_static_selectorELNS0_4arch9wavefront6targetE0EEEvSS_,comdat
.Lfunc_end783:
	.size	_ZN7rocprim17ROCPRIM_400000_NS6detail17trampoline_kernelINS0_14default_configENS1_22reduce_config_selectorIbEEZNS1_11reduce_implILb1ES3_N6hipcub16HIPCUB_304000_NS22TransformInputIteratorIbN2at6native12_GLOBAL__N_19NonZeroOpIN3c108BFloat16EEEPKSF_lEEPiiNS8_6detail34convert_binary_result_type_wrapperINS8_3SumESJ_iEEEE10hipError_tPvRmT1_T2_T3_mT4_P12ihipStream_tbEUlT_E0_NS1_11comp_targetILNS1_3genE3ELNS1_11target_archE908ELNS1_3gpuE7ELNS1_3repE0EEENS1_30default_config_static_selectorELNS0_4arch9wavefront6targetE0EEEvSS_, .Lfunc_end783-_ZN7rocprim17ROCPRIM_400000_NS6detail17trampoline_kernelINS0_14default_configENS1_22reduce_config_selectorIbEEZNS1_11reduce_implILb1ES3_N6hipcub16HIPCUB_304000_NS22TransformInputIteratorIbN2at6native12_GLOBAL__N_19NonZeroOpIN3c108BFloat16EEEPKSF_lEEPiiNS8_6detail34convert_binary_result_type_wrapperINS8_3SumESJ_iEEEE10hipError_tPvRmT1_T2_T3_mT4_P12ihipStream_tbEUlT_E0_NS1_11comp_targetILNS1_3genE3ELNS1_11target_archE908ELNS1_3gpuE7ELNS1_3repE0EEENS1_30default_config_static_selectorELNS0_4arch9wavefront6targetE0EEEvSS_
                                        ; -- End function
	.set _ZN7rocprim17ROCPRIM_400000_NS6detail17trampoline_kernelINS0_14default_configENS1_22reduce_config_selectorIbEEZNS1_11reduce_implILb1ES3_N6hipcub16HIPCUB_304000_NS22TransformInputIteratorIbN2at6native12_GLOBAL__N_19NonZeroOpIN3c108BFloat16EEEPKSF_lEEPiiNS8_6detail34convert_binary_result_type_wrapperINS8_3SumESJ_iEEEE10hipError_tPvRmT1_T2_T3_mT4_P12ihipStream_tbEUlT_E0_NS1_11comp_targetILNS1_3genE3ELNS1_11target_archE908ELNS1_3gpuE7ELNS1_3repE0EEENS1_30default_config_static_selectorELNS0_4arch9wavefront6targetE0EEEvSS_.num_vgpr, 0
	.set _ZN7rocprim17ROCPRIM_400000_NS6detail17trampoline_kernelINS0_14default_configENS1_22reduce_config_selectorIbEEZNS1_11reduce_implILb1ES3_N6hipcub16HIPCUB_304000_NS22TransformInputIteratorIbN2at6native12_GLOBAL__N_19NonZeroOpIN3c108BFloat16EEEPKSF_lEEPiiNS8_6detail34convert_binary_result_type_wrapperINS8_3SumESJ_iEEEE10hipError_tPvRmT1_T2_T3_mT4_P12ihipStream_tbEUlT_E0_NS1_11comp_targetILNS1_3genE3ELNS1_11target_archE908ELNS1_3gpuE7ELNS1_3repE0EEENS1_30default_config_static_selectorELNS0_4arch9wavefront6targetE0EEEvSS_.num_agpr, 0
	.set _ZN7rocprim17ROCPRIM_400000_NS6detail17trampoline_kernelINS0_14default_configENS1_22reduce_config_selectorIbEEZNS1_11reduce_implILb1ES3_N6hipcub16HIPCUB_304000_NS22TransformInputIteratorIbN2at6native12_GLOBAL__N_19NonZeroOpIN3c108BFloat16EEEPKSF_lEEPiiNS8_6detail34convert_binary_result_type_wrapperINS8_3SumESJ_iEEEE10hipError_tPvRmT1_T2_T3_mT4_P12ihipStream_tbEUlT_E0_NS1_11comp_targetILNS1_3genE3ELNS1_11target_archE908ELNS1_3gpuE7ELNS1_3repE0EEENS1_30default_config_static_selectorELNS0_4arch9wavefront6targetE0EEEvSS_.numbered_sgpr, 0
	.set _ZN7rocprim17ROCPRIM_400000_NS6detail17trampoline_kernelINS0_14default_configENS1_22reduce_config_selectorIbEEZNS1_11reduce_implILb1ES3_N6hipcub16HIPCUB_304000_NS22TransformInputIteratorIbN2at6native12_GLOBAL__N_19NonZeroOpIN3c108BFloat16EEEPKSF_lEEPiiNS8_6detail34convert_binary_result_type_wrapperINS8_3SumESJ_iEEEE10hipError_tPvRmT1_T2_T3_mT4_P12ihipStream_tbEUlT_E0_NS1_11comp_targetILNS1_3genE3ELNS1_11target_archE908ELNS1_3gpuE7ELNS1_3repE0EEENS1_30default_config_static_selectorELNS0_4arch9wavefront6targetE0EEEvSS_.num_named_barrier, 0
	.set _ZN7rocprim17ROCPRIM_400000_NS6detail17trampoline_kernelINS0_14default_configENS1_22reduce_config_selectorIbEEZNS1_11reduce_implILb1ES3_N6hipcub16HIPCUB_304000_NS22TransformInputIteratorIbN2at6native12_GLOBAL__N_19NonZeroOpIN3c108BFloat16EEEPKSF_lEEPiiNS8_6detail34convert_binary_result_type_wrapperINS8_3SumESJ_iEEEE10hipError_tPvRmT1_T2_T3_mT4_P12ihipStream_tbEUlT_E0_NS1_11comp_targetILNS1_3genE3ELNS1_11target_archE908ELNS1_3gpuE7ELNS1_3repE0EEENS1_30default_config_static_selectorELNS0_4arch9wavefront6targetE0EEEvSS_.private_seg_size, 0
	.set _ZN7rocprim17ROCPRIM_400000_NS6detail17trampoline_kernelINS0_14default_configENS1_22reduce_config_selectorIbEEZNS1_11reduce_implILb1ES3_N6hipcub16HIPCUB_304000_NS22TransformInputIteratorIbN2at6native12_GLOBAL__N_19NonZeroOpIN3c108BFloat16EEEPKSF_lEEPiiNS8_6detail34convert_binary_result_type_wrapperINS8_3SumESJ_iEEEE10hipError_tPvRmT1_T2_T3_mT4_P12ihipStream_tbEUlT_E0_NS1_11comp_targetILNS1_3genE3ELNS1_11target_archE908ELNS1_3gpuE7ELNS1_3repE0EEENS1_30default_config_static_selectorELNS0_4arch9wavefront6targetE0EEEvSS_.uses_vcc, 0
	.set _ZN7rocprim17ROCPRIM_400000_NS6detail17trampoline_kernelINS0_14default_configENS1_22reduce_config_selectorIbEEZNS1_11reduce_implILb1ES3_N6hipcub16HIPCUB_304000_NS22TransformInputIteratorIbN2at6native12_GLOBAL__N_19NonZeroOpIN3c108BFloat16EEEPKSF_lEEPiiNS8_6detail34convert_binary_result_type_wrapperINS8_3SumESJ_iEEEE10hipError_tPvRmT1_T2_T3_mT4_P12ihipStream_tbEUlT_E0_NS1_11comp_targetILNS1_3genE3ELNS1_11target_archE908ELNS1_3gpuE7ELNS1_3repE0EEENS1_30default_config_static_selectorELNS0_4arch9wavefront6targetE0EEEvSS_.uses_flat_scratch, 0
	.set _ZN7rocprim17ROCPRIM_400000_NS6detail17trampoline_kernelINS0_14default_configENS1_22reduce_config_selectorIbEEZNS1_11reduce_implILb1ES3_N6hipcub16HIPCUB_304000_NS22TransformInputIteratorIbN2at6native12_GLOBAL__N_19NonZeroOpIN3c108BFloat16EEEPKSF_lEEPiiNS8_6detail34convert_binary_result_type_wrapperINS8_3SumESJ_iEEEE10hipError_tPvRmT1_T2_T3_mT4_P12ihipStream_tbEUlT_E0_NS1_11comp_targetILNS1_3genE3ELNS1_11target_archE908ELNS1_3gpuE7ELNS1_3repE0EEENS1_30default_config_static_selectorELNS0_4arch9wavefront6targetE0EEEvSS_.has_dyn_sized_stack, 0
	.set _ZN7rocprim17ROCPRIM_400000_NS6detail17trampoline_kernelINS0_14default_configENS1_22reduce_config_selectorIbEEZNS1_11reduce_implILb1ES3_N6hipcub16HIPCUB_304000_NS22TransformInputIteratorIbN2at6native12_GLOBAL__N_19NonZeroOpIN3c108BFloat16EEEPKSF_lEEPiiNS8_6detail34convert_binary_result_type_wrapperINS8_3SumESJ_iEEEE10hipError_tPvRmT1_T2_T3_mT4_P12ihipStream_tbEUlT_E0_NS1_11comp_targetILNS1_3genE3ELNS1_11target_archE908ELNS1_3gpuE7ELNS1_3repE0EEENS1_30default_config_static_selectorELNS0_4arch9wavefront6targetE0EEEvSS_.has_recursion, 0
	.set _ZN7rocprim17ROCPRIM_400000_NS6detail17trampoline_kernelINS0_14default_configENS1_22reduce_config_selectorIbEEZNS1_11reduce_implILb1ES3_N6hipcub16HIPCUB_304000_NS22TransformInputIteratorIbN2at6native12_GLOBAL__N_19NonZeroOpIN3c108BFloat16EEEPKSF_lEEPiiNS8_6detail34convert_binary_result_type_wrapperINS8_3SumESJ_iEEEE10hipError_tPvRmT1_T2_T3_mT4_P12ihipStream_tbEUlT_E0_NS1_11comp_targetILNS1_3genE3ELNS1_11target_archE908ELNS1_3gpuE7ELNS1_3repE0EEENS1_30default_config_static_selectorELNS0_4arch9wavefront6targetE0EEEvSS_.has_indirect_call, 0
	.section	.AMDGPU.csdata,"",@progbits
; Kernel info:
; codeLenInByte = 0
; TotalNumSgprs: 0
; NumVgprs: 0
; ScratchSize: 0
; MemoryBound: 0
; FloatMode: 240
; IeeeMode: 1
; LDSByteSize: 0 bytes/workgroup (compile time only)
; SGPRBlocks: 0
; VGPRBlocks: 0
; NumSGPRsForWavesPerEU: 1
; NumVGPRsForWavesPerEU: 1
; Occupancy: 16
; WaveLimiterHint : 0
; COMPUTE_PGM_RSRC2:SCRATCH_EN: 0
; COMPUTE_PGM_RSRC2:USER_SGPR: 2
; COMPUTE_PGM_RSRC2:TRAP_HANDLER: 0
; COMPUTE_PGM_RSRC2:TGID_X_EN: 1
; COMPUTE_PGM_RSRC2:TGID_Y_EN: 0
; COMPUTE_PGM_RSRC2:TGID_Z_EN: 0
; COMPUTE_PGM_RSRC2:TIDIG_COMP_CNT: 0
	.section	.text._ZN7rocprim17ROCPRIM_400000_NS6detail17trampoline_kernelINS0_14default_configENS1_22reduce_config_selectorIbEEZNS1_11reduce_implILb1ES3_N6hipcub16HIPCUB_304000_NS22TransformInputIteratorIbN2at6native12_GLOBAL__N_19NonZeroOpIN3c108BFloat16EEEPKSF_lEEPiiNS8_6detail34convert_binary_result_type_wrapperINS8_3SumESJ_iEEEE10hipError_tPvRmT1_T2_T3_mT4_P12ihipStream_tbEUlT_E0_NS1_11comp_targetILNS1_3genE2ELNS1_11target_archE906ELNS1_3gpuE6ELNS1_3repE0EEENS1_30default_config_static_selectorELNS0_4arch9wavefront6targetE0EEEvSS_,"axG",@progbits,_ZN7rocprim17ROCPRIM_400000_NS6detail17trampoline_kernelINS0_14default_configENS1_22reduce_config_selectorIbEEZNS1_11reduce_implILb1ES3_N6hipcub16HIPCUB_304000_NS22TransformInputIteratorIbN2at6native12_GLOBAL__N_19NonZeroOpIN3c108BFloat16EEEPKSF_lEEPiiNS8_6detail34convert_binary_result_type_wrapperINS8_3SumESJ_iEEEE10hipError_tPvRmT1_T2_T3_mT4_P12ihipStream_tbEUlT_E0_NS1_11comp_targetILNS1_3genE2ELNS1_11target_archE906ELNS1_3gpuE6ELNS1_3repE0EEENS1_30default_config_static_selectorELNS0_4arch9wavefront6targetE0EEEvSS_,comdat
	.globl	_ZN7rocprim17ROCPRIM_400000_NS6detail17trampoline_kernelINS0_14default_configENS1_22reduce_config_selectorIbEEZNS1_11reduce_implILb1ES3_N6hipcub16HIPCUB_304000_NS22TransformInputIteratorIbN2at6native12_GLOBAL__N_19NonZeroOpIN3c108BFloat16EEEPKSF_lEEPiiNS8_6detail34convert_binary_result_type_wrapperINS8_3SumESJ_iEEEE10hipError_tPvRmT1_T2_T3_mT4_P12ihipStream_tbEUlT_E0_NS1_11comp_targetILNS1_3genE2ELNS1_11target_archE906ELNS1_3gpuE6ELNS1_3repE0EEENS1_30default_config_static_selectorELNS0_4arch9wavefront6targetE0EEEvSS_ ; -- Begin function _ZN7rocprim17ROCPRIM_400000_NS6detail17trampoline_kernelINS0_14default_configENS1_22reduce_config_selectorIbEEZNS1_11reduce_implILb1ES3_N6hipcub16HIPCUB_304000_NS22TransformInputIteratorIbN2at6native12_GLOBAL__N_19NonZeroOpIN3c108BFloat16EEEPKSF_lEEPiiNS8_6detail34convert_binary_result_type_wrapperINS8_3SumESJ_iEEEE10hipError_tPvRmT1_T2_T3_mT4_P12ihipStream_tbEUlT_E0_NS1_11comp_targetILNS1_3genE2ELNS1_11target_archE906ELNS1_3gpuE6ELNS1_3repE0EEENS1_30default_config_static_selectorELNS0_4arch9wavefront6targetE0EEEvSS_
	.p2align	8
	.type	_ZN7rocprim17ROCPRIM_400000_NS6detail17trampoline_kernelINS0_14default_configENS1_22reduce_config_selectorIbEEZNS1_11reduce_implILb1ES3_N6hipcub16HIPCUB_304000_NS22TransformInputIteratorIbN2at6native12_GLOBAL__N_19NonZeroOpIN3c108BFloat16EEEPKSF_lEEPiiNS8_6detail34convert_binary_result_type_wrapperINS8_3SumESJ_iEEEE10hipError_tPvRmT1_T2_T3_mT4_P12ihipStream_tbEUlT_E0_NS1_11comp_targetILNS1_3genE2ELNS1_11target_archE906ELNS1_3gpuE6ELNS1_3repE0EEENS1_30default_config_static_selectorELNS0_4arch9wavefront6targetE0EEEvSS_,@function
_ZN7rocprim17ROCPRIM_400000_NS6detail17trampoline_kernelINS0_14default_configENS1_22reduce_config_selectorIbEEZNS1_11reduce_implILb1ES3_N6hipcub16HIPCUB_304000_NS22TransformInputIteratorIbN2at6native12_GLOBAL__N_19NonZeroOpIN3c108BFloat16EEEPKSF_lEEPiiNS8_6detail34convert_binary_result_type_wrapperINS8_3SumESJ_iEEEE10hipError_tPvRmT1_T2_T3_mT4_P12ihipStream_tbEUlT_E0_NS1_11comp_targetILNS1_3genE2ELNS1_11target_archE906ELNS1_3gpuE6ELNS1_3repE0EEENS1_30default_config_static_selectorELNS0_4arch9wavefront6targetE0EEEvSS_: ; @_ZN7rocprim17ROCPRIM_400000_NS6detail17trampoline_kernelINS0_14default_configENS1_22reduce_config_selectorIbEEZNS1_11reduce_implILb1ES3_N6hipcub16HIPCUB_304000_NS22TransformInputIteratorIbN2at6native12_GLOBAL__N_19NonZeroOpIN3c108BFloat16EEEPKSF_lEEPiiNS8_6detail34convert_binary_result_type_wrapperINS8_3SumESJ_iEEEE10hipError_tPvRmT1_T2_T3_mT4_P12ihipStream_tbEUlT_E0_NS1_11comp_targetILNS1_3genE2ELNS1_11target_archE906ELNS1_3gpuE6ELNS1_3repE0EEENS1_30default_config_static_selectorELNS0_4arch9wavefront6targetE0EEEvSS_
; %bb.0:
	.section	.rodata,"a",@progbits
	.p2align	6, 0x0
	.amdhsa_kernel _ZN7rocprim17ROCPRIM_400000_NS6detail17trampoline_kernelINS0_14default_configENS1_22reduce_config_selectorIbEEZNS1_11reduce_implILb1ES3_N6hipcub16HIPCUB_304000_NS22TransformInputIteratorIbN2at6native12_GLOBAL__N_19NonZeroOpIN3c108BFloat16EEEPKSF_lEEPiiNS8_6detail34convert_binary_result_type_wrapperINS8_3SumESJ_iEEEE10hipError_tPvRmT1_T2_T3_mT4_P12ihipStream_tbEUlT_E0_NS1_11comp_targetILNS1_3genE2ELNS1_11target_archE906ELNS1_3gpuE6ELNS1_3repE0EEENS1_30default_config_static_selectorELNS0_4arch9wavefront6targetE0EEEvSS_
		.amdhsa_group_segment_fixed_size 0
		.amdhsa_private_segment_fixed_size 0
		.amdhsa_kernarg_size 64
		.amdhsa_user_sgpr_count 2
		.amdhsa_user_sgpr_dispatch_ptr 0
		.amdhsa_user_sgpr_queue_ptr 0
		.amdhsa_user_sgpr_kernarg_segment_ptr 1
		.amdhsa_user_sgpr_dispatch_id 0
		.amdhsa_user_sgpr_private_segment_size 0
		.amdhsa_wavefront_size32 1
		.amdhsa_uses_dynamic_stack 0
		.amdhsa_enable_private_segment 0
		.amdhsa_system_sgpr_workgroup_id_x 1
		.amdhsa_system_sgpr_workgroup_id_y 0
		.amdhsa_system_sgpr_workgroup_id_z 0
		.amdhsa_system_sgpr_workgroup_info 0
		.amdhsa_system_vgpr_workitem_id 0
		.amdhsa_next_free_vgpr 1
		.amdhsa_next_free_sgpr 1
		.amdhsa_reserve_vcc 0
		.amdhsa_float_round_mode_32 0
		.amdhsa_float_round_mode_16_64 0
		.amdhsa_float_denorm_mode_32 3
		.amdhsa_float_denorm_mode_16_64 3
		.amdhsa_fp16_overflow 0
		.amdhsa_workgroup_processor_mode 1
		.amdhsa_memory_ordered 1
		.amdhsa_forward_progress 1
		.amdhsa_inst_pref_size 0
		.amdhsa_round_robin_scheduling 0
		.amdhsa_exception_fp_ieee_invalid_op 0
		.amdhsa_exception_fp_denorm_src 0
		.amdhsa_exception_fp_ieee_div_zero 0
		.amdhsa_exception_fp_ieee_overflow 0
		.amdhsa_exception_fp_ieee_underflow 0
		.amdhsa_exception_fp_ieee_inexact 0
		.amdhsa_exception_int_div_zero 0
	.end_amdhsa_kernel
	.section	.text._ZN7rocprim17ROCPRIM_400000_NS6detail17trampoline_kernelINS0_14default_configENS1_22reduce_config_selectorIbEEZNS1_11reduce_implILb1ES3_N6hipcub16HIPCUB_304000_NS22TransformInputIteratorIbN2at6native12_GLOBAL__N_19NonZeroOpIN3c108BFloat16EEEPKSF_lEEPiiNS8_6detail34convert_binary_result_type_wrapperINS8_3SumESJ_iEEEE10hipError_tPvRmT1_T2_T3_mT4_P12ihipStream_tbEUlT_E0_NS1_11comp_targetILNS1_3genE2ELNS1_11target_archE906ELNS1_3gpuE6ELNS1_3repE0EEENS1_30default_config_static_selectorELNS0_4arch9wavefront6targetE0EEEvSS_,"axG",@progbits,_ZN7rocprim17ROCPRIM_400000_NS6detail17trampoline_kernelINS0_14default_configENS1_22reduce_config_selectorIbEEZNS1_11reduce_implILb1ES3_N6hipcub16HIPCUB_304000_NS22TransformInputIteratorIbN2at6native12_GLOBAL__N_19NonZeroOpIN3c108BFloat16EEEPKSF_lEEPiiNS8_6detail34convert_binary_result_type_wrapperINS8_3SumESJ_iEEEE10hipError_tPvRmT1_T2_T3_mT4_P12ihipStream_tbEUlT_E0_NS1_11comp_targetILNS1_3genE2ELNS1_11target_archE906ELNS1_3gpuE6ELNS1_3repE0EEENS1_30default_config_static_selectorELNS0_4arch9wavefront6targetE0EEEvSS_,comdat
.Lfunc_end784:
	.size	_ZN7rocprim17ROCPRIM_400000_NS6detail17trampoline_kernelINS0_14default_configENS1_22reduce_config_selectorIbEEZNS1_11reduce_implILb1ES3_N6hipcub16HIPCUB_304000_NS22TransformInputIteratorIbN2at6native12_GLOBAL__N_19NonZeroOpIN3c108BFloat16EEEPKSF_lEEPiiNS8_6detail34convert_binary_result_type_wrapperINS8_3SumESJ_iEEEE10hipError_tPvRmT1_T2_T3_mT4_P12ihipStream_tbEUlT_E0_NS1_11comp_targetILNS1_3genE2ELNS1_11target_archE906ELNS1_3gpuE6ELNS1_3repE0EEENS1_30default_config_static_selectorELNS0_4arch9wavefront6targetE0EEEvSS_, .Lfunc_end784-_ZN7rocprim17ROCPRIM_400000_NS6detail17trampoline_kernelINS0_14default_configENS1_22reduce_config_selectorIbEEZNS1_11reduce_implILb1ES3_N6hipcub16HIPCUB_304000_NS22TransformInputIteratorIbN2at6native12_GLOBAL__N_19NonZeroOpIN3c108BFloat16EEEPKSF_lEEPiiNS8_6detail34convert_binary_result_type_wrapperINS8_3SumESJ_iEEEE10hipError_tPvRmT1_T2_T3_mT4_P12ihipStream_tbEUlT_E0_NS1_11comp_targetILNS1_3genE2ELNS1_11target_archE906ELNS1_3gpuE6ELNS1_3repE0EEENS1_30default_config_static_selectorELNS0_4arch9wavefront6targetE0EEEvSS_
                                        ; -- End function
	.set _ZN7rocprim17ROCPRIM_400000_NS6detail17trampoline_kernelINS0_14default_configENS1_22reduce_config_selectorIbEEZNS1_11reduce_implILb1ES3_N6hipcub16HIPCUB_304000_NS22TransformInputIteratorIbN2at6native12_GLOBAL__N_19NonZeroOpIN3c108BFloat16EEEPKSF_lEEPiiNS8_6detail34convert_binary_result_type_wrapperINS8_3SumESJ_iEEEE10hipError_tPvRmT1_T2_T3_mT4_P12ihipStream_tbEUlT_E0_NS1_11comp_targetILNS1_3genE2ELNS1_11target_archE906ELNS1_3gpuE6ELNS1_3repE0EEENS1_30default_config_static_selectorELNS0_4arch9wavefront6targetE0EEEvSS_.num_vgpr, 0
	.set _ZN7rocprim17ROCPRIM_400000_NS6detail17trampoline_kernelINS0_14default_configENS1_22reduce_config_selectorIbEEZNS1_11reduce_implILb1ES3_N6hipcub16HIPCUB_304000_NS22TransformInputIteratorIbN2at6native12_GLOBAL__N_19NonZeroOpIN3c108BFloat16EEEPKSF_lEEPiiNS8_6detail34convert_binary_result_type_wrapperINS8_3SumESJ_iEEEE10hipError_tPvRmT1_T2_T3_mT4_P12ihipStream_tbEUlT_E0_NS1_11comp_targetILNS1_3genE2ELNS1_11target_archE906ELNS1_3gpuE6ELNS1_3repE0EEENS1_30default_config_static_selectorELNS0_4arch9wavefront6targetE0EEEvSS_.num_agpr, 0
	.set _ZN7rocprim17ROCPRIM_400000_NS6detail17trampoline_kernelINS0_14default_configENS1_22reduce_config_selectorIbEEZNS1_11reduce_implILb1ES3_N6hipcub16HIPCUB_304000_NS22TransformInputIteratorIbN2at6native12_GLOBAL__N_19NonZeroOpIN3c108BFloat16EEEPKSF_lEEPiiNS8_6detail34convert_binary_result_type_wrapperINS8_3SumESJ_iEEEE10hipError_tPvRmT1_T2_T3_mT4_P12ihipStream_tbEUlT_E0_NS1_11comp_targetILNS1_3genE2ELNS1_11target_archE906ELNS1_3gpuE6ELNS1_3repE0EEENS1_30default_config_static_selectorELNS0_4arch9wavefront6targetE0EEEvSS_.numbered_sgpr, 0
	.set _ZN7rocprim17ROCPRIM_400000_NS6detail17trampoline_kernelINS0_14default_configENS1_22reduce_config_selectorIbEEZNS1_11reduce_implILb1ES3_N6hipcub16HIPCUB_304000_NS22TransformInputIteratorIbN2at6native12_GLOBAL__N_19NonZeroOpIN3c108BFloat16EEEPKSF_lEEPiiNS8_6detail34convert_binary_result_type_wrapperINS8_3SumESJ_iEEEE10hipError_tPvRmT1_T2_T3_mT4_P12ihipStream_tbEUlT_E0_NS1_11comp_targetILNS1_3genE2ELNS1_11target_archE906ELNS1_3gpuE6ELNS1_3repE0EEENS1_30default_config_static_selectorELNS0_4arch9wavefront6targetE0EEEvSS_.num_named_barrier, 0
	.set _ZN7rocprim17ROCPRIM_400000_NS6detail17trampoline_kernelINS0_14default_configENS1_22reduce_config_selectorIbEEZNS1_11reduce_implILb1ES3_N6hipcub16HIPCUB_304000_NS22TransformInputIteratorIbN2at6native12_GLOBAL__N_19NonZeroOpIN3c108BFloat16EEEPKSF_lEEPiiNS8_6detail34convert_binary_result_type_wrapperINS8_3SumESJ_iEEEE10hipError_tPvRmT1_T2_T3_mT4_P12ihipStream_tbEUlT_E0_NS1_11comp_targetILNS1_3genE2ELNS1_11target_archE906ELNS1_3gpuE6ELNS1_3repE0EEENS1_30default_config_static_selectorELNS0_4arch9wavefront6targetE0EEEvSS_.private_seg_size, 0
	.set _ZN7rocprim17ROCPRIM_400000_NS6detail17trampoline_kernelINS0_14default_configENS1_22reduce_config_selectorIbEEZNS1_11reduce_implILb1ES3_N6hipcub16HIPCUB_304000_NS22TransformInputIteratorIbN2at6native12_GLOBAL__N_19NonZeroOpIN3c108BFloat16EEEPKSF_lEEPiiNS8_6detail34convert_binary_result_type_wrapperINS8_3SumESJ_iEEEE10hipError_tPvRmT1_T2_T3_mT4_P12ihipStream_tbEUlT_E0_NS1_11comp_targetILNS1_3genE2ELNS1_11target_archE906ELNS1_3gpuE6ELNS1_3repE0EEENS1_30default_config_static_selectorELNS0_4arch9wavefront6targetE0EEEvSS_.uses_vcc, 0
	.set _ZN7rocprim17ROCPRIM_400000_NS6detail17trampoline_kernelINS0_14default_configENS1_22reduce_config_selectorIbEEZNS1_11reduce_implILb1ES3_N6hipcub16HIPCUB_304000_NS22TransformInputIteratorIbN2at6native12_GLOBAL__N_19NonZeroOpIN3c108BFloat16EEEPKSF_lEEPiiNS8_6detail34convert_binary_result_type_wrapperINS8_3SumESJ_iEEEE10hipError_tPvRmT1_T2_T3_mT4_P12ihipStream_tbEUlT_E0_NS1_11comp_targetILNS1_3genE2ELNS1_11target_archE906ELNS1_3gpuE6ELNS1_3repE0EEENS1_30default_config_static_selectorELNS0_4arch9wavefront6targetE0EEEvSS_.uses_flat_scratch, 0
	.set _ZN7rocprim17ROCPRIM_400000_NS6detail17trampoline_kernelINS0_14default_configENS1_22reduce_config_selectorIbEEZNS1_11reduce_implILb1ES3_N6hipcub16HIPCUB_304000_NS22TransformInputIteratorIbN2at6native12_GLOBAL__N_19NonZeroOpIN3c108BFloat16EEEPKSF_lEEPiiNS8_6detail34convert_binary_result_type_wrapperINS8_3SumESJ_iEEEE10hipError_tPvRmT1_T2_T3_mT4_P12ihipStream_tbEUlT_E0_NS1_11comp_targetILNS1_3genE2ELNS1_11target_archE906ELNS1_3gpuE6ELNS1_3repE0EEENS1_30default_config_static_selectorELNS0_4arch9wavefront6targetE0EEEvSS_.has_dyn_sized_stack, 0
	.set _ZN7rocprim17ROCPRIM_400000_NS6detail17trampoline_kernelINS0_14default_configENS1_22reduce_config_selectorIbEEZNS1_11reduce_implILb1ES3_N6hipcub16HIPCUB_304000_NS22TransformInputIteratorIbN2at6native12_GLOBAL__N_19NonZeroOpIN3c108BFloat16EEEPKSF_lEEPiiNS8_6detail34convert_binary_result_type_wrapperINS8_3SumESJ_iEEEE10hipError_tPvRmT1_T2_T3_mT4_P12ihipStream_tbEUlT_E0_NS1_11comp_targetILNS1_3genE2ELNS1_11target_archE906ELNS1_3gpuE6ELNS1_3repE0EEENS1_30default_config_static_selectorELNS0_4arch9wavefront6targetE0EEEvSS_.has_recursion, 0
	.set _ZN7rocprim17ROCPRIM_400000_NS6detail17trampoline_kernelINS0_14default_configENS1_22reduce_config_selectorIbEEZNS1_11reduce_implILb1ES3_N6hipcub16HIPCUB_304000_NS22TransformInputIteratorIbN2at6native12_GLOBAL__N_19NonZeroOpIN3c108BFloat16EEEPKSF_lEEPiiNS8_6detail34convert_binary_result_type_wrapperINS8_3SumESJ_iEEEE10hipError_tPvRmT1_T2_T3_mT4_P12ihipStream_tbEUlT_E0_NS1_11comp_targetILNS1_3genE2ELNS1_11target_archE906ELNS1_3gpuE6ELNS1_3repE0EEENS1_30default_config_static_selectorELNS0_4arch9wavefront6targetE0EEEvSS_.has_indirect_call, 0
	.section	.AMDGPU.csdata,"",@progbits
; Kernel info:
; codeLenInByte = 0
; TotalNumSgprs: 0
; NumVgprs: 0
; ScratchSize: 0
; MemoryBound: 0
; FloatMode: 240
; IeeeMode: 1
; LDSByteSize: 0 bytes/workgroup (compile time only)
; SGPRBlocks: 0
; VGPRBlocks: 0
; NumSGPRsForWavesPerEU: 1
; NumVGPRsForWavesPerEU: 1
; Occupancy: 16
; WaveLimiterHint : 0
; COMPUTE_PGM_RSRC2:SCRATCH_EN: 0
; COMPUTE_PGM_RSRC2:USER_SGPR: 2
; COMPUTE_PGM_RSRC2:TRAP_HANDLER: 0
; COMPUTE_PGM_RSRC2:TGID_X_EN: 1
; COMPUTE_PGM_RSRC2:TGID_Y_EN: 0
; COMPUTE_PGM_RSRC2:TGID_Z_EN: 0
; COMPUTE_PGM_RSRC2:TIDIG_COMP_CNT: 0
	.section	.text._ZN7rocprim17ROCPRIM_400000_NS6detail17trampoline_kernelINS0_14default_configENS1_22reduce_config_selectorIbEEZNS1_11reduce_implILb1ES3_N6hipcub16HIPCUB_304000_NS22TransformInputIteratorIbN2at6native12_GLOBAL__N_19NonZeroOpIN3c108BFloat16EEEPKSF_lEEPiiNS8_6detail34convert_binary_result_type_wrapperINS8_3SumESJ_iEEEE10hipError_tPvRmT1_T2_T3_mT4_P12ihipStream_tbEUlT_E0_NS1_11comp_targetILNS1_3genE10ELNS1_11target_archE1201ELNS1_3gpuE5ELNS1_3repE0EEENS1_30default_config_static_selectorELNS0_4arch9wavefront6targetE0EEEvSS_,"axG",@progbits,_ZN7rocprim17ROCPRIM_400000_NS6detail17trampoline_kernelINS0_14default_configENS1_22reduce_config_selectorIbEEZNS1_11reduce_implILb1ES3_N6hipcub16HIPCUB_304000_NS22TransformInputIteratorIbN2at6native12_GLOBAL__N_19NonZeroOpIN3c108BFloat16EEEPKSF_lEEPiiNS8_6detail34convert_binary_result_type_wrapperINS8_3SumESJ_iEEEE10hipError_tPvRmT1_T2_T3_mT4_P12ihipStream_tbEUlT_E0_NS1_11comp_targetILNS1_3genE10ELNS1_11target_archE1201ELNS1_3gpuE5ELNS1_3repE0EEENS1_30default_config_static_selectorELNS0_4arch9wavefront6targetE0EEEvSS_,comdat
	.globl	_ZN7rocprim17ROCPRIM_400000_NS6detail17trampoline_kernelINS0_14default_configENS1_22reduce_config_selectorIbEEZNS1_11reduce_implILb1ES3_N6hipcub16HIPCUB_304000_NS22TransformInputIteratorIbN2at6native12_GLOBAL__N_19NonZeroOpIN3c108BFloat16EEEPKSF_lEEPiiNS8_6detail34convert_binary_result_type_wrapperINS8_3SumESJ_iEEEE10hipError_tPvRmT1_T2_T3_mT4_P12ihipStream_tbEUlT_E0_NS1_11comp_targetILNS1_3genE10ELNS1_11target_archE1201ELNS1_3gpuE5ELNS1_3repE0EEENS1_30default_config_static_selectorELNS0_4arch9wavefront6targetE0EEEvSS_ ; -- Begin function _ZN7rocprim17ROCPRIM_400000_NS6detail17trampoline_kernelINS0_14default_configENS1_22reduce_config_selectorIbEEZNS1_11reduce_implILb1ES3_N6hipcub16HIPCUB_304000_NS22TransformInputIteratorIbN2at6native12_GLOBAL__N_19NonZeroOpIN3c108BFloat16EEEPKSF_lEEPiiNS8_6detail34convert_binary_result_type_wrapperINS8_3SumESJ_iEEEE10hipError_tPvRmT1_T2_T3_mT4_P12ihipStream_tbEUlT_E0_NS1_11comp_targetILNS1_3genE10ELNS1_11target_archE1201ELNS1_3gpuE5ELNS1_3repE0EEENS1_30default_config_static_selectorELNS0_4arch9wavefront6targetE0EEEvSS_
	.p2align	8
	.type	_ZN7rocprim17ROCPRIM_400000_NS6detail17trampoline_kernelINS0_14default_configENS1_22reduce_config_selectorIbEEZNS1_11reduce_implILb1ES3_N6hipcub16HIPCUB_304000_NS22TransformInputIteratorIbN2at6native12_GLOBAL__N_19NonZeroOpIN3c108BFloat16EEEPKSF_lEEPiiNS8_6detail34convert_binary_result_type_wrapperINS8_3SumESJ_iEEEE10hipError_tPvRmT1_T2_T3_mT4_P12ihipStream_tbEUlT_E0_NS1_11comp_targetILNS1_3genE10ELNS1_11target_archE1201ELNS1_3gpuE5ELNS1_3repE0EEENS1_30default_config_static_selectorELNS0_4arch9wavefront6targetE0EEEvSS_,@function
_ZN7rocprim17ROCPRIM_400000_NS6detail17trampoline_kernelINS0_14default_configENS1_22reduce_config_selectorIbEEZNS1_11reduce_implILb1ES3_N6hipcub16HIPCUB_304000_NS22TransformInputIteratorIbN2at6native12_GLOBAL__N_19NonZeroOpIN3c108BFloat16EEEPKSF_lEEPiiNS8_6detail34convert_binary_result_type_wrapperINS8_3SumESJ_iEEEE10hipError_tPvRmT1_T2_T3_mT4_P12ihipStream_tbEUlT_E0_NS1_11comp_targetILNS1_3genE10ELNS1_11target_archE1201ELNS1_3gpuE5ELNS1_3repE0EEENS1_30default_config_static_selectorELNS0_4arch9wavefront6targetE0EEEvSS_: ; @_ZN7rocprim17ROCPRIM_400000_NS6detail17trampoline_kernelINS0_14default_configENS1_22reduce_config_selectorIbEEZNS1_11reduce_implILb1ES3_N6hipcub16HIPCUB_304000_NS22TransformInputIteratorIbN2at6native12_GLOBAL__N_19NonZeroOpIN3c108BFloat16EEEPKSF_lEEPiiNS8_6detail34convert_binary_result_type_wrapperINS8_3SumESJ_iEEEE10hipError_tPvRmT1_T2_T3_mT4_P12ihipStream_tbEUlT_E0_NS1_11comp_targetILNS1_3genE10ELNS1_11target_archE1201ELNS1_3gpuE5ELNS1_3repE0EEENS1_30default_config_static_selectorELNS0_4arch9wavefront6targetE0EEEvSS_
; %bb.0:
	s_clause 0x2
	s_load_b256 s[16:23], s[0:1], 0x10
	s_load_b64 s[4:5], s[0:1], 0x0
	s_load_b64 s[26:27], s[0:1], 0x30
	s_lshl_b32 s2, ttmp9, 12
	s_mov_b32 s3, 0
	v_mbcnt_lo_u32_b32 v18, -1, 0
	v_lshlrev_b32_e32 v19, 1, v0
	s_mov_b32 s24, ttmp9
	s_mov_b32 s25, s3
	s_wait_kmcnt 0x0
	s_lshl_b64 s[6:7], s[16:17], 1
	s_lshr_b64 s[8:9], s[18:19], 12
	s_add_nc_u64 s[4:5], s[4:5], s[6:7]
	s_lshl_b64 s[6:7], s[2:3], 1
	s_cmp_lg_u64 s[8:9], s[24:25]
	s_add_nc_u64 s[16:17], s[4:5], s[6:7]
	s_cbranch_scc0 .LBB785_6
; %bb.1:
	s_clause 0xf
	global_load_u16 v1, v19, s[16:17]
	global_load_u16 v2, v19, s[16:17] offset:512
	global_load_u16 v3, v19, s[16:17] offset:1024
	;; [unrolled: 1-line block ×15, first 2 shown]
	s_mov_b32 s3, exec_lo
	s_wait_loadcnt 0xf
	v_and_b32_e32 v1, 0x7fff, v1
	s_wait_loadcnt 0xe
	v_and_b32_e32 v2, 0x7fff, v2
	;; [unrolled: 2-line block ×5, first 2 shown]
	v_cmp_ne_u16_e32 vcc_lo, 0, v1
	s_wait_loadcnt 0x9
	v_and_b32_e32 v7, 0x7fff, v7
	v_and_b32_e32 v6, 0x7fff, v6
	s_wait_loadcnt 0x7
	v_and_b32_e32 v9, 0x7fff, v9
	v_and_b32_e32 v8, 0x7fff, v8
	v_cndmask_b32_e64 v1, 0, 1, vcc_lo
	v_cmp_ne_u16_e32 vcc_lo, 0, v3
	s_wait_loadcnt 0x5
	v_and_b32_e32 v11, 0x7fff, v11
	v_and_b32_e32 v10, 0x7fff, v10
	s_wait_loadcnt 0x3
	v_and_b32_e32 v13, 0x7fff, v13
	v_and_b32_e32 v12, 0x7fff, v12
	s_wait_alu 0xfffd
	v_cndmask_b32_e64 v3, 0, 1, vcc_lo
	v_cmp_ne_u16_e32 vcc_lo, 0, v2
	s_wait_loadcnt 0x1
	v_and_b32_e32 v15, 0x7fff, v15
	v_and_b32_e32 v14, 0x7fff, v14
	s_wait_loadcnt 0x0
	v_and_b32_e32 v16, 0x7fff, v16
	s_wait_alu 0xfffd
	v_add_co_ci_u32_e64 v1, null, 0, v1, vcc_lo
	v_cmp_ne_u16_e32 vcc_lo, 0, v5
	s_wait_alu 0xfffd
	v_cndmask_b32_e64 v2, 0, 1, vcc_lo
	v_cmp_ne_u16_e32 vcc_lo, 0, v4
	s_wait_alu 0xfffd
	v_add_co_ci_u32_e64 v1, null, v1, v3, vcc_lo
	v_cmp_ne_u16_e32 vcc_lo, 0, v7
	s_wait_alu 0xfffd
	v_cndmask_b32_e64 v3, 0, 1, vcc_lo
	v_cmp_ne_u16_e32 vcc_lo, 0, v6
	;; [unrolled: 6-line block ×6, first 2 shown]
	s_wait_alu 0xfffd
	v_add_co_ci_u32_e64 v1, null, v1, v2, vcc_lo
	v_cmp_ne_u16_e32 vcc_lo, 0, v16
	s_wait_alu 0xfffd
	s_delay_alu instid0(VALU_DEP_2) | instskip(NEXT) | instid1(VALU_DEP_1)
	v_add_co_ci_u32_e64 v1, null, v1, v3, vcc_lo
	v_mov_b32_dpp v2, v1 quad_perm:[1,0,3,2] row_mask:0xf bank_mask:0xf
	s_delay_alu instid0(VALU_DEP_1) | instskip(NEXT) | instid1(VALU_DEP_1)
	v_add_nc_u32_e32 v1, v1, v2
	v_mov_b32_dpp v2, v1 quad_perm:[2,3,0,1] row_mask:0xf bank_mask:0xf
	s_delay_alu instid0(VALU_DEP_1) | instskip(NEXT) | instid1(VALU_DEP_1)
	v_add_nc_u32_e32 v1, v1, v2
	v_mov_b32_dpp v2, v1 row_ror:4 row_mask:0xf bank_mask:0xf
	s_delay_alu instid0(VALU_DEP_1) | instskip(NEXT) | instid1(VALU_DEP_1)
	v_add_nc_u32_e32 v1, v1, v2
	v_mov_b32_dpp v2, v1 row_ror:8 row_mask:0xf bank_mask:0xf
	s_delay_alu instid0(VALU_DEP_1)
	v_add_nc_u32_e32 v1, v1, v2
	ds_swizzle_b32 v2, v1 offset:swizzle(BROADCAST,32,15)
	s_wait_dscnt 0x0
	v_dual_mov_b32 v2, 0 :: v_dual_add_nc_u32 v1, v1, v2
	ds_bpermute_b32 v1, v2, v1 offset:124
	v_cmpx_eq_u32_e32 0, v18
	s_cbranch_execz .LBB785_3
; %bb.2:
	v_lshrrev_b32_e32 v2, 3, v0
	s_delay_alu instid0(VALU_DEP_1)
	v_and_b32_e32 v2, 28, v2
	s_wait_dscnt 0x0
	ds_store_b32 v2, v1
.LBB785_3:
	s_or_b32 exec_lo, exec_lo, s3
	s_delay_alu instid0(SALU_CYCLE_1)
	s_mov_b32 s3, exec_lo
	s_wait_dscnt 0x0
	s_barrier_signal -1
	s_barrier_wait -1
	global_inv scope:SCOPE_SE
	v_cmpx_gt_u32_e32 32, v0
	s_cbranch_execz .LBB785_5
; %bb.4:
	v_and_b32_e32 v1, 7, v18
	s_delay_alu instid0(VALU_DEP_1)
	v_lshlrev_b32_e32 v2, 2, v1
	v_cmp_ne_u32_e32 vcc_lo, 7, v1
	ds_load_b32 v2, v2
	s_wait_alu 0xfffd
	v_add_co_ci_u32_e64 v3, null, 0, v18, vcc_lo
	v_cmp_gt_u32_e32 vcc_lo, 6, v1
	s_delay_alu instid0(VALU_DEP_2) | instskip(SKIP_2) | instid1(VALU_DEP_1)
	v_lshlrev_b32_e32 v3, 2, v3
	s_wait_alu 0xfffd
	v_cndmask_b32_e64 v1, 0, 2, vcc_lo
	v_add_lshl_u32 v1, v1, v18, 2
	s_wait_dscnt 0x0
	ds_bpermute_b32 v3, v3, v2
	s_wait_dscnt 0x0
	v_add_nc_u32_e32 v2, v3, v2
	v_lshlrev_b32_e32 v3, 2, v18
	ds_bpermute_b32 v1, v1, v2
	s_wait_dscnt 0x0
	v_add_nc_u32_e32 v1, v1, v2
	v_or_b32_e32 v2, 16, v3
	ds_bpermute_b32 v2, v2, v1
	s_wait_dscnt 0x0
	v_add_nc_u32_e32 v1, v2, v1
.LBB785_5:
	s_or_b32 exec_lo, exec_lo, s3
	s_branch .LBB785_44
.LBB785_6:
                                        ; implicit-def: $vgpr1
	s_cbranch_execz .LBB785_44
; %bb.7:
	v_mov_b32_e32 v1, 0
	s_sub_co_i32 s28, s18, s2
	s_mov_b32 s2, exec_lo
	s_delay_alu instid0(VALU_DEP_1)
	v_dual_mov_b32 v2, v1 :: v_dual_mov_b32 v3, v1
	v_dual_mov_b32 v4, v1 :: v_dual_mov_b32 v5, v1
	;; [unrolled: 1-line block ×7, first 2 shown]
	v_mov_b32_e32 v16, v1
	v_cmpx_gt_u32_e64 s28, v0
	s_cbranch_execz .LBB785_9
; %bb.8:
	global_load_u16 v2, v19, s[16:17]
	v_dual_mov_b32 v16, v1 :: v_dual_mov_b32 v17, v1
	v_dual_mov_b32 v3, v1 :: v_dual_mov_b32 v4, v1
	;; [unrolled: 1-line block ×7, first 2 shown]
	s_wait_loadcnt 0x0
	v_dual_mov_b32 v9, v1 :: v_dual_and_b32 v2, 0x7fff, v2
	s_delay_alu instid0(VALU_DEP_1) | instskip(SKIP_1) | instid1(VALU_DEP_1)
	v_cmp_ne_u16_e32 vcc_lo, 0, v2
	v_cndmask_b32_e64 v2, 0, 1, vcc_lo
	v_and_b32_e32 v2, 0xffff, v2
	s_delay_alu instid0(VALU_DEP_1)
	v_mov_b32_e32 v1, v2
	v_mov_b32_e32 v2, v3
	;; [unrolled: 1-line block ×16, first 2 shown]
.LBB785_9:
	s_or_b32 exec_lo, exec_lo, s2
	v_or_b32_e32 v17, 0x100, v0
	s_delay_alu instid0(VALU_DEP_1)
	v_cmp_gt_u32_e32 vcc_lo, s28, v17
	s_and_saveexec_b32 s3, vcc_lo
	s_cbranch_execz .LBB785_11
; %bb.10:
	global_load_u16 v2, v19, s[16:17] offset:512
	s_wait_loadcnt 0x0
	v_and_b32_e32 v2, 0x7fff, v2
	s_delay_alu instid0(VALU_DEP_1) | instskip(NEXT) | instid1(VALU_DEP_1)
	v_cmp_ne_u16_e64 s2, 0, v2
	v_cndmask_b32_e64 v2, 0, 1, s2
.LBB785_11:
	s_or_b32 exec_lo, exec_lo, s3
	v_or_b32_e32 v17, 0x200, v0
	s_delay_alu instid0(VALU_DEP_1)
	v_cmp_gt_u32_e64 s2, s28, v17
	s_and_saveexec_b32 s4, s2
	s_cbranch_execz .LBB785_13
; %bb.12:
	global_load_u16 v3, v19, s[16:17] offset:1024
	s_wait_loadcnt 0x0
	v_and_b32_e32 v3, 0x7fff, v3
	s_delay_alu instid0(VALU_DEP_1) | instskip(SKIP_1) | instid1(VALU_DEP_1)
	v_cmp_ne_u16_e64 s3, 0, v3
	s_wait_alu 0xf1ff
	v_cndmask_b32_e64 v3, 0, 1, s3
.LBB785_13:
	s_or_b32 exec_lo, exec_lo, s4
	v_or_b32_e32 v17, 0x300, v0
	s_delay_alu instid0(VALU_DEP_1)
	v_cmp_gt_u32_e64 s3, s28, v17
	s_and_saveexec_b32 s5, s3
	s_cbranch_execz .LBB785_15
; %bb.14:
	global_load_u16 v4, v19, s[16:17] offset:1536
	s_wait_loadcnt 0x0
	v_and_b32_e32 v4, 0x7fff, v4
	s_delay_alu instid0(VALU_DEP_1) | instskip(NEXT) | instid1(VALU_DEP_1)
	v_cmp_ne_u16_e64 s4, 0, v4
	v_cndmask_b32_e64 v4, 0, 1, s4
.LBB785_15:
	s_or_b32 exec_lo, exec_lo, s5
	v_or_b32_e32 v17, 0x400, v0
	s_delay_alu instid0(VALU_DEP_1)
	v_cmp_gt_u32_e64 s4, s28, v17
	s_and_saveexec_b32 s6, s4
	s_cbranch_execz .LBB785_17
; %bb.16:
	global_load_u16 v5, v19, s[16:17] offset:2048
	s_wait_loadcnt 0x0
	v_and_b32_e32 v5, 0x7fff, v5
	s_delay_alu instid0(VALU_DEP_1) | instskip(SKIP_1) | instid1(VALU_DEP_1)
	v_cmp_ne_u16_e64 s5, 0, v5
	s_wait_alu 0xf1ff
	v_cndmask_b32_e64 v5, 0, 1, s5
.LBB785_17:
	s_or_b32 exec_lo, exec_lo, s6
	v_or_b32_e32 v17, 0x500, v0
	s_delay_alu instid0(VALU_DEP_1)
	v_cmp_gt_u32_e64 s5, s28, v17
	s_and_saveexec_b32 s7, s5
	;; [unrolled: 29-line block ×6, first 2 shown]
	s_cbranch_execz .LBB785_35
; %bb.34:
	global_load_u16 v14, v19, s[16:17] offset:6656
	s_wait_loadcnt 0x0
	v_and_b32_e32 v14, 0x7fff, v14
	s_delay_alu instid0(VALU_DEP_1) | instskip(NEXT) | instid1(VALU_DEP_1)
	v_cmp_ne_u16_e64 s14, 0, v14
	v_cndmask_b32_e64 v14, 0, 1, s14
.LBB785_35:
	s_or_b32 exec_lo, exec_lo, s15
	v_or_b32_e32 v17, 0xe00, v0
	s_delay_alu instid0(VALU_DEP_1)
	v_cmp_gt_u32_e64 s14, s28, v17
	s_and_saveexec_b32 s29, s14
	s_cbranch_execz .LBB785_37
; %bb.36:
	global_load_u16 v15, v19, s[16:17] offset:7168
	s_wait_loadcnt 0x0
	v_and_b32_e32 v15, 0x7fff, v15
	s_delay_alu instid0(VALU_DEP_1) | instskip(SKIP_1) | instid1(VALU_DEP_1)
	v_cmp_ne_u16_e64 s15, 0, v15
	s_wait_alu 0xf1ff
	v_cndmask_b32_e64 v15, 0, 1, s15
.LBB785_37:
	s_wait_alu 0xfffe
	s_or_b32 exec_lo, exec_lo, s29
	v_or_b32_e32 v17, 0xf00, v0
	s_delay_alu instid0(VALU_DEP_1)
	v_cmp_gt_u32_e64 s15, s28, v17
	s_and_saveexec_b32 s29, s15
	s_cbranch_execz .LBB785_39
; %bb.38:
	global_load_u16 v16, v19, s[16:17] offset:7680
	s_wait_loadcnt 0x0
	v_and_b32_e32 v16, 0x7fff, v16
	s_delay_alu instid0(VALU_DEP_1) | instskip(NEXT) | instid1(VALU_DEP_1)
	v_cmp_ne_u16_e64 s16, 0, v16
	v_cndmask_b32_e64 v16, 0, 1, s16
.LBB785_39:
	s_wait_alu 0xfffe
	s_or_b32 exec_lo, exec_lo, s29
	v_cndmask_b32_e32 v2, 0, v2, vcc_lo
	v_cndmask_b32_e64 v3, 0, v3, s2
	v_cndmask_b32_e64 v4, 0, v4, s3
	v_cmp_ne_u32_e32 vcc_lo, 31, v18
	s_min_u32 s2, s28, 0x100
	v_add_nc_u32_e32 v1, v2, v1
	v_cndmask_b32_e64 v2, 0, v5, s4
	v_cndmask_b32_e64 v5, 0, v6, s5
	;; [unrolled: 1-line block ×3, first 2 shown]
	s_mov_b32 s3, exec_lo
	v_add3_u32 v1, v1, v3, v4
	v_cndmask_b32_e64 v3, 0, v7, s6
	v_cndmask_b32_e64 v4, 0, v8, s7
	s_delay_alu instid0(VALU_DEP_3) | instskip(SKIP_2) | instid1(VALU_DEP_3)
	v_add3_u32 v1, v1, v2, v5
	v_cndmask_b32_e64 v2, 0, v9, s8
	v_cndmask_b32_e64 v5, 0, v10, s9
	v_add3_u32 v1, v1, v3, v4
	v_cndmask_b32_e64 v3, 0, v11, s10
	v_cndmask_b32_e64 v4, 0, v12, s11
	s_delay_alu instid0(VALU_DEP_3) | instskip(SKIP_2) | instid1(VALU_DEP_3)
	v_add3_u32 v1, v1, v2, v5
	v_cndmask_b32_e64 v2, 0, v13, s12
	v_cndmask_b32_e64 v5, 0, v14, s13
	v_add3_u32 v1, v1, v3, v4
	v_cndmask_b32_e64 v3, 0, v16, s15
	s_wait_alu 0xfffd
	v_add_co_ci_u32_e64 v4, null, 0, v18, vcc_lo
	v_cmp_gt_u32_e32 vcc_lo, 30, v18
	v_add3_u32 v1, v1, v2, v5
	s_delay_alu instid0(VALU_DEP_3)
	v_lshlrev_b32_e32 v2, 2, v4
	v_add_nc_u32_e32 v4, 1, v18
	s_wait_alu 0xfffd
	v_cndmask_b32_e64 v5, 0, 2, vcc_lo
	v_add3_u32 v1, v1, v6, v3
	v_and_b32_e32 v3, 0xe0, v0
	ds_bpermute_b32 v2, v2, v1
	s_wait_alu 0xfffe
	v_sub_nc_u32_e64 v3, s2, v3 clamp
	s_delay_alu instid0(VALU_DEP_1)
	v_cmp_lt_u32_e32 vcc_lo, v4, v3
	v_add_lshl_u32 v4, v5, v18, 2
	s_wait_dscnt 0x0
	s_wait_alu 0xfffd
	v_cndmask_b32_e32 v2, 0, v2, vcc_lo
	v_cmp_gt_u32_e32 vcc_lo, 28, v18
	s_delay_alu instid0(VALU_DEP_2) | instskip(SKIP_4) | instid1(VALU_DEP_1)
	v_add_nc_u32_e32 v1, v1, v2
	s_wait_alu 0xfffd
	v_cndmask_b32_e64 v5, 0, 4, vcc_lo
	ds_bpermute_b32 v2, v4, v1
	v_add_nc_u32_e32 v4, 2, v18
	v_cmp_lt_u32_e32 vcc_lo, v4, v3
	v_add_lshl_u32 v4, v5, v18, 2
	s_wait_dscnt 0x0
	s_wait_alu 0xfffd
	v_cndmask_b32_e32 v2, 0, v2, vcc_lo
	v_cmp_gt_u32_e32 vcc_lo, 24, v18
	s_delay_alu instid0(VALU_DEP_2) | instskip(SKIP_4) | instid1(VALU_DEP_1)
	v_add_nc_u32_e32 v1, v1, v2
	s_wait_alu 0xfffd
	v_cndmask_b32_e64 v5, 0, 8, vcc_lo
	ds_bpermute_b32 v2, v4, v1
	v_add_nc_u32_e32 v4, 4, v18
	v_cmp_lt_u32_e32 vcc_lo, v4, v3
	v_add_lshl_u32 v4, v5, v18, 2
	v_add_nc_u32_e32 v5, 8, v18
	s_wait_dscnt 0x0
	s_wait_alu 0xfffd
	v_cndmask_b32_e32 v2, 0, v2, vcc_lo
	s_delay_alu instid0(VALU_DEP_2) | instskip(NEXT) | instid1(VALU_DEP_2)
	v_cmp_lt_u32_e32 vcc_lo, v5, v3
	v_add_nc_u32_e32 v1, v1, v2
	v_lshlrev_b32_e32 v2, 2, v18
	ds_bpermute_b32 v4, v4, v1
	v_or_b32_e32 v5, 64, v2
	s_wait_dscnt 0x0
	s_wait_alu 0xfffd
	v_cndmask_b32_e32 v4, 0, v4, vcc_lo
	s_delay_alu instid0(VALU_DEP_1) | instskip(SKIP_2) | instid1(VALU_DEP_1)
	v_add_nc_u32_e32 v1, v1, v4
	ds_bpermute_b32 v4, v5, v1
	v_add_nc_u32_e32 v5, 16, v18
	v_cmp_lt_u32_e32 vcc_lo, v5, v3
	s_wait_dscnt 0x0
	s_wait_alu 0xfffd
	v_cndmask_b32_e32 v3, 0, v4, vcc_lo
	s_delay_alu instid0(VALU_DEP_1)
	v_add_nc_u32_e32 v1, v1, v3
	v_cmpx_eq_u32_e32 0, v18
; %bb.40:
	v_lshrrev_b32_e32 v3, 3, v0
	s_delay_alu instid0(VALU_DEP_1)
	v_and_b32_e32 v3, 28, v3
	ds_store_b32 v3, v1 offset:32
; %bb.41:
	s_or_b32 exec_lo, exec_lo, s3
	s_delay_alu instid0(SALU_CYCLE_1)
	s_mov_b32 s3, exec_lo
	s_wait_loadcnt_dscnt 0x0
	s_barrier_signal -1
	s_barrier_wait -1
	global_inv scope:SCOPE_SE
	v_cmpx_gt_u32_e32 8, v0
	s_cbranch_execz .LBB785_43
; %bb.42:
	ds_load_b32 v1, v2 offset:32
	v_and_b32_e32 v3, 7, v18
	s_add_co_i32 s2, s2, 31
	v_or_b32_e32 v2, 16, v2
	s_wait_alu 0xfffe
	s_lshr_b32 s2, s2, 5
	v_cmp_ne_u32_e32 vcc_lo, 7, v3
	v_add_nc_u32_e32 v5, 1, v3
	s_wait_alu 0xfffd
	v_add_co_ci_u32_e64 v4, null, 0, v18, vcc_lo
	v_cmp_gt_u32_e32 vcc_lo, 6, v3
	s_delay_alu instid0(VALU_DEP_2)
	v_lshlrev_b32_e32 v4, 2, v4
	s_wait_alu 0xfffd
	v_cndmask_b32_e64 v6, 0, 2, vcc_lo
	s_wait_alu 0xfffe
	v_cmp_gt_u32_e32 vcc_lo, s2, v5
	s_wait_dscnt 0x0
	ds_bpermute_b32 v4, v4, v1
	v_add_lshl_u32 v5, v6, v18, 2
	s_wait_dscnt 0x0
	s_wait_alu 0xfffd
	v_cndmask_b32_e32 v4, 0, v4, vcc_lo
	s_delay_alu instid0(VALU_DEP_1) | instskip(SKIP_3) | instid1(VALU_DEP_2)
	v_add_nc_u32_e32 v1, v4, v1
	ds_bpermute_b32 v4, v5, v1
	v_add_nc_u32_e32 v5, 2, v3
	v_add_nc_u32_e32 v3, 4, v3
	v_cmp_gt_u32_e32 vcc_lo, s2, v5
	s_wait_dscnt 0x0
	s_wait_alu 0xfffd
	v_cndmask_b32_e32 v4, 0, v4, vcc_lo
	v_cmp_gt_u32_e32 vcc_lo, s2, v3
	s_delay_alu instid0(VALU_DEP_2) | instskip(SKIP_4) | instid1(VALU_DEP_1)
	v_add_nc_u32_e32 v1, v1, v4
	ds_bpermute_b32 v2, v2, v1
	s_wait_dscnt 0x0
	s_wait_alu 0xfffd
	v_cndmask_b32_e32 v2, 0, v2, vcc_lo
	v_add_nc_u32_e32 v1, v1, v2
.LBB785_43:
	s_wait_alu 0xfffe
	s_or_b32 exec_lo, exec_lo, s3
.LBB785_44:
	s_load_b32 s0, s[0:1], 0x38
	s_mov_b32 s1, exec_lo
	v_cmpx_eq_u32_e32 0, v0
	s_cbranch_execz .LBB785_46
; %bb.45:
	s_mul_u64 s[2:3], s[26:27], s[22:23]
	s_wait_alu 0xfffe
	s_lshl_b64 s[2:3], s[2:3], 2
	s_cmp_eq_u64 s[18:19], 0
	s_wait_alu 0xfffe
	s_add_nc_u64 s[2:3], s[20:21], s[2:3]
	s_cselect_b32 s1, -1, 0
	s_wait_kmcnt 0x0
	v_cndmask_b32_e64 v0, v1, s0, s1
	v_mov_b32_e32 v1, 0
	s_lshl_b64 s[0:1], s[24:25], 2
	s_wait_alu 0xfffe
	s_add_nc_u64 s[0:1], s[2:3], s[0:1]
	global_store_b32 v1, v0, s[0:1]
.LBB785_46:
	s_endpgm
	.section	.rodata,"a",@progbits
	.p2align	6, 0x0
	.amdhsa_kernel _ZN7rocprim17ROCPRIM_400000_NS6detail17trampoline_kernelINS0_14default_configENS1_22reduce_config_selectorIbEEZNS1_11reduce_implILb1ES3_N6hipcub16HIPCUB_304000_NS22TransformInputIteratorIbN2at6native12_GLOBAL__N_19NonZeroOpIN3c108BFloat16EEEPKSF_lEEPiiNS8_6detail34convert_binary_result_type_wrapperINS8_3SumESJ_iEEEE10hipError_tPvRmT1_T2_T3_mT4_P12ihipStream_tbEUlT_E0_NS1_11comp_targetILNS1_3genE10ELNS1_11target_archE1201ELNS1_3gpuE5ELNS1_3repE0EEENS1_30default_config_static_selectorELNS0_4arch9wavefront6targetE0EEEvSS_
		.amdhsa_group_segment_fixed_size 64
		.amdhsa_private_segment_fixed_size 0
		.amdhsa_kernarg_size 64
		.amdhsa_user_sgpr_count 2
		.amdhsa_user_sgpr_dispatch_ptr 0
		.amdhsa_user_sgpr_queue_ptr 0
		.amdhsa_user_sgpr_kernarg_segment_ptr 1
		.amdhsa_user_sgpr_dispatch_id 0
		.amdhsa_user_sgpr_private_segment_size 0
		.amdhsa_wavefront_size32 1
		.amdhsa_uses_dynamic_stack 0
		.amdhsa_enable_private_segment 0
		.amdhsa_system_sgpr_workgroup_id_x 1
		.amdhsa_system_sgpr_workgroup_id_y 0
		.amdhsa_system_sgpr_workgroup_id_z 0
		.amdhsa_system_sgpr_workgroup_info 0
		.amdhsa_system_vgpr_workitem_id 0
		.amdhsa_next_free_vgpr 20
		.amdhsa_next_free_sgpr 30
		.amdhsa_reserve_vcc 1
		.amdhsa_float_round_mode_32 0
		.amdhsa_float_round_mode_16_64 0
		.amdhsa_float_denorm_mode_32 3
		.amdhsa_float_denorm_mode_16_64 3
		.amdhsa_fp16_overflow 0
		.amdhsa_workgroup_processor_mode 1
		.amdhsa_memory_ordered 1
		.amdhsa_forward_progress 1
		.amdhsa_inst_pref_size 26
		.amdhsa_round_robin_scheduling 0
		.amdhsa_exception_fp_ieee_invalid_op 0
		.amdhsa_exception_fp_denorm_src 0
		.amdhsa_exception_fp_ieee_div_zero 0
		.amdhsa_exception_fp_ieee_overflow 0
		.amdhsa_exception_fp_ieee_underflow 0
		.amdhsa_exception_fp_ieee_inexact 0
		.amdhsa_exception_int_div_zero 0
	.end_amdhsa_kernel
	.section	.text._ZN7rocprim17ROCPRIM_400000_NS6detail17trampoline_kernelINS0_14default_configENS1_22reduce_config_selectorIbEEZNS1_11reduce_implILb1ES3_N6hipcub16HIPCUB_304000_NS22TransformInputIteratorIbN2at6native12_GLOBAL__N_19NonZeroOpIN3c108BFloat16EEEPKSF_lEEPiiNS8_6detail34convert_binary_result_type_wrapperINS8_3SumESJ_iEEEE10hipError_tPvRmT1_T2_T3_mT4_P12ihipStream_tbEUlT_E0_NS1_11comp_targetILNS1_3genE10ELNS1_11target_archE1201ELNS1_3gpuE5ELNS1_3repE0EEENS1_30default_config_static_selectorELNS0_4arch9wavefront6targetE0EEEvSS_,"axG",@progbits,_ZN7rocprim17ROCPRIM_400000_NS6detail17trampoline_kernelINS0_14default_configENS1_22reduce_config_selectorIbEEZNS1_11reduce_implILb1ES3_N6hipcub16HIPCUB_304000_NS22TransformInputIteratorIbN2at6native12_GLOBAL__N_19NonZeroOpIN3c108BFloat16EEEPKSF_lEEPiiNS8_6detail34convert_binary_result_type_wrapperINS8_3SumESJ_iEEEE10hipError_tPvRmT1_T2_T3_mT4_P12ihipStream_tbEUlT_E0_NS1_11comp_targetILNS1_3genE10ELNS1_11target_archE1201ELNS1_3gpuE5ELNS1_3repE0EEENS1_30default_config_static_selectorELNS0_4arch9wavefront6targetE0EEEvSS_,comdat
.Lfunc_end785:
	.size	_ZN7rocprim17ROCPRIM_400000_NS6detail17trampoline_kernelINS0_14default_configENS1_22reduce_config_selectorIbEEZNS1_11reduce_implILb1ES3_N6hipcub16HIPCUB_304000_NS22TransformInputIteratorIbN2at6native12_GLOBAL__N_19NonZeroOpIN3c108BFloat16EEEPKSF_lEEPiiNS8_6detail34convert_binary_result_type_wrapperINS8_3SumESJ_iEEEE10hipError_tPvRmT1_T2_T3_mT4_P12ihipStream_tbEUlT_E0_NS1_11comp_targetILNS1_3genE10ELNS1_11target_archE1201ELNS1_3gpuE5ELNS1_3repE0EEENS1_30default_config_static_selectorELNS0_4arch9wavefront6targetE0EEEvSS_, .Lfunc_end785-_ZN7rocprim17ROCPRIM_400000_NS6detail17trampoline_kernelINS0_14default_configENS1_22reduce_config_selectorIbEEZNS1_11reduce_implILb1ES3_N6hipcub16HIPCUB_304000_NS22TransformInputIteratorIbN2at6native12_GLOBAL__N_19NonZeroOpIN3c108BFloat16EEEPKSF_lEEPiiNS8_6detail34convert_binary_result_type_wrapperINS8_3SumESJ_iEEEE10hipError_tPvRmT1_T2_T3_mT4_P12ihipStream_tbEUlT_E0_NS1_11comp_targetILNS1_3genE10ELNS1_11target_archE1201ELNS1_3gpuE5ELNS1_3repE0EEENS1_30default_config_static_selectorELNS0_4arch9wavefront6targetE0EEEvSS_
                                        ; -- End function
	.set _ZN7rocprim17ROCPRIM_400000_NS6detail17trampoline_kernelINS0_14default_configENS1_22reduce_config_selectorIbEEZNS1_11reduce_implILb1ES3_N6hipcub16HIPCUB_304000_NS22TransformInputIteratorIbN2at6native12_GLOBAL__N_19NonZeroOpIN3c108BFloat16EEEPKSF_lEEPiiNS8_6detail34convert_binary_result_type_wrapperINS8_3SumESJ_iEEEE10hipError_tPvRmT1_T2_T3_mT4_P12ihipStream_tbEUlT_E0_NS1_11comp_targetILNS1_3genE10ELNS1_11target_archE1201ELNS1_3gpuE5ELNS1_3repE0EEENS1_30default_config_static_selectorELNS0_4arch9wavefront6targetE0EEEvSS_.num_vgpr, 20
	.set _ZN7rocprim17ROCPRIM_400000_NS6detail17trampoline_kernelINS0_14default_configENS1_22reduce_config_selectorIbEEZNS1_11reduce_implILb1ES3_N6hipcub16HIPCUB_304000_NS22TransformInputIteratorIbN2at6native12_GLOBAL__N_19NonZeroOpIN3c108BFloat16EEEPKSF_lEEPiiNS8_6detail34convert_binary_result_type_wrapperINS8_3SumESJ_iEEEE10hipError_tPvRmT1_T2_T3_mT4_P12ihipStream_tbEUlT_E0_NS1_11comp_targetILNS1_3genE10ELNS1_11target_archE1201ELNS1_3gpuE5ELNS1_3repE0EEENS1_30default_config_static_selectorELNS0_4arch9wavefront6targetE0EEEvSS_.num_agpr, 0
	.set _ZN7rocprim17ROCPRIM_400000_NS6detail17trampoline_kernelINS0_14default_configENS1_22reduce_config_selectorIbEEZNS1_11reduce_implILb1ES3_N6hipcub16HIPCUB_304000_NS22TransformInputIteratorIbN2at6native12_GLOBAL__N_19NonZeroOpIN3c108BFloat16EEEPKSF_lEEPiiNS8_6detail34convert_binary_result_type_wrapperINS8_3SumESJ_iEEEE10hipError_tPvRmT1_T2_T3_mT4_P12ihipStream_tbEUlT_E0_NS1_11comp_targetILNS1_3genE10ELNS1_11target_archE1201ELNS1_3gpuE5ELNS1_3repE0EEENS1_30default_config_static_selectorELNS0_4arch9wavefront6targetE0EEEvSS_.numbered_sgpr, 30
	.set _ZN7rocprim17ROCPRIM_400000_NS6detail17trampoline_kernelINS0_14default_configENS1_22reduce_config_selectorIbEEZNS1_11reduce_implILb1ES3_N6hipcub16HIPCUB_304000_NS22TransformInputIteratorIbN2at6native12_GLOBAL__N_19NonZeroOpIN3c108BFloat16EEEPKSF_lEEPiiNS8_6detail34convert_binary_result_type_wrapperINS8_3SumESJ_iEEEE10hipError_tPvRmT1_T2_T3_mT4_P12ihipStream_tbEUlT_E0_NS1_11comp_targetILNS1_3genE10ELNS1_11target_archE1201ELNS1_3gpuE5ELNS1_3repE0EEENS1_30default_config_static_selectorELNS0_4arch9wavefront6targetE0EEEvSS_.num_named_barrier, 0
	.set _ZN7rocprim17ROCPRIM_400000_NS6detail17trampoline_kernelINS0_14default_configENS1_22reduce_config_selectorIbEEZNS1_11reduce_implILb1ES3_N6hipcub16HIPCUB_304000_NS22TransformInputIteratorIbN2at6native12_GLOBAL__N_19NonZeroOpIN3c108BFloat16EEEPKSF_lEEPiiNS8_6detail34convert_binary_result_type_wrapperINS8_3SumESJ_iEEEE10hipError_tPvRmT1_T2_T3_mT4_P12ihipStream_tbEUlT_E0_NS1_11comp_targetILNS1_3genE10ELNS1_11target_archE1201ELNS1_3gpuE5ELNS1_3repE0EEENS1_30default_config_static_selectorELNS0_4arch9wavefront6targetE0EEEvSS_.private_seg_size, 0
	.set _ZN7rocprim17ROCPRIM_400000_NS6detail17trampoline_kernelINS0_14default_configENS1_22reduce_config_selectorIbEEZNS1_11reduce_implILb1ES3_N6hipcub16HIPCUB_304000_NS22TransformInputIteratorIbN2at6native12_GLOBAL__N_19NonZeroOpIN3c108BFloat16EEEPKSF_lEEPiiNS8_6detail34convert_binary_result_type_wrapperINS8_3SumESJ_iEEEE10hipError_tPvRmT1_T2_T3_mT4_P12ihipStream_tbEUlT_E0_NS1_11comp_targetILNS1_3genE10ELNS1_11target_archE1201ELNS1_3gpuE5ELNS1_3repE0EEENS1_30default_config_static_selectorELNS0_4arch9wavefront6targetE0EEEvSS_.uses_vcc, 1
	.set _ZN7rocprim17ROCPRIM_400000_NS6detail17trampoline_kernelINS0_14default_configENS1_22reduce_config_selectorIbEEZNS1_11reduce_implILb1ES3_N6hipcub16HIPCUB_304000_NS22TransformInputIteratorIbN2at6native12_GLOBAL__N_19NonZeroOpIN3c108BFloat16EEEPKSF_lEEPiiNS8_6detail34convert_binary_result_type_wrapperINS8_3SumESJ_iEEEE10hipError_tPvRmT1_T2_T3_mT4_P12ihipStream_tbEUlT_E0_NS1_11comp_targetILNS1_3genE10ELNS1_11target_archE1201ELNS1_3gpuE5ELNS1_3repE0EEENS1_30default_config_static_selectorELNS0_4arch9wavefront6targetE0EEEvSS_.uses_flat_scratch, 0
	.set _ZN7rocprim17ROCPRIM_400000_NS6detail17trampoline_kernelINS0_14default_configENS1_22reduce_config_selectorIbEEZNS1_11reduce_implILb1ES3_N6hipcub16HIPCUB_304000_NS22TransformInputIteratorIbN2at6native12_GLOBAL__N_19NonZeroOpIN3c108BFloat16EEEPKSF_lEEPiiNS8_6detail34convert_binary_result_type_wrapperINS8_3SumESJ_iEEEE10hipError_tPvRmT1_T2_T3_mT4_P12ihipStream_tbEUlT_E0_NS1_11comp_targetILNS1_3genE10ELNS1_11target_archE1201ELNS1_3gpuE5ELNS1_3repE0EEENS1_30default_config_static_selectorELNS0_4arch9wavefront6targetE0EEEvSS_.has_dyn_sized_stack, 0
	.set _ZN7rocprim17ROCPRIM_400000_NS6detail17trampoline_kernelINS0_14default_configENS1_22reduce_config_selectorIbEEZNS1_11reduce_implILb1ES3_N6hipcub16HIPCUB_304000_NS22TransformInputIteratorIbN2at6native12_GLOBAL__N_19NonZeroOpIN3c108BFloat16EEEPKSF_lEEPiiNS8_6detail34convert_binary_result_type_wrapperINS8_3SumESJ_iEEEE10hipError_tPvRmT1_T2_T3_mT4_P12ihipStream_tbEUlT_E0_NS1_11comp_targetILNS1_3genE10ELNS1_11target_archE1201ELNS1_3gpuE5ELNS1_3repE0EEENS1_30default_config_static_selectorELNS0_4arch9wavefront6targetE0EEEvSS_.has_recursion, 0
	.set _ZN7rocprim17ROCPRIM_400000_NS6detail17trampoline_kernelINS0_14default_configENS1_22reduce_config_selectorIbEEZNS1_11reduce_implILb1ES3_N6hipcub16HIPCUB_304000_NS22TransformInputIteratorIbN2at6native12_GLOBAL__N_19NonZeroOpIN3c108BFloat16EEEPKSF_lEEPiiNS8_6detail34convert_binary_result_type_wrapperINS8_3SumESJ_iEEEE10hipError_tPvRmT1_T2_T3_mT4_P12ihipStream_tbEUlT_E0_NS1_11comp_targetILNS1_3genE10ELNS1_11target_archE1201ELNS1_3gpuE5ELNS1_3repE0EEENS1_30default_config_static_selectorELNS0_4arch9wavefront6targetE0EEEvSS_.has_indirect_call, 0
	.section	.AMDGPU.csdata,"",@progbits
; Kernel info:
; codeLenInByte = 3324
; TotalNumSgprs: 32
; NumVgprs: 20
; ScratchSize: 0
; MemoryBound: 0
; FloatMode: 240
; IeeeMode: 1
; LDSByteSize: 64 bytes/workgroup (compile time only)
; SGPRBlocks: 0
; VGPRBlocks: 2
; NumSGPRsForWavesPerEU: 32
; NumVGPRsForWavesPerEU: 20
; Occupancy: 16
; WaveLimiterHint : 1
; COMPUTE_PGM_RSRC2:SCRATCH_EN: 0
; COMPUTE_PGM_RSRC2:USER_SGPR: 2
; COMPUTE_PGM_RSRC2:TRAP_HANDLER: 0
; COMPUTE_PGM_RSRC2:TGID_X_EN: 1
; COMPUTE_PGM_RSRC2:TGID_Y_EN: 0
; COMPUTE_PGM_RSRC2:TGID_Z_EN: 0
; COMPUTE_PGM_RSRC2:TIDIG_COMP_CNT: 0
	.section	.text._ZN7rocprim17ROCPRIM_400000_NS6detail17trampoline_kernelINS0_14default_configENS1_22reduce_config_selectorIbEEZNS1_11reduce_implILb1ES3_N6hipcub16HIPCUB_304000_NS22TransformInputIteratorIbN2at6native12_GLOBAL__N_19NonZeroOpIN3c108BFloat16EEEPKSF_lEEPiiNS8_6detail34convert_binary_result_type_wrapperINS8_3SumESJ_iEEEE10hipError_tPvRmT1_T2_T3_mT4_P12ihipStream_tbEUlT_E0_NS1_11comp_targetILNS1_3genE10ELNS1_11target_archE1200ELNS1_3gpuE4ELNS1_3repE0EEENS1_30default_config_static_selectorELNS0_4arch9wavefront6targetE0EEEvSS_,"axG",@progbits,_ZN7rocprim17ROCPRIM_400000_NS6detail17trampoline_kernelINS0_14default_configENS1_22reduce_config_selectorIbEEZNS1_11reduce_implILb1ES3_N6hipcub16HIPCUB_304000_NS22TransformInputIteratorIbN2at6native12_GLOBAL__N_19NonZeroOpIN3c108BFloat16EEEPKSF_lEEPiiNS8_6detail34convert_binary_result_type_wrapperINS8_3SumESJ_iEEEE10hipError_tPvRmT1_T2_T3_mT4_P12ihipStream_tbEUlT_E0_NS1_11comp_targetILNS1_3genE10ELNS1_11target_archE1200ELNS1_3gpuE4ELNS1_3repE0EEENS1_30default_config_static_selectorELNS0_4arch9wavefront6targetE0EEEvSS_,comdat
	.globl	_ZN7rocprim17ROCPRIM_400000_NS6detail17trampoline_kernelINS0_14default_configENS1_22reduce_config_selectorIbEEZNS1_11reduce_implILb1ES3_N6hipcub16HIPCUB_304000_NS22TransformInputIteratorIbN2at6native12_GLOBAL__N_19NonZeroOpIN3c108BFloat16EEEPKSF_lEEPiiNS8_6detail34convert_binary_result_type_wrapperINS8_3SumESJ_iEEEE10hipError_tPvRmT1_T2_T3_mT4_P12ihipStream_tbEUlT_E0_NS1_11comp_targetILNS1_3genE10ELNS1_11target_archE1200ELNS1_3gpuE4ELNS1_3repE0EEENS1_30default_config_static_selectorELNS0_4arch9wavefront6targetE0EEEvSS_ ; -- Begin function _ZN7rocprim17ROCPRIM_400000_NS6detail17trampoline_kernelINS0_14default_configENS1_22reduce_config_selectorIbEEZNS1_11reduce_implILb1ES3_N6hipcub16HIPCUB_304000_NS22TransformInputIteratorIbN2at6native12_GLOBAL__N_19NonZeroOpIN3c108BFloat16EEEPKSF_lEEPiiNS8_6detail34convert_binary_result_type_wrapperINS8_3SumESJ_iEEEE10hipError_tPvRmT1_T2_T3_mT4_P12ihipStream_tbEUlT_E0_NS1_11comp_targetILNS1_3genE10ELNS1_11target_archE1200ELNS1_3gpuE4ELNS1_3repE0EEENS1_30default_config_static_selectorELNS0_4arch9wavefront6targetE0EEEvSS_
	.p2align	8
	.type	_ZN7rocprim17ROCPRIM_400000_NS6detail17trampoline_kernelINS0_14default_configENS1_22reduce_config_selectorIbEEZNS1_11reduce_implILb1ES3_N6hipcub16HIPCUB_304000_NS22TransformInputIteratorIbN2at6native12_GLOBAL__N_19NonZeroOpIN3c108BFloat16EEEPKSF_lEEPiiNS8_6detail34convert_binary_result_type_wrapperINS8_3SumESJ_iEEEE10hipError_tPvRmT1_T2_T3_mT4_P12ihipStream_tbEUlT_E0_NS1_11comp_targetILNS1_3genE10ELNS1_11target_archE1200ELNS1_3gpuE4ELNS1_3repE0EEENS1_30default_config_static_selectorELNS0_4arch9wavefront6targetE0EEEvSS_,@function
_ZN7rocprim17ROCPRIM_400000_NS6detail17trampoline_kernelINS0_14default_configENS1_22reduce_config_selectorIbEEZNS1_11reduce_implILb1ES3_N6hipcub16HIPCUB_304000_NS22TransformInputIteratorIbN2at6native12_GLOBAL__N_19NonZeroOpIN3c108BFloat16EEEPKSF_lEEPiiNS8_6detail34convert_binary_result_type_wrapperINS8_3SumESJ_iEEEE10hipError_tPvRmT1_T2_T3_mT4_P12ihipStream_tbEUlT_E0_NS1_11comp_targetILNS1_3genE10ELNS1_11target_archE1200ELNS1_3gpuE4ELNS1_3repE0EEENS1_30default_config_static_selectorELNS0_4arch9wavefront6targetE0EEEvSS_: ; @_ZN7rocprim17ROCPRIM_400000_NS6detail17trampoline_kernelINS0_14default_configENS1_22reduce_config_selectorIbEEZNS1_11reduce_implILb1ES3_N6hipcub16HIPCUB_304000_NS22TransformInputIteratorIbN2at6native12_GLOBAL__N_19NonZeroOpIN3c108BFloat16EEEPKSF_lEEPiiNS8_6detail34convert_binary_result_type_wrapperINS8_3SumESJ_iEEEE10hipError_tPvRmT1_T2_T3_mT4_P12ihipStream_tbEUlT_E0_NS1_11comp_targetILNS1_3genE10ELNS1_11target_archE1200ELNS1_3gpuE4ELNS1_3repE0EEENS1_30default_config_static_selectorELNS0_4arch9wavefront6targetE0EEEvSS_
; %bb.0:
	.section	.rodata,"a",@progbits
	.p2align	6, 0x0
	.amdhsa_kernel _ZN7rocprim17ROCPRIM_400000_NS6detail17trampoline_kernelINS0_14default_configENS1_22reduce_config_selectorIbEEZNS1_11reduce_implILb1ES3_N6hipcub16HIPCUB_304000_NS22TransformInputIteratorIbN2at6native12_GLOBAL__N_19NonZeroOpIN3c108BFloat16EEEPKSF_lEEPiiNS8_6detail34convert_binary_result_type_wrapperINS8_3SumESJ_iEEEE10hipError_tPvRmT1_T2_T3_mT4_P12ihipStream_tbEUlT_E0_NS1_11comp_targetILNS1_3genE10ELNS1_11target_archE1200ELNS1_3gpuE4ELNS1_3repE0EEENS1_30default_config_static_selectorELNS0_4arch9wavefront6targetE0EEEvSS_
		.amdhsa_group_segment_fixed_size 0
		.amdhsa_private_segment_fixed_size 0
		.amdhsa_kernarg_size 64
		.amdhsa_user_sgpr_count 2
		.amdhsa_user_sgpr_dispatch_ptr 0
		.amdhsa_user_sgpr_queue_ptr 0
		.amdhsa_user_sgpr_kernarg_segment_ptr 1
		.amdhsa_user_sgpr_dispatch_id 0
		.amdhsa_user_sgpr_private_segment_size 0
		.amdhsa_wavefront_size32 1
		.amdhsa_uses_dynamic_stack 0
		.amdhsa_enable_private_segment 0
		.amdhsa_system_sgpr_workgroup_id_x 1
		.amdhsa_system_sgpr_workgroup_id_y 0
		.amdhsa_system_sgpr_workgroup_id_z 0
		.amdhsa_system_sgpr_workgroup_info 0
		.amdhsa_system_vgpr_workitem_id 0
		.amdhsa_next_free_vgpr 1
		.amdhsa_next_free_sgpr 1
		.amdhsa_reserve_vcc 0
		.amdhsa_float_round_mode_32 0
		.amdhsa_float_round_mode_16_64 0
		.amdhsa_float_denorm_mode_32 3
		.amdhsa_float_denorm_mode_16_64 3
		.amdhsa_fp16_overflow 0
		.amdhsa_workgroup_processor_mode 1
		.amdhsa_memory_ordered 1
		.amdhsa_forward_progress 1
		.amdhsa_inst_pref_size 0
		.amdhsa_round_robin_scheduling 0
		.amdhsa_exception_fp_ieee_invalid_op 0
		.amdhsa_exception_fp_denorm_src 0
		.amdhsa_exception_fp_ieee_div_zero 0
		.amdhsa_exception_fp_ieee_overflow 0
		.amdhsa_exception_fp_ieee_underflow 0
		.amdhsa_exception_fp_ieee_inexact 0
		.amdhsa_exception_int_div_zero 0
	.end_amdhsa_kernel
	.section	.text._ZN7rocprim17ROCPRIM_400000_NS6detail17trampoline_kernelINS0_14default_configENS1_22reduce_config_selectorIbEEZNS1_11reduce_implILb1ES3_N6hipcub16HIPCUB_304000_NS22TransformInputIteratorIbN2at6native12_GLOBAL__N_19NonZeroOpIN3c108BFloat16EEEPKSF_lEEPiiNS8_6detail34convert_binary_result_type_wrapperINS8_3SumESJ_iEEEE10hipError_tPvRmT1_T2_T3_mT4_P12ihipStream_tbEUlT_E0_NS1_11comp_targetILNS1_3genE10ELNS1_11target_archE1200ELNS1_3gpuE4ELNS1_3repE0EEENS1_30default_config_static_selectorELNS0_4arch9wavefront6targetE0EEEvSS_,"axG",@progbits,_ZN7rocprim17ROCPRIM_400000_NS6detail17trampoline_kernelINS0_14default_configENS1_22reduce_config_selectorIbEEZNS1_11reduce_implILb1ES3_N6hipcub16HIPCUB_304000_NS22TransformInputIteratorIbN2at6native12_GLOBAL__N_19NonZeroOpIN3c108BFloat16EEEPKSF_lEEPiiNS8_6detail34convert_binary_result_type_wrapperINS8_3SumESJ_iEEEE10hipError_tPvRmT1_T2_T3_mT4_P12ihipStream_tbEUlT_E0_NS1_11comp_targetILNS1_3genE10ELNS1_11target_archE1200ELNS1_3gpuE4ELNS1_3repE0EEENS1_30default_config_static_selectorELNS0_4arch9wavefront6targetE0EEEvSS_,comdat
.Lfunc_end786:
	.size	_ZN7rocprim17ROCPRIM_400000_NS6detail17trampoline_kernelINS0_14default_configENS1_22reduce_config_selectorIbEEZNS1_11reduce_implILb1ES3_N6hipcub16HIPCUB_304000_NS22TransformInputIteratorIbN2at6native12_GLOBAL__N_19NonZeroOpIN3c108BFloat16EEEPKSF_lEEPiiNS8_6detail34convert_binary_result_type_wrapperINS8_3SumESJ_iEEEE10hipError_tPvRmT1_T2_T3_mT4_P12ihipStream_tbEUlT_E0_NS1_11comp_targetILNS1_3genE10ELNS1_11target_archE1200ELNS1_3gpuE4ELNS1_3repE0EEENS1_30default_config_static_selectorELNS0_4arch9wavefront6targetE0EEEvSS_, .Lfunc_end786-_ZN7rocprim17ROCPRIM_400000_NS6detail17trampoline_kernelINS0_14default_configENS1_22reduce_config_selectorIbEEZNS1_11reduce_implILb1ES3_N6hipcub16HIPCUB_304000_NS22TransformInputIteratorIbN2at6native12_GLOBAL__N_19NonZeroOpIN3c108BFloat16EEEPKSF_lEEPiiNS8_6detail34convert_binary_result_type_wrapperINS8_3SumESJ_iEEEE10hipError_tPvRmT1_T2_T3_mT4_P12ihipStream_tbEUlT_E0_NS1_11comp_targetILNS1_3genE10ELNS1_11target_archE1200ELNS1_3gpuE4ELNS1_3repE0EEENS1_30default_config_static_selectorELNS0_4arch9wavefront6targetE0EEEvSS_
                                        ; -- End function
	.set _ZN7rocprim17ROCPRIM_400000_NS6detail17trampoline_kernelINS0_14default_configENS1_22reduce_config_selectorIbEEZNS1_11reduce_implILb1ES3_N6hipcub16HIPCUB_304000_NS22TransformInputIteratorIbN2at6native12_GLOBAL__N_19NonZeroOpIN3c108BFloat16EEEPKSF_lEEPiiNS8_6detail34convert_binary_result_type_wrapperINS8_3SumESJ_iEEEE10hipError_tPvRmT1_T2_T3_mT4_P12ihipStream_tbEUlT_E0_NS1_11comp_targetILNS1_3genE10ELNS1_11target_archE1200ELNS1_3gpuE4ELNS1_3repE0EEENS1_30default_config_static_selectorELNS0_4arch9wavefront6targetE0EEEvSS_.num_vgpr, 0
	.set _ZN7rocprim17ROCPRIM_400000_NS6detail17trampoline_kernelINS0_14default_configENS1_22reduce_config_selectorIbEEZNS1_11reduce_implILb1ES3_N6hipcub16HIPCUB_304000_NS22TransformInputIteratorIbN2at6native12_GLOBAL__N_19NonZeroOpIN3c108BFloat16EEEPKSF_lEEPiiNS8_6detail34convert_binary_result_type_wrapperINS8_3SumESJ_iEEEE10hipError_tPvRmT1_T2_T3_mT4_P12ihipStream_tbEUlT_E0_NS1_11comp_targetILNS1_3genE10ELNS1_11target_archE1200ELNS1_3gpuE4ELNS1_3repE0EEENS1_30default_config_static_selectorELNS0_4arch9wavefront6targetE0EEEvSS_.num_agpr, 0
	.set _ZN7rocprim17ROCPRIM_400000_NS6detail17trampoline_kernelINS0_14default_configENS1_22reduce_config_selectorIbEEZNS1_11reduce_implILb1ES3_N6hipcub16HIPCUB_304000_NS22TransformInputIteratorIbN2at6native12_GLOBAL__N_19NonZeroOpIN3c108BFloat16EEEPKSF_lEEPiiNS8_6detail34convert_binary_result_type_wrapperINS8_3SumESJ_iEEEE10hipError_tPvRmT1_T2_T3_mT4_P12ihipStream_tbEUlT_E0_NS1_11comp_targetILNS1_3genE10ELNS1_11target_archE1200ELNS1_3gpuE4ELNS1_3repE0EEENS1_30default_config_static_selectorELNS0_4arch9wavefront6targetE0EEEvSS_.numbered_sgpr, 0
	.set _ZN7rocprim17ROCPRIM_400000_NS6detail17trampoline_kernelINS0_14default_configENS1_22reduce_config_selectorIbEEZNS1_11reduce_implILb1ES3_N6hipcub16HIPCUB_304000_NS22TransformInputIteratorIbN2at6native12_GLOBAL__N_19NonZeroOpIN3c108BFloat16EEEPKSF_lEEPiiNS8_6detail34convert_binary_result_type_wrapperINS8_3SumESJ_iEEEE10hipError_tPvRmT1_T2_T3_mT4_P12ihipStream_tbEUlT_E0_NS1_11comp_targetILNS1_3genE10ELNS1_11target_archE1200ELNS1_3gpuE4ELNS1_3repE0EEENS1_30default_config_static_selectorELNS0_4arch9wavefront6targetE0EEEvSS_.num_named_barrier, 0
	.set _ZN7rocprim17ROCPRIM_400000_NS6detail17trampoline_kernelINS0_14default_configENS1_22reduce_config_selectorIbEEZNS1_11reduce_implILb1ES3_N6hipcub16HIPCUB_304000_NS22TransformInputIteratorIbN2at6native12_GLOBAL__N_19NonZeroOpIN3c108BFloat16EEEPKSF_lEEPiiNS8_6detail34convert_binary_result_type_wrapperINS8_3SumESJ_iEEEE10hipError_tPvRmT1_T2_T3_mT4_P12ihipStream_tbEUlT_E0_NS1_11comp_targetILNS1_3genE10ELNS1_11target_archE1200ELNS1_3gpuE4ELNS1_3repE0EEENS1_30default_config_static_selectorELNS0_4arch9wavefront6targetE0EEEvSS_.private_seg_size, 0
	.set _ZN7rocprim17ROCPRIM_400000_NS6detail17trampoline_kernelINS0_14default_configENS1_22reduce_config_selectorIbEEZNS1_11reduce_implILb1ES3_N6hipcub16HIPCUB_304000_NS22TransformInputIteratorIbN2at6native12_GLOBAL__N_19NonZeroOpIN3c108BFloat16EEEPKSF_lEEPiiNS8_6detail34convert_binary_result_type_wrapperINS8_3SumESJ_iEEEE10hipError_tPvRmT1_T2_T3_mT4_P12ihipStream_tbEUlT_E0_NS1_11comp_targetILNS1_3genE10ELNS1_11target_archE1200ELNS1_3gpuE4ELNS1_3repE0EEENS1_30default_config_static_selectorELNS0_4arch9wavefront6targetE0EEEvSS_.uses_vcc, 0
	.set _ZN7rocprim17ROCPRIM_400000_NS6detail17trampoline_kernelINS0_14default_configENS1_22reduce_config_selectorIbEEZNS1_11reduce_implILb1ES3_N6hipcub16HIPCUB_304000_NS22TransformInputIteratorIbN2at6native12_GLOBAL__N_19NonZeroOpIN3c108BFloat16EEEPKSF_lEEPiiNS8_6detail34convert_binary_result_type_wrapperINS8_3SumESJ_iEEEE10hipError_tPvRmT1_T2_T3_mT4_P12ihipStream_tbEUlT_E0_NS1_11comp_targetILNS1_3genE10ELNS1_11target_archE1200ELNS1_3gpuE4ELNS1_3repE0EEENS1_30default_config_static_selectorELNS0_4arch9wavefront6targetE0EEEvSS_.uses_flat_scratch, 0
	.set _ZN7rocprim17ROCPRIM_400000_NS6detail17trampoline_kernelINS0_14default_configENS1_22reduce_config_selectorIbEEZNS1_11reduce_implILb1ES3_N6hipcub16HIPCUB_304000_NS22TransformInputIteratorIbN2at6native12_GLOBAL__N_19NonZeroOpIN3c108BFloat16EEEPKSF_lEEPiiNS8_6detail34convert_binary_result_type_wrapperINS8_3SumESJ_iEEEE10hipError_tPvRmT1_T2_T3_mT4_P12ihipStream_tbEUlT_E0_NS1_11comp_targetILNS1_3genE10ELNS1_11target_archE1200ELNS1_3gpuE4ELNS1_3repE0EEENS1_30default_config_static_selectorELNS0_4arch9wavefront6targetE0EEEvSS_.has_dyn_sized_stack, 0
	.set _ZN7rocprim17ROCPRIM_400000_NS6detail17trampoline_kernelINS0_14default_configENS1_22reduce_config_selectorIbEEZNS1_11reduce_implILb1ES3_N6hipcub16HIPCUB_304000_NS22TransformInputIteratorIbN2at6native12_GLOBAL__N_19NonZeroOpIN3c108BFloat16EEEPKSF_lEEPiiNS8_6detail34convert_binary_result_type_wrapperINS8_3SumESJ_iEEEE10hipError_tPvRmT1_T2_T3_mT4_P12ihipStream_tbEUlT_E0_NS1_11comp_targetILNS1_3genE10ELNS1_11target_archE1200ELNS1_3gpuE4ELNS1_3repE0EEENS1_30default_config_static_selectorELNS0_4arch9wavefront6targetE0EEEvSS_.has_recursion, 0
	.set _ZN7rocprim17ROCPRIM_400000_NS6detail17trampoline_kernelINS0_14default_configENS1_22reduce_config_selectorIbEEZNS1_11reduce_implILb1ES3_N6hipcub16HIPCUB_304000_NS22TransformInputIteratorIbN2at6native12_GLOBAL__N_19NonZeroOpIN3c108BFloat16EEEPKSF_lEEPiiNS8_6detail34convert_binary_result_type_wrapperINS8_3SumESJ_iEEEE10hipError_tPvRmT1_T2_T3_mT4_P12ihipStream_tbEUlT_E0_NS1_11comp_targetILNS1_3genE10ELNS1_11target_archE1200ELNS1_3gpuE4ELNS1_3repE0EEENS1_30default_config_static_selectorELNS0_4arch9wavefront6targetE0EEEvSS_.has_indirect_call, 0
	.section	.AMDGPU.csdata,"",@progbits
; Kernel info:
; codeLenInByte = 0
; TotalNumSgprs: 0
; NumVgprs: 0
; ScratchSize: 0
; MemoryBound: 0
; FloatMode: 240
; IeeeMode: 1
; LDSByteSize: 0 bytes/workgroup (compile time only)
; SGPRBlocks: 0
; VGPRBlocks: 0
; NumSGPRsForWavesPerEU: 1
; NumVGPRsForWavesPerEU: 1
; Occupancy: 16
; WaveLimiterHint : 0
; COMPUTE_PGM_RSRC2:SCRATCH_EN: 0
; COMPUTE_PGM_RSRC2:USER_SGPR: 2
; COMPUTE_PGM_RSRC2:TRAP_HANDLER: 0
; COMPUTE_PGM_RSRC2:TGID_X_EN: 1
; COMPUTE_PGM_RSRC2:TGID_Y_EN: 0
; COMPUTE_PGM_RSRC2:TGID_Z_EN: 0
; COMPUTE_PGM_RSRC2:TIDIG_COMP_CNT: 0
	.section	.text._ZN7rocprim17ROCPRIM_400000_NS6detail17trampoline_kernelINS0_14default_configENS1_22reduce_config_selectorIbEEZNS1_11reduce_implILb1ES3_N6hipcub16HIPCUB_304000_NS22TransformInputIteratorIbN2at6native12_GLOBAL__N_19NonZeroOpIN3c108BFloat16EEEPKSF_lEEPiiNS8_6detail34convert_binary_result_type_wrapperINS8_3SumESJ_iEEEE10hipError_tPvRmT1_T2_T3_mT4_P12ihipStream_tbEUlT_E0_NS1_11comp_targetILNS1_3genE9ELNS1_11target_archE1100ELNS1_3gpuE3ELNS1_3repE0EEENS1_30default_config_static_selectorELNS0_4arch9wavefront6targetE0EEEvSS_,"axG",@progbits,_ZN7rocprim17ROCPRIM_400000_NS6detail17trampoline_kernelINS0_14default_configENS1_22reduce_config_selectorIbEEZNS1_11reduce_implILb1ES3_N6hipcub16HIPCUB_304000_NS22TransformInputIteratorIbN2at6native12_GLOBAL__N_19NonZeroOpIN3c108BFloat16EEEPKSF_lEEPiiNS8_6detail34convert_binary_result_type_wrapperINS8_3SumESJ_iEEEE10hipError_tPvRmT1_T2_T3_mT4_P12ihipStream_tbEUlT_E0_NS1_11comp_targetILNS1_3genE9ELNS1_11target_archE1100ELNS1_3gpuE3ELNS1_3repE0EEENS1_30default_config_static_selectorELNS0_4arch9wavefront6targetE0EEEvSS_,comdat
	.globl	_ZN7rocprim17ROCPRIM_400000_NS6detail17trampoline_kernelINS0_14default_configENS1_22reduce_config_selectorIbEEZNS1_11reduce_implILb1ES3_N6hipcub16HIPCUB_304000_NS22TransformInputIteratorIbN2at6native12_GLOBAL__N_19NonZeroOpIN3c108BFloat16EEEPKSF_lEEPiiNS8_6detail34convert_binary_result_type_wrapperINS8_3SumESJ_iEEEE10hipError_tPvRmT1_T2_T3_mT4_P12ihipStream_tbEUlT_E0_NS1_11comp_targetILNS1_3genE9ELNS1_11target_archE1100ELNS1_3gpuE3ELNS1_3repE0EEENS1_30default_config_static_selectorELNS0_4arch9wavefront6targetE0EEEvSS_ ; -- Begin function _ZN7rocprim17ROCPRIM_400000_NS6detail17trampoline_kernelINS0_14default_configENS1_22reduce_config_selectorIbEEZNS1_11reduce_implILb1ES3_N6hipcub16HIPCUB_304000_NS22TransformInputIteratorIbN2at6native12_GLOBAL__N_19NonZeroOpIN3c108BFloat16EEEPKSF_lEEPiiNS8_6detail34convert_binary_result_type_wrapperINS8_3SumESJ_iEEEE10hipError_tPvRmT1_T2_T3_mT4_P12ihipStream_tbEUlT_E0_NS1_11comp_targetILNS1_3genE9ELNS1_11target_archE1100ELNS1_3gpuE3ELNS1_3repE0EEENS1_30default_config_static_selectorELNS0_4arch9wavefront6targetE0EEEvSS_
	.p2align	8
	.type	_ZN7rocprim17ROCPRIM_400000_NS6detail17trampoline_kernelINS0_14default_configENS1_22reduce_config_selectorIbEEZNS1_11reduce_implILb1ES3_N6hipcub16HIPCUB_304000_NS22TransformInputIteratorIbN2at6native12_GLOBAL__N_19NonZeroOpIN3c108BFloat16EEEPKSF_lEEPiiNS8_6detail34convert_binary_result_type_wrapperINS8_3SumESJ_iEEEE10hipError_tPvRmT1_T2_T3_mT4_P12ihipStream_tbEUlT_E0_NS1_11comp_targetILNS1_3genE9ELNS1_11target_archE1100ELNS1_3gpuE3ELNS1_3repE0EEENS1_30default_config_static_selectorELNS0_4arch9wavefront6targetE0EEEvSS_,@function
_ZN7rocprim17ROCPRIM_400000_NS6detail17trampoline_kernelINS0_14default_configENS1_22reduce_config_selectorIbEEZNS1_11reduce_implILb1ES3_N6hipcub16HIPCUB_304000_NS22TransformInputIteratorIbN2at6native12_GLOBAL__N_19NonZeroOpIN3c108BFloat16EEEPKSF_lEEPiiNS8_6detail34convert_binary_result_type_wrapperINS8_3SumESJ_iEEEE10hipError_tPvRmT1_T2_T3_mT4_P12ihipStream_tbEUlT_E0_NS1_11comp_targetILNS1_3genE9ELNS1_11target_archE1100ELNS1_3gpuE3ELNS1_3repE0EEENS1_30default_config_static_selectorELNS0_4arch9wavefront6targetE0EEEvSS_: ; @_ZN7rocprim17ROCPRIM_400000_NS6detail17trampoline_kernelINS0_14default_configENS1_22reduce_config_selectorIbEEZNS1_11reduce_implILb1ES3_N6hipcub16HIPCUB_304000_NS22TransformInputIteratorIbN2at6native12_GLOBAL__N_19NonZeroOpIN3c108BFloat16EEEPKSF_lEEPiiNS8_6detail34convert_binary_result_type_wrapperINS8_3SumESJ_iEEEE10hipError_tPvRmT1_T2_T3_mT4_P12ihipStream_tbEUlT_E0_NS1_11comp_targetILNS1_3genE9ELNS1_11target_archE1100ELNS1_3gpuE3ELNS1_3repE0EEENS1_30default_config_static_selectorELNS0_4arch9wavefront6targetE0EEEvSS_
; %bb.0:
	.section	.rodata,"a",@progbits
	.p2align	6, 0x0
	.amdhsa_kernel _ZN7rocprim17ROCPRIM_400000_NS6detail17trampoline_kernelINS0_14default_configENS1_22reduce_config_selectorIbEEZNS1_11reduce_implILb1ES3_N6hipcub16HIPCUB_304000_NS22TransformInputIteratorIbN2at6native12_GLOBAL__N_19NonZeroOpIN3c108BFloat16EEEPKSF_lEEPiiNS8_6detail34convert_binary_result_type_wrapperINS8_3SumESJ_iEEEE10hipError_tPvRmT1_T2_T3_mT4_P12ihipStream_tbEUlT_E0_NS1_11comp_targetILNS1_3genE9ELNS1_11target_archE1100ELNS1_3gpuE3ELNS1_3repE0EEENS1_30default_config_static_selectorELNS0_4arch9wavefront6targetE0EEEvSS_
		.amdhsa_group_segment_fixed_size 0
		.amdhsa_private_segment_fixed_size 0
		.amdhsa_kernarg_size 64
		.amdhsa_user_sgpr_count 2
		.amdhsa_user_sgpr_dispatch_ptr 0
		.amdhsa_user_sgpr_queue_ptr 0
		.amdhsa_user_sgpr_kernarg_segment_ptr 1
		.amdhsa_user_sgpr_dispatch_id 0
		.amdhsa_user_sgpr_private_segment_size 0
		.amdhsa_wavefront_size32 1
		.amdhsa_uses_dynamic_stack 0
		.amdhsa_enable_private_segment 0
		.amdhsa_system_sgpr_workgroup_id_x 1
		.amdhsa_system_sgpr_workgroup_id_y 0
		.amdhsa_system_sgpr_workgroup_id_z 0
		.amdhsa_system_sgpr_workgroup_info 0
		.amdhsa_system_vgpr_workitem_id 0
		.amdhsa_next_free_vgpr 1
		.amdhsa_next_free_sgpr 1
		.amdhsa_reserve_vcc 0
		.amdhsa_float_round_mode_32 0
		.amdhsa_float_round_mode_16_64 0
		.amdhsa_float_denorm_mode_32 3
		.amdhsa_float_denorm_mode_16_64 3
		.amdhsa_fp16_overflow 0
		.amdhsa_workgroup_processor_mode 1
		.amdhsa_memory_ordered 1
		.amdhsa_forward_progress 1
		.amdhsa_inst_pref_size 0
		.amdhsa_round_robin_scheduling 0
		.amdhsa_exception_fp_ieee_invalid_op 0
		.amdhsa_exception_fp_denorm_src 0
		.amdhsa_exception_fp_ieee_div_zero 0
		.amdhsa_exception_fp_ieee_overflow 0
		.amdhsa_exception_fp_ieee_underflow 0
		.amdhsa_exception_fp_ieee_inexact 0
		.amdhsa_exception_int_div_zero 0
	.end_amdhsa_kernel
	.section	.text._ZN7rocprim17ROCPRIM_400000_NS6detail17trampoline_kernelINS0_14default_configENS1_22reduce_config_selectorIbEEZNS1_11reduce_implILb1ES3_N6hipcub16HIPCUB_304000_NS22TransformInputIteratorIbN2at6native12_GLOBAL__N_19NonZeroOpIN3c108BFloat16EEEPKSF_lEEPiiNS8_6detail34convert_binary_result_type_wrapperINS8_3SumESJ_iEEEE10hipError_tPvRmT1_T2_T3_mT4_P12ihipStream_tbEUlT_E0_NS1_11comp_targetILNS1_3genE9ELNS1_11target_archE1100ELNS1_3gpuE3ELNS1_3repE0EEENS1_30default_config_static_selectorELNS0_4arch9wavefront6targetE0EEEvSS_,"axG",@progbits,_ZN7rocprim17ROCPRIM_400000_NS6detail17trampoline_kernelINS0_14default_configENS1_22reduce_config_selectorIbEEZNS1_11reduce_implILb1ES3_N6hipcub16HIPCUB_304000_NS22TransformInputIteratorIbN2at6native12_GLOBAL__N_19NonZeroOpIN3c108BFloat16EEEPKSF_lEEPiiNS8_6detail34convert_binary_result_type_wrapperINS8_3SumESJ_iEEEE10hipError_tPvRmT1_T2_T3_mT4_P12ihipStream_tbEUlT_E0_NS1_11comp_targetILNS1_3genE9ELNS1_11target_archE1100ELNS1_3gpuE3ELNS1_3repE0EEENS1_30default_config_static_selectorELNS0_4arch9wavefront6targetE0EEEvSS_,comdat
.Lfunc_end787:
	.size	_ZN7rocprim17ROCPRIM_400000_NS6detail17trampoline_kernelINS0_14default_configENS1_22reduce_config_selectorIbEEZNS1_11reduce_implILb1ES3_N6hipcub16HIPCUB_304000_NS22TransformInputIteratorIbN2at6native12_GLOBAL__N_19NonZeroOpIN3c108BFloat16EEEPKSF_lEEPiiNS8_6detail34convert_binary_result_type_wrapperINS8_3SumESJ_iEEEE10hipError_tPvRmT1_T2_T3_mT4_P12ihipStream_tbEUlT_E0_NS1_11comp_targetILNS1_3genE9ELNS1_11target_archE1100ELNS1_3gpuE3ELNS1_3repE0EEENS1_30default_config_static_selectorELNS0_4arch9wavefront6targetE0EEEvSS_, .Lfunc_end787-_ZN7rocprim17ROCPRIM_400000_NS6detail17trampoline_kernelINS0_14default_configENS1_22reduce_config_selectorIbEEZNS1_11reduce_implILb1ES3_N6hipcub16HIPCUB_304000_NS22TransformInputIteratorIbN2at6native12_GLOBAL__N_19NonZeroOpIN3c108BFloat16EEEPKSF_lEEPiiNS8_6detail34convert_binary_result_type_wrapperINS8_3SumESJ_iEEEE10hipError_tPvRmT1_T2_T3_mT4_P12ihipStream_tbEUlT_E0_NS1_11comp_targetILNS1_3genE9ELNS1_11target_archE1100ELNS1_3gpuE3ELNS1_3repE0EEENS1_30default_config_static_selectorELNS0_4arch9wavefront6targetE0EEEvSS_
                                        ; -- End function
	.set _ZN7rocprim17ROCPRIM_400000_NS6detail17trampoline_kernelINS0_14default_configENS1_22reduce_config_selectorIbEEZNS1_11reduce_implILb1ES3_N6hipcub16HIPCUB_304000_NS22TransformInputIteratorIbN2at6native12_GLOBAL__N_19NonZeroOpIN3c108BFloat16EEEPKSF_lEEPiiNS8_6detail34convert_binary_result_type_wrapperINS8_3SumESJ_iEEEE10hipError_tPvRmT1_T2_T3_mT4_P12ihipStream_tbEUlT_E0_NS1_11comp_targetILNS1_3genE9ELNS1_11target_archE1100ELNS1_3gpuE3ELNS1_3repE0EEENS1_30default_config_static_selectorELNS0_4arch9wavefront6targetE0EEEvSS_.num_vgpr, 0
	.set _ZN7rocprim17ROCPRIM_400000_NS6detail17trampoline_kernelINS0_14default_configENS1_22reduce_config_selectorIbEEZNS1_11reduce_implILb1ES3_N6hipcub16HIPCUB_304000_NS22TransformInputIteratorIbN2at6native12_GLOBAL__N_19NonZeroOpIN3c108BFloat16EEEPKSF_lEEPiiNS8_6detail34convert_binary_result_type_wrapperINS8_3SumESJ_iEEEE10hipError_tPvRmT1_T2_T3_mT4_P12ihipStream_tbEUlT_E0_NS1_11comp_targetILNS1_3genE9ELNS1_11target_archE1100ELNS1_3gpuE3ELNS1_3repE0EEENS1_30default_config_static_selectorELNS0_4arch9wavefront6targetE0EEEvSS_.num_agpr, 0
	.set _ZN7rocprim17ROCPRIM_400000_NS6detail17trampoline_kernelINS0_14default_configENS1_22reduce_config_selectorIbEEZNS1_11reduce_implILb1ES3_N6hipcub16HIPCUB_304000_NS22TransformInputIteratorIbN2at6native12_GLOBAL__N_19NonZeroOpIN3c108BFloat16EEEPKSF_lEEPiiNS8_6detail34convert_binary_result_type_wrapperINS8_3SumESJ_iEEEE10hipError_tPvRmT1_T2_T3_mT4_P12ihipStream_tbEUlT_E0_NS1_11comp_targetILNS1_3genE9ELNS1_11target_archE1100ELNS1_3gpuE3ELNS1_3repE0EEENS1_30default_config_static_selectorELNS0_4arch9wavefront6targetE0EEEvSS_.numbered_sgpr, 0
	.set _ZN7rocprim17ROCPRIM_400000_NS6detail17trampoline_kernelINS0_14default_configENS1_22reduce_config_selectorIbEEZNS1_11reduce_implILb1ES3_N6hipcub16HIPCUB_304000_NS22TransformInputIteratorIbN2at6native12_GLOBAL__N_19NonZeroOpIN3c108BFloat16EEEPKSF_lEEPiiNS8_6detail34convert_binary_result_type_wrapperINS8_3SumESJ_iEEEE10hipError_tPvRmT1_T2_T3_mT4_P12ihipStream_tbEUlT_E0_NS1_11comp_targetILNS1_3genE9ELNS1_11target_archE1100ELNS1_3gpuE3ELNS1_3repE0EEENS1_30default_config_static_selectorELNS0_4arch9wavefront6targetE0EEEvSS_.num_named_barrier, 0
	.set _ZN7rocprim17ROCPRIM_400000_NS6detail17trampoline_kernelINS0_14default_configENS1_22reduce_config_selectorIbEEZNS1_11reduce_implILb1ES3_N6hipcub16HIPCUB_304000_NS22TransformInputIteratorIbN2at6native12_GLOBAL__N_19NonZeroOpIN3c108BFloat16EEEPKSF_lEEPiiNS8_6detail34convert_binary_result_type_wrapperINS8_3SumESJ_iEEEE10hipError_tPvRmT1_T2_T3_mT4_P12ihipStream_tbEUlT_E0_NS1_11comp_targetILNS1_3genE9ELNS1_11target_archE1100ELNS1_3gpuE3ELNS1_3repE0EEENS1_30default_config_static_selectorELNS0_4arch9wavefront6targetE0EEEvSS_.private_seg_size, 0
	.set _ZN7rocprim17ROCPRIM_400000_NS6detail17trampoline_kernelINS0_14default_configENS1_22reduce_config_selectorIbEEZNS1_11reduce_implILb1ES3_N6hipcub16HIPCUB_304000_NS22TransformInputIteratorIbN2at6native12_GLOBAL__N_19NonZeroOpIN3c108BFloat16EEEPKSF_lEEPiiNS8_6detail34convert_binary_result_type_wrapperINS8_3SumESJ_iEEEE10hipError_tPvRmT1_T2_T3_mT4_P12ihipStream_tbEUlT_E0_NS1_11comp_targetILNS1_3genE9ELNS1_11target_archE1100ELNS1_3gpuE3ELNS1_3repE0EEENS1_30default_config_static_selectorELNS0_4arch9wavefront6targetE0EEEvSS_.uses_vcc, 0
	.set _ZN7rocprim17ROCPRIM_400000_NS6detail17trampoline_kernelINS0_14default_configENS1_22reduce_config_selectorIbEEZNS1_11reduce_implILb1ES3_N6hipcub16HIPCUB_304000_NS22TransformInputIteratorIbN2at6native12_GLOBAL__N_19NonZeroOpIN3c108BFloat16EEEPKSF_lEEPiiNS8_6detail34convert_binary_result_type_wrapperINS8_3SumESJ_iEEEE10hipError_tPvRmT1_T2_T3_mT4_P12ihipStream_tbEUlT_E0_NS1_11comp_targetILNS1_3genE9ELNS1_11target_archE1100ELNS1_3gpuE3ELNS1_3repE0EEENS1_30default_config_static_selectorELNS0_4arch9wavefront6targetE0EEEvSS_.uses_flat_scratch, 0
	.set _ZN7rocprim17ROCPRIM_400000_NS6detail17trampoline_kernelINS0_14default_configENS1_22reduce_config_selectorIbEEZNS1_11reduce_implILb1ES3_N6hipcub16HIPCUB_304000_NS22TransformInputIteratorIbN2at6native12_GLOBAL__N_19NonZeroOpIN3c108BFloat16EEEPKSF_lEEPiiNS8_6detail34convert_binary_result_type_wrapperINS8_3SumESJ_iEEEE10hipError_tPvRmT1_T2_T3_mT4_P12ihipStream_tbEUlT_E0_NS1_11comp_targetILNS1_3genE9ELNS1_11target_archE1100ELNS1_3gpuE3ELNS1_3repE0EEENS1_30default_config_static_selectorELNS0_4arch9wavefront6targetE0EEEvSS_.has_dyn_sized_stack, 0
	.set _ZN7rocprim17ROCPRIM_400000_NS6detail17trampoline_kernelINS0_14default_configENS1_22reduce_config_selectorIbEEZNS1_11reduce_implILb1ES3_N6hipcub16HIPCUB_304000_NS22TransformInputIteratorIbN2at6native12_GLOBAL__N_19NonZeroOpIN3c108BFloat16EEEPKSF_lEEPiiNS8_6detail34convert_binary_result_type_wrapperINS8_3SumESJ_iEEEE10hipError_tPvRmT1_T2_T3_mT4_P12ihipStream_tbEUlT_E0_NS1_11comp_targetILNS1_3genE9ELNS1_11target_archE1100ELNS1_3gpuE3ELNS1_3repE0EEENS1_30default_config_static_selectorELNS0_4arch9wavefront6targetE0EEEvSS_.has_recursion, 0
	.set _ZN7rocprim17ROCPRIM_400000_NS6detail17trampoline_kernelINS0_14default_configENS1_22reduce_config_selectorIbEEZNS1_11reduce_implILb1ES3_N6hipcub16HIPCUB_304000_NS22TransformInputIteratorIbN2at6native12_GLOBAL__N_19NonZeroOpIN3c108BFloat16EEEPKSF_lEEPiiNS8_6detail34convert_binary_result_type_wrapperINS8_3SumESJ_iEEEE10hipError_tPvRmT1_T2_T3_mT4_P12ihipStream_tbEUlT_E0_NS1_11comp_targetILNS1_3genE9ELNS1_11target_archE1100ELNS1_3gpuE3ELNS1_3repE0EEENS1_30default_config_static_selectorELNS0_4arch9wavefront6targetE0EEEvSS_.has_indirect_call, 0
	.section	.AMDGPU.csdata,"",@progbits
; Kernel info:
; codeLenInByte = 0
; TotalNumSgprs: 0
; NumVgprs: 0
; ScratchSize: 0
; MemoryBound: 0
; FloatMode: 240
; IeeeMode: 1
; LDSByteSize: 0 bytes/workgroup (compile time only)
; SGPRBlocks: 0
; VGPRBlocks: 0
; NumSGPRsForWavesPerEU: 1
; NumVGPRsForWavesPerEU: 1
; Occupancy: 16
; WaveLimiterHint : 0
; COMPUTE_PGM_RSRC2:SCRATCH_EN: 0
; COMPUTE_PGM_RSRC2:USER_SGPR: 2
; COMPUTE_PGM_RSRC2:TRAP_HANDLER: 0
; COMPUTE_PGM_RSRC2:TGID_X_EN: 1
; COMPUTE_PGM_RSRC2:TGID_Y_EN: 0
; COMPUTE_PGM_RSRC2:TGID_Z_EN: 0
; COMPUTE_PGM_RSRC2:TIDIG_COMP_CNT: 0
	.section	.text._ZN7rocprim17ROCPRIM_400000_NS6detail17trampoline_kernelINS0_14default_configENS1_22reduce_config_selectorIbEEZNS1_11reduce_implILb1ES3_N6hipcub16HIPCUB_304000_NS22TransformInputIteratorIbN2at6native12_GLOBAL__N_19NonZeroOpIN3c108BFloat16EEEPKSF_lEEPiiNS8_6detail34convert_binary_result_type_wrapperINS8_3SumESJ_iEEEE10hipError_tPvRmT1_T2_T3_mT4_P12ihipStream_tbEUlT_E0_NS1_11comp_targetILNS1_3genE8ELNS1_11target_archE1030ELNS1_3gpuE2ELNS1_3repE0EEENS1_30default_config_static_selectorELNS0_4arch9wavefront6targetE0EEEvSS_,"axG",@progbits,_ZN7rocprim17ROCPRIM_400000_NS6detail17trampoline_kernelINS0_14default_configENS1_22reduce_config_selectorIbEEZNS1_11reduce_implILb1ES3_N6hipcub16HIPCUB_304000_NS22TransformInputIteratorIbN2at6native12_GLOBAL__N_19NonZeroOpIN3c108BFloat16EEEPKSF_lEEPiiNS8_6detail34convert_binary_result_type_wrapperINS8_3SumESJ_iEEEE10hipError_tPvRmT1_T2_T3_mT4_P12ihipStream_tbEUlT_E0_NS1_11comp_targetILNS1_3genE8ELNS1_11target_archE1030ELNS1_3gpuE2ELNS1_3repE0EEENS1_30default_config_static_selectorELNS0_4arch9wavefront6targetE0EEEvSS_,comdat
	.globl	_ZN7rocprim17ROCPRIM_400000_NS6detail17trampoline_kernelINS0_14default_configENS1_22reduce_config_selectorIbEEZNS1_11reduce_implILb1ES3_N6hipcub16HIPCUB_304000_NS22TransformInputIteratorIbN2at6native12_GLOBAL__N_19NonZeroOpIN3c108BFloat16EEEPKSF_lEEPiiNS8_6detail34convert_binary_result_type_wrapperINS8_3SumESJ_iEEEE10hipError_tPvRmT1_T2_T3_mT4_P12ihipStream_tbEUlT_E0_NS1_11comp_targetILNS1_3genE8ELNS1_11target_archE1030ELNS1_3gpuE2ELNS1_3repE0EEENS1_30default_config_static_selectorELNS0_4arch9wavefront6targetE0EEEvSS_ ; -- Begin function _ZN7rocprim17ROCPRIM_400000_NS6detail17trampoline_kernelINS0_14default_configENS1_22reduce_config_selectorIbEEZNS1_11reduce_implILb1ES3_N6hipcub16HIPCUB_304000_NS22TransformInputIteratorIbN2at6native12_GLOBAL__N_19NonZeroOpIN3c108BFloat16EEEPKSF_lEEPiiNS8_6detail34convert_binary_result_type_wrapperINS8_3SumESJ_iEEEE10hipError_tPvRmT1_T2_T3_mT4_P12ihipStream_tbEUlT_E0_NS1_11comp_targetILNS1_3genE8ELNS1_11target_archE1030ELNS1_3gpuE2ELNS1_3repE0EEENS1_30default_config_static_selectorELNS0_4arch9wavefront6targetE0EEEvSS_
	.p2align	8
	.type	_ZN7rocprim17ROCPRIM_400000_NS6detail17trampoline_kernelINS0_14default_configENS1_22reduce_config_selectorIbEEZNS1_11reduce_implILb1ES3_N6hipcub16HIPCUB_304000_NS22TransformInputIteratorIbN2at6native12_GLOBAL__N_19NonZeroOpIN3c108BFloat16EEEPKSF_lEEPiiNS8_6detail34convert_binary_result_type_wrapperINS8_3SumESJ_iEEEE10hipError_tPvRmT1_T2_T3_mT4_P12ihipStream_tbEUlT_E0_NS1_11comp_targetILNS1_3genE8ELNS1_11target_archE1030ELNS1_3gpuE2ELNS1_3repE0EEENS1_30default_config_static_selectorELNS0_4arch9wavefront6targetE0EEEvSS_,@function
_ZN7rocprim17ROCPRIM_400000_NS6detail17trampoline_kernelINS0_14default_configENS1_22reduce_config_selectorIbEEZNS1_11reduce_implILb1ES3_N6hipcub16HIPCUB_304000_NS22TransformInputIteratorIbN2at6native12_GLOBAL__N_19NonZeroOpIN3c108BFloat16EEEPKSF_lEEPiiNS8_6detail34convert_binary_result_type_wrapperINS8_3SumESJ_iEEEE10hipError_tPvRmT1_T2_T3_mT4_P12ihipStream_tbEUlT_E0_NS1_11comp_targetILNS1_3genE8ELNS1_11target_archE1030ELNS1_3gpuE2ELNS1_3repE0EEENS1_30default_config_static_selectorELNS0_4arch9wavefront6targetE0EEEvSS_: ; @_ZN7rocprim17ROCPRIM_400000_NS6detail17trampoline_kernelINS0_14default_configENS1_22reduce_config_selectorIbEEZNS1_11reduce_implILb1ES3_N6hipcub16HIPCUB_304000_NS22TransformInputIteratorIbN2at6native12_GLOBAL__N_19NonZeroOpIN3c108BFloat16EEEPKSF_lEEPiiNS8_6detail34convert_binary_result_type_wrapperINS8_3SumESJ_iEEEE10hipError_tPvRmT1_T2_T3_mT4_P12ihipStream_tbEUlT_E0_NS1_11comp_targetILNS1_3genE8ELNS1_11target_archE1030ELNS1_3gpuE2ELNS1_3repE0EEENS1_30default_config_static_selectorELNS0_4arch9wavefront6targetE0EEEvSS_
; %bb.0:
	.section	.rodata,"a",@progbits
	.p2align	6, 0x0
	.amdhsa_kernel _ZN7rocprim17ROCPRIM_400000_NS6detail17trampoline_kernelINS0_14default_configENS1_22reduce_config_selectorIbEEZNS1_11reduce_implILb1ES3_N6hipcub16HIPCUB_304000_NS22TransformInputIteratorIbN2at6native12_GLOBAL__N_19NonZeroOpIN3c108BFloat16EEEPKSF_lEEPiiNS8_6detail34convert_binary_result_type_wrapperINS8_3SumESJ_iEEEE10hipError_tPvRmT1_T2_T3_mT4_P12ihipStream_tbEUlT_E0_NS1_11comp_targetILNS1_3genE8ELNS1_11target_archE1030ELNS1_3gpuE2ELNS1_3repE0EEENS1_30default_config_static_selectorELNS0_4arch9wavefront6targetE0EEEvSS_
		.amdhsa_group_segment_fixed_size 0
		.amdhsa_private_segment_fixed_size 0
		.amdhsa_kernarg_size 64
		.amdhsa_user_sgpr_count 2
		.amdhsa_user_sgpr_dispatch_ptr 0
		.amdhsa_user_sgpr_queue_ptr 0
		.amdhsa_user_sgpr_kernarg_segment_ptr 1
		.amdhsa_user_sgpr_dispatch_id 0
		.amdhsa_user_sgpr_private_segment_size 0
		.amdhsa_wavefront_size32 1
		.amdhsa_uses_dynamic_stack 0
		.amdhsa_enable_private_segment 0
		.amdhsa_system_sgpr_workgroup_id_x 1
		.amdhsa_system_sgpr_workgroup_id_y 0
		.amdhsa_system_sgpr_workgroup_id_z 0
		.amdhsa_system_sgpr_workgroup_info 0
		.amdhsa_system_vgpr_workitem_id 0
		.amdhsa_next_free_vgpr 1
		.amdhsa_next_free_sgpr 1
		.amdhsa_reserve_vcc 0
		.amdhsa_float_round_mode_32 0
		.amdhsa_float_round_mode_16_64 0
		.amdhsa_float_denorm_mode_32 3
		.amdhsa_float_denorm_mode_16_64 3
		.amdhsa_fp16_overflow 0
		.amdhsa_workgroup_processor_mode 1
		.amdhsa_memory_ordered 1
		.amdhsa_forward_progress 1
		.amdhsa_inst_pref_size 0
		.amdhsa_round_robin_scheduling 0
		.amdhsa_exception_fp_ieee_invalid_op 0
		.amdhsa_exception_fp_denorm_src 0
		.amdhsa_exception_fp_ieee_div_zero 0
		.amdhsa_exception_fp_ieee_overflow 0
		.amdhsa_exception_fp_ieee_underflow 0
		.amdhsa_exception_fp_ieee_inexact 0
		.amdhsa_exception_int_div_zero 0
	.end_amdhsa_kernel
	.section	.text._ZN7rocprim17ROCPRIM_400000_NS6detail17trampoline_kernelINS0_14default_configENS1_22reduce_config_selectorIbEEZNS1_11reduce_implILb1ES3_N6hipcub16HIPCUB_304000_NS22TransformInputIteratorIbN2at6native12_GLOBAL__N_19NonZeroOpIN3c108BFloat16EEEPKSF_lEEPiiNS8_6detail34convert_binary_result_type_wrapperINS8_3SumESJ_iEEEE10hipError_tPvRmT1_T2_T3_mT4_P12ihipStream_tbEUlT_E0_NS1_11comp_targetILNS1_3genE8ELNS1_11target_archE1030ELNS1_3gpuE2ELNS1_3repE0EEENS1_30default_config_static_selectorELNS0_4arch9wavefront6targetE0EEEvSS_,"axG",@progbits,_ZN7rocprim17ROCPRIM_400000_NS6detail17trampoline_kernelINS0_14default_configENS1_22reduce_config_selectorIbEEZNS1_11reduce_implILb1ES3_N6hipcub16HIPCUB_304000_NS22TransformInputIteratorIbN2at6native12_GLOBAL__N_19NonZeroOpIN3c108BFloat16EEEPKSF_lEEPiiNS8_6detail34convert_binary_result_type_wrapperINS8_3SumESJ_iEEEE10hipError_tPvRmT1_T2_T3_mT4_P12ihipStream_tbEUlT_E0_NS1_11comp_targetILNS1_3genE8ELNS1_11target_archE1030ELNS1_3gpuE2ELNS1_3repE0EEENS1_30default_config_static_selectorELNS0_4arch9wavefront6targetE0EEEvSS_,comdat
.Lfunc_end788:
	.size	_ZN7rocprim17ROCPRIM_400000_NS6detail17trampoline_kernelINS0_14default_configENS1_22reduce_config_selectorIbEEZNS1_11reduce_implILb1ES3_N6hipcub16HIPCUB_304000_NS22TransformInputIteratorIbN2at6native12_GLOBAL__N_19NonZeroOpIN3c108BFloat16EEEPKSF_lEEPiiNS8_6detail34convert_binary_result_type_wrapperINS8_3SumESJ_iEEEE10hipError_tPvRmT1_T2_T3_mT4_P12ihipStream_tbEUlT_E0_NS1_11comp_targetILNS1_3genE8ELNS1_11target_archE1030ELNS1_3gpuE2ELNS1_3repE0EEENS1_30default_config_static_selectorELNS0_4arch9wavefront6targetE0EEEvSS_, .Lfunc_end788-_ZN7rocprim17ROCPRIM_400000_NS6detail17trampoline_kernelINS0_14default_configENS1_22reduce_config_selectorIbEEZNS1_11reduce_implILb1ES3_N6hipcub16HIPCUB_304000_NS22TransformInputIteratorIbN2at6native12_GLOBAL__N_19NonZeroOpIN3c108BFloat16EEEPKSF_lEEPiiNS8_6detail34convert_binary_result_type_wrapperINS8_3SumESJ_iEEEE10hipError_tPvRmT1_T2_T3_mT4_P12ihipStream_tbEUlT_E0_NS1_11comp_targetILNS1_3genE8ELNS1_11target_archE1030ELNS1_3gpuE2ELNS1_3repE0EEENS1_30default_config_static_selectorELNS0_4arch9wavefront6targetE0EEEvSS_
                                        ; -- End function
	.set _ZN7rocprim17ROCPRIM_400000_NS6detail17trampoline_kernelINS0_14default_configENS1_22reduce_config_selectorIbEEZNS1_11reduce_implILb1ES3_N6hipcub16HIPCUB_304000_NS22TransformInputIteratorIbN2at6native12_GLOBAL__N_19NonZeroOpIN3c108BFloat16EEEPKSF_lEEPiiNS8_6detail34convert_binary_result_type_wrapperINS8_3SumESJ_iEEEE10hipError_tPvRmT1_T2_T3_mT4_P12ihipStream_tbEUlT_E0_NS1_11comp_targetILNS1_3genE8ELNS1_11target_archE1030ELNS1_3gpuE2ELNS1_3repE0EEENS1_30default_config_static_selectorELNS0_4arch9wavefront6targetE0EEEvSS_.num_vgpr, 0
	.set _ZN7rocprim17ROCPRIM_400000_NS6detail17trampoline_kernelINS0_14default_configENS1_22reduce_config_selectorIbEEZNS1_11reduce_implILb1ES3_N6hipcub16HIPCUB_304000_NS22TransformInputIteratorIbN2at6native12_GLOBAL__N_19NonZeroOpIN3c108BFloat16EEEPKSF_lEEPiiNS8_6detail34convert_binary_result_type_wrapperINS8_3SumESJ_iEEEE10hipError_tPvRmT1_T2_T3_mT4_P12ihipStream_tbEUlT_E0_NS1_11comp_targetILNS1_3genE8ELNS1_11target_archE1030ELNS1_3gpuE2ELNS1_3repE0EEENS1_30default_config_static_selectorELNS0_4arch9wavefront6targetE0EEEvSS_.num_agpr, 0
	.set _ZN7rocprim17ROCPRIM_400000_NS6detail17trampoline_kernelINS0_14default_configENS1_22reduce_config_selectorIbEEZNS1_11reduce_implILb1ES3_N6hipcub16HIPCUB_304000_NS22TransformInputIteratorIbN2at6native12_GLOBAL__N_19NonZeroOpIN3c108BFloat16EEEPKSF_lEEPiiNS8_6detail34convert_binary_result_type_wrapperINS8_3SumESJ_iEEEE10hipError_tPvRmT1_T2_T3_mT4_P12ihipStream_tbEUlT_E0_NS1_11comp_targetILNS1_3genE8ELNS1_11target_archE1030ELNS1_3gpuE2ELNS1_3repE0EEENS1_30default_config_static_selectorELNS0_4arch9wavefront6targetE0EEEvSS_.numbered_sgpr, 0
	.set _ZN7rocprim17ROCPRIM_400000_NS6detail17trampoline_kernelINS0_14default_configENS1_22reduce_config_selectorIbEEZNS1_11reduce_implILb1ES3_N6hipcub16HIPCUB_304000_NS22TransformInputIteratorIbN2at6native12_GLOBAL__N_19NonZeroOpIN3c108BFloat16EEEPKSF_lEEPiiNS8_6detail34convert_binary_result_type_wrapperINS8_3SumESJ_iEEEE10hipError_tPvRmT1_T2_T3_mT4_P12ihipStream_tbEUlT_E0_NS1_11comp_targetILNS1_3genE8ELNS1_11target_archE1030ELNS1_3gpuE2ELNS1_3repE0EEENS1_30default_config_static_selectorELNS0_4arch9wavefront6targetE0EEEvSS_.num_named_barrier, 0
	.set _ZN7rocprim17ROCPRIM_400000_NS6detail17trampoline_kernelINS0_14default_configENS1_22reduce_config_selectorIbEEZNS1_11reduce_implILb1ES3_N6hipcub16HIPCUB_304000_NS22TransformInputIteratorIbN2at6native12_GLOBAL__N_19NonZeroOpIN3c108BFloat16EEEPKSF_lEEPiiNS8_6detail34convert_binary_result_type_wrapperINS8_3SumESJ_iEEEE10hipError_tPvRmT1_T2_T3_mT4_P12ihipStream_tbEUlT_E0_NS1_11comp_targetILNS1_3genE8ELNS1_11target_archE1030ELNS1_3gpuE2ELNS1_3repE0EEENS1_30default_config_static_selectorELNS0_4arch9wavefront6targetE0EEEvSS_.private_seg_size, 0
	.set _ZN7rocprim17ROCPRIM_400000_NS6detail17trampoline_kernelINS0_14default_configENS1_22reduce_config_selectorIbEEZNS1_11reduce_implILb1ES3_N6hipcub16HIPCUB_304000_NS22TransformInputIteratorIbN2at6native12_GLOBAL__N_19NonZeroOpIN3c108BFloat16EEEPKSF_lEEPiiNS8_6detail34convert_binary_result_type_wrapperINS8_3SumESJ_iEEEE10hipError_tPvRmT1_T2_T3_mT4_P12ihipStream_tbEUlT_E0_NS1_11comp_targetILNS1_3genE8ELNS1_11target_archE1030ELNS1_3gpuE2ELNS1_3repE0EEENS1_30default_config_static_selectorELNS0_4arch9wavefront6targetE0EEEvSS_.uses_vcc, 0
	.set _ZN7rocprim17ROCPRIM_400000_NS6detail17trampoline_kernelINS0_14default_configENS1_22reduce_config_selectorIbEEZNS1_11reduce_implILb1ES3_N6hipcub16HIPCUB_304000_NS22TransformInputIteratorIbN2at6native12_GLOBAL__N_19NonZeroOpIN3c108BFloat16EEEPKSF_lEEPiiNS8_6detail34convert_binary_result_type_wrapperINS8_3SumESJ_iEEEE10hipError_tPvRmT1_T2_T3_mT4_P12ihipStream_tbEUlT_E0_NS1_11comp_targetILNS1_3genE8ELNS1_11target_archE1030ELNS1_3gpuE2ELNS1_3repE0EEENS1_30default_config_static_selectorELNS0_4arch9wavefront6targetE0EEEvSS_.uses_flat_scratch, 0
	.set _ZN7rocprim17ROCPRIM_400000_NS6detail17trampoline_kernelINS0_14default_configENS1_22reduce_config_selectorIbEEZNS1_11reduce_implILb1ES3_N6hipcub16HIPCUB_304000_NS22TransformInputIteratorIbN2at6native12_GLOBAL__N_19NonZeroOpIN3c108BFloat16EEEPKSF_lEEPiiNS8_6detail34convert_binary_result_type_wrapperINS8_3SumESJ_iEEEE10hipError_tPvRmT1_T2_T3_mT4_P12ihipStream_tbEUlT_E0_NS1_11comp_targetILNS1_3genE8ELNS1_11target_archE1030ELNS1_3gpuE2ELNS1_3repE0EEENS1_30default_config_static_selectorELNS0_4arch9wavefront6targetE0EEEvSS_.has_dyn_sized_stack, 0
	.set _ZN7rocprim17ROCPRIM_400000_NS6detail17trampoline_kernelINS0_14default_configENS1_22reduce_config_selectorIbEEZNS1_11reduce_implILb1ES3_N6hipcub16HIPCUB_304000_NS22TransformInputIteratorIbN2at6native12_GLOBAL__N_19NonZeroOpIN3c108BFloat16EEEPKSF_lEEPiiNS8_6detail34convert_binary_result_type_wrapperINS8_3SumESJ_iEEEE10hipError_tPvRmT1_T2_T3_mT4_P12ihipStream_tbEUlT_E0_NS1_11comp_targetILNS1_3genE8ELNS1_11target_archE1030ELNS1_3gpuE2ELNS1_3repE0EEENS1_30default_config_static_selectorELNS0_4arch9wavefront6targetE0EEEvSS_.has_recursion, 0
	.set _ZN7rocprim17ROCPRIM_400000_NS6detail17trampoline_kernelINS0_14default_configENS1_22reduce_config_selectorIbEEZNS1_11reduce_implILb1ES3_N6hipcub16HIPCUB_304000_NS22TransformInputIteratorIbN2at6native12_GLOBAL__N_19NonZeroOpIN3c108BFloat16EEEPKSF_lEEPiiNS8_6detail34convert_binary_result_type_wrapperINS8_3SumESJ_iEEEE10hipError_tPvRmT1_T2_T3_mT4_P12ihipStream_tbEUlT_E0_NS1_11comp_targetILNS1_3genE8ELNS1_11target_archE1030ELNS1_3gpuE2ELNS1_3repE0EEENS1_30default_config_static_selectorELNS0_4arch9wavefront6targetE0EEEvSS_.has_indirect_call, 0
	.section	.AMDGPU.csdata,"",@progbits
; Kernel info:
; codeLenInByte = 0
; TotalNumSgprs: 0
; NumVgprs: 0
; ScratchSize: 0
; MemoryBound: 0
; FloatMode: 240
; IeeeMode: 1
; LDSByteSize: 0 bytes/workgroup (compile time only)
; SGPRBlocks: 0
; VGPRBlocks: 0
; NumSGPRsForWavesPerEU: 1
; NumVGPRsForWavesPerEU: 1
; Occupancy: 16
; WaveLimiterHint : 0
; COMPUTE_PGM_RSRC2:SCRATCH_EN: 0
; COMPUTE_PGM_RSRC2:USER_SGPR: 2
; COMPUTE_PGM_RSRC2:TRAP_HANDLER: 0
; COMPUTE_PGM_RSRC2:TGID_X_EN: 1
; COMPUTE_PGM_RSRC2:TGID_Y_EN: 0
; COMPUTE_PGM_RSRC2:TGID_Z_EN: 0
; COMPUTE_PGM_RSRC2:TIDIG_COMP_CNT: 0
	.section	.text._ZN7rocprim17ROCPRIM_400000_NS6detail17trampoline_kernelINS0_14default_configENS1_22reduce_config_selectorIbEEZNS1_11reduce_implILb1ES3_N6hipcub16HIPCUB_304000_NS22TransformInputIteratorIbN2at6native12_GLOBAL__N_19NonZeroOpIN3c108BFloat16EEEPKSF_lEEPiiNS8_6detail34convert_binary_result_type_wrapperINS8_3SumESJ_iEEEE10hipError_tPvRmT1_T2_T3_mT4_P12ihipStream_tbEUlT_E1_NS1_11comp_targetILNS1_3genE0ELNS1_11target_archE4294967295ELNS1_3gpuE0ELNS1_3repE0EEENS1_30default_config_static_selectorELNS0_4arch9wavefront6targetE0EEEvSS_,"axG",@progbits,_ZN7rocprim17ROCPRIM_400000_NS6detail17trampoline_kernelINS0_14default_configENS1_22reduce_config_selectorIbEEZNS1_11reduce_implILb1ES3_N6hipcub16HIPCUB_304000_NS22TransformInputIteratorIbN2at6native12_GLOBAL__N_19NonZeroOpIN3c108BFloat16EEEPKSF_lEEPiiNS8_6detail34convert_binary_result_type_wrapperINS8_3SumESJ_iEEEE10hipError_tPvRmT1_T2_T3_mT4_P12ihipStream_tbEUlT_E1_NS1_11comp_targetILNS1_3genE0ELNS1_11target_archE4294967295ELNS1_3gpuE0ELNS1_3repE0EEENS1_30default_config_static_selectorELNS0_4arch9wavefront6targetE0EEEvSS_,comdat
	.globl	_ZN7rocprim17ROCPRIM_400000_NS6detail17trampoline_kernelINS0_14default_configENS1_22reduce_config_selectorIbEEZNS1_11reduce_implILb1ES3_N6hipcub16HIPCUB_304000_NS22TransformInputIteratorIbN2at6native12_GLOBAL__N_19NonZeroOpIN3c108BFloat16EEEPKSF_lEEPiiNS8_6detail34convert_binary_result_type_wrapperINS8_3SumESJ_iEEEE10hipError_tPvRmT1_T2_T3_mT4_P12ihipStream_tbEUlT_E1_NS1_11comp_targetILNS1_3genE0ELNS1_11target_archE4294967295ELNS1_3gpuE0ELNS1_3repE0EEENS1_30default_config_static_selectorELNS0_4arch9wavefront6targetE0EEEvSS_ ; -- Begin function _ZN7rocprim17ROCPRIM_400000_NS6detail17trampoline_kernelINS0_14default_configENS1_22reduce_config_selectorIbEEZNS1_11reduce_implILb1ES3_N6hipcub16HIPCUB_304000_NS22TransformInputIteratorIbN2at6native12_GLOBAL__N_19NonZeroOpIN3c108BFloat16EEEPKSF_lEEPiiNS8_6detail34convert_binary_result_type_wrapperINS8_3SumESJ_iEEEE10hipError_tPvRmT1_T2_T3_mT4_P12ihipStream_tbEUlT_E1_NS1_11comp_targetILNS1_3genE0ELNS1_11target_archE4294967295ELNS1_3gpuE0ELNS1_3repE0EEENS1_30default_config_static_selectorELNS0_4arch9wavefront6targetE0EEEvSS_
	.p2align	8
	.type	_ZN7rocprim17ROCPRIM_400000_NS6detail17trampoline_kernelINS0_14default_configENS1_22reduce_config_selectorIbEEZNS1_11reduce_implILb1ES3_N6hipcub16HIPCUB_304000_NS22TransformInputIteratorIbN2at6native12_GLOBAL__N_19NonZeroOpIN3c108BFloat16EEEPKSF_lEEPiiNS8_6detail34convert_binary_result_type_wrapperINS8_3SumESJ_iEEEE10hipError_tPvRmT1_T2_T3_mT4_P12ihipStream_tbEUlT_E1_NS1_11comp_targetILNS1_3genE0ELNS1_11target_archE4294967295ELNS1_3gpuE0ELNS1_3repE0EEENS1_30default_config_static_selectorELNS0_4arch9wavefront6targetE0EEEvSS_,@function
_ZN7rocprim17ROCPRIM_400000_NS6detail17trampoline_kernelINS0_14default_configENS1_22reduce_config_selectorIbEEZNS1_11reduce_implILb1ES3_N6hipcub16HIPCUB_304000_NS22TransformInputIteratorIbN2at6native12_GLOBAL__N_19NonZeroOpIN3c108BFloat16EEEPKSF_lEEPiiNS8_6detail34convert_binary_result_type_wrapperINS8_3SumESJ_iEEEE10hipError_tPvRmT1_T2_T3_mT4_P12ihipStream_tbEUlT_E1_NS1_11comp_targetILNS1_3genE0ELNS1_11target_archE4294967295ELNS1_3gpuE0ELNS1_3repE0EEENS1_30default_config_static_selectorELNS0_4arch9wavefront6targetE0EEEvSS_: ; @_ZN7rocprim17ROCPRIM_400000_NS6detail17trampoline_kernelINS0_14default_configENS1_22reduce_config_selectorIbEEZNS1_11reduce_implILb1ES3_N6hipcub16HIPCUB_304000_NS22TransformInputIteratorIbN2at6native12_GLOBAL__N_19NonZeroOpIN3c108BFloat16EEEPKSF_lEEPiiNS8_6detail34convert_binary_result_type_wrapperINS8_3SumESJ_iEEEE10hipError_tPvRmT1_T2_T3_mT4_P12ihipStream_tbEUlT_E1_NS1_11comp_targetILNS1_3genE0ELNS1_11target_archE4294967295ELNS1_3gpuE0ELNS1_3repE0EEENS1_30default_config_static_selectorELNS0_4arch9wavefront6targetE0EEEvSS_
; %bb.0:
	.section	.rodata,"a",@progbits
	.p2align	6, 0x0
	.amdhsa_kernel _ZN7rocprim17ROCPRIM_400000_NS6detail17trampoline_kernelINS0_14default_configENS1_22reduce_config_selectorIbEEZNS1_11reduce_implILb1ES3_N6hipcub16HIPCUB_304000_NS22TransformInputIteratorIbN2at6native12_GLOBAL__N_19NonZeroOpIN3c108BFloat16EEEPKSF_lEEPiiNS8_6detail34convert_binary_result_type_wrapperINS8_3SumESJ_iEEEE10hipError_tPvRmT1_T2_T3_mT4_P12ihipStream_tbEUlT_E1_NS1_11comp_targetILNS1_3genE0ELNS1_11target_archE4294967295ELNS1_3gpuE0ELNS1_3repE0EEENS1_30default_config_static_selectorELNS0_4arch9wavefront6targetE0EEEvSS_
		.amdhsa_group_segment_fixed_size 0
		.amdhsa_private_segment_fixed_size 0
		.amdhsa_kernarg_size 48
		.amdhsa_user_sgpr_count 2
		.amdhsa_user_sgpr_dispatch_ptr 0
		.amdhsa_user_sgpr_queue_ptr 0
		.amdhsa_user_sgpr_kernarg_segment_ptr 1
		.amdhsa_user_sgpr_dispatch_id 0
		.amdhsa_user_sgpr_private_segment_size 0
		.amdhsa_wavefront_size32 1
		.amdhsa_uses_dynamic_stack 0
		.amdhsa_enable_private_segment 0
		.amdhsa_system_sgpr_workgroup_id_x 1
		.amdhsa_system_sgpr_workgroup_id_y 0
		.amdhsa_system_sgpr_workgroup_id_z 0
		.amdhsa_system_sgpr_workgroup_info 0
		.amdhsa_system_vgpr_workitem_id 0
		.amdhsa_next_free_vgpr 1
		.amdhsa_next_free_sgpr 1
		.amdhsa_reserve_vcc 0
		.amdhsa_float_round_mode_32 0
		.amdhsa_float_round_mode_16_64 0
		.amdhsa_float_denorm_mode_32 3
		.amdhsa_float_denorm_mode_16_64 3
		.amdhsa_fp16_overflow 0
		.amdhsa_workgroup_processor_mode 1
		.amdhsa_memory_ordered 1
		.amdhsa_forward_progress 1
		.amdhsa_inst_pref_size 0
		.amdhsa_round_robin_scheduling 0
		.amdhsa_exception_fp_ieee_invalid_op 0
		.amdhsa_exception_fp_denorm_src 0
		.amdhsa_exception_fp_ieee_div_zero 0
		.amdhsa_exception_fp_ieee_overflow 0
		.amdhsa_exception_fp_ieee_underflow 0
		.amdhsa_exception_fp_ieee_inexact 0
		.amdhsa_exception_int_div_zero 0
	.end_amdhsa_kernel
	.section	.text._ZN7rocprim17ROCPRIM_400000_NS6detail17trampoline_kernelINS0_14default_configENS1_22reduce_config_selectorIbEEZNS1_11reduce_implILb1ES3_N6hipcub16HIPCUB_304000_NS22TransformInputIteratorIbN2at6native12_GLOBAL__N_19NonZeroOpIN3c108BFloat16EEEPKSF_lEEPiiNS8_6detail34convert_binary_result_type_wrapperINS8_3SumESJ_iEEEE10hipError_tPvRmT1_T2_T3_mT4_P12ihipStream_tbEUlT_E1_NS1_11comp_targetILNS1_3genE0ELNS1_11target_archE4294967295ELNS1_3gpuE0ELNS1_3repE0EEENS1_30default_config_static_selectorELNS0_4arch9wavefront6targetE0EEEvSS_,"axG",@progbits,_ZN7rocprim17ROCPRIM_400000_NS6detail17trampoline_kernelINS0_14default_configENS1_22reduce_config_selectorIbEEZNS1_11reduce_implILb1ES3_N6hipcub16HIPCUB_304000_NS22TransformInputIteratorIbN2at6native12_GLOBAL__N_19NonZeroOpIN3c108BFloat16EEEPKSF_lEEPiiNS8_6detail34convert_binary_result_type_wrapperINS8_3SumESJ_iEEEE10hipError_tPvRmT1_T2_T3_mT4_P12ihipStream_tbEUlT_E1_NS1_11comp_targetILNS1_3genE0ELNS1_11target_archE4294967295ELNS1_3gpuE0ELNS1_3repE0EEENS1_30default_config_static_selectorELNS0_4arch9wavefront6targetE0EEEvSS_,comdat
.Lfunc_end789:
	.size	_ZN7rocprim17ROCPRIM_400000_NS6detail17trampoline_kernelINS0_14default_configENS1_22reduce_config_selectorIbEEZNS1_11reduce_implILb1ES3_N6hipcub16HIPCUB_304000_NS22TransformInputIteratorIbN2at6native12_GLOBAL__N_19NonZeroOpIN3c108BFloat16EEEPKSF_lEEPiiNS8_6detail34convert_binary_result_type_wrapperINS8_3SumESJ_iEEEE10hipError_tPvRmT1_T2_T3_mT4_P12ihipStream_tbEUlT_E1_NS1_11comp_targetILNS1_3genE0ELNS1_11target_archE4294967295ELNS1_3gpuE0ELNS1_3repE0EEENS1_30default_config_static_selectorELNS0_4arch9wavefront6targetE0EEEvSS_, .Lfunc_end789-_ZN7rocprim17ROCPRIM_400000_NS6detail17trampoline_kernelINS0_14default_configENS1_22reduce_config_selectorIbEEZNS1_11reduce_implILb1ES3_N6hipcub16HIPCUB_304000_NS22TransformInputIteratorIbN2at6native12_GLOBAL__N_19NonZeroOpIN3c108BFloat16EEEPKSF_lEEPiiNS8_6detail34convert_binary_result_type_wrapperINS8_3SumESJ_iEEEE10hipError_tPvRmT1_T2_T3_mT4_P12ihipStream_tbEUlT_E1_NS1_11comp_targetILNS1_3genE0ELNS1_11target_archE4294967295ELNS1_3gpuE0ELNS1_3repE0EEENS1_30default_config_static_selectorELNS0_4arch9wavefront6targetE0EEEvSS_
                                        ; -- End function
	.set _ZN7rocprim17ROCPRIM_400000_NS6detail17trampoline_kernelINS0_14default_configENS1_22reduce_config_selectorIbEEZNS1_11reduce_implILb1ES3_N6hipcub16HIPCUB_304000_NS22TransformInputIteratorIbN2at6native12_GLOBAL__N_19NonZeroOpIN3c108BFloat16EEEPKSF_lEEPiiNS8_6detail34convert_binary_result_type_wrapperINS8_3SumESJ_iEEEE10hipError_tPvRmT1_T2_T3_mT4_P12ihipStream_tbEUlT_E1_NS1_11comp_targetILNS1_3genE0ELNS1_11target_archE4294967295ELNS1_3gpuE0ELNS1_3repE0EEENS1_30default_config_static_selectorELNS0_4arch9wavefront6targetE0EEEvSS_.num_vgpr, 0
	.set _ZN7rocprim17ROCPRIM_400000_NS6detail17trampoline_kernelINS0_14default_configENS1_22reduce_config_selectorIbEEZNS1_11reduce_implILb1ES3_N6hipcub16HIPCUB_304000_NS22TransformInputIteratorIbN2at6native12_GLOBAL__N_19NonZeroOpIN3c108BFloat16EEEPKSF_lEEPiiNS8_6detail34convert_binary_result_type_wrapperINS8_3SumESJ_iEEEE10hipError_tPvRmT1_T2_T3_mT4_P12ihipStream_tbEUlT_E1_NS1_11comp_targetILNS1_3genE0ELNS1_11target_archE4294967295ELNS1_3gpuE0ELNS1_3repE0EEENS1_30default_config_static_selectorELNS0_4arch9wavefront6targetE0EEEvSS_.num_agpr, 0
	.set _ZN7rocprim17ROCPRIM_400000_NS6detail17trampoline_kernelINS0_14default_configENS1_22reduce_config_selectorIbEEZNS1_11reduce_implILb1ES3_N6hipcub16HIPCUB_304000_NS22TransformInputIteratorIbN2at6native12_GLOBAL__N_19NonZeroOpIN3c108BFloat16EEEPKSF_lEEPiiNS8_6detail34convert_binary_result_type_wrapperINS8_3SumESJ_iEEEE10hipError_tPvRmT1_T2_T3_mT4_P12ihipStream_tbEUlT_E1_NS1_11comp_targetILNS1_3genE0ELNS1_11target_archE4294967295ELNS1_3gpuE0ELNS1_3repE0EEENS1_30default_config_static_selectorELNS0_4arch9wavefront6targetE0EEEvSS_.numbered_sgpr, 0
	.set _ZN7rocprim17ROCPRIM_400000_NS6detail17trampoline_kernelINS0_14default_configENS1_22reduce_config_selectorIbEEZNS1_11reduce_implILb1ES3_N6hipcub16HIPCUB_304000_NS22TransformInputIteratorIbN2at6native12_GLOBAL__N_19NonZeroOpIN3c108BFloat16EEEPKSF_lEEPiiNS8_6detail34convert_binary_result_type_wrapperINS8_3SumESJ_iEEEE10hipError_tPvRmT1_T2_T3_mT4_P12ihipStream_tbEUlT_E1_NS1_11comp_targetILNS1_3genE0ELNS1_11target_archE4294967295ELNS1_3gpuE0ELNS1_3repE0EEENS1_30default_config_static_selectorELNS0_4arch9wavefront6targetE0EEEvSS_.num_named_barrier, 0
	.set _ZN7rocprim17ROCPRIM_400000_NS6detail17trampoline_kernelINS0_14default_configENS1_22reduce_config_selectorIbEEZNS1_11reduce_implILb1ES3_N6hipcub16HIPCUB_304000_NS22TransformInputIteratorIbN2at6native12_GLOBAL__N_19NonZeroOpIN3c108BFloat16EEEPKSF_lEEPiiNS8_6detail34convert_binary_result_type_wrapperINS8_3SumESJ_iEEEE10hipError_tPvRmT1_T2_T3_mT4_P12ihipStream_tbEUlT_E1_NS1_11comp_targetILNS1_3genE0ELNS1_11target_archE4294967295ELNS1_3gpuE0ELNS1_3repE0EEENS1_30default_config_static_selectorELNS0_4arch9wavefront6targetE0EEEvSS_.private_seg_size, 0
	.set _ZN7rocprim17ROCPRIM_400000_NS6detail17trampoline_kernelINS0_14default_configENS1_22reduce_config_selectorIbEEZNS1_11reduce_implILb1ES3_N6hipcub16HIPCUB_304000_NS22TransformInputIteratorIbN2at6native12_GLOBAL__N_19NonZeroOpIN3c108BFloat16EEEPKSF_lEEPiiNS8_6detail34convert_binary_result_type_wrapperINS8_3SumESJ_iEEEE10hipError_tPvRmT1_T2_T3_mT4_P12ihipStream_tbEUlT_E1_NS1_11comp_targetILNS1_3genE0ELNS1_11target_archE4294967295ELNS1_3gpuE0ELNS1_3repE0EEENS1_30default_config_static_selectorELNS0_4arch9wavefront6targetE0EEEvSS_.uses_vcc, 0
	.set _ZN7rocprim17ROCPRIM_400000_NS6detail17trampoline_kernelINS0_14default_configENS1_22reduce_config_selectorIbEEZNS1_11reduce_implILb1ES3_N6hipcub16HIPCUB_304000_NS22TransformInputIteratorIbN2at6native12_GLOBAL__N_19NonZeroOpIN3c108BFloat16EEEPKSF_lEEPiiNS8_6detail34convert_binary_result_type_wrapperINS8_3SumESJ_iEEEE10hipError_tPvRmT1_T2_T3_mT4_P12ihipStream_tbEUlT_E1_NS1_11comp_targetILNS1_3genE0ELNS1_11target_archE4294967295ELNS1_3gpuE0ELNS1_3repE0EEENS1_30default_config_static_selectorELNS0_4arch9wavefront6targetE0EEEvSS_.uses_flat_scratch, 0
	.set _ZN7rocprim17ROCPRIM_400000_NS6detail17trampoline_kernelINS0_14default_configENS1_22reduce_config_selectorIbEEZNS1_11reduce_implILb1ES3_N6hipcub16HIPCUB_304000_NS22TransformInputIteratorIbN2at6native12_GLOBAL__N_19NonZeroOpIN3c108BFloat16EEEPKSF_lEEPiiNS8_6detail34convert_binary_result_type_wrapperINS8_3SumESJ_iEEEE10hipError_tPvRmT1_T2_T3_mT4_P12ihipStream_tbEUlT_E1_NS1_11comp_targetILNS1_3genE0ELNS1_11target_archE4294967295ELNS1_3gpuE0ELNS1_3repE0EEENS1_30default_config_static_selectorELNS0_4arch9wavefront6targetE0EEEvSS_.has_dyn_sized_stack, 0
	.set _ZN7rocprim17ROCPRIM_400000_NS6detail17trampoline_kernelINS0_14default_configENS1_22reduce_config_selectorIbEEZNS1_11reduce_implILb1ES3_N6hipcub16HIPCUB_304000_NS22TransformInputIteratorIbN2at6native12_GLOBAL__N_19NonZeroOpIN3c108BFloat16EEEPKSF_lEEPiiNS8_6detail34convert_binary_result_type_wrapperINS8_3SumESJ_iEEEE10hipError_tPvRmT1_T2_T3_mT4_P12ihipStream_tbEUlT_E1_NS1_11comp_targetILNS1_3genE0ELNS1_11target_archE4294967295ELNS1_3gpuE0ELNS1_3repE0EEENS1_30default_config_static_selectorELNS0_4arch9wavefront6targetE0EEEvSS_.has_recursion, 0
	.set _ZN7rocprim17ROCPRIM_400000_NS6detail17trampoline_kernelINS0_14default_configENS1_22reduce_config_selectorIbEEZNS1_11reduce_implILb1ES3_N6hipcub16HIPCUB_304000_NS22TransformInputIteratorIbN2at6native12_GLOBAL__N_19NonZeroOpIN3c108BFloat16EEEPKSF_lEEPiiNS8_6detail34convert_binary_result_type_wrapperINS8_3SumESJ_iEEEE10hipError_tPvRmT1_T2_T3_mT4_P12ihipStream_tbEUlT_E1_NS1_11comp_targetILNS1_3genE0ELNS1_11target_archE4294967295ELNS1_3gpuE0ELNS1_3repE0EEENS1_30default_config_static_selectorELNS0_4arch9wavefront6targetE0EEEvSS_.has_indirect_call, 0
	.section	.AMDGPU.csdata,"",@progbits
; Kernel info:
; codeLenInByte = 0
; TotalNumSgprs: 0
; NumVgprs: 0
; ScratchSize: 0
; MemoryBound: 0
; FloatMode: 240
; IeeeMode: 1
; LDSByteSize: 0 bytes/workgroup (compile time only)
; SGPRBlocks: 0
; VGPRBlocks: 0
; NumSGPRsForWavesPerEU: 1
; NumVGPRsForWavesPerEU: 1
; Occupancy: 16
; WaveLimiterHint : 0
; COMPUTE_PGM_RSRC2:SCRATCH_EN: 0
; COMPUTE_PGM_RSRC2:USER_SGPR: 2
; COMPUTE_PGM_RSRC2:TRAP_HANDLER: 0
; COMPUTE_PGM_RSRC2:TGID_X_EN: 1
; COMPUTE_PGM_RSRC2:TGID_Y_EN: 0
; COMPUTE_PGM_RSRC2:TGID_Z_EN: 0
; COMPUTE_PGM_RSRC2:TIDIG_COMP_CNT: 0
	.section	.text._ZN7rocprim17ROCPRIM_400000_NS6detail17trampoline_kernelINS0_14default_configENS1_22reduce_config_selectorIbEEZNS1_11reduce_implILb1ES3_N6hipcub16HIPCUB_304000_NS22TransformInputIteratorIbN2at6native12_GLOBAL__N_19NonZeroOpIN3c108BFloat16EEEPKSF_lEEPiiNS8_6detail34convert_binary_result_type_wrapperINS8_3SumESJ_iEEEE10hipError_tPvRmT1_T2_T3_mT4_P12ihipStream_tbEUlT_E1_NS1_11comp_targetILNS1_3genE5ELNS1_11target_archE942ELNS1_3gpuE9ELNS1_3repE0EEENS1_30default_config_static_selectorELNS0_4arch9wavefront6targetE0EEEvSS_,"axG",@progbits,_ZN7rocprim17ROCPRIM_400000_NS6detail17trampoline_kernelINS0_14default_configENS1_22reduce_config_selectorIbEEZNS1_11reduce_implILb1ES3_N6hipcub16HIPCUB_304000_NS22TransformInputIteratorIbN2at6native12_GLOBAL__N_19NonZeroOpIN3c108BFloat16EEEPKSF_lEEPiiNS8_6detail34convert_binary_result_type_wrapperINS8_3SumESJ_iEEEE10hipError_tPvRmT1_T2_T3_mT4_P12ihipStream_tbEUlT_E1_NS1_11comp_targetILNS1_3genE5ELNS1_11target_archE942ELNS1_3gpuE9ELNS1_3repE0EEENS1_30default_config_static_selectorELNS0_4arch9wavefront6targetE0EEEvSS_,comdat
	.globl	_ZN7rocprim17ROCPRIM_400000_NS6detail17trampoline_kernelINS0_14default_configENS1_22reduce_config_selectorIbEEZNS1_11reduce_implILb1ES3_N6hipcub16HIPCUB_304000_NS22TransformInputIteratorIbN2at6native12_GLOBAL__N_19NonZeroOpIN3c108BFloat16EEEPKSF_lEEPiiNS8_6detail34convert_binary_result_type_wrapperINS8_3SumESJ_iEEEE10hipError_tPvRmT1_T2_T3_mT4_P12ihipStream_tbEUlT_E1_NS1_11comp_targetILNS1_3genE5ELNS1_11target_archE942ELNS1_3gpuE9ELNS1_3repE0EEENS1_30default_config_static_selectorELNS0_4arch9wavefront6targetE0EEEvSS_ ; -- Begin function _ZN7rocprim17ROCPRIM_400000_NS6detail17trampoline_kernelINS0_14default_configENS1_22reduce_config_selectorIbEEZNS1_11reduce_implILb1ES3_N6hipcub16HIPCUB_304000_NS22TransformInputIteratorIbN2at6native12_GLOBAL__N_19NonZeroOpIN3c108BFloat16EEEPKSF_lEEPiiNS8_6detail34convert_binary_result_type_wrapperINS8_3SumESJ_iEEEE10hipError_tPvRmT1_T2_T3_mT4_P12ihipStream_tbEUlT_E1_NS1_11comp_targetILNS1_3genE5ELNS1_11target_archE942ELNS1_3gpuE9ELNS1_3repE0EEENS1_30default_config_static_selectorELNS0_4arch9wavefront6targetE0EEEvSS_
	.p2align	8
	.type	_ZN7rocprim17ROCPRIM_400000_NS6detail17trampoline_kernelINS0_14default_configENS1_22reduce_config_selectorIbEEZNS1_11reduce_implILb1ES3_N6hipcub16HIPCUB_304000_NS22TransformInputIteratorIbN2at6native12_GLOBAL__N_19NonZeroOpIN3c108BFloat16EEEPKSF_lEEPiiNS8_6detail34convert_binary_result_type_wrapperINS8_3SumESJ_iEEEE10hipError_tPvRmT1_T2_T3_mT4_P12ihipStream_tbEUlT_E1_NS1_11comp_targetILNS1_3genE5ELNS1_11target_archE942ELNS1_3gpuE9ELNS1_3repE0EEENS1_30default_config_static_selectorELNS0_4arch9wavefront6targetE0EEEvSS_,@function
_ZN7rocprim17ROCPRIM_400000_NS6detail17trampoline_kernelINS0_14default_configENS1_22reduce_config_selectorIbEEZNS1_11reduce_implILb1ES3_N6hipcub16HIPCUB_304000_NS22TransformInputIteratorIbN2at6native12_GLOBAL__N_19NonZeroOpIN3c108BFloat16EEEPKSF_lEEPiiNS8_6detail34convert_binary_result_type_wrapperINS8_3SumESJ_iEEEE10hipError_tPvRmT1_T2_T3_mT4_P12ihipStream_tbEUlT_E1_NS1_11comp_targetILNS1_3genE5ELNS1_11target_archE942ELNS1_3gpuE9ELNS1_3repE0EEENS1_30default_config_static_selectorELNS0_4arch9wavefront6targetE0EEEvSS_: ; @_ZN7rocprim17ROCPRIM_400000_NS6detail17trampoline_kernelINS0_14default_configENS1_22reduce_config_selectorIbEEZNS1_11reduce_implILb1ES3_N6hipcub16HIPCUB_304000_NS22TransformInputIteratorIbN2at6native12_GLOBAL__N_19NonZeroOpIN3c108BFloat16EEEPKSF_lEEPiiNS8_6detail34convert_binary_result_type_wrapperINS8_3SumESJ_iEEEE10hipError_tPvRmT1_T2_T3_mT4_P12ihipStream_tbEUlT_E1_NS1_11comp_targetILNS1_3genE5ELNS1_11target_archE942ELNS1_3gpuE9ELNS1_3repE0EEENS1_30default_config_static_selectorELNS0_4arch9wavefront6targetE0EEEvSS_
; %bb.0:
	.section	.rodata,"a",@progbits
	.p2align	6, 0x0
	.amdhsa_kernel _ZN7rocprim17ROCPRIM_400000_NS6detail17trampoline_kernelINS0_14default_configENS1_22reduce_config_selectorIbEEZNS1_11reduce_implILb1ES3_N6hipcub16HIPCUB_304000_NS22TransformInputIteratorIbN2at6native12_GLOBAL__N_19NonZeroOpIN3c108BFloat16EEEPKSF_lEEPiiNS8_6detail34convert_binary_result_type_wrapperINS8_3SumESJ_iEEEE10hipError_tPvRmT1_T2_T3_mT4_P12ihipStream_tbEUlT_E1_NS1_11comp_targetILNS1_3genE5ELNS1_11target_archE942ELNS1_3gpuE9ELNS1_3repE0EEENS1_30default_config_static_selectorELNS0_4arch9wavefront6targetE0EEEvSS_
		.amdhsa_group_segment_fixed_size 0
		.amdhsa_private_segment_fixed_size 0
		.amdhsa_kernarg_size 48
		.amdhsa_user_sgpr_count 2
		.amdhsa_user_sgpr_dispatch_ptr 0
		.amdhsa_user_sgpr_queue_ptr 0
		.amdhsa_user_sgpr_kernarg_segment_ptr 1
		.amdhsa_user_sgpr_dispatch_id 0
		.amdhsa_user_sgpr_private_segment_size 0
		.amdhsa_wavefront_size32 1
		.amdhsa_uses_dynamic_stack 0
		.amdhsa_enable_private_segment 0
		.amdhsa_system_sgpr_workgroup_id_x 1
		.amdhsa_system_sgpr_workgroup_id_y 0
		.amdhsa_system_sgpr_workgroup_id_z 0
		.amdhsa_system_sgpr_workgroup_info 0
		.amdhsa_system_vgpr_workitem_id 0
		.amdhsa_next_free_vgpr 1
		.amdhsa_next_free_sgpr 1
		.amdhsa_reserve_vcc 0
		.amdhsa_float_round_mode_32 0
		.amdhsa_float_round_mode_16_64 0
		.amdhsa_float_denorm_mode_32 3
		.amdhsa_float_denorm_mode_16_64 3
		.amdhsa_fp16_overflow 0
		.amdhsa_workgroup_processor_mode 1
		.amdhsa_memory_ordered 1
		.amdhsa_forward_progress 1
		.amdhsa_inst_pref_size 0
		.amdhsa_round_robin_scheduling 0
		.amdhsa_exception_fp_ieee_invalid_op 0
		.amdhsa_exception_fp_denorm_src 0
		.amdhsa_exception_fp_ieee_div_zero 0
		.amdhsa_exception_fp_ieee_overflow 0
		.amdhsa_exception_fp_ieee_underflow 0
		.amdhsa_exception_fp_ieee_inexact 0
		.amdhsa_exception_int_div_zero 0
	.end_amdhsa_kernel
	.section	.text._ZN7rocprim17ROCPRIM_400000_NS6detail17trampoline_kernelINS0_14default_configENS1_22reduce_config_selectorIbEEZNS1_11reduce_implILb1ES3_N6hipcub16HIPCUB_304000_NS22TransformInputIteratorIbN2at6native12_GLOBAL__N_19NonZeroOpIN3c108BFloat16EEEPKSF_lEEPiiNS8_6detail34convert_binary_result_type_wrapperINS8_3SumESJ_iEEEE10hipError_tPvRmT1_T2_T3_mT4_P12ihipStream_tbEUlT_E1_NS1_11comp_targetILNS1_3genE5ELNS1_11target_archE942ELNS1_3gpuE9ELNS1_3repE0EEENS1_30default_config_static_selectorELNS0_4arch9wavefront6targetE0EEEvSS_,"axG",@progbits,_ZN7rocprim17ROCPRIM_400000_NS6detail17trampoline_kernelINS0_14default_configENS1_22reduce_config_selectorIbEEZNS1_11reduce_implILb1ES3_N6hipcub16HIPCUB_304000_NS22TransformInputIteratorIbN2at6native12_GLOBAL__N_19NonZeroOpIN3c108BFloat16EEEPKSF_lEEPiiNS8_6detail34convert_binary_result_type_wrapperINS8_3SumESJ_iEEEE10hipError_tPvRmT1_T2_T3_mT4_P12ihipStream_tbEUlT_E1_NS1_11comp_targetILNS1_3genE5ELNS1_11target_archE942ELNS1_3gpuE9ELNS1_3repE0EEENS1_30default_config_static_selectorELNS0_4arch9wavefront6targetE0EEEvSS_,comdat
.Lfunc_end790:
	.size	_ZN7rocprim17ROCPRIM_400000_NS6detail17trampoline_kernelINS0_14default_configENS1_22reduce_config_selectorIbEEZNS1_11reduce_implILb1ES3_N6hipcub16HIPCUB_304000_NS22TransformInputIteratorIbN2at6native12_GLOBAL__N_19NonZeroOpIN3c108BFloat16EEEPKSF_lEEPiiNS8_6detail34convert_binary_result_type_wrapperINS8_3SumESJ_iEEEE10hipError_tPvRmT1_T2_T3_mT4_P12ihipStream_tbEUlT_E1_NS1_11comp_targetILNS1_3genE5ELNS1_11target_archE942ELNS1_3gpuE9ELNS1_3repE0EEENS1_30default_config_static_selectorELNS0_4arch9wavefront6targetE0EEEvSS_, .Lfunc_end790-_ZN7rocprim17ROCPRIM_400000_NS6detail17trampoline_kernelINS0_14default_configENS1_22reduce_config_selectorIbEEZNS1_11reduce_implILb1ES3_N6hipcub16HIPCUB_304000_NS22TransformInputIteratorIbN2at6native12_GLOBAL__N_19NonZeroOpIN3c108BFloat16EEEPKSF_lEEPiiNS8_6detail34convert_binary_result_type_wrapperINS8_3SumESJ_iEEEE10hipError_tPvRmT1_T2_T3_mT4_P12ihipStream_tbEUlT_E1_NS1_11comp_targetILNS1_3genE5ELNS1_11target_archE942ELNS1_3gpuE9ELNS1_3repE0EEENS1_30default_config_static_selectorELNS0_4arch9wavefront6targetE0EEEvSS_
                                        ; -- End function
	.set _ZN7rocprim17ROCPRIM_400000_NS6detail17trampoline_kernelINS0_14default_configENS1_22reduce_config_selectorIbEEZNS1_11reduce_implILb1ES3_N6hipcub16HIPCUB_304000_NS22TransformInputIteratorIbN2at6native12_GLOBAL__N_19NonZeroOpIN3c108BFloat16EEEPKSF_lEEPiiNS8_6detail34convert_binary_result_type_wrapperINS8_3SumESJ_iEEEE10hipError_tPvRmT1_T2_T3_mT4_P12ihipStream_tbEUlT_E1_NS1_11comp_targetILNS1_3genE5ELNS1_11target_archE942ELNS1_3gpuE9ELNS1_3repE0EEENS1_30default_config_static_selectorELNS0_4arch9wavefront6targetE0EEEvSS_.num_vgpr, 0
	.set _ZN7rocprim17ROCPRIM_400000_NS6detail17trampoline_kernelINS0_14default_configENS1_22reduce_config_selectorIbEEZNS1_11reduce_implILb1ES3_N6hipcub16HIPCUB_304000_NS22TransformInputIteratorIbN2at6native12_GLOBAL__N_19NonZeroOpIN3c108BFloat16EEEPKSF_lEEPiiNS8_6detail34convert_binary_result_type_wrapperINS8_3SumESJ_iEEEE10hipError_tPvRmT1_T2_T3_mT4_P12ihipStream_tbEUlT_E1_NS1_11comp_targetILNS1_3genE5ELNS1_11target_archE942ELNS1_3gpuE9ELNS1_3repE0EEENS1_30default_config_static_selectorELNS0_4arch9wavefront6targetE0EEEvSS_.num_agpr, 0
	.set _ZN7rocprim17ROCPRIM_400000_NS6detail17trampoline_kernelINS0_14default_configENS1_22reduce_config_selectorIbEEZNS1_11reduce_implILb1ES3_N6hipcub16HIPCUB_304000_NS22TransformInputIteratorIbN2at6native12_GLOBAL__N_19NonZeroOpIN3c108BFloat16EEEPKSF_lEEPiiNS8_6detail34convert_binary_result_type_wrapperINS8_3SumESJ_iEEEE10hipError_tPvRmT1_T2_T3_mT4_P12ihipStream_tbEUlT_E1_NS1_11comp_targetILNS1_3genE5ELNS1_11target_archE942ELNS1_3gpuE9ELNS1_3repE0EEENS1_30default_config_static_selectorELNS0_4arch9wavefront6targetE0EEEvSS_.numbered_sgpr, 0
	.set _ZN7rocprim17ROCPRIM_400000_NS6detail17trampoline_kernelINS0_14default_configENS1_22reduce_config_selectorIbEEZNS1_11reduce_implILb1ES3_N6hipcub16HIPCUB_304000_NS22TransformInputIteratorIbN2at6native12_GLOBAL__N_19NonZeroOpIN3c108BFloat16EEEPKSF_lEEPiiNS8_6detail34convert_binary_result_type_wrapperINS8_3SumESJ_iEEEE10hipError_tPvRmT1_T2_T3_mT4_P12ihipStream_tbEUlT_E1_NS1_11comp_targetILNS1_3genE5ELNS1_11target_archE942ELNS1_3gpuE9ELNS1_3repE0EEENS1_30default_config_static_selectorELNS0_4arch9wavefront6targetE0EEEvSS_.num_named_barrier, 0
	.set _ZN7rocprim17ROCPRIM_400000_NS6detail17trampoline_kernelINS0_14default_configENS1_22reduce_config_selectorIbEEZNS1_11reduce_implILb1ES3_N6hipcub16HIPCUB_304000_NS22TransformInputIteratorIbN2at6native12_GLOBAL__N_19NonZeroOpIN3c108BFloat16EEEPKSF_lEEPiiNS8_6detail34convert_binary_result_type_wrapperINS8_3SumESJ_iEEEE10hipError_tPvRmT1_T2_T3_mT4_P12ihipStream_tbEUlT_E1_NS1_11comp_targetILNS1_3genE5ELNS1_11target_archE942ELNS1_3gpuE9ELNS1_3repE0EEENS1_30default_config_static_selectorELNS0_4arch9wavefront6targetE0EEEvSS_.private_seg_size, 0
	.set _ZN7rocprim17ROCPRIM_400000_NS6detail17trampoline_kernelINS0_14default_configENS1_22reduce_config_selectorIbEEZNS1_11reduce_implILb1ES3_N6hipcub16HIPCUB_304000_NS22TransformInputIteratorIbN2at6native12_GLOBAL__N_19NonZeroOpIN3c108BFloat16EEEPKSF_lEEPiiNS8_6detail34convert_binary_result_type_wrapperINS8_3SumESJ_iEEEE10hipError_tPvRmT1_T2_T3_mT4_P12ihipStream_tbEUlT_E1_NS1_11comp_targetILNS1_3genE5ELNS1_11target_archE942ELNS1_3gpuE9ELNS1_3repE0EEENS1_30default_config_static_selectorELNS0_4arch9wavefront6targetE0EEEvSS_.uses_vcc, 0
	.set _ZN7rocprim17ROCPRIM_400000_NS6detail17trampoline_kernelINS0_14default_configENS1_22reduce_config_selectorIbEEZNS1_11reduce_implILb1ES3_N6hipcub16HIPCUB_304000_NS22TransformInputIteratorIbN2at6native12_GLOBAL__N_19NonZeroOpIN3c108BFloat16EEEPKSF_lEEPiiNS8_6detail34convert_binary_result_type_wrapperINS8_3SumESJ_iEEEE10hipError_tPvRmT1_T2_T3_mT4_P12ihipStream_tbEUlT_E1_NS1_11comp_targetILNS1_3genE5ELNS1_11target_archE942ELNS1_3gpuE9ELNS1_3repE0EEENS1_30default_config_static_selectorELNS0_4arch9wavefront6targetE0EEEvSS_.uses_flat_scratch, 0
	.set _ZN7rocprim17ROCPRIM_400000_NS6detail17trampoline_kernelINS0_14default_configENS1_22reduce_config_selectorIbEEZNS1_11reduce_implILb1ES3_N6hipcub16HIPCUB_304000_NS22TransformInputIteratorIbN2at6native12_GLOBAL__N_19NonZeroOpIN3c108BFloat16EEEPKSF_lEEPiiNS8_6detail34convert_binary_result_type_wrapperINS8_3SumESJ_iEEEE10hipError_tPvRmT1_T2_T3_mT4_P12ihipStream_tbEUlT_E1_NS1_11comp_targetILNS1_3genE5ELNS1_11target_archE942ELNS1_3gpuE9ELNS1_3repE0EEENS1_30default_config_static_selectorELNS0_4arch9wavefront6targetE0EEEvSS_.has_dyn_sized_stack, 0
	.set _ZN7rocprim17ROCPRIM_400000_NS6detail17trampoline_kernelINS0_14default_configENS1_22reduce_config_selectorIbEEZNS1_11reduce_implILb1ES3_N6hipcub16HIPCUB_304000_NS22TransformInputIteratorIbN2at6native12_GLOBAL__N_19NonZeroOpIN3c108BFloat16EEEPKSF_lEEPiiNS8_6detail34convert_binary_result_type_wrapperINS8_3SumESJ_iEEEE10hipError_tPvRmT1_T2_T3_mT4_P12ihipStream_tbEUlT_E1_NS1_11comp_targetILNS1_3genE5ELNS1_11target_archE942ELNS1_3gpuE9ELNS1_3repE0EEENS1_30default_config_static_selectorELNS0_4arch9wavefront6targetE0EEEvSS_.has_recursion, 0
	.set _ZN7rocprim17ROCPRIM_400000_NS6detail17trampoline_kernelINS0_14default_configENS1_22reduce_config_selectorIbEEZNS1_11reduce_implILb1ES3_N6hipcub16HIPCUB_304000_NS22TransformInputIteratorIbN2at6native12_GLOBAL__N_19NonZeroOpIN3c108BFloat16EEEPKSF_lEEPiiNS8_6detail34convert_binary_result_type_wrapperINS8_3SumESJ_iEEEE10hipError_tPvRmT1_T2_T3_mT4_P12ihipStream_tbEUlT_E1_NS1_11comp_targetILNS1_3genE5ELNS1_11target_archE942ELNS1_3gpuE9ELNS1_3repE0EEENS1_30default_config_static_selectorELNS0_4arch9wavefront6targetE0EEEvSS_.has_indirect_call, 0
	.section	.AMDGPU.csdata,"",@progbits
; Kernel info:
; codeLenInByte = 0
; TotalNumSgprs: 0
; NumVgprs: 0
; ScratchSize: 0
; MemoryBound: 0
; FloatMode: 240
; IeeeMode: 1
; LDSByteSize: 0 bytes/workgroup (compile time only)
; SGPRBlocks: 0
; VGPRBlocks: 0
; NumSGPRsForWavesPerEU: 1
; NumVGPRsForWavesPerEU: 1
; Occupancy: 16
; WaveLimiterHint : 0
; COMPUTE_PGM_RSRC2:SCRATCH_EN: 0
; COMPUTE_PGM_RSRC2:USER_SGPR: 2
; COMPUTE_PGM_RSRC2:TRAP_HANDLER: 0
; COMPUTE_PGM_RSRC2:TGID_X_EN: 1
; COMPUTE_PGM_RSRC2:TGID_Y_EN: 0
; COMPUTE_PGM_RSRC2:TGID_Z_EN: 0
; COMPUTE_PGM_RSRC2:TIDIG_COMP_CNT: 0
	.section	.text._ZN7rocprim17ROCPRIM_400000_NS6detail17trampoline_kernelINS0_14default_configENS1_22reduce_config_selectorIbEEZNS1_11reduce_implILb1ES3_N6hipcub16HIPCUB_304000_NS22TransformInputIteratorIbN2at6native12_GLOBAL__N_19NonZeroOpIN3c108BFloat16EEEPKSF_lEEPiiNS8_6detail34convert_binary_result_type_wrapperINS8_3SumESJ_iEEEE10hipError_tPvRmT1_T2_T3_mT4_P12ihipStream_tbEUlT_E1_NS1_11comp_targetILNS1_3genE4ELNS1_11target_archE910ELNS1_3gpuE8ELNS1_3repE0EEENS1_30default_config_static_selectorELNS0_4arch9wavefront6targetE0EEEvSS_,"axG",@progbits,_ZN7rocprim17ROCPRIM_400000_NS6detail17trampoline_kernelINS0_14default_configENS1_22reduce_config_selectorIbEEZNS1_11reduce_implILb1ES3_N6hipcub16HIPCUB_304000_NS22TransformInputIteratorIbN2at6native12_GLOBAL__N_19NonZeroOpIN3c108BFloat16EEEPKSF_lEEPiiNS8_6detail34convert_binary_result_type_wrapperINS8_3SumESJ_iEEEE10hipError_tPvRmT1_T2_T3_mT4_P12ihipStream_tbEUlT_E1_NS1_11comp_targetILNS1_3genE4ELNS1_11target_archE910ELNS1_3gpuE8ELNS1_3repE0EEENS1_30default_config_static_selectorELNS0_4arch9wavefront6targetE0EEEvSS_,comdat
	.globl	_ZN7rocprim17ROCPRIM_400000_NS6detail17trampoline_kernelINS0_14default_configENS1_22reduce_config_selectorIbEEZNS1_11reduce_implILb1ES3_N6hipcub16HIPCUB_304000_NS22TransformInputIteratorIbN2at6native12_GLOBAL__N_19NonZeroOpIN3c108BFloat16EEEPKSF_lEEPiiNS8_6detail34convert_binary_result_type_wrapperINS8_3SumESJ_iEEEE10hipError_tPvRmT1_T2_T3_mT4_P12ihipStream_tbEUlT_E1_NS1_11comp_targetILNS1_3genE4ELNS1_11target_archE910ELNS1_3gpuE8ELNS1_3repE0EEENS1_30default_config_static_selectorELNS0_4arch9wavefront6targetE0EEEvSS_ ; -- Begin function _ZN7rocprim17ROCPRIM_400000_NS6detail17trampoline_kernelINS0_14default_configENS1_22reduce_config_selectorIbEEZNS1_11reduce_implILb1ES3_N6hipcub16HIPCUB_304000_NS22TransformInputIteratorIbN2at6native12_GLOBAL__N_19NonZeroOpIN3c108BFloat16EEEPKSF_lEEPiiNS8_6detail34convert_binary_result_type_wrapperINS8_3SumESJ_iEEEE10hipError_tPvRmT1_T2_T3_mT4_P12ihipStream_tbEUlT_E1_NS1_11comp_targetILNS1_3genE4ELNS1_11target_archE910ELNS1_3gpuE8ELNS1_3repE0EEENS1_30default_config_static_selectorELNS0_4arch9wavefront6targetE0EEEvSS_
	.p2align	8
	.type	_ZN7rocprim17ROCPRIM_400000_NS6detail17trampoline_kernelINS0_14default_configENS1_22reduce_config_selectorIbEEZNS1_11reduce_implILb1ES3_N6hipcub16HIPCUB_304000_NS22TransformInputIteratorIbN2at6native12_GLOBAL__N_19NonZeroOpIN3c108BFloat16EEEPKSF_lEEPiiNS8_6detail34convert_binary_result_type_wrapperINS8_3SumESJ_iEEEE10hipError_tPvRmT1_T2_T3_mT4_P12ihipStream_tbEUlT_E1_NS1_11comp_targetILNS1_3genE4ELNS1_11target_archE910ELNS1_3gpuE8ELNS1_3repE0EEENS1_30default_config_static_selectorELNS0_4arch9wavefront6targetE0EEEvSS_,@function
_ZN7rocprim17ROCPRIM_400000_NS6detail17trampoline_kernelINS0_14default_configENS1_22reduce_config_selectorIbEEZNS1_11reduce_implILb1ES3_N6hipcub16HIPCUB_304000_NS22TransformInputIteratorIbN2at6native12_GLOBAL__N_19NonZeroOpIN3c108BFloat16EEEPKSF_lEEPiiNS8_6detail34convert_binary_result_type_wrapperINS8_3SumESJ_iEEEE10hipError_tPvRmT1_T2_T3_mT4_P12ihipStream_tbEUlT_E1_NS1_11comp_targetILNS1_3genE4ELNS1_11target_archE910ELNS1_3gpuE8ELNS1_3repE0EEENS1_30default_config_static_selectorELNS0_4arch9wavefront6targetE0EEEvSS_: ; @_ZN7rocprim17ROCPRIM_400000_NS6detail17trampoline_kernelINS0_14default_configENS1_22reduce_config_selectorIbEEZNS1_11reduce_implILb1ES3_N6hipcub16HIPCUB_304000_NS22TransformInputIteratorIbN2at6native12_GLOBAL__N_19NonZeroOpIN3c108BFloat16EEEPKSF_lEEPiiNS8_6detail34convert_binary_result_type_wrapperINS8_3SumESJ_iEEEE10hipError_tPvRmT1_T2_T3_mT4_P12ihipStream_tbEUlT_E1_NS1_11comp_targetILNS1_3genE4ELNS1_11target_archE910ELNS1_3gpuE8ELNS1_3repE0EEENS1_30default_config_static_selectorELNS0_4arch9wavefront6targetE0EEEvSS_
; %bb.0:
	.section	.rodata,"a",@progbits
	.p2align	6, 0x0
	.amdhsa_kernel _ZN7rocprim17ROCPRIM_400000_NS6detail17trampoline_kernelINS0_14default_configENS1_22reduce_config_selectorIbEEZNS1_11reduce_implILb1ES3_N6hipcub16HIPCUB_304000_NS22TransformInputIteratorIbN2at6native12_GLOBAL__N_19NonZeroOpIN3c108BFloat16EEEPKSF_lEEPiiNS8_6detail34convert_binary_result_type_wrapperINS8_3SumESJ_iEEEE10hipError_tPvRmT1_T2_T3_mT4_P12ihipStream_tbEUlT_E1_NS1_11comp_targetILNS1_3genE4ELNS1_11target_archE910ELNS1_3gpuE8ELNS1_3repE0EEENS1_30default_config_static_selectorELNS0_4arch9wavefront6targetE0EEEvSS_
		.amdhsa_group_segment_fixed_size 0
		.amdhsa_private_segment_fixed_size 0
		.amdhsa_kernarg_size 48
		.amdhsa_user_sgpr_count 2
		.amdhsa_user_sgpr_dispatch_ptr 0
		.amdhsa_user_sgpr_queue_ptr 0
		.amdhsa_user_sgpr_kernarg_segment_ptr 1
		.amdhsa_user_sgpr_dispatch_id 0
		.amdhsa_user_sgpr_private_segment_size 0
		.amdhsa_wavefront_size32 1
		.amdhsa_uses_dynamic_stack 0
		.amdhsa_enable_private_segment 0
		.amdhsa_system_sgpr_workgroup_id_x 1
		.amdhsa_system_sgpr_workgroup_id_y 0
		.amdhsa_system_sgpr_workgroup_id_z 0
		.amdhsa_system_sgpr_workgroup_info 0
		.amdhsa_system_vgpr_workitem_id 0
		.amdhsa_next_free_vgpr 1
		.amdhsa_next_free_sgpr 1
		.amdhsa_reserve_vcc 0
		.amdhsa_float_round_mode_32 0
		.amdhsa_float_round_mode_16_64 0
		.amdhsa_float_denorm_mode_32 3
		.amdhsa_float_denorm_mode_16_64 3
		.amdhsa_fp16_overflow 0
		.amdhsa_workgroup_processor_mode 1
		.amdhsa_memory_ordered 1
		.amdhsa_forward_progress 1
		.amdhsa_inst_pref_size 0
		.amdhsa_round_robin_scheduling 0
		.amdhsa_exception_fp_ieee_invalid_op 0
		.amdhsa_exception_fp_denorm_src 0
		.amdhsa_exception_fp_ieee_div_zero 0
		.amdhsa_exception_fp_ieee_overflow 0
		.amdhsa_exception_fp_ieee_underflow 0
		.amdhsa_exception_fp_ieee_inexact 0
		.amdhsa_exception_int_div_zero 0
	.end_amdhsa_kernel
	.section	.text._ZN7rocprim17ROCPRIM_400000_NS6detail17trampoline_kernelINS0_14default_configENS1_22reduce_config_selectorIbEEZNS1_11reduce_implILb1ES3_N6hipcub16HIPCUB_304000_NS22TransformInputIteratorIbN2at6native12_GLOBAL__N_19NonZeroOpIN3c108BFloat16EEEPKSF_lEEPiiNS8_6detail34convert_binary_result_type_wrapperINS8_3SumESJ_iEEEE10hipError_tPvRmT1_T2_T3_mT4_P12ihipStream_tbEUlT_E1_NS1_11comp_targetILNS1_3genE4ELNS1_11target_archE910ELNS1_3gpuE8ELNS1_3repE0EEENS1_30default_config_static_selectorELNS0_4arch9wavefront6targetE0EEEvSS_,"axG",@progbits,_ZN7rocprim17ROCPRIM_400000_NS6detail17trampoline_kernelINS0_14default_configENS1_22reduce_config_selectorIbEEZNS1_11reduce_implILb1ES3_N6hipcub16HIPCUB_304000_NS22TransformInputIteratorIbN2at6native12_GLOBAL__N_19NonZeroOpIN3c108BFloat16EEEPKSF_lEEPiiNS8_6detail34convert_binary_result_type_wrapperINS8_3SumESJ_iEEEE10hipError_tPvRmT1_T2_T3_mT4_P12ihipStream_tbEUlT_E1_NS1_11comp_targetILNS1_3genE4ELNS1_11target_archE910ELNS1_3gpuE8ELNS1_3repE0EEENS1_30default_config_static_selectorELNS0_4arch9wavefront6targetE0EEEvSS_,comdat
.Lfunc_end791:
	.size	_ZN7rocprim17ROCPRIM_400000_NS6detail17trampoline_kernelINS0_14default_configENS1_22reduce_config_selectorIbEEZNS1_11reduce_implILb1ES3_N6hipcub16HIPCUB_304000_NS22TransformInputIteratorIbN2at6native12_GLOBAL__N_19NonZeroOpIN3c108BFloat16EEEPKSF_lEEPiiNS8_6detail34convert_binary_result_type_wrapperINS8_3SumESJ_iEEEE10hipError_tPvRmT1_T2_T3_mT4_P12ihipStream_tbEUlT_E1_NS1_11comp_targetILNS1_3genE4ELNS1_11target_archE910ELNS1_3gpuE8ELNS1_3repE0EEENS1_30default_config_static_selectorELNS0_4arch9wavefront6targetE0EEEvSS_, .Lfunc_end791-_ZN7rocprim17ROCPRIM_400000_NS6detail17trampoline_kernelINS0_14default_configENS1_22reduce_config_selectorIbEEZNS1_11reduce_implILb1ES3_N6hipcub16HIPCUB_304000_NS22TransformInputIteratorIbN2at6native12_GLOBAL__N_19NonZeroOpIN3c108BFloat16EEEPKSF_lEEPiiNS8_6detail34convert_binary_result_type_wrapperINS8_3SumESJ_iEEEE10hipError_tPvRmT1_T2_T3_mT4_P12ihipStream_tbEUlT_E1_NS1_11comp_targetILNS1_3genE4ELNS1_11target_archE910ELNS1_3gpuE8ELNS1_3repE0EEENS1_30default_config_static_selectorELNS0_4arch9wavefront6targetE0EEEvSS_
                                        ; -- End function
	.set _ZN7rocprim17ROCPRIM_400000_NS6detail17trampoline_kernelINS0_14default_configENS1_22reduce_config_selectorIbEEZNS1_11reduce_implILb1ES3_N6hipcub16HIPCUB_304000_NS22TransformInputIteratorIbN2at6native12_GLOBAL__N_19NonZeroOpIN3c108BFloat16EEEPKSF_lEEPiiNS8_6detail34convert_binary_result_type_wrapperINS8_3SumESJ_iEEEE10hipError_tPvRmT1_T2_T3_mT4_P12ihipStream_tbEUlT_E1_NS1_11comp_targetILNS1_3genE4ELNS1_11target_archE910ELNS1_3gpuE8ELNS1_3repE0EEENS1_30default_config_static_selectorELNS0_4arch9wavefront6targetE0EEEvSS_.num_vgpr, 0
	.set _ZN7rocprim17ROCPRIM_400000_NS6detail17trampoline_kernelINS0_14default_configENS1_22reduce_config_selectorIbEEZNS1_11reduce_implILb1ES3_N6hipcub16HIPCUB_304000_NS22TransformInputIteratorIbN2at6native12_GLOBAL__N_19NonZeroOpIN3c108BFloat16EEEPKSF_lEEPiiNS8_6detail34convert_binary_result_type_wrapperINS8_3SumESJ_iEEEE10hipError_tPvRmT1_T2_T3_mT4_P12ihipStream_tbEUlT_E1_NS1_11comp_targetILNS1_3genE4ELNS1_11target_archE910ELNS1_3gpuE8ELNS1_3repE0EEENS1_30default_config_static_selectorELNS0_4arch9wavefront6targetE0EEEvSS_.num_agpr, 0
	.set _ZN7rocprim17ROCPRIM_400000_NS6detail17trampoline_kernelINS0_14default_configENS1_22reduce_config_selectorIbEEZNS1_11reduce_implILb1ES3_N6hipcub16HIPCUB_304000_NS22TransformInputIteratorIbN2at6native12_GLOBAL__N_19NonZeroOpIN3c108BFloat16EEEPKSF_lEEPiiNS8_6detail34convert_binary_result_type_wrapperINS8_3SumESJ_iEEEE10hipError_tPvRmT1_T2_T3_mT4_P12ihipStream_tbEUlT_E1_NS1_11comp_targetILNS1_3genE4ELNS1_11target_archE910ELNS1_3gpuE8ELNS1_3repE0EEENS1_30default_config_static_selectorELNS0_4arch9wavefront6targetE0EEEvSS_.numbered_sgpr, 0
	.set _ZN7rocprim17ROCPRIM_400000_NS6detail17trampoline_kernelINS0_14default_configENS1_22reduce_config_selectorIbEEZNS1_11reduce_implILb1ES3_N6hipcub16HIPCUB_304000_NS22TransformInputIteratorIbN2at6native12_GLOBAL__N_19NonZeroOpIN3c108BFloat16EEEPKSF_lEEPiiNS8_6detail34convert_binary_result_type_wrapperINS8_3SumESJ_iEEEE10hipError_tPvRmT1_T2_T3_mT4_P12ihipStream_tbEUlT_E1_NS1_11comp_targetILNS1_3genE4ELNS1_11target_archE910ELNS1_3gpuE8ELNS1_3repE0EEENS1_30default_config_static_selectorELNS0_4arch9wavefront6targetE0EEEvSS_.num_named_barrier, 0
	.set _ZN7rocprim17ROCPRIM_400000_NS6detail17trampoline_kernelINS0_14default_configENS1_22reduce_config_selectorIbEEZNS1_11reduce_implILb1ES3_N6hipcub16HIPCUB_304000_NS22TransformInputIteratorIbN2at6native12_GLOBAL__N_19NonZeroOpIN3c108BFloat16EEEPKSF_lEEPiiNS8_6detail34convert_binary_result_type_wrapperINS8_3SumESJ_iEEEE10hipError_tPvRmT1_T2_T3_mT4_P12ihipStream_tbEUlT_E1_NS1_11comp_targetILNS1_3genE4ELNS1_11target_archE910ELNS1_3gpuE8ELNS1_3repE0EEENS1_30default_config_static_selectorELNS0_4arch9wavefront6targetE0EEEvSS_.private_seg_size, 0
	.set _ZN7rocprim17ROCPRIM_400000_NS6detail17trampoline_kernelINS0_14default_configENS1_22reduce_config_selectorIbEEZNS1_11reduce_implILb1ES3_N6hipcub16HIPCUB_304000_NS22TransformInputIteratorIbN2at6native12_GLOBAL__N_19NonZeroOpIN3c108BFloat16EEEPKSF_lEEPiiNS8_6detail34convert_binary_result_type_wrapperINS8_3SumESJ_iEEEE10hipError_tPvRmT1_T2_T3_mT4_P12ihipStream_tbEUlT_E1_NS1_11comp_targetILNS1_3genE4ELNS1_11target_archE910ELNS1_3gpuE8ELNS1_3repE0EEENS1_30default_config_static_selectorELNS0_4arch9wavefront6targetE0EEEvSS_.uses_vcc, 0
	.set _ZN7rocprim17ROCPRIM_400000_NS6detail17trampoline_kernelINS0_14default_configENS1_22reduce_config_selectorIbEEZNS1_11reduce_implILb1ES3_N6hipcub16HIPCUB_304000_NS22TransformInputIteratorIbN2at6native12_GLOBAL__N_19NonZeroOpIN3c108BFloat16EEEPKSF_lEEPiiNS8_6detail34convert_binary_result_type_wrapperINS8_3SumESJ_iEEEE10hipError_tPvRmT1_T2_T3_mT4_P12ihipStream_tbEUlT_E1_NS1_11comp_targetILNS1_3genE4ELNS1_11target_archE910ELNS1_3gpuE8ELNS1_3repE0EEENS1_30default_config_static_selectorELNS0_4arch9wavefront6targetE0EEEvSS_.uses_flat_scratch, 0
	.set _ZN7rocprim17ROCPRIM_400000_NS6detail17trampoline_kernelINS0_14default_configENS1_22reduce_config_selectorIbEEZNS1_11reduce_implILb1ES3_N6hipcub16HIPCUB_304000_NS22TransformInputIteratorIbN2at6native12_GLOBAL__N_19NonZeroOpIN3c108BFloat16EEEPKSF_lEEPiiNS8_6detail34convert_binary_result_type_wrapperINS8_3SumESJ_iEEEE10hipError_tPvRmT1_T2_T3_mT4_P12ihipStream_tbEUlT_E1_NS1_11comp_targetILNS1_3genE4ELNS1_11target_archE910ELNS1_3gpuE8ELNS1_3repE0EEENS1_30default_config_static_selectorELNS0_4arch9wavefront6targetE0EEEvSS_.has_dyn_sized_stack, 0
	.set _ZN7rocprim17ROCPRIM_400000_NS6detail17trampoline_kernelINS0_14default_configENS1_22reduce_config_selectorIbEEZNS1_11reduce_implILb1ES3_N6hipcub16HIPCUB_304000_NS22TransformInputIteratorIbN2at6native12_GLOBAL__N_19NonZeroOpIN3c108BFloat16EEEPKSF_lEEPiiNS8_6detail34convert_binary_result_type_wrapperINS8_3SumESJ_iEEEE10hipError_tPvRmT1_T2_T3_mT4_P12ihipStream_tbEUlT_E1_NS1_11comp_targetILNS1_3genE4ELNS1_11target_archE910ELNS1_3gpuE8ELNS1_3repE0EEENS1_30default_config_static_selectorELNS0_4arch9wavefront6targetE0EEEvSS_.has_recursion, 0
	.set _ZN7rocprim17ROCPRIM_400000_NS6detail17trampoline_kernelINS0_14default_configENS1_22reduce_config_selectorIbEEZNS1_11reduce_implILb1ES3_N6hipcub16HIPCUB_304000_NS22TransformInputIteratorIbN2at6native12_GLOBAL__N_19NonZeroOpIN3c108BFloat16EEEPKSF_lEEPiiNS8_6detail34convert_binary_result_type_wrapperINS8_3SumESJ_iEEEE10hipError_tPvRmT1_T2_T3_mT4_P12ihipStream_tbEUlT_E1_NS1_11comp_targetILNS1_3genE4ELNS1_11target_archE910ELNS1_3gpuE8ELNS1_3repE0EEENS1_30default_config_static_selectorELNS0_4arch9wavefront6targetE0EEEvSS_.has_indirect_call, 0
	.section	.AMDGPU.csdata,"",@progbits
; Kernel info:
; codeLenInByte = 0
; TotalNumSgprs: 0
; NumVgprs: 0
; ScratchSize: 0
; MemoryBound: 0
; FloatMode: 240
; IeeeMode: 1
; LDSByteSize: 0 bytes/workgroup (compile time only)
; SGPRBlocks: 0
; VGPRBlocks: 0
; NumSGPRsForWavesPerEU: 1
; NumVGPRsForWavesPerEU: 1
; Occupancy: 16
; WaveLimiterHint : 0
; COMPUTE_PGM_RSRC2:SCRATCH_EN: 0
; COMPUTE_PGM_RSRC2:USER_SGPR: 2
; COMPUTE_PGM_RSRC2:TRAP_HANDLER: 0
; COMPUTE_PGM_RSRC2:TGID_X_EN: 1
; COMPUTE_PGM_RSRC2:TGID_Y_EN: 0
; COMPUTE_PGM_RSRC2:TGID_Z_EN: 0
; COMPUTE_PGM_RSRC2:TIDIG_COMP_CNT: 0
	.section	.text._ZN7rocprim17ROCPRIM_400000_NS6detail17trampoline_kernelINS0_14default_configENS1_22reduce_config_selectorIbEEZNS1_11reduce_implILb1ES3_N6hipcub16HIPCUB_304000_NS22TransformInputIteratorIbN2at6native12_GLOBAL__N_19NonZeroOpIN3c108BFloat16EEEPKSF_lEEPiiNS8_6detail34convert_binary_result_type_wrapperINS8_3SumESJ_iEEEE10hipError_tPvRmT1_T2_T3_mT4_P12ihipStream_tbEUlT_E1_NS1_11comp_targetILNS1_3genE3ELNS1_11target_archE908ELNS1_3gpuE7ELNS1_3repE0EEENS1_30default_config_static_selectorELNS0_4arch9wavefront6targetE0EEEvSS_,"axG",@progbits,_ZN7rocprim17ROCPRIM_400000_NS6detail17trampoline_kernelINS0_14default_configENS1_22reduce_config_selectorIbEEZNS1_11reduce_implILb1ES3_N6hipcub16HIPCUB_304000_NS22TransformInputIteratorIbN2at6native12_GLOBAL__N_19NonZeroOpIN3c108BFloat16EEEPKSF_lEEPiiNS8_6detail34convert_binary_result_type_wrapperINS8_3SumESJ_iEEEE10hipError_tPvRmT1_T2_T3_mT4_P12ihipStream_tbEUlT_E1_NS1_11comp_targetILNS1_3genE3ELNS1_11target_archE908ELNS1_3gpuE7ELNS1_3repE0EEENS1_30default_config_static_selectorELNS0_4arch9wavefront6targetE0EEEvSS_,comdat
	.globl	_ZN7rocprim17ROCPRIM_400000_NS6detail17trampoline_kernelINS0_14default_configENS1_22reduce_config_selectorIbEEZNS1_11reduce_implILb1ES3_N6hipcub16HIPCUB_304000_NS22TransformInputIteratorIbN2at6native12_GLOBAL__N_19NonZeroOpIN3c108BFloat16EEEPKSF_lEEPiiNS8_6detail34convert_binary_result_type_wrapperINS8_3SumESJ_iEEEE10hipError_tPvRmT1_T2_T3_mT4_P12ihipStream_tbEUlT_E1_NS1_11comp_targetILNS1_3genE3ELNS1_11target_archE908ELNS1_3gpuE7ELNS1_3repE0EEENS1_30default_config_static_selectorELNS0_4arch9wavefront6targetE0EEEvSS_ ; -- Begin function _ZN7rocprim17ROCPRIM_400000_NS6detail17trampoline_kernelINS0_14default_configENS1_22reduce_config_selectorIbEEZNS1_11reduce_implILb1ES3_N6hipcub16HIPCUB_304000_NS22TransformInputIteratorIbN2at6native12_GLOBAL__N_19NonZeroOpIN3c108BFloat16EEEPKSF_lEEPiiNS8_6detail34convert_binary_result_type_wrapperINS8_3SumESJ_iEEEE10hipError_tPvRmT1_T2_T3_mT4_P12ihipStream_tbEUlT_E1_NS1_11comp_targetILNS1_3genE3ELNS1_11target_archE908ELNS1_3gpuE7ELNS1_3repE0EEENS1_30default_config_static_selectorELNS0_4arch9wavefront6targetE0EEEvSS_
	.p2align	8
	.type	_ZN7rocprim17ROCPRIM_400000_NS6detail17trampoline_kernelINS0_14default_configENS1_22reduce_config_selectorIbEEZNS1_11reduce_implILb1ES3_N6hipcub16HIPCUB_304000_NS22TransformInputIteratorIbN2at6native12_GLOBAL__N_19NonZeroOpIN3c108BFloat16EEEPKSF_lEEPiiNS8_6detail34convert_binary_result_type_wrapperINS8_3SumESJ_iEEEE10hipError_tPvRmT1_T2_T3_mT4_P12ihipStream_tbEUlT_E1_NS1_11comp_targetILNS1_3genE3ELNS1_11target_archE908ELNS1_3gpuE7ELNS1_3repE0EEENS1_30default_config_static_selectorELNS0_4arch9wavefront6targetE0EEEvSS_,@function
_ZN7rocprim17ROCPRIM_400000_NS6detail17trampoline_kernelINS0_14default_configENS1_22reduce_config_selectorIbEEZNS1_11reduce_implILb1ES3_N6hipcub16HIPCUB_304000_NS22TransformInputIteratorIbN2at6native12_GLOBAL__N_19NonZeroOpIN3c108BFloat16EEEPKSF_lEEPiiNS8_6detail34convert_binary_result_type_wrapperINS8_3SumESJ_iEEEE10hipError_tPvRmT1_T2_T3_mT4_P12ihipStream_tbEUlT_E1_NS1_11comp_targetILNS1_3genE3ELNS1_11target_archE908ELNS1_3gpuE7ELNS1_3repE0EEENS1_30default_config_static_selectorELNS0_4arch9wavefront6targetE0EEEvSS_: ; @_ZN7rocprim17ROCPRIM_400000_NS6detail17trampoline_kernelINS0_14default_configENS1_22reduce_config_selectorIbEEZNS1_11reduce_implILb1ES3_N6hipcub16HIPCUB_304000_NS22TransformInputIteratorIbN2at6native12_GLOBAL__N_19NonZeroOpIN3c108BFloat16EEEPKSF_lEEPiiNS8_6detail34convert_binary_result_type_wrapperINS8_3SumESJ_iEEEE10hipError_tPvRmT1_T2_T3_mT4_P12ihipStream_tbEUlT_E1_NS1_11comp_targetILNS1_3genE3ELNS1_11target_archE908ELNS1_3gpuE7ELNS1_3repE0EEENS1_30default_config_static_selectorELNS0_4arch9wavefront6targetE0EEEvSS_
; %bb.0:
	.section	.rodata,"a",@progbits
	.p2align	6, 0x0
	.amdhsa_kernel _ZN7rocprim17ROCPRIM_400000_NS6detail17trampoline_kernelINS0_14default_configENS1_22reduce_config_selectorIbEEZNS1_11reduce_implILb1ES3_N6hipcub16HIPCUB_304000_NS22TransformInputIteratorIbN2at6native12_GLOBAL__N_19NonZeroOpIN3c108BFloat16EEEPKSF_lEEPiiNS8_6detail34convert_binary_result_type_wrapperINS8_3SumESJ_iEEEE10hipError_tPvRmT1_T2_T3_mT4_P12ihipStream_tbEUlT_E1_NS1_11comp_targetILNS1_3genE3ELNS1_11target_archE908ELNS1_3gpuE7ELNS1_3repE0EEENS1_30default_config_static_selectorELNS0_4arch9wavefront6targetE0EEEvSS_
		.amdhsa_group_segment_fixed_size 0
		.amdhsa_private_segment_fixed_size 0
		.amdhsa_kernarg_size 48
		.amdhsa_user_sgpr_count 2
		.amdhsa_user_sgpr_dispatch_ptr 0
		.amdhsa_user_sgpr_queue_ptr 0
		.amdhsa_user_sgpr_kernarg_segment_ptr 1
		.amdhsa_user_sgpr_dispatch_id 0
		.amdhsa_user_sgpr_private_segment_size 0
		.amdhsa_wavefront_size32 1
		.amdhsa_uses_dynamic_stack 0
		.amdhsa_enable_private_segment 0
		.amdhsa_system_sgpr_workgroup_id_x 1
		.amdhsa_system_sgpr_workgroup_id_y 0
		.amdhsa_system_sgpr_workgroup_id_z 0
		.amdhsa_system_sgpr_workgroup_info 0
		.amdhsa_system_vgpr_workitem_id 0
		.amdhsa_next_free_vgpr 1
		.amdhsa_next_free_sgpr 1
		.amdhsa_reserve_vcc 0
		.amdhsa_float_round_mode_32 0
		.amdhsa_float_round_mode_16_64 0
		.amdhsa_float_denorm_mode_32 3
		.amdhsa_float_denorm_mode_16_64 3
		.amdhsa_fp16_overflow 0
		.amdhsa_workgroup_processor_mode 1
		.amdhsa_memory_ordered 1
		.amdhsa_forward_progress 1
		.amdhsa_inst_pref_size 0
		.amdhsa_round_robin_scheduling 0
		.amdhsa_exception_fp_ieee_invalid_op 0
		.amdhsa_exception_fp_denorm_src 0
		.amdhsa_exception_fp_ieee_div_zero 0
		.amdhsa_exception_fp_ieee_overflow 0
		.amdhsa_exception_fp_ieee_underflow 0
		.amdhsa_exception_fp_ieee_inexact 0
		.amdhsa_exception_int_div_zero 0
	.end_amdhsa_kernel
	.section	.text._ZN7rocprim17ROCPRIM_400000_NS6detail17trampoline_kernelINS0_14default_configENS1_22reduce_config_selectorIbEEZNS1_11reduce_implILb1ES3_N6hipcub16HIPCUB_304000_NS22TransformInputIteratorIbN2at6native12_GLOBAL__N_19NonZeroOpIN3c108BFloat16EEEPKSF_lEEPiiNS8_6detail34convert_binary_result_type_wrapperINS8_3SumESJ_iEEEE10hipError_tPvRmT1_T2_T3_mT4_P12ihipStream_tbEUlT_E1_NS1_11comp_targetILNS1_3genE3ELNS1_11target_archE908ELNS1_3gpuE7ELNS1_3repE0EEENS1_30default_config_static_selectorELNS0_4arch9wavefront6targetE0EEEvSS_,"axG",@progbits,_ZN7rocprim17ROCPRIM_400000_NS6detail17trampoline_kernelINS0_14default_configENS1_22reduce_config_selectorIbEEZNS1_11reduce_implILb1ES3_N6hipcub16HIPCUB_304000_NS22TransformInputIteratorIbN2at6native12_GLOBAL__N_19NonZeroOpIN3c108BFloat16EEEPKSF_lEEPiiNS8_6detail34convert_binary_result_type_wrapperINS8_3SumESJ_iEEEE10hipError_tPvRmT1_T2_T3_mT4_P12ihipStream_tbEUlT_E1_NS1_11comp_targetILNS1_3genE3ELNS1_11target_archE908ELNS1_3gpuE7ELNS1_3repE0EEENS1_30default_config_static_selectorELNS0_4arch9wavefront6targetE0EEEvSS_,comdat
.Lfunc_end792:
	.size	_ZN7rocprim17ROCPRIM_400000_NS6detail17trampoline_kernelINS0_14default_configENS1_22reduce_config_selectorIbEEZNS1_11reduce_implILb1ES3_N6hipcub16HIPCUB_304000_NS22TransformInputIteratorIbN2at6native12_GLOBAL__N_19NonZeroOpIN3c108BFloat16EEEPKSF_lEEPiiNS8_6detail34convert_binary_result_type_wrapperINS8_3SumESJ_iEEEE10hipError_tPvRmT1_T2_T3_mT4_P12ihipStream_tbEUlT_E1_NS1_11comp_targetILNS1_3genE3ELNS1_11target_archE908ELNS1_3gpuE7ELNS1_3repE0EEENS1_30default_config_static_selectorELNS0_4arch9wavefront6targetE0EEEvSS_, .Lfunc_end792-_ZN7rocprim17ROCPRIM_400000_NS6detail17trampoline_kernelINS0_14default_configENS1_22reduce_config_selectorIbEEZNS1_11reduce_implILb1ES3_N6hipcub16HIPCUB_304000_NS22TransformInputIteratorIbN2at6native12_GLOBAL__N_19NonZeroOpIN3c108BFloat16EEEPKSF_lEEPiiNS8_6detail34convert_binary_result_type_wrapperINS8_3SumESJ_iEEEE10hipError_tPvRmT1_T2_T3_mT4_P12ihipStream_tbEUlT_E1_NS1_11comp_targetILNS1_3genE3ELNS1_11target_archE908ELNS1_3gpuE7ELNS1_3repE0EEENS1_30default_config_static_selectorELNS0_4arch9wavefront6targetE0EEEvSS_
                                        ; -- End function
	.set _ZN7rocprim17ROCPRIM_400000_NS6detail17trampoline_kernelINS0_14default_configENS1_22reduce_config_selectorIbEEZNS1_11reduce_implILb1ES3_N6hipcub16HIPCUB_304000_NS22TransformInputIteratorIbN2at6native12_GLOBAL__N_19NonZeroOpIN3c108BFloat16EEEPKSF_lEEPiiNS8_6detail34convert_binary_result_type_wrapperINS8_3SumESJ_iEEEE10hipError_tPvRmT1_T2_T3_mT4_P12ihipStream_tbEUlT_E1_NS1_11comp_targetILNS1_3genE3ELNS1_11target_archE908ELNS1_3gpuE7ELNS1_3repE0EEENS1_30default_config_static_selectorELNS0_4arch9wavefront6targetE0EEEvSS_.num_vgpr, 0
	.set _ZN7rocprim17ROCPRIM_400000_NS6detail17trampoline_kernelINS0_14default_configENS1_22reduce_config_selectorIbEEZNS1_11reduce_implILb1ES3_N6hipcub16HIPCUB_304000_NS22TransformInputIteratorIbN2at6native12_GLOBAL__N_19NonZeroOpIN3c108BFloat16EEEPKSF_lEEPiiNS8_6detail34convert_binary_result_type_wrapperINS8_3SumESJ_iEEEE10hipError_tPvRmT1_T2_T3_mT4_P12ihipStream_tbEUlT_E1_NS1_11comp_targetILNS1_3genE3ELNS1_11target_archE908ELNS1_3gpuE7ELNS1_3repE0EEENS1_30default_config_static_selectorELNS0_4arch9wavefront6targetE0EEEvSS_.num_agpr, 0
	.set _ZN7rocprim17ROCPRIM_400000_NS6detail17trampoline_kernelINS0_14default_configENS1_22reduce_config_selectorIbEEZNS1_11reduce_implILb1ES3_N6hipcub16HIPCUB_304000_NS22TransformInputIteratorIbN2at6native12_GLOBAL__N_19NonZeroOpIN3c108BFloat16EEEPKSF_lEEPiiNS8_6detail34convert_binary_result_type_wrapperINS8_3SumESJ_iEEEE10hipError_tPvRmT1_T2_T3_mT4_P12ihipStream_tbEUlT_E1_NS1_11comp_targetILNS1_3genE3ELNS1_11target_archE908ELNS1_3gpuE7ELNS1_3repE0EEENS1_30default_config_static_selectorELNS0_4arch9wavefront6targetE0EEEvSS_.numbered_sgpr, 0
	.set _ZN7rocprim17ROCPRIM_400000_NS6detail17trampoline_kernelINS0_14default_configENS1_22reduce_config_selectorIbEEZNS1_11reduce_implILb1ES3_N6hipcub16HIPCUB_304000_NS22TransformInputIteratorIbN2at6native12_GLOBAL__N_19NonZeroOpIN3c108BFloat16EEEPKSF_lEEPiiNS8_6detail34convert_binary_result_type_wrapperINS8_3SumESJ_iEEEE10hipError_tPvRmT1_T2_T3_mT4_P12ihipStream_tbEUlT_E1_NS1_11comp_targetILNS1_3genE3ELNS1_11target_archE908ELNS1_3gpuE7ELNS1_3repE0EEENS1_30default_config_static_selectorELNS0_4arch9wavefront6targetE0EEEvSS_.num_named_barrier, 0
	.set _ZN7rocprim17ROCPRIM_400000_NS6detail17trampoline_kernelINS0_14default_configENS1_22reduce_config_selectorIbEEZNS1_11reduce_implILb1ES3_N6hipcub16HIPCUB_304000_NS22TransformInputIteratorIbN2at6native12_GLOBAL__N_19NonZeroOpIN3c108BFloat16EEEPKSF_lEEPiiNS8_6detail34convert_binary_result_type_wrapperINS8_3SumESJ_iEEEE10hipError_tPvRmT1_T2_T3_mT4_P12ihipStream_tbEUlT_E1_NS1_11comp_targetILNS1_3genE3ELNS1_11target_archE908ELNS1_3gpuE7ELNS1_3repE0EEENS1_30default_config_static_selectorELNS0_4arch9wavefront6targetE0EEEvSS_.private_seg_size, 0
	.set _ZN7rocprim17ROCPRIM_400000_NS6detail17trampoline_kernelINS0_14default_configENS1_22reduce_config_selectorIbEEZNS1_11reduce_implILb1ES3_N6hipcub16HIPCUB_304000_NS22TransformInputIteratorIbN2at6native12_GLOBAL__N_19NonZeroOpIN3c108BFloat16EEEPKSF_lEEPiiNS8_6detail34convert_binary_result_type_wrapperINS8_3SumESJ_iEEEE10hipError_tPvRmT1_T2_T3_mT4_P12ihipStream_tbEUlT_E1_NS1_11comp_targetILNS1_3genE3ELNS1_11target_archE908ELNS1_3gpuE7ELNS1_3repE0EEENS1_30default_config_static_selectorELNS0_4arch9wavefront6targetE0EEEvSS_.uses_vcc, 0
	.set _ZN7rocprim17ROCPRIM_400000_NS6detail17trampoline_kernelINS0_14default_configENS1_22reduce_config_selectorIbEEZNS1_11reduce_implILb1ES3_N6hipcub16HIPCUB_304000_NS22TransformInputIteratorIbN2at6native12_GLOBAL__N_19NonZeroOpIN3c108BFloat16EEEPKSF_lEEPiiNS8_6detail34convert_binary_result_type_wrapperINS8_3SumESJ_iEEEE10hipError_tPvRmT1_T2_T3_mT4_P12ihipStream_tbEUlT_E1_NS1_11comp_targetILNS1_3genE3ELNS1_11target_archE908ELNS1_3gpuE7ELNS1_3repE0EEENS1_30default_config_static_selectorELNS0_4arch9wavefront6targetE0EEEvSS_.uses_flat_scratch, 0
	.set _ZN7rocprim17ROCPRIM_400000_NS6detail17trampoline_kernelINS0_14default_configENS1_22reduce_config_selectorIbEEZNS1_11reduce_implILb1ES3_N6hipcub16HIPCUB_304000_NS22TransformInputIteratorIbN2at6native12_GLOBAL__N_19NonZeroOpIN3c108BFloat16EEEPKSF_lEEPiiNS8_6detail34convert_binary_result_type_wrapperINS8_3SumESJ_iEEEE10hipError_tPvRmT1_T2_T3_mT4_P12ihipStream_tbEUlT_E1_NS1_11comp_targetILNS1_3genE3ELNS1_11target_archE908ELNS1_3gpuE7ELNS1_3repE0EEENS1_30default_config_static_selectorELNS0_4arch9wavefront6targetE0EEEvSS_.has_dyn_sized_stack, 0
	.set _ZN7rocprim17ROCPRIM_400000_NS6detail17trampoline_kernelINS0_14default_configENS1_22reduce_config_selectorIbEEZNS1_11reduce_implILb1ES3_N6hipcub16HIPCUB_304000_NS22TransformInputIteratorIbN2at6native12_GLOBAL__N_19NonZeroOpIN3c108BFloat16EEEPKSF_lEEPiiNS8_6detail34convert_binary_result_type_wrapperINS8_3SumESJ_iEEEE10hipError_tPvRmT1_T2_T3_mT4_P12ihipStream_tbEUlT_E1_NS1_11comp_targetILNS1_3genE3ELNS1_11target_archE908ELNS1_3gpuE7ELNS1_3repE0EEENS1_30default_config_static_selectorELNS0_4arch9wavefront6targetE0EEEvSS_.has_recursion, 0
	.set _ZN7rocprim17ROCPRIM_400000_NS6detail17trampoline_kernelINS0_14default_configENS1_22reduce_config_selectorIbEEZNS1_11reduce_implILb1ES3_N6hipcub16HIPCUB_304000_NS22TransformInputIteratorIbN2at6native12_GLOBAL__N_19NonZeroOpIN3c108BFloat16EEEPKSF_lEEPiiNS8_6detail34convert_binary_result_type_wrapperINS8_3SumESJ_iEEEE10hipError_tPvRmT1_T2_T3_mT4_P12ihipStream_tbEUlT_E1_NS1_11comp_targetILNS1_3genE3ELNS1_11target_archE908ELNS1_3gpuE7ELNS1_3repE0EEENS1_30default_config_static_selectorELNS0_4arch9wavefront6targetE0EEEvSS_.has_indirect_call, 0
	.section	.AMDGPU.csdata,"",@progbits
; Kernel info:
; codeLenInByte = 0
; TotalNumSgprs: 0
; NumVgprs: 0
; ScratchSize: 0
; MemoryBound: 0
; FloatMode: 240
; IeeeMode: 1
; LDSByteSize: 0 bytes/workgroup (compile time only)
; SGPRBlocks: 0
; VGPRBlocks: 0
; NumSGPRsForWavesPerEU: 1
; NumVGPRsForWavesPerEU: 1
; Occupancy: 16
; WaveLimiterHint : 0
; COMPUTE_PGM_RSRC2:SCRATCH_EN: 0
; COMPUTE_PGM_RSRC2:USER_SGPR: 2
; COMPUTE_PGM_RSRC2:TRAP_HANDLER: 0
; COMPUTE_PGM_RSRC2:TGID_X_EN: 1
; COMPUTE_PGM_RSRC2:TGID_Y_EN: 0
; COMPUTE_PGM_RSRC2:TGID_Z_EN: 0
; COMPUTE_PGM_RSRC2:TIDIG_COMP_CNT: 0
	.section	.text._ZN7rocprim17ROCPRIM_400000_NS6detail17trampoline_kernelINS0_14default_configENS1_22reduce_config_selectorIbEEZNS1_11reduce_implILb1ES3_N6hipcub16HIPCUB_304000_NS22TransformInputIteratorIbN2at6native12_GLOBAL__N_19NonZeroOpIN3c108BFloat16EEEPKSF_lEEPiiNS8_6detail34convert_binary_result_type_wrapperINS8_3SumESJ_iEEEE10hipError_tPvRmT1_T2_T3_mT4_P12ihipStream_tbEUlT_E1_NS1_11comp_targetILNS1_3genE2ELNS1_11target_archE906ELNS1_3gpuE6ELNS1_3repE0EEENS1_30default_config_static_selectorELNS0_4arch9wavefront6targetE0EEEvSS_,"axG",@progbits,_ZN7rocprim17ROCPRIM_400000_NS6detail17trampoline_kernelINS0_14default_configENS1_22reduce_config_selectorIbEEZNS1_11reduce_implILb1ES3_N6hipcub16HIPCUB_304000_NS22TransformInputIteratorIbN2at6native12_GLOBAL__N_19NonZeroOpIN3c108BFloat16EEEPKSF_lEEPiiNS8_6detail34convert_binary_result_type_wrapperINS8_3SumESJ_iEEEE10hipError_tPvRmT1_T2_T3_mT4_P12ihipStream_tbEUlT_E1_NS1_11comp_targetILNS1_3genE2ELNS1_11target_archE906ELNS1_3gpuE6ELNS1_3repE0EEENS1_30default_config_static_selectorELNS0_4arch9wavefront6targetE0EEEvSS_,comdat
	.globl	_ZN7rocprim17ROCPRIM_400000_NS6detail17trampoline_kernelINS0_14default_configENS1_22reduce_config_selectorIbEEZNS1_11reduce_implILb1ES3_N6hipcub16HIPCUB_304000_NS22TransformInputIteratorIbN2at6native12_GLOBAL__N_19NonZeroOpIN3c108BFloat16EEEPKSF_lEEPiiNS8_6detail34convert_binary_result_type_wrapperINS8_3SumESJ_iEEEE10hipError_tPvRmT1_T2_T3_mT4_P12ihipStream_tbEUlT_E1_NS1_11comp_targetILNS1_3genE2ELNS1_11target_archE906ELNS1_3gpuE6ELNS1_3repE0EEENS1_30default_config_static_selectorELNS0_4arch9wavefront6targetE0EEEvSS_ ; -- Begin function _ZN7rocprim17ROCPRIM_400000_NS6detail17trampoline_kernelINS0_14default_configENS1_22reduce_config_selectorIbEEZNS1_11reduce_implILb1ES3_N6hipcub16HIPCUB_304000_NS22TransformInputIteratorIbN2at6native12_GLOBAL__N_19NonZeroOpIN3c108BFloat16EEEPKSF_lEEPiiNS8_6detail34convert_binary_result_type_wrapperINS8_3SumESJ_iEEEE10hipError_tPvRmT1_T2_T3_mT4_P12ihipStream_tbEUlT_E1_NS1_11comp_targetILNS1_3genE2ELNS1_11target_archE906ELNS1_3gpuE6ELNS1_3repE0EEENS1_30default_config_static_selectorELNS0_4arch9wavefront6targetE0EEEvSS_
	.p2align	8
	.type	_ZN7rocprim17ROCPRIM_400000_NS6detail17trampoline_kernelINS0_14default_configENS1_22reduce_config_selectorIbEEZNS1_11reduce_implILb1ES3_N6hipcub16HIPCUB_304000_NS22TransformInputIteratorIbN2at6native12_GLOBAL__N_19NonZeroOpIN3c108BFloat16EEEPKSF_lEEPiiNS8_6detail34convert_binary_result_type_wrapperINS8_3SumESJ_iEEEE10hipError_tPvRmT1_T2_T3_mT4_P12ihipStream_tbEUlT_E1_NS1_11comp_targetILNS1_3genE2ELNS1_11target_archE906ELNS1_3gpuE6ELNS1_3repE0EEENS1_30default_config_static_selectorELNS0_4arch9wavefront6targetE0EEEvSS_,@function
_ZN7rocprim17ROCPRIM_400000_NS6detail17trampoline_kernelINS0_14default_configENS1_22reduce_config_selectorIbEEZNS1_11reduce_implILb1ES3_N6hipcub16HIPCUB_304000_NS22TransformInputIteratorIbN2at6native12_GLOBAL__N_19NonZeroOpIN3c108BFloat16EEEPKSF_lEEPiiNS8_6detail34convert_binary_result_type_wrapperINS8_3SumESJ_iEEEE10hipError_tPvRmT1_T2_T3_mT4_P12ihipStream_tbEUlT_E1_NS1_11comp_targetILNS1_3genE2ELNS1_11target_archE906ELNS1_3gpuE6ELNS1_3repE0EEENS1_30default_config_static_selectorELNS0_4arch9wavefront6targetE0EEEvSS_: ; @_ZN7rocprim17ROCPRIM_400000_NS6detail17trampoline_kernelINS0_14default_configENS1_22reduce_config_selectorIbEEZNS1_11reduce_implILb1ES3_N6hipcub16HIPCUB_304000_NS22TransformInputIteratorIbN2at6native12_GLOBAL__N_19NonZeroOpIN3c108BFloat16EEEPKSF_lEEPiiNS8_6detail34convert_binary_result_type_wrapperINS8_3SumESJ_iEEEE10hipError_tPvRmT1_T2_T3_mT4_P12ihipStream_tbEUlT_E1_NS1_11comp_targetILNS1_3genE2ELNS1_11target_archE906ELNS1_3gpuE6ELNS1_3repE0EEENS1_30default_config_static_selectorELNS0_4arch9wavefront6targetE0EEEvSS_
; %bb.0:
	.section	.rodata,"a",@progbits
	.p2align	6, 0x0
	.amdhsa_kernel _ZN7rocprim17ROCPRIM_400000_NS6detail17trampoline_kernelINS0_14default_configENS1_22reduce_config_selectorIbEEZNS1_11reduce_implILb1ES3_N6hipcub16HIPCUB_304000_NS22TransformInputIteratorIbN2at6native12_GLOBAL__N_19NonZeroOpIN3c108BFloat16EEEPKSF_lEEPiiNS8_6detail34convert_binary_result_type_wrapperINS8_3SumESJ_iEEEE10hipError_tPvRmT1_T2_T3_mT4_P12ihipStream_tbEUlT_E1_NS1_11comp_targetILNS1_3genE2ELNS1_11target_archE906ELNS1_3gpuE6ELNS1_3repE0EEENS1_30default_config_static_selectorELNS0_4arch9wavefront6targetE0EEEvSS_
		.amdhsa_group_segment_fixed_size 0
		.amdhsa_private_segment_fixed_size 0
		.amdhsa_kernarg_size 48
		.amdhsa_user_sgpr_count 2
		.amdhsa_user_sgpr_dispatch_ptr 0
		.amdhsa_user_sgpr_queue_ptr 0
		.amdhsa_user_sgpr_kernarg_segment_ptr 1
		.amdhsa_user_sgpr_dispatch_id 0
		.amdhsa_user_sgpr_private_segment_size 0
		.amdhsa_wavefront_size32 1
		.amdhsa_uses_dynamic_stack 0
		.amdhsa_enable_private_segment 0
		.amdhsa_system_sgpr_workgroup_id_x 1
		.amdhsa_system_sgpr_workgroup_id_y 0
		.amdhsa_system_sgpr_workgroup_id_z 0
		.amdhsa_system_sgpr_workgroup_info 0
		.amdhsa_system_vgpr_workitem_id 0
		.amdhsa_next_free_vgpr 1
		.amdhsa_next_free_sgpr 1
		.amdhsa_reserve_vcc 0
		.amdhsa_float_round_mode_32 0
		.amdhsa_float_round_mode_16_64 0
		.amdhsa_float_denorm_mode_32 3
		.amdhsa_float_denorm_mode_16_64 3
		.amdhsa_fp16_overflow 0
		.amdhsa_workgroup_processor_mode 1
		.amdhsa_memory_ordered 1
		.amdhsa_forward_progress 1
		.amdhsa_inst_pref_size 0
		.amdhsa_round_robin_scheduling 0
		.amdhsa_exception_fp_ieee_invalid_op 0
		.amdhsa_exception_fp_denorm_src 0
		.amdhsa_exception_fp_ieee_div_zero 0
		.amdhsa_exception_fp_ieee_overflow 0
		.amdhsa_exception_fp_ieee_underflow 0
		.amdhsa_exception_fp_ieee_inexact 0
		.amdhsa_exception_int_div_zero 0
	.end_amdhsa_kernel
	.section	.text._ZN7rocprim17ROCPRIM_400000_NS6detail17trampoline_kernelINS0_14default_configENS1_22reduce_config_selectorIbEEZNS1_11reduce_implILb1ES3_N6hipcub16HIPCUB_304000_NS22TransformInputIteratorIbN2at6native12_GLOBAL__N_19NonZeroOpIN3c108BFloat16EEEPKSF_lEEPiiNS8_6detail34convert_binary_result_type_wrapperINS8_3SumESJ_iEEEE10hipError_tPvRmT1_T2_T3_mT4_P12ihipStream_tbEUlT_E1_NS1_11comp_targetILNS1_3genE2ELNS1_11target_archE906ELNS1_3gpuE6ELNS1_3repE0EEENS1_30default_config_static_selectorELNS0_4arch9wavefront6targetE0EEEvSS_,"axG",@progbits,_ZN7rocprim17ROCPRIM_400000_NS6detail17trampoline_kernelINS0_14default_configENS1_22reduce_config_selectorIbEEZNS1_11reduce_implILb1ES3_N6hipcub16HIPCUB_304000_NS22TransformInputIteratorIbN2at6native12_GLOBAL__N_19NonZeroOpIN3c108BFloat16EEEPKSF_lEEPiiNS8_6detail34convert_binary_result_type_wrapperINS8_3SumESJ_iEEEE10hipError_tPvRmT1_T2_T3_mT4_P12ihipStream_tbEUlT_E1_NS1_11comp_targetILNS1_3genE2ELNS1_11target_archE906ELNS1_3gpuE6ELNS1_3repE0EEENS1_30default_config_static_selectorELNS0_4arch9wavefront6targetE0EEEvSS_,comdat
.Lfunc_end793:
	.size	_ZN7rocprim17ROCPRIM_400000_NS6detail17trampoline_kernelINS0_14default_configENS1_22reduce_config_selectorIbEEZNS1_11reduce_implILb1ES3_N6hipcub16HIPCUB_304000_NS22TransformInputIteratorIbN2at6native12_GLOBAL__N_19NonZeroOpIN3c108BFloat16EEEPKSF_lEEPiiNS8_6detail34convert_binary_result_type_wrapperINS8_3SumESJ_iEEEE10hipError_tPvRmT1_T2_T3_mT4_P12ihipStream_tbEUlT_E1_NS1_11comp_targetILNS1_3genE2ELNS1_11target_archE906ELNS1_3gpuE6ELNS1_3repE0EEENS1_30default_config_static_selectorELNS0_4arch9wavefront6targetE0EEEvSS_, .Lfunc_end793-_ZN7rocprim17ROCPRIM_400000_NS6detail17trampoline_kernelINS0_14default_configENS1_22reduce_config_selectorIbEEZNS1_11reduce_implILb1ES3_N6hipcub16HIPCUB_304000_NS22TransformInputIteratorIbN2at6native12_GLOBAL__N_19NonZeroOpIN3c108BFloat16EEEPKSF_lEEPiiNS8_6detail34convert_binary_result_type_wrapperINS8_3SumESJ_iEEEE10hipError_tPvRmT1_T2_T3_mT4_P12ihipStream_tbEUlT_E1_NS1_11comp_targetILNS1_3genE2ELNS1_11target_archE906ELNS1_3gpuE6ELNS1_3repE0EEENS1_30default_config_static_selectorELNS0_4arch9wavefront6targetE0EEEvSS_
                                        ; -- End function
	.set _ZN7rocprim17ROCPRIM_400000_NS6detail17trampoline_kernelINS0_14default_configENS1_22reduce_config_selectorIbEEZNS1_11reduce_implILb1ES3_N6hipcub16HIPCUB_304000_NS22TransformInputIteratorIbN2at6native12_GLOBAL__N_19NonZeroOpIN3c108BFloat16EEEPKSF_lEEPiiNS8_6detail34convert_binary_result_type_wrapperINS8_3SumESJ_iEEEE10hipError_tPvRmT1_T2_T3_mT4_P12ihipStream_tbEUlT_E1_NS1_11comp_targetILNS1_3genE2ELNS1_11target_archE906ELNS1_3gpuE6ELNS1_3repE0EEENS1_30default_config_static_selectorELNS0_4arch9wavefront6targetE0EEEvSS_.num_vgpr, 0
	.set _ZN7rocprim17ROCPRIM_400000_NS6detail17trampoline_kernelINS0_14default_configENS1_22reduce_config_selectorIbEEZNS1_11reduce_implILb1ES3_N6hipcub16HIPCUB_304000_NS22TransformInputIteratorIbN2at6native12_GLOBAL__N_19NonZeroOpIN3c108BFloat16EEEPKSF_lEEPiiNS8_6detail34convert_binary_result_type_wrapperINS8_3SumESJ_iEEEE10hipError_tPvRmT1_T2_T3_mT4_P12ihipStream_tbEUlT_E1_NS1_11comp_targetILNS1_3genE2ELNS1_11target_archE906ELNS1_3gpuE6ELNS1_3repE0EEENS1_30default_config_static_selectorELNS0_4arch9wavefront6targetE0EEEvSS_.num_agpr, 0
	.set _ZN7rocprim17ROCPRIM_400000_NS6detail17trampoline_kernelINS0_14default_configENS1_22reduce_config_selectorIbEEZNS1_11reduce_implILb1ES3_N6hipcub16HIPCUB_304000_NS22TransformInputIteratorIbN2at6native12_GLOBAL__N_19NonZeroOpIN3c108BFloat16EEEPKSF_lEEPiiNS8_6detail34convert_binary_result_type_wrapperINS8_3SumESJ_iEEEE10hipError_tPvRmT1_T2_T3_mT4_P12ihipStream_tbEUlT_E1_NS1_11comp_targetILNS1_3genE2ELNS1_11target_archE906ELNS1_3gpuE6ELNS1_3repE0EEENS1_30default_config_static_selectorELNS0_4arch9wavefront6targetE0EEEvSS_.numbered_sgpr, 0
	.set _ZN7rocprim17ROCPRIM_400000_NS6detail17trampoline_kernelINS0_14default_configENS1_22reduce_config_selectorIbEEZNS1_11reduce_implILb1ES3_N6hipcub16HIPCUB_304000_NS22TransformInputIteratorIbN2at6native12_GLOBAL__N_19NonZeroOpIN3c108BFloat16EEEPKSF_lEEPiiNS8_6detail34convert_binary_result_type_wrapperINS8_3SumESJ_iEEEE10hipError_tPvRmT1_T2_T3_mT4_P12ihipStream_tbEUlT_E1_NS1_11comp_targetILNS1_3genE2ELNS1_11target_archE906ELNS1_3gpuE6ELNS1_3repE0EEENS1_30default_config_static_selectorELNS0_4arch9wavefront6targetE0EEEvSS_.num_named_barrier, 0
	.set _ZN7rocprim17ROCPRIM_400000_NS6detail17trampoline_kernelINS0_14default_configENS1_22reduce_config_selectorIbEEZNS1_11reduce_implILb1ES3_N6hipcub16HIPCUB_304000_NS22TransformInputIteratorIbN2at6native12_GLOBAL__N_19NonZeroOpIN3c108BFloat16EEEPKSF_lEEPiiNS8_6detail34convert_binary_result_type_wrapperINS8_3SumESJ_iEEEE10hipError_tPvRmT1_T2_T3_mT4_P12ihipStream_tbEUlT_E1_NS1_11comp_targetILNS1_3genE2ELNS1_11target_archE906ELNS1_3gpuE6ELNS1_3repE0EEENS1_30default_config_static_selectorELNS0_4arch9wavefront6targetE0EEEvSS_.private_seg_size, 0
	.set _ZN7rocprim17ROCPRIM_400000_NS6detail17trampoline_kernelINS0_14default_configENS1_22reduce_config_selectorIbEEZNS1_11reduce_implILb1ES3_N6hipcub16HIPCUB_304000_NS22TransformInputIteratorIbN2at6native12_GLOBAL__N_19NonZeroOpIN3c108BFloat16EEEPKSF_lEEPiiNS8_6detail34convert_binary_result_type_wrapperINS8_3SumESJ_iEEEE10hipError_tPvRmT1_T2_T3_mT4_P12ihipStream_tbEUlT_E1_NS1_11comp_targetILNS1_3genE2ELNS1_11target_archE906ELNS1_3gpuE6ELNS1_3repE0EEENS1_30default_config_static_selectorELNS0_4arch9wavefront6targetE0EEEvSS_.uses_vcc, 0
	.set _ZN7rocprim17ROCPRIM_400000_NS6detail17trampoline_kernelINS0_14default_configENS1_22reduce_config_selectorIbEEZNS1_11reduce_implILb1ES3_N6hipcub16HIPCUB_304000_NS22TransformInputIteratorIbN2at6native12_GLOBAL__N_19NonZeroOpIN3c108BFloat16EEEPKSF_lEEPiiNS8_6detail34convert_binary_result_type_wrapperINS8_3SumESJ_iEEEE10hipError_tPvRmT1_T2_T3_mT4_P12ihipStream_tbEUlT_E1_NS1_11comp_targetILNS1_3genE2ELNS1_11target_archE906ELNS1_3gpuE6ELNS1_3repE0EEENS1_30default_config_static_selectorELNS0_4arch9wavefront6targetE0EEEvSS_.uses_flat_scratch, 0
	.set _ZN7rocprim17ROCPRIM_400000_NS6detail17trampoline_kernelINS0_14default_configENS1_22reduce_config_selectorIbEEZNS1_11reduce_implILb1ES3_N6hipcub16HIPCUB_304000_NS22TransformInputIteratorIbN2at6native12_GLOBAL__N_19NonZeroOpIN3c108BFloat16EEEPKSF_lEEPiiNS8_6detail34convert_binary_result_type_wrapperINS8_3SumESJ_iEEEE10hipError_tPvRmT1_T2_T3_mT4_P12ihipStream_tbEUlT_E1_NS1_11comp_targetILNS1_3genE2ELNS1_11target_archE906ELNS1_3gpuE6ELNS1_3repE0EEENS1_30default_config_static_selectorELNS0_4arch9wavefront6targetE0EEEvSS_.has_dyn_sized_stack, 0
	.set _ZN7rocprim17ROCPRIM_400000_NS6detail17trampoline_kernelINS0_14default_configENS1_22reduce_config_selectorIbEEZNS1_11reduce_implILb1ES3_N6hipcub16HIPCUB_304000_NS22TransformInputIteratorIbN2at6native12_GLOBAL__N_19NonZeroOpIN3c108BFloat16EEEPKSF_lEEPiiNS8_6detail34convert_binary_result_type_wrapperINS8_3SumESJ_iEEEE10hipError_tPvRmT1_T2_T3_mT4_P12ihipStream_tbEUlT_E1_NS1_11comp_targetILNS1_3genE2ELNS1_11target_archE906ELNS1_3gpuE6ELNS1_3repE0EEENS1_30default_config_static_selectorELNS0_4arch9wavefront6targetE0EEEvSS_.has_recursion, 0
	.set _ZN7rocprim17ROCPRIM_400000_NS6detail17trampoline_kernelINS0_14default_configENS1_22reduce_config_selectorIbEEZNS1_11reduce_implILb1ES3_N6hipcub16HIPCUB_304000_NS22TransformInputIteratorIbN2at6native12_GLOBAL__N_19NonZeroOpIN3c108BFloat16EEEPKSF_lEEPiiNS8_6detail34convert_binary_result_type_wrapperINS8_3SumESJ_iEEEE10hipError_tPvRmT1_T2_T3_mT4_P12ihipStream_tbEUlT_E1_NS1_11comp_targetILNS1_3genE2ELNS1_11target_archE906ELNS1_3gpuE6ELNS1_3repE0EEENS1_30default_config_static_selectorELNS0_4arch9wavefront6targetE0EEEvSS_.has_indirect_call, 0
	.section	.AMDGPU.csdata,"",@progbits
; Kernel info:
; codeLenInByte = 0
; TotalNumSgprs: 0
; NumVgprs: 0
; ScratchSize: 0
; MemoryBound: 0
; FloatMode: 240
; IeeeMode: 1
; LDSByteSize: 0 bytes/workgroup (compile time only)
; SGPRBlocks: 0
; VGPRBlocks: 0
; NumSGPRsForWavesPerEU: 1
; NumVGPRsForWavesPerEU: 1
; Occupancy: 16
; WaveLimiterHint : 0
; COMPUTE_PGM_RSRC2:SCRATCH_EN: 0
; COMPUTE_PGM_RSRC2:USER_SGPR: 2
; COMPUTE_PGM_RSRC2:TRAP_HANDLER: 0
; COMPUTE_PGM_RSRC2:TGID_X_EN: 1
; COMPUTE_PGM_RSRC2:TGID_Y_EN: 0
; COMPUTE_PGM_RSRC2:TGID_Z_EN: 0
; COMPUTE_PGM_RSRC2:TIDIG_COMP_CNT: 0
	.section	.text._ZN7rocprim17ROCPRIM_400000_NS6detail17trampoline_kernelINS0_14default_configENS1_22reduce_config_selectorIbEEZNS1_11reduce_implILb1ES3_N6hipcub16HIPCUB_304000_NS22TransformInputIteratorIbN2at6native12_GLOBAL__N_19NonZeroOpIN3c108BFloat16EEEPKSF_lEEPiiNS8_6detail34convert_binary_result_type_wrapperINS8_3SumESJ_iEEEE10hipError_tPvRmT1_T2_T3_mT4_P12ihipStream_tbEUlT_E1_NS1_11comp_targetILNS1_3genE10ELNS1_11target_archE1201ELNS1_3gpuE5ELNS1_3repE0EEENS1_30default_config_static_selectorELNS0_4arch9wavefront6targetE0EEEvSS_,"axG",@progbits,_ZN7rocprim17ROCPRIM_400000_NS6detail17trampoline_kernelINS0_14default_configENS1_22reduce_config_selectorIbEEZNS1_11reduce_implILb1ES3_N6hipcub16HIPCUB_304000_NS22TransformInputIteratorIbN2at6native12_GLOBAL__N_19NonZeroOpIN3c108BFloat16EEEPKSF_lEEPiiNS8_6detail34convert_binary_result_type_wrapperINS8_3SumESJ_iEEEE10hipError_tPvRmT1_T2_T3_mT4_P12ihipStream_tbEUlT_E1_NS1_11comp_targetILNS1_3genE10ELNS1_11target_archE1201ELNS1_3gpuE5ELNS1_3repE0EEENS1_30default_config_static_selectorELNS0_4arch9wavefront6targetE0EEEvSS_,comdat
	.globl	_ZN7rocprim17ROCPRIM_400000_NS6detail17trampoline_kernelINS0_14default_configENS1_22reduce_config_selectorIbEEZNS1_11reduce_implILb1ES3_N6hipcub16HIPCUB_304000_NS22TransformInputIteratorIbN2at6native12_GLOBAL__N_19NonZeroOpIN3c108BFloat16EEEPKSF_lEEPiiNS8_6detail34convert_binary_result_type_wrapperINS8_3SumESJ_iEEEE10hipError_tPvRmT1_T2_T3_mT4_P12ihipStream_tbEUlT_E1_NS1_11comp_targetILNS1_3genE10ELNS1_11target_archE1201ELNS1_3gpuE5ELNS1_3repE0EEENS1_30default_config_static_selectorELNS0_4arch9wavefront6targetE0EEEvSS_ ; -- Begin function _ZN7rocprim17ROCPRIM_400000_NS6detail17trampoline_kernelINS0_14default_configENS1_22reduce_config_selectorIbEEZNS1_11reduce_implILb1ES3_N6hipcub16HIPCUB_304000_NS22TransformInputIteratorIbN2at6native12_GLOBAL__N_19NonZeroOpIN3c108BFloat16EEEPKSF_lEEPiiNS8_6detail34convert_binary_result_type_wrapperINS8_3SumESJ_iEEEE10hipError_tPvRmT1_T2_T3_mT4_P12ihipStream_tbEUlT_E1_NS1_11comp_targetILNS1_3genE10ELNS1_11target_archE1201ELNS1_3gpuE5ELNS1_3repE0EEENS1_30default_config_static_selectorELNS0_4arch9wavefront6targetE0EEEvSS_
	.p2align	8
	.type	_ZN7rocprim17ROCPRIM_400000_NS6detail17trampoline_kernelINS0_14default_configENS1_22reduce_config_selectorIbEEZNS1_11reduce_implILb1ES3_N6hipcub16HIPCUB_304000_NS22TransformInputIteratorIbN2at6native12_GLOBAL__N_19NonZeroOpIN3c108BFloat16EEEPKSF_lEEPiiNS8_6detail34convert_binary_result_type_wrapperINS8_3SumESJ_iEEEE10hipError_tPvRmT1_T2_T3_mT4_P12ihipStream_tbEUlT_E1_NS1_11comp_targetILNS1_3genE10ELNS1_11target_archE1201ELNS1_3gpuE5ELNS1_3repE0EEENS1_30default_config_static_selectorELNS0_4arch9wavefront6targetE0EEEvSS_,@function
_ZN7rocprim17ROCPRIM_400000_NS6detail17trampoline_kernelINS0_14default_configENS1_22reduce_config_selectorIbEEZNS1_11reduce_implILb1ES3_N6hipcub16HIPCUB_304000_NS22TransformInputIteratorIbN2at6native12_GLOBAL__N_19NonZeroOpIN3c108BFloat16EEEPKSF_lEEPiiNS8_6detail34convert_binary_result_type_wrapperINS8_3SumESJ_iEEEE10hipError_tPvRmT1_T2_T3_mT4_P12ihipStream_tbEUlT_E1_NS1_11comp_targetILNS1_3genE10ELNS1_11target_archE1201ELNS1_3gpuE5ELNS1_3repE0EEENS1_30default_config_static_selectorELNS0_4arch9wavefront6targetE0EEEvSS_: ; @_ZN7rocprim17ROCPRIM_400000_NS6detail17trampoline_kernelINS0_14default_configENS1_22reduce_config_selectorIbEEZNS1_11reduce_implILb1ES3_N6hipcub16HIPCUB_304000_NS22TransformInputIteratorIbN2at6native12_GLOBAL__N_19NonZeroOpIN3c108BFloat16EEEPKSF_lEEPiiNS8_6detail34convert_binary_result_type_wrapperINS8_3SumESJ_iEEEE10hipError_tPvRmT1_T2_T3_mT4_P12ihipStream_tbEUlT_E1_NS1_11comp_targetILNS1_3genE10ELNS1_11target_archE1201ELNS1_3gpuE5ELNS1_3repE0EEENS1_30default_config_static_selectorELNS0_4arch9wavefront6targetE0EEEvSS_
; %bb.0:
	s_clause 0x2
	s_load_b32 s44, s[0:1], 0x4
	s_load_b64 s[40:41], s[0:1], 0x8
	s_load_b128 s[36:39], s[0:1], 0x18
	s_mov_b32 s34, ttmp9
	s_wait_kmcnt 0x0
	s_cmp_lt_i32 s44, 16
	s_cbranch_scc1 .LBB794_12
; %bb.1:
	s_cmp_gt_i32 s44, 63
	s_cbranch_scc0 .LBB794_13
; %bb.2:
	s_cmp_gt_i32 s44, 0x7f
	s_cbranch_scc0 .LBB794_22
; %bb.3:
	s_cmp_eq_u32 s44, 0x80
	s_mov_b32 s6, 0
	s_cbranch_scc0 .LBB794_23
; %bb.4:
	s_mov_b32 s35, 0
	s_lshl_b32 s4, s34, 15
	s_mov_b32 s5, s35
	s_lshr_b64 s[2:3], s[36:37], 15
	s_lshl_b64 s[8:9], s[4:5], 1
	s_cmp_lg_u64 s[2:3], s[34:35]
	s_add_nc_u64 s[2:3], s[40:41], s[8:9]
	s_cbranch_scc0 .LBB794_34
; %bb.5:
	v_lshlrev_b32_e32 v1, 1, v0
	s_mov_b32 s5, exec_lo
	s_clause 0x1f
	global_load_u16 v2, v1, s[2:3]
	global_load_u16 v3, v1, s[2:3] offset:512
	global_load_u16 v4, v1, s[2:3] offset:1024
	global_load_u16 v5, v1, s[2:3] offset:1536
	global_load_u16 v6, v1, s[2:3] offset:2048
	global_load_u16 v7, v1, s[2:3] offset:2560
	global_load_u16 v8, v1, s[2:3] offset:3072
	global_load_u16 v9, v1, s[2:3] offset:3584
	global_load_u16 v10, v1, s[2:3] offset:4096
	global_load_u16 v11, v1, s[2:3] offset:4608
	global_load_u16 v12, v1, s[2:3] offset:5120
	global_load_u16 v13, v1, s[2:3] offset:5632
	global_load_u16 v14, v1, s[2:3] offset:6144
	global_load_u16 v15, v1, s[2:3] offset:6656
	global_load_u16 v16, v1, s[2:3] offset:7168
	global_load_u16 v17, v1, s[2:3] offset:7680
	global_load_u16 v18, v1, s[2:3] offset:8192
	global_load_u16 v19, v1, s[2:3] offset:8704
	global_load_u16 v20, v1, s[2:3] offset:9216
	global_load_u16 v21, v1, s[2:3] offset:9728
	global_load_u16 v22, v1, s[2:3] offset:10240
	global_load_u16 v23, v1, s[2:3] offset:10752
	global_load_u16 v24, v1, s[2:3] offset:11264
	global_load_u16 v25, v1, s[2:3] offset:11776
	global_load_u16 v26, v1, s[2:3] offset:12288
	global_load_u16 v27, v1, s[2:3] offset:12800
	global_load_u16 v28, v1, s[2:3] offset:13312
	global_load_u16 v29, v1, s[2:3] offset:13824
	global_load_u16 v30, v1, s[2:3] offset:14336
	global_load_u16 v31, v1, s[2:3] offset:14848
	global_load_u16 v32, v1, s[2:3] offset:15360
	global_load_u16 v33, v1, s[2:3] offset:15872
	s_clause 0x1f
	global_load_u16 v34, v1, s[2:3] offset:16384
	global_load_u16 v35, v1, s[2:3] offset:16896
	global_load_u16 v36, v1, s[2:3] offset:17408
	global_load_u16 v37, v1, s[2:3] offset:17920
	global_load_u16 v38, v1, s[2:3] offset:18432
	global_load_u16 v39, v1, s[2:3] offset:18944
	global_load_u16 v40, v1, s[2:3] offset:19456
	global_load_u16 v41, v1, s[2:3] offset:19968
	global_load_u16 v42, v1, s[2:3] offset:20480
	global_load_u16 v43, v1, s[2:3] offset:20992
	global_load_u16 v44, v1, s[2:3] offset:21504
	global_load_u16 v45, v1, s[2:3] offset:22016
	global_load_u16 v46, v1, s[2:3] offset:22528
	global_load_u16 v47, v1, s[2:3] offset:23040
	global_load_u16 v48, v1, s[2:3] offset:23552
	global_load_u16 v49, v1, s[2:3] offset:24064
	global_load_u16 v50, v1, s[2:3] offset:24576
	global_load_u16 v51, v1, s[2:3] offset:25088
	global_load_u16 v52, v1, s[2:3] offset:25600
	global_load_u16 v53, v1, s[2:3] offset:26112
	global_load_u16 v54, v1, s[2:3] offset:26624
	global_load_u16 v55, v1, s[2:3] offset:27136
	global_load_u16 v56, v1, s[2:3] offset:27648
	global_load_u16 v57, v1, s[2:3] offset:28160
	global_load_u16 v58, v1, s[2:3] offset:28672
	global_load_u16 v59, v1, s[2:3] offset:29184
	global_load_u16 v60, v1, s[2:3] offset:29696
	global_load_u16 v61, v1, s[2:3] offset:30208
	global_load_u16 v62, v1, s[2:3] offset:30720
	global_load_u16 v63, v1, s[2:3] offset:31232
	global_load_u16 v64, v1, s[2:3] offset:31744
	global_load_u16 v65, v1, s[2:3] offset:32256
	s_clause 0x1f
	global_load_u16 v66, v1, s[2:3] offset:32768
	;; [unrolled: 33-line block ×3, first 2 shown]
	global_load_u16 v99, v1, s[2:3] offset:49664
	global_load_u16 v100, v1, s[2:3] offset:50176
	;; [unrolled: 1-line block ×31, first 2 shown]
	s_wait_loadcnt 0x3e
	v_and_b32_e32 v2, 0x7fff, v2
	v_and_b32_e32 v3, 0x7fff, v3
	;; [unrolled: 1-line block ×5, first 2 shown]
	v_cmp_ne_u16_e32 vcc_lo, 0, v2
	v_and_b32_e32 v8, 0x7fff, v8
	v_and_b32_e32 v7, 0x7fff, v7
	;; [unrolled: 1-line block ×4, first 2 shown]
	v_cndmask_b32_e64 v2, 0, 1, vcc_lo
	v_cmp_ne_u16_e32 vcc_lo, 0, v4
	v_and_b32_e32 v12, 0x7fff, v12
	v_and_b32_e32 v11, 0x7fff, v11
	v_and_b32_e32 v14, 0x7fff, v14
	v_and_b32_e32 v13, 0x7fff, v13
	s_wait_alu 0xfffd
	v_cndmask_b32_e64 v4, 0, 1, vcc_lo
	v_cmp_ne_u16_e32 vcc_lo, 0, v3
	v_and_b32_e32 v16, 0x7fff, v16
	v_and_b32_e32 v15, 0x7fff, v15
	v_and_b32_e32 v18, 0x7fff, v18
	v_and_b32_e32 v17, 0x7fff, v17
	s_wait_alu 0xfffd
	v_add_co_ci_u32_e64 v2, null, 0, v2, vcc_lo
	v_cmp_ne_u16_e32 vcc_lo, 0, v6
	v_and_b32_e32 v20, 0x7fff, v20
	v_and_b32_e32 v19, 0x7fff, v19
	v_and_b32_e32 v22, 0x7fff, v22
	v_and_b32_e32 v21, 0x7fff, v21
	s_wait_alu 0xfffd
	v_cndmask_b32_e64 v3, 0, 1, vcc_lo
	v_cmp_ne_u16_e32 vcc_lo, 0, v5
	v_and_b32_e32 v24, 0x7fff, v24
	v_and_b32_e32 v23, 0x7fff, v23
	v_and_b32_e32 v26, 0x7fff, v26
	v_and_b32_e32 v25, 0x7fff, v25
	s_wait_alu 0xfffd
	v_add_co_ci_u32_e64 v2, null, v2, v4, vcc_lo
	;; [unrolled: 14-line block ×7, first 2 shown]
	v_cmp_ne_u16_e32 vcc_lo, 0, v18
	s_wait_loadcnt 0x3d
	v_and_b32_e32 v68, 0x7fff, v68
	v_and_b32_e32 v67, 0x7fff, v67
	s_wait_loadcnt 0x3b
	v_and_b32_e32 v70, 0x7fff, v70
	v_and_b32_e32 v69, 0x7fff, v69
	s_wait_alu 0xfffd
	v_cndmask_b32_e64 v3, 0, 1, vcc_lo
	v_cmp_ne_u16_e32 vcc_lo, 0, v17
	s_wait_loadcnt 0x39
	v_and_b32_e32 v72, 0x7fff, v72
	v_and_b32_e32 v71, 0x7fff, v71
	s_wait_loadcnt 0x37
	v_and_b32_e32 v74, 0x7fff, v74
	v_and_b32_e32 v73, 0x7fff, v73
	s_wait_alu 0xfffd
	v_add_co_ci_u32_e64 v2, null, v2, v4, vcc_lo
	v_cmp_ne_u16_e32 vcc_lo, 0, v20
	s_wait_loadcnt 0x35
	v_and_b32_e32 v76, 0x7fff, v76
	v_and_b32_e32 v75, 0x7fff, v75
	s_wait_loadcnt 0x33
	v_and_b32_e32 v78, 0x7fff, v78
	v_and_b32_e32 v77, 0x7fff, v77
	s_wait_alu 0xfffd
	v_cndmask_b32_e64 v4, 0, 1, vcc_lo
	v_cmp_ne_u16_e32 vcc_lo, 0, v19
	s_wait_loadcnt 0x31
	v_and_b32_e32 v80, 0x7fff, v80
	v_and_b32_e32 v79, 0x7fff, v79
	s_wait_loadcnt 0x2f
	v_and_b32_e32 v82, 0x7fff, v82
	v_and_b32_e32 v81, 0x7fff, v81
	s_wait_alu 0xfffd
	v_add_co_ci_u32_e64 v2, null, v2, v3, vcc_lo
	;; [unrolled: 18-line block ×7, first 2 shown]
	v_cmp_ne_u16_e32 vcc_lo, 0, v32
	s_wait_loadcnt 0x5
	v_and_b32_e32 v124, 0x7fff, v124
	v_and_b32_e32 v123, 0x7fff, v123
	s_wait_loadcnt 0x3
	v_and_b32_e32 v126, 0x7fff, v126
	v_and_b32_e32 v125, 0x7fff, v125
	s_wait_alu 0xfffd
	v_cndmask_b32_e64 v4, 0, 1, vcc_lo
	v_cmp_ne_u16_e32 vcc_lo, 0, v31
	s_wait_loadcnt 0x1
	v_and_b32_e32 v128, 0x7fff, v128
	v_and_b32_e32 v127, 0x7fff, v127
	s_wait_loadcnt 0x0
	v_and_b32_e32 v1, 0x7fff, v1
	s_wait_alu 0xfffd
	v_add_co_ci_u32_e64 v2, null, v2, v3, vcc_lo
	v_cmp_ne_u16_e32 vcc_lo, 0, v34
	s_wait_alu 0xfffd
	v_cndmask_b32_e64 v3, 0, 1, vcc_lo
	v_cmp_ne_u16_e32 vcc_lo, 0, v33
	s_wait_alu 0xfffd
	v_add_co_ci_u32_e64 v2, null, v2, v4, vcc_lo
	v_cmp_ne_u16_e32 vcc_lo, 0, v36
	s_wait_alu 0xfffd
	v_cndmask_b32_e64 v4, 0, 1, vcc_lo
	v_cmp_ne_u16_e32 vcc_lo, 0, v35
	;; [unrolled: 6-line block ×47, first 2 shown]
	s_wait_alu 0xfffd
	v_add_co_ci_u32_e64 v2, null, v2, v4, vcc_lo
	v_cmp_ne_u16_e64 vcc_lo, 0, v128
	s_wait_alu 0xfffd
	s_delay_alu instid0(VALU_DEP_1)
	v_cndmask_b32_e64 v4, 0, 1, vcc_lo
	v_cmp_ne_u16_e32 vcc_lo, 0, v127
	s_wait_alu 0xfffd
	v_add_co_ci_u32_e64 v2, null, v2, v3, vcc_lo
	v_cmp_ne_u16_e32 vcc_lo, 0, v1
	s_wait_alu 0xfffd
	s_delay_alu instid0(VALU_DEP_2) | instskip(NEXT) | instid1(VALU_DEP_1)
	v_add_co_ci_u32_e64 v1, null, v2, v4, vcc_lo
	v_mov_b32_dpp v2, v1 quad_perm:[1,0,3,2] row_mask:0xf bank_mask:0xf
	s_delay_alu instid0(VALU_DEP_1) | instskip(NEXT) | instid1(VALU_DEP_1)
	v_add_nc_u32_e32 v1, v1, v2
	v_mov_b32_dpp v2, v1 quad_perm:[2,3,0,1] row_mask:0xf bank_mask:0xf
	s_delay_alu instid0(VALU_DEP_1) | instskip(NEXT) | instid1(VALU_DEP_1)
	v_add_nc_u32_e32 v1, v1, v2
	v_mov_b32_dpp v2, v1 row_ror:4 row_mask:0xf bank_mask:0xf
	s_delay_alu instid0(VALU_DEP_1) | instskip(NEXT) | instid1(VALU_DEP_1)
	v_add_nc_u32_e32 v1, v1, v2
	v_mov_b32_dpp v2, v1 row_ror:8 row_mask:0xf bank_mask:0xf
	s_delay_alu instid0(VALU_DEP_1)
	v_add_nc_u32_e32 v1, v1, v2
	ds_swizzle_b32 v2, v1 offset:swizzle(BROADCAST,32,15)
	s_wait_dscnt 0x0
	v_dual_mov_b32 v2, 0 :: v_dual_add_nc_u32 v1, v1, v2
	ds_bpermute_b32 v1, v2, v1 offset:124
	v_mbcnt_lo_u32_b32 v2, -1, 0
	s_delay_alu instid0(VALU_DEP_1)
	v_cmpx_eq_u32_e32 0, v2
	s_cbranch_execz .LBB794_7
; %bb.6:
	v_lshrrev_b32_e32 v3, 3, v0
	s_delay_alu instid0(VALU_DEP_1)
	v_and_b32_e32 v3, 28, v3
	s_wait_dscnt 0x0
	ds_store_b32 v3, v1
.LBB794_7:
	s_or_b32 exec_lo, exec_lo, s5
	s_delay_alu instid0(SALU_CYCLE_1)
	s_mov_b32 s5, exec_lo
	s_wait_dscnt 0x0
	s_barrier_signal -1
	s_barrier_wait -1
	global_inv scope:SCOPE_SE
	v_cmpx_gt_u32_e32 32, v0
	s_cbranch_execz .LBB794_9
; %bb.8:
	v_and_b32_e32 v1, 7, v2
	s_delay_alu instid0(VALU_DEP_1)
	v_lshlrev_b32_e32 v3, 2, v1
	v_cmp_ne_u32_e32 vcc_lo, 7, v1
	ds_load_b32 v3, v3
	s_wait_alu 0xfffd
	v_add_co_ci_u32_e64 v4, null, 0, v2, vcc_lo
	v_cmp_gt_u32_e32 vcc_lo, 6, v1
	s_delay_alu instid0(VALU_DEP_2) | instskip(SKIP_2) | instid1(VALU_DEP_1)
	v_lshlrev_b32_e32 v4, 2, v4
	s_wait_alu 0xfffd
	v_cndmask_b32_e64 v1, 0, 2, vcc_lo
	v_add_lshl_u32 v1, v1, v2, 2
	v_lshlrev_b32_e32 v2, 2, v2
	s_delay_alu instid0(VALU_DEP_1)
	v_or_b32_e32 v2, 16, v2
	s_wait_dscnt 0x0
	ds_bpermute_b32 v4, v4, v3
	s_wait_dscnt 0x0
	v_add_nc_u32_e32 v3, v4, v3
	ds_bpermute_b32 v1, v1, v3
	s_wait_dscnt 0x0
	v_add_nc_u32_e32 v1, v1, v3
	;; [unrolled: 3-line block ×3, first 2 shown]
.LBB794_9:
	s_or_b32 exec_lo, exec_lo, s5
.LBB794_10:
	v_cmp_eq_u32_e64 s2, 0, v0
	s_and_b32 vcc_lo, exec_lo, s6
	s_wait_alu 0xfffe
	s_cbranch_vccnz .LBB794_24
.LBB794_11:
	s_branch .LBB794_512
.LBB794_12:
	s_mov_b32 s2, 0
                                        ; implicit-def: $vgpr1
	s_cbranch_execz .LBB794_623
	s_branch .LBB794_513
.LBB794_13:
	s_mov_b32 s2, 0
                                        ; implicit-def: $vgpr1
	s_cbranch_execz .LBB794_512
; %bb.14:
	s_cmp_gt_i32 s44, 31
	s_cbranch_scc0 .LBB794_31
; %bb.15:
	s_cmp_eq_u32 s44, 32
	s_cbranch_scc0 .LBB794_32
; %bb.16:
	s_mov_b32 s35, 0
	s_lshl_b32 s2, s34, 13
	s_mov_b32 s3, s35
	s_lshr_b64 s[4:5], s[36:37], 13
	s_lshl_b64 s[6:7], s[2:3], 1
	s_cmp_lg_u64 s[4:5], s[34:35]
	s_add_nc_u64 s[42:43], s[40:41], s[6:7]
	s_cbranch_scc0 .LBB794_296
; %bb.17:
	v_lshlrev_b32_e32 v1, 1, v0
	s_mov_b32 s3, exec_lo
	s_clause 0x1f
	global_load_u16 v2, v1, s[42:43]
	global_load_u16 v3, v1, s[42:43] offset:512
	global_load_u16 v4, v1, s[42:43] offset:1024
	;; [unrolled: 1-line block ×31, first 2 shown]
	s_wait_loadcnt 0x1f
	v_and_b32_e32 v2, 0x7fff, v2
	s_wait_loadcnt 0x1e
	v_and_b32_e32 v3, 0x7fff, v3
	;; [unrolled: 2-line block ×5, first 2 shown]
	v_cmp_ne_u16_e32 vcc_lo, 0, v2
	s_wait_loadcnt 0x19
	v_and_b32_e32 v8, 0x7fff, v8
	v_and_b32_e32 v7, 0x7fff, v7
	s_wait_loadcnt 0x17
	v_and_b32_e32 v10, 0x7fff, v10
	v_and_b32_e32 v9, 0x7fff, v9
	v_cndmask_b32_e64 v2, 0, 1, vcc_lo
	v_cmp_ne_u16_e32 vcc_lo, 0, v4
	s_wait_loadcnt 0x15
	v_and_b32_e32 v12, 0x7fff, v12
	v_and_b32_e32 v11, 0x7fff, v11
	s_wait_loadcnt 0x13
	v_and_b32_e32 v14, 0x7fff, v14
	v_and_b32_e32 v13, 0x7fff, v13
	s_wait_alu 0xfffd
	v_cndmask_b32_e64 v4, 0, 1, vcc_lo
	v_cmp_ne_u16_e32 vcc_lo, 0, v3
	s_wait_loadcnt 0x11
	v_and_b32_e32 v16, 0x7fff, v16
	v_and_b32_e32 v15, 0x7fff, v15
	s_wait_loadcnt 0xf
	v_and_b32_e32 v18, 0x7fff, v18
	v_and_b32_e32 v17, 0x7fff, v17
	s_wait_alu 0xfffd
	v_add_co_ci_u32_e64 v2, null, 0, v2, vcc_lo
	v_cmp_ne_u16_e32 vcc_lo, 0, v6
	s_wait_loadcnt 0xd
	v_and_b32_e32 v20, 0x7fff, v20
	v_and_b32_e32 v19, 0x7fff, v19
	s_wait_loadcnt 0xb
	v_and_b32_e32 v22, 0x7fff, v22
	v_and_b32_e32 v21, 0x7fff, v21
	s_wait_alu 0xfffd
	v_cndmask_b32_e64 v3, 0, 1, vcc_lo
	v_cmp_ne_u16_e32 vcc_lo, 0, v5
	s_wait_loadcnt 0x9
	v_and_b32_e32 v24, 0x7fff, v24
	v_and_b32_e32 v23, 0x7fff, v23
	s_wait_loadcnt 0x7
	v_and_b32_e32 v26, 0x7fff, v26
	v_and_b32_e32 v25, 0x7fff, v25
	s_wait_alu 0xfffd
	v_add_co_ci_u32_e64 v2, null, v2, v4, vcc_lo
	v_cmp_ne_u16_e32 vcc_lo, 0, v8
	s_wait_loadcnt 0x5
	v_and_b32_e32 v28, 0x7fff, v28
	v_and_b32_e32 v27, 0x7fff, v27
	s_wait_loadcnt 0x3
	v_and_b32_e32 v30, 0x7fff, v30
	v_and_b32_e32 v29, 0x7fff, v29
	s_wait_alu 0xfffd
	v_cndmask_b32_e64 v4, 0, 1, vcc_lo
	v_cmp_ne_u16_e32 vcc_lo, 0, v7
	s_wait_loadcnt 0x1
	v_and_b32_e32 v32, 0x7fff, v32
	v_and_b32_e32 v31, 0x7fff, v31
	s_wait_loadcnt 0x0
	v_and_b32_e32 v1, 0x7fff, v1
	s_wait_alu 0xfffd
	v_add_co_ci_u32_e64 v2, null, v2, v3, vcc_lo
	v_cmp_ne_u16_e32 vcc_lo, 0, v10
	s_wait_alu 0xfffd
	v_cndmask_b32_e64 v3, 0, 1, vcc_lo
	v_cmp_ne_u16_e32 vcc_lo, 0, v9
	s_wait_alu 0xfffd
	v_add_co_ci_u32_e64 v2, null, v2, v4, vcc_lo
	v_cmp_ne_u16_e32 vcc_lo, 0, v12
	s_wait_alu 0xfffd
	v_cndmask_b32_e64 v4, 0, 1, vcc_lo
	v_cmp_ne_u16_e32 vcc_lo, 0, v11
	;; [unrolled: 6-line block ×12, first 2 shown]
	s_wait_alu 0xfffd
	v_add_co_ci_u32_e64 v2, null, v2, v3, vcc_lo
	v_cmp_ne_u16_e32 vcc_lo, 0, v1
	s_wait_alu 0xfffd
	s_delay_alu instid0(VALU_DEP_2) | instskip(NEXT) | instid1(VALU_DEP_1)
	v_add_co_ci_u32_e64 v1, null, v2, v4, vcc_lo
	v_mov_b32_dpp v2, v1 quad_perm:[1,0,3,2] row_mask:0xf bank_mask:0xf
	s_delay_alu instid0(VALU_DEP_1) | instskip(NEXT) | instid1(VALU_DEP_1)
	v_add_nc_u32_e32 v1, v1, v2
	v_mov_b32_dpp v2, v1 quad_perm:[2,3,0,1] row_mask:0xf bank_mask:0xf
	s_delay_alu instid0(VALU_DEP_1) | instskip(NEXT) | instid1(VALU_DEP_1)
	v_add_nc_u32_e32 v1, v1, v2
	v_mov_b32_dpp v2, v1 row_ror:4 row_mask:0xf bank_mask:0xf
	s_delay_alu instid0(VALU_DEP_1) | instskip(NEXT) | instid1(VALU_DEP_1)
	v_add_nc_u32_e32 v1, v1, v2
	v_mov_b32_dpp v2, v1 row_ror:8 row_mask:0xf bank_mask:0xf
	s_delay_alu instid0(VALU_DEP_1)
	v_add_nc_u32_e32 v1, v1, v2
	ds_swizzle_b32 v2, v1 offset:swizzle(BROADCAST,32,15)
	s_wait_dscnt 0x0
	v_dual_mov_b32 v2, 0 :: v_dual_add_nc_u32 v1, v1, v2
	ds_bpermute_b32 v1, v2, v1 offset:124
	v_mbcnt_lo_u32_b32 v2, -1, 0
	s_delay_alu instid0(VALU_DEP_1)
	v_cmpx_eq_u32_e32 0, v2
	s_cbranch_execz .LBB794_19
; %bb.18:
	v_lshrrev_b32_e32 v3, 3, v0
	s_delay_alu instid0(VALU_DEP_1)
	v_and_b32_e32 v3, 28, v3
	s_wait_dscnt 0x0
	ds_store_b32 v3, v1 offset:128
.LBB794_19:
	s_or_b32 exec_lo, exec_lo, s3
	s_delay_alu instid0(SALU_CYCLE_1)
	s_mov_b32 s3, exec_lo
	s_wait_dscnt 0x0
	s_barrier_signal -1
	s_barrier_wait -1
	global_inv scope:SCOPE_SE
	v_cmpx_gt_u32_e32 32, v0
	s_cbranch_execz .LBB794_21
; %bb.20:
	v_and_b32_e32 v1, 7, v2
	s_delay_alu instid0(VALU_DEP_1)
	v_lshlrev_b32_e32 v3, 2, v1
	v_cmp_ne_u32_e32 vcc_lo, 7, v1
	ds_load_b32 v3, v3 offset:128
	s_wait_alu 0xfffd
	v_add_co_ci_u32_e64 v4, null, 0, v2, vcc_lo
	v_cmp_gt_u32_e32 vcc_lo, 6, v1
	s_delay_alu instid0(VALU_DEP_2) | instskip(SKIP_2) | instid1(VALU_DEP_1)
	v_lshlrev_b32_e32 v4, 2, v4
	s_wait_alu 0xfffd
	v_cndmask_b32_e64 v1, 0, 2, vcc_lo
	v_add_lshl_u32 v1, v1, v2, 2
	v_lshlrev_b32_e32 v2, 2, v2
	s_delay_alu instid0(VALU_DEP_1)
	v_or_b32_e32 v2, 16, v2
	s_wait_dscnt 0x0
	ds_bpermute_b32 v4, v4, v3
	s_wait_dscnt 0x0
	v_add_nc_u32_e32 v3, v4, v3
	ds_bpermute_b32 v1, v1, v3
	s_wait_dscnt 0x0
	v_add_nc_u32_e32 v1, v1, v3
	;; [unrolled: 3-line block ×3, first 2 shown]
.LBB794_21:
	s_or_b32 exec_lo, exec_lo, s3
	s_mov_b32 s3, 0
	s_branch .LBB794_297
.LBB794_22:
	s_mov_b32 s6, -1
.LBB794_23:
	s_mov_b32 s2, 0
                                        ; implicit-def: $vgpr1
	s_and_b32 vcc_lo, exec_lo, s6
	s_cbranch_vccz .LBB794_11
.LBB794_24:
	s_cmp_eq_u32 s44, 64
	s_cbranch_scc0 .LBB794_33
; %bb.25:
	s_mov_b32 s35, 0
	s_lshl_b32 s4, s34, 14
	s_mov_b32 s5, s35
	s_lshr_b64 s[2:3], s[36:37], 14
	s_wait_alu 0xfffe
	s_lshl_b64 s[6:7], s[4:5], 1
	s_cmp_lg_u64 s[2:3], s[34:35]
	s_add_nc_u64 s[2:3], s[40:41], s[6:7]
	s_cbranch_scc0 .LBB794_376
; %bb.26:
	v_lshlrev_b32_e32 v1, 1, v0
	s_mov_b32 s5, exec_lo
	s_clause 0x1f
	global_load_u16 v2, v1, s[2:3]
	global_load_u16 v3, v1, s[2:3] offset:512
	global_load_u16 v4, v1, s[2:3] offset:1024
	global_load_u16 v5, v1, s[2:3] offset:1536
	global_load_u16 v6, v1, s[2:3] offset:2048
	global_load_u16 v7, v1, s[2:3] offset:2560
	global_load_u16 v8, v1, s[2:3] offset:3072
	global_load_u16 v9, v1, s[2:3] offset:3584
	global_load_u16 v10, v1, s[2:3] offset:4096
	global_load_u16 v11, v1, s[2:3] offset:4608
	global_load_u16 v12, v1, s[2:3] offset:5120
	global_load_u16 v13, v1, s[2:3] offset:5632
	global_load_u16 v14, v1, s[2:3] offset:6144
	global_load_u16 v15, v1, s[2:3] offset:6656
	global_load_u16 v16, v1, s[2:3] offset:7168
	global_load_u16 v17, v1, s[2:3] offset:7680
	global_load_u16 v18, v1, s[2:3] offset:8192
	global_load_u16 v19, v1, s[2:3] offset:8704
	global_load_u16 v20, v1, s[2:3] offset:9216
	global_load_u16 v21, v1, s[2:3] offset:9728
	global_load_u16 v22, v1, s[2:3] offset:10240
	global_load_u16 v23, v1, s[2:3] offset:10752
	global_load_u16 v24, v1, s[2:3] offset:11264
	global_load_u16 v25, v1, s[2:3] offset:11776
	global_load_u16 v26, v1, s[2:3] offset:12288
	global_load_u16 v27, v1, s[2:3] offset:12800
	global_load_u16 v28, v1, s[2:3] offset:13312
	global_load_u16 v29, v1, s[2:3] offset:13824
	global_load_u16 v30, v1, s[2:3] offset:14336
	global_load_u16 v31, v1, s[2:3] offset:14848
	global_load_u16 v32, v1, s[2:3] offset:15360
	global_load_u16 v33, v1, s[2:3] offset:15872
	s_clause 0x1f
	global_load_u16 v34, v1, s[2:3] offset:16384
	global_load_u16 v35, v1, s[2:3] offset:16896
	;; [unrolled: 1-line block ×32, first 2 shown]
	s_wait_loadcnt 0x3e
	v_and_b32_e32 v2, 0x7fff, v2
	v_and_b32_e32 v3, 0x7fff, v3
	s_wait_loadcnt 0x3d
	v_and_b32_e32 v4, 0x7fff, v4
	s_wait_loadcnt 0x3c
	;; [unrolled: 2-line block ×3, first 2 shown]
	v_and_b32_e32 v6, 0x7fff, v6
	v_cmp_ne_u16_e32 vcc_lo, 0, v2
	s_wait_loadcnt 0x39
	v_and_b32_e32 v8, 0x7fff, v8
	v_and_b32_e32 v7, 0x7fff, v7
	s_wait_loadcnt 0x37
	v_and_b32_e32 v10, 0x7fff, v10
	v_and_b32_e32 v9, 0x7fff, v9
	s_wait_alu 0xfffd
	v_cndmask_b32_e64 v2, 0, 1, vcc_lo
	v_cmp_ne_u16_e32 vcc_lo, 0, v4
	s_wait_loadcnt 0x35
	v_and_b32_e32 v12, 0x7fff, v12
	v_and_b32_e32 v11, 0x7fff, v11
	s_wait_loadcnt 0x33
	v_and_b32_e32 v14, 0x7fff, v14
	v_and_b32_e32 v13, 0x7fff, v13
	s_wait_alu 0xfffd
	v_cndmask_b32_e64 v4, 0, 1, vcc_lo
	v_cmp_ne_u16_e32 vcc_lo, 0, v3
	s_wait_loadcnt 0x31
	v_and_b32_e32 v16, 0x7fff, v16
	v_and_b32_e32 v15, 0x7fff, v15
	s_wait_loadcnt 0x2f
	v_and_b32_e32 v18, 0x7fff, v18
	v_and_b32_e32 v17, 0x7fff, v17
	s_wait_alu 0xfffd
	v_add_co_ci_u32_e64 v2, null, 0, v2, vcc_lo
	v_cmp_ne_u16_e32 vcc_lo, 0, v6
	s_wait_loadcnt 0x2d
	v_and_b32_e32 v20, 0x7fff, v20
	v_and_b32_e32 v19, 0x7fff, v19
	s_wait_loadcnt 0x2b
	v_and_b32_e32 v22, 0x7fff, v22
	v_and_b32_e32 v21, 0x7fff, v21
	s_wait_alu 0xfffd
	v_cndmask_b32_e64 v3, 0, 1, vcc_lo
	v_cmp_ne_u16_e32 vcc_lo, 0, v5
	s_wait_loadcnt 0x29
	v_and_b32_e32 v24, 0x7fff, v24
	v_and_b32_e32 v23, 0x7fff, v23
	s_wait_loadcnt 0x27
	v_and_b32_e32 v26, 0x7fff, v26
	v_and_b32_e32 v25, 0x7fff, v25
	s_wait_alu 0xfffd
	v_add_co_ci_u32_e64 v2, null, v2, v4, vcc_lo
	;; [unrolled: 18-line block ×6, first 2 shown]
	v_cmp_ne_u16_e32 vcc_lo, 0, v16
	s_wait_loadcnt 0x5
	v_and_b32_e32 v60, 0x7fff, v60
	v_and_b32_e32 v59, 0x7fff, v59
	s_wait_loadcnt 0x3
	v_and_b32_e32 v62, 0x7fff, v62
	v_and_b32_e32 v61, 0x7fff, v61
	s_wait_alu 0xfffd
	v_cndmask_b32_e64 v4, 0, 1, vcc_lo
	v_cmp_ne_u16_e32 vcc_lo, 0, v15
	s_wait_loadcnt 0x1
	v_and_b32_e32 v64, 0x7fff, v64
	v_and_b32_e32 v63, 0x7fff, v63
	s_wait_loadcnt 0x0
	v_and_b32_e32 v1, 0x7fff, v1
	s_wait_alu 0xfffd
	v_add_co_ci_u32_e64 v2, null, v2, v3, vcc_lo
	v_cmp_ne_u16_e32 vcc_lo, 0, v18
	s_wait_alu 0xfffd
	v_cndmask_b32_e64 v3, 0, 1, vcc_lo
	v_cmp_ne_u16_e32 vcc_lo, 0, v17
	s_wait_alu 0xfffd
	v_add_co_ci_u32_e64 v2, null, v2, v4, vcc_lo
	v_cmp_ne_u16_e32 vcc_lo, 0, v20
	s_wait_alu 0xfffd
	v_cndmask_b32_e64 v4, 0, 1, vcc_lo
	v_cmp_ne_u16_e32 vcc_lo, 0, v19
	;; [unrolled: 6-line block ×24, first 2 shown]
	s_wait_alu 0xfffd
	v_add_co_ci_u32_e64 v2, null, v2, v3, vcc_lo
	v_cmp_ne_u16_e32 vcc_lo, 0, v1
	s_wait_alu 0xfffd
	s_delay_alu instid0(VALU_DEP_2) | instskip(NEXT) | instid1(VALU_DEP_1)
	v_add_co_ci_u32_e64 v1, null, v2, v4, vcc_lo
	v_mov_b32_dpp v2, v1 quad_perm:[1,0,3,2] row_mask:0xf bank_mask:0xf
	s_delay_alu instid0(VALU_DEP_1) | instskip(NEXT) | instid1(VALU_DEP_1)
	v_add_nc_u32_e32 v1, v1, v2
	v_mov_b32_dpp v2, v1 quad_perm:[2,3,0,1] row_mask:0xf bank_mask:0xf
	s_delay_alu instid0(VALU_DEP_1) | instskip(NEXT) | instid1(VALU_DEP_1)
	v_add_nc_u32_e32 v1, v1, v2
	v_mov_b32_dpp v2, v1 row_ror:4 row_mask:0xf bank_mask:0xf
	s_delay_alu instid0(VALU_DEP_1) | instskip(NEXT) | instid1(VALU_DEP_1)
	v_add_nc_u32_e32 v1, v1, v2
	v_mov_b32_dpp v2, v1 row_ror:8 row_mask:0xf bank_mask:0xf
	s_delay_alu instid0(VALU_DEP_1)
	v_add_nc_u32_e32 v1, v1, v2
	ds_swizzle_b32 v2, v1 offset:swizzle(BROADCAST,32,15)
	s_wait_dscnt 0x0
	v_dual_mov_b32 v2, 0 :: v_dual_add_nc_u32 v1, v1, v2
	ds_bpermute_b32 v1, v2, v1 offset:124
	v_mbcnt_lo_u32_b32 v2, -1, 0
	s_delay_alu instid0(VALU_DEP_1)
	v_cmpx_eq_u32_e32 0, v2
	s_cbranch_execz .LBB794_28
; %bb.27:
	v_lshrrev_b32_e32 v3, 3, v0
	s_delay_alu instid0(VALU_DEP_1)
	v_and_b32_e32 v3, 28, v3
	s_wait_dscnt 0x0
	ds_store_b32 v3, v1 offset:192
.LBB794_28:
	s_wait_alu 0xfffe
	s_or_b32 exec_lo, exec_lo, s5
	s_delay_alu instid0(SALU_CYCLE_1)
	s_mov_b32 s5, exec_lo
	s_wait_dscnt 0x0
	s_barrier_signal -1
	s_barrier_wait -1
	global_inv scope:SCOPE_SE
	v_cmpx_gt_u32_e32 32, v0
	s_cbranch_execz .LBB794_30
; %bb.29:
	v_and_b32_e32 v1, 7, v2
	s_delay_alu instid0(VALU_DEP_1)
	v_lshlrev_b32_e32 v3, 2, v1
	v_cmp_ne_u32_e32 vcc_lo, 7, v1
	ds_load_b32 v3, v3 offset:192
	s_wait_alu 0xfffd
	v_add_co_ci_u32_e64 v4, null, 0, v2, vcc_lo
	v_cmp_gt_u32_e32 vcc_lo, 6, v1
	s_delay_alu instid0(VALU_DEP_2) | instskip(SKIP_2) | instid1(VALU_DEP_1)
	v_lshlrev_b32_e32 v4, 2, v4
	s_wait_alu 0xfffd
	v_cndmask_b32_e64 v1, 0, 2, vcc_lo
	v_add_lshl_u32 v1, v1, v2, 2
	v_lshlrev_b32_e32 v2, 2, v2
	s_delay_alu instid0(VALU_DEP_1)
	v_or_b32_e32 v2, 16, v2
	s_wait_dscnt 0x0
	ds_bpermute_b32 v4, v4, v3
	s_wait_dscnt 0x0
	v_add_nc_u32_e32 v3, v4, v3
	ds_bpermute_b32 v1, v1, v3
	s_wait_dscnt 0x0
	v_add_nc_u32_e32 v1, v1, v3
	;; [unrolled: 3-line block ×3, first 2 shown]
.LBB794_30:
	s_wait_alu 0xfffe
	s_or_b32 exec_lo, exec_lo, s5
	s_mov_b32 s5, 0
	s_branch .LBB794_377
.LBB794_31:
                                        ; implicit-def: $vgpr1
	s_cbranch_execz .LBB794_512
	s_branch .LBB794_368
.LBB794_32:
                                        ; implicit-def: $vgpr1
	s_branch .LBB794_512
.LBB794_33:
                                        ; implicit-def: $vgpr1
	s_branch .LBB794_512
.LBB794_34:
                                        ; implicit-def: $vgpr1
	s_cbranch_execz .LBB794_10
; %bb.35:
	s_sub_co_i32 s4, s36, s4
	s_mov_b32 s5, exec_lo
                                        ; implicit-def: $vgpr1
	v_cmpx_gt_u32_e64 s4, v0
	s_cbranch_execz .LBB794_37
; %bb.36:
	v_lshlrev_b32_e32 v1, 1, v0
	global_load_u16 v1, v1, s[2:3]
	s_wait_loadcnt 0x0
	v_and_b32_e32 v1, 0x7fff, v1
	s_delay_alu instid0(VALU_DEP_1)
	v_cmp_ne_u16_e32 vcc_lo, 0, v1
	v_cndmask_b32_e64 v1, 0, 1, vcc_lo
.LBB794_37:
	s_or_b32 exec_lo, exec_lo, s5
	v_or_b32_e32 v3, 0x100, v0
	v_mov_b32_e32 v2, 0
	s_delay_alu instid0(VALU_DEP_2)
	v_cmp_gt_u32_e32 vcc_lo, s4, v3
	v_mov_b32_e32 v3, 0
	s_and_saveexec_b32 s5, vcc_lo
	s_cbranch_execz .LBB794_39
; %bb.38:
	v_lshlrev_b32_e32 v3, 1, v0
	global_load_u16 v3, v3, s[2:3] offset:512
	s_wait_loadcnt 0x0
	v_and_b32_e32 v3, 0x7fff, v3
	s_delay_alu instid0(VALU_DEP_1)
	v_cmp_ne_u16_e32 vcc_lo, 0, v3
	s_wait_alu 0xfffd
	v_cndmask_b32_e64 v3, 0, 1, vcc_lo
.LBB794_39:
	s_wait_alu 0xfffe
	s_or_b32 exec_lo, exec_lo, s5
	v_or_b32_e32 v4, 0x200, v0
	s_mov_b32 s5, exec_lo
	s_delay_alu instid0(VALU_DEP_1)
	v_cmpx_gt_u32_e64 s4, v4
	s_cbranch_execz .LBB794_41
; %bb.40:
	v_lshlrev_b32_e32 v2, 1, v0
	global_load_u16 v2, v2, s[2:3] offset:1024
	s_wait_loadcnt 0x0
	v_and_b32_e32 v2, 0x7fff, v2
	s_delay_alu instid0(VALU_DEP_1)
	v_cmp_ne_u16_e32 vcc_lo, 0, v2
	s_wait_alu 0xfffd
	v_cndmask_b32_e64 v2, 0, 1, vcc_lo
.LBB794_41:
	s_wait_alu 0xfffe
	s_or_b32 exec_lo, exec_lo, s5
	v_or_b32_e32 v5, 0x300, v0
	v_mov_b32_e32 v4, 0
	s_delay_alu instid0(VALU_DEP_2)
	v_cmp_gt_u32_e32 vcc_lo, s4, v5
	v_mov_b32_e32 v5, 0
	s_and_saveexec_b32 s5, vcc_lo
	s_cbranch_execz .LBB794_43
; %bb.42:
	v_lshlrev_b32_e32 v5, 1, v0
	global_load_u16 v5, v5, s[2:3] offset:1536
	s_wait_loadcnt 0x0
	v_and_b32_e32 v5, 0x7fff, v5
	s_delay_alu instid0(VALU_DEP_1)
	v_cmp_ne_u16_e32 vcc_lo, 0, v5
	s_wait_alu 0xfffd
	v_cndmask_b32_e64 v5, 0, 1, vcc_lo
.LBB794_43:
	s_wait_alu 0xfffe
	s_or_b32 exec_lo, exec_lo, s5
	v_or_b32_e32 v6, 0x400, v0
	s_mov_b32 s5, exec_lo
	s_delay_alu instid0(VALU_DEP_1)
	v_cmpx_gt_u32_e64 s4, v6
	s_cbranch_execz .LBB794_45
; %bb.44:
	v_lshlrev_b32_e32 v4, 1, v0
	global_load_u16 v4, v4, s[2:3] offset:2048
	s_wait_loadcnt 0x0
	v_and_b32_e32 v4, 0x7fff, v4
	s_delay_alu instid0(VALU_DEP_1)
	v_cmp_ne_u16_e32 vcc_lo, 0, v4
	s_wait_alu 0xfffd
	v_cndmask_b32_e64 v4, 0, 1, vcc_lo
.LBB794_45:
	s_wait_alu 0xfffe
	s_or_b32 exec_lo, exec_lo, s5
	v_or_b32_e32 v7, 0x500, v0
	v_mov_b32_e32 v6, 0
	s_delay_alu instid0(VALU_DEP_2)
	v_cmp_gt_u32_e32 vcc_lo, s4, v7
	v_mov_b32_e32 v7, 0
	s_and_saveexec_b32 s5, vcc_lo
	s_cbranch_execz .LBB794_47
; %bb.46:
	v_lshlrev_b32_e32 v7, 1, v0
	global_load_u16 v7, v7, s[2:3] offset:2560
	s_wait_loadcnt 0x0
	v_and_b32_e32 v7, 0x7fff, v7
	s_delay_alu instid0(VALU_DEP_1)
	v_cmp_ne_u16_e32 vcc_lo, 0, v7
	s_wait_alu 0xfffd
	v_cndmask_b32_e64 v7, 0, 1, vcc_lo
.LBB794_47:
	s_wait_alu 0xfffe
	s_or_b32 exec_lo, exec_lo, s5
	v_or_b32_e32 v8, 0x600, v0
	s_mov_b32 s5, exec_lo
	s_delay_alu instid0(VALU_DEP_1)
	v_cmpx_gt_u32_e64 s4, v8
	s_cbranch_execz .LBB794_49
; %bb.48:
	v_lshlrev_b32_e32 v6, 1, v0
	global_load_u16 v6, v6, s[2:3] offset:3072
	s_wait_loadcnt 0x0
	v_and_b32_e32 v6, 0x7fff, v6
	s_delay_alu instid0(VALU_DEP_1)
	v_cmp_ne_u16_e32 vcc_lo, 0, v6
	s_wait_alu 0xfffd
	v_cndmask_b32_e64 v6, 0, 1, vcc_lo
.LBB794_49:
	s_wait_alu 0xfffe
	s_or_b32 exec_lo, exec_lo, s5
	v_or_b32_e32 v9, 0x700, v0
	v_mov_b32_e32 v8, 0
	s_delay_alu instid0(VALU_DEP_2)
	v_cmp_gt_u32_e32 vcc_lo, s4, v9
	v_mov_b32_e32 v9, 0
	s_and_saveexec_b32 s5, vcc_lo
	s_cbranch_execz .LBB794_51
; %bb.50:
	v_lshlrev_b32_e32 v9, 1, v0
	global_load_u16 v9, v9, s[2:3] offset:3584
	s_wait_loadcnt 0x0
	v_and_b32_e32 v9, 0x7fff, v9
	s_delay_alu instid0(VALU_DEP_1)
	v_cmp_ne_u16_e32 vcc_lo, 0, v9
	s_wait_alu 0xfffd
	v_cndmask_b32_e64 v9, 0, 1, vcc_lo
.LBB794_51:
	s_wait_alu 0xfffe
	s_or_b32 exec_lo, exec_lo, s5
	v_or_b32_e32 v10, 0x800, v0
	s_mov_b32 s5, exec_lo
	s_delay_alu instid0(VALU_DEP_1)
	v_cmpx_gt_u32_e64 s4, v10
	s_cbranch_execz .LBB794_53
; %bb.52:
	v_lshlrev_b32_e32 v8, 1, v0
	global_load_u16 v8, v8, s[2:3] offset:4096
	s_wait_loadcnt 0x0
	v_and_b32_e32 v8, 0x7fff, v8
	s_delay_alu instid0(VALU_DEP_1)
	v_cmp_ne_u16_e32 vcc_lo, 0, v8
	s_wait_alu 0xfffd
	v_cndmask_b32_e64 v8, 0, 1, vcc_lo
.LBB794_53:
	s_wait_alu 0xfffe
	s_or_b32 exec_lo, exec_lo, s5
	v_or_b32_e32 v11, 0x900, v0
	v_mov_b32_e32 v10, 0
	s_delay_alu instid0(VALU_DEP_2)
	v_cmp_gt_u32_e32 vcc_lo, s4, v11
	v_mov_b32_e32 v11, 0
	s_and_saveexec_b32 s5, vcc_lo
	s_cbranch_execz .LBB794_55
; %bb.54:
	v_lshlrev_b32_e32 v11, 1, v0
	global_load_u16 v11, v11, s[2:3] offset:4608
	s_wait_loadcnt 0x0
	v_and_b32_e32 v11, 0x7fff, v11
	s_delay_alu instid0(VALU_DEP_1)
	v_cmp_ne_u16_e32 vcc_lo, 0, v11
	s_wait_alu 0xfffd
	v_cndmask_b32_e64 v11, 0, 1, vcc_lo
.LBB794_55:
	s_wait_alu 0xfffe
	s_or_b32 exec_lo, exec_lo, s5
	v_or_b32_e32 v12, 0xa00, v0
	s_mov_b32 s5, exec_lo
	s_delay_alu instid0(VALU_DEP_1)
	v_cmpx_gt_u32_e64 s4, v12
	s_cbranch_execz .LBB794_57
; %bb.56:
	v_lshlrev_b32_e32 v10, 1, v0
	global_load_u16 v10, v10, s[2:3] offset:5120
	s_wait_loadcnt 0x0
	v_and_b32_e32 v10, 0x7fff, v10
	s_delay_alu instid0(VALU_DEP_1)
	v_cmp_ne_u16_e32 vcc_lo, 0, v10
	s_wait_alu 0xfffd
	v_cndmask_b32_e64 v10, 0, 1, vcc_lo
.LBB794_57:
	s_wait_alu 0xfffe
	s_or_b32 exec_lo, exec_lo, s5
	v_or_b32_e32 v13, 0xb00, v0
	v_mov_b32_e32 v12, 0
	s_delay_alu instid0(VALU_DEP_2)
	v_cmp_gt_u32_e32 vcc_lo, s4, v13
	v_mov_b32_e32 v13, 0
	s_and_saveexec_b32 s5, vcc_lo
	s_cbranch_execz .LBB794_59
; %bb.58:
	v_lshlrev_b32_e32 v13, 1, v0
	global_load_u16 v13, v13, s[2:3] offset:5632
	s_wait_loadcnt 0x0
	v_and_b32_e32 v13, 0x7fff, v13
	s_delay_alu instid0(VALU_DEP_1)
	v_cmp_ne_u16_e32 vcc_lo, 0, v13
	s_wait_alu 0xfffd
	v_cndmask_b32_e64 v13, 0, 1, vcc_lo
.LBB794_59:
	s_wait_alu 0xfffe
	s_or_b32 exec_lo, exec_lo, s5
	v_or_b32_e32 v14, 0xc00, v0
	s_mov_b32 s5, exec_lo
	s_delay_alu instid0(VALU_DEP_1)
	v_cmpx_gt_u32_e64 s4, v14
	s_cbranch_execz .LBB794_61
; %bb.60:
	v_lshlrev_b32_e32 v12, 1, v0
	global_load_u16 v12, v12, s[2:3] offset:6144
	s_wait_loadcnt 0x0
	v_and_b32_e32 v12, 0x7fff, v12
	s_delay_alu instid0(VALU_DEP_1)
	v_cmp_ne_u16_e32 vcc_lo, 0, v12
	s_wait_alu 0xfffd
	v_cndmask_b32_e64 v12, 0, 1, vcc_lo
.LBB794_61:
	s_wait_alu 0xfffe
	s_or_b32 exec_lo, exec_lo, s5
	v_or_b32_e32 v15, 0xd00, v0
	v_mov_b32_e32 v14, 0
	s_delay_alu instid0(VALU_DEP_2)
	v_cmp_gt_u32_e32 vcc_lo, s4, v15
	v_mov_b32_e32 v15, 0
	s_and_saveexec_b32 s5, vcc_lo
	s_cbranch_execz .LBB794_63
; %bb.62:
	v_lshlrev_b32_e32 v15, 1, v0
	global_load_u16 v15, v15, s[2:3] offset:6656
	s_wait_loadcnt 0x0
	v_and_b32_e32 v15, 0x7fff, v15
	s_delay_alu instid0(VALU_DEP_1)
	v_cmp_ne_u16_e32 vcc_lo, 0, v15
	s_wait_alu 0xfffd
	v_cndmask_b32_e64 v15, 0, 1, vcc_lo
.LBB794_63:
	s_wait_alu 0xfffe
	s_or_b32 exec_lo, exec_lo, s5
	v_or_b32_e32 v16, 0xe00, v0
	s_mov_b32 s5, exec_lo
	s_delay_alu instid0(VALU_DEP_1)
	v_cmpx_gt_u32_e64 s4, v16
	s_cbranch_execz .LBB794_65
; %bb.64:
	v_lshlrev_b32_e32 v14, 1, v0
	global_load_u16 v14, v14, s[2:3] offset:7168
	s_wait_loadcnt 0x0
	v_and_b32_e32 v14, 0x7fff, v14
	s_delay_alu instid0(VALU_DEP_1)
	v_cmp_ne_u16_e32 vcc_lo, 0, v14
	s_wait_alu 0xfffd
	v_cndmask_b32_e64 v14, 0, 1, vcc_lo
.LBB794_65:
	s_wait_alu 0xfffe
	s_or_b32 exec_lo, exec_lo, s5
	v_or_b32_e32 v17, 0xf00, v0
	v_mov_b32_e32 v16, 0
	s_delay_alu instid0(VALU_DEP_2)
	v_cmp_gt_u32_e32 vcc_lo, s4, v17
	v_mov_b32_e32 v17, 0
	s_and_saveexec_b32 s5, vcc_lo
	s_cbranch_execz .LBB794_67
; %bb.66:
	v_lshlrev_b32_e32 v17, 1, v0
	global_load_u16 v17, v17, s[2:3] offset:7680
	s_wait_loadcnt 0x0
	v_and_b32_e32 v17, 0x7fff, v17
	s_delay_alu instid0(VALU_DEP_1)
	v_cmp_ne_u16_e32 vcc_lo, 0, v17
	s_wait_alu 0xfffd
	v_cndmask_b32_e64 v17, 0, 1, vcc_lo
.LBB794_67:
	s_wait_alu 0xfffe
	s_or_b32 exec_lo, exec_lo, s5
	v_or_b32_e32 v18, 0x1000, v0
	s_mov_b32 s5, exec_lo
	s_delay_alu instid0(VALU_DEP_1)
	v_cmpx_gt_u32_e64 s4, v18
	s_cbranch_execz .LBB794_69
; %bb.68:
	v_lshlrev_b32_e32 v16, 1, v0
	global_load_u16 v16, v16, s[2:3] offset:8192
	s_wait_loadcnt 0x0
	v_and_b32_e32 v16, 0x7fff, v16
	s_delay_alu instid0(VALU_DEP_1)
	v_cmp_ne_u16_e32 vcc_lo, 0, v16
	s_wait_alu 0xfffd
	v_cndmask_b32_e64 v16, 0, 1, vcc_lo
.LBB794_69:
	s_wait_alu 0xfffe
	s_or_b32 exec_lo, exec_lo, s5
	v_or_b32_e32 v19, 0x1100, v0
	v_mov_b32_e32 v18, 0
	s_delay_alu instid0(VALU_DEP_2)
	v_cmp_gt_u32_e32 vcc_lo, s4, v19
	v_mov_b32_e32 v19, 0
	s_and_saveexec_b32 s5, vcc_lo
	s_cbranch_execz .LBB794_71
; %bb.70:
	v_lshlrev_b32_e32 v19, 1, v0
	global_load_u16 v19, v19, s[2:3] offset:8704
	s_wait_loadcnt 0x0
	v_and_b32_e32 v19, 0x7fff, v19
	s_delay_alu instid0(VALU_DEP_1)
	v_cmp_ne_u16_e32 vcc_lo, 0, v19
	s_wait_alu 0xfffd
	v_cndmask_b32_e64 v19, 0, 1, vcc_lo
.LBB794_71:
	s_wait_alu 0xfffe
	s_or_b32 exec_lo, exec_lo, s5
	v_or_b32_e32 v20, 0x1200, v0
	s_mov_b32 s5, exec_lo
	s_delay_alu instid0(VALU_DEP_1)
	v_cmpx_gt_u32_e64 s4, v20
	s_cbranch_execz .LBB794_73
; %bb.72:
	v_lshlrev_b32_e32 v18, 1, v0
	global_load_u16 v18, v18, s[2:3] offset:9216
	s_wait_loadcnt 0x0
	v_and_b32_e32 v18, 0x7fff, v18
	s_delay_alu instid0(VALU_DEP_1)
	v_cmp_ne_u16_e32 vcc_lo, 0, v18
	s_wait_alu 0xfffd
	v_cndmask_b32_e64 v18, 0, 1, vcc_lo
.LBB794_73:
	s_wait_alu 0xfffe
	s_or_b32 exec_lo, exec_lo, s5
	v_or_b32_e32 v21, 0x1300, v0
	v_mov_b32_e32 v20, 0
	s_delay_alu instid0(VALU_DEP_2)
	v_cmp_gt_u32_e32 vcc_lo, s4, v21
	v_mov_b32_e32 v21, 0
	s_and_saveexec_b32 s5, vcc_lo
	s_cbranch_execz .LBB794_75
; %bb.74:
	v_lshlrev_b32_e32 v21, 1, v0
	global_load_u16 v21, v21, s[2:3] offset:9728
	s_wait_loadcnt 0x0
	v_and_b32_e32 v21, 0x7fff, v21
	s_delay_alu instid0(VALU_DEP_1)
	v_cmp_ne_u16_e32 vcc_lo, 0, v21
	s_wait_alu 0xfffd
	v_cndmask_b32_e64 v21, 0, 1, vcc_lo
.LBB794_75:
	s_wait_alu 0xfffe
	s_or_b32 exec_lo, exec_lo, s5
	v_or_b32_e32 v22, 0x1400, v0
	s_mov_b32 s5, exec_lo
	s_delay_alu instid0(VALU_DEP_1)
	v_cmpx_gt_u32_e64 s4, v22
	s_cbranch_execz .LBB794_77
; %bb.76:
	v_lshlrev_b32_e32 v20, 1, v0
	global_load_u16 v20, v20, s[2:3] offset:10240
	s_wait_loadcnt 0x0
	v_and_b32_e32 v20, 0x7fff, v20
	s_delay_alu instid0(VALU_DEP_1)
	v_cmp_ne_u16_e32 vcc_lo, 0, v20
	s_wait_alu 0xfffd
	v_cndmask_b32_e64 v20, 0, 1, vcc_lo
.LBB794_77:
	s_wait_alu 0xfffe
	s_or_b32 exec_lo, exec_lo, s5
	v_or_b32_e32 v23, 0x1500, v0
	v_mov_b32_e32 v22, 0
	s_delay_alu instid0(VALU_DEP_2)
	v_cmp_gt_u32_e32 vcc_lo, s4, v23
	v_mov_b32_e32 v23, 0
	s_and_saveexec_b32 s5, vcc_lo
	s_cbranch_execz .LBB794_79
; %bb.78:
	v_lshlrev_b32_e32 v23, 1, v0
	global_load_u16 v23, v23, s[2:3] offset:10752
	s_wait_loadcnt 0x0
	v_and_b32_e32 v23, 0x7fff, v23
	s_delay_alu instid0(VALU_DEP_1)
	v_cmp_ne_u16_e32 vcc_lo, 0, v23
	s_wait_alu 0xfffd
	v_cndmask_b32_e64 v23, 0, 1, vcc_lo
.LBB794_79:
	s_wait_alu 0xfffe
	s_or_b32 exec_lo, exec_lo, s5
	v_or_b32_e32 v24, 0x1600, v0
	s_mov_b32 s5, exec_lo
	s_delay_alu instid0(VALU_DEP_1)
	v_cmpx_gt_u32_e64 s4, v24
	s_cbranch_execz .LBB794_81
; %bb.80:
	v_lshlrev_b32_e32 v22, 1, v0
	global_load_u16 v22, v22, s[2:3] offset:11264
	s_wait_loadcnt 0x0
	v_and_b32_e32 v22, 0x7fff, v22
	s_delay_alu instid0(VALU_DEP_1)
	v_cmp_ne_u16_e32 vcc_lo, 0, v22
	s_wait_alu 0xfffd
	v_cndmask_b32_e64 v22, 0, 1, vcc_lo
.LBB794_81:
	s_wait_alu 0xfffe
	s_or_b32 exec_lo, exec_lo, s5
	v_or_b32_e32 v25, 0x1700, v0
	v_mov_b32_e32 v24, 0
	s_delay_alu instid0(VALU_DEP_2)
	v_cmp_gt_u32_e32 vcc_lo, s4, v25
	v_mov_b32_e32 v25, 0
	s_and_saveexec_b32 s5, vcc_lo
	s_cbranch_execz .LBB794_83
; %bb.82:
	v_lshlrev_b32_e32 v25, 1, v0
	global_load_u16 v25, v25, s[2:3] offset:11776
	s_wait_loadcnt 0x0
	v_and_b32_e32 v25, 0x7fff, v25
	s_delay_alu instid0(VALU_DEP_1)
	v_cmp_ne_u16_e32 vcc_lo, 0, v25
	s_wait_alu 0xfffd
	v_cndmask_b32_e64 v25, 0, 1, vcc_lo
.LBB794_83:
	s_wait_alu 0xfffe
	s_or_b32 exec_lo, exec_lo, s5
	v_or_b32_e32 v26, 0x1800, v0
	s_mov_b32 s5, exec_lo
	s_delay_alu instid0(VALU_DEP_1)
	v_cmpx_gt_u32_e64 s4, v26
	s_cbranch_execz .LBB794_85
; %bb.84:
	v_lshlrev_b32_e32 v24, 1, v0
	global_load_u16 v24, v24, s[2:3] offset:12288
	s_wait_loadcnt 0x0
	v_and_b32_e32 v24, 0x7fff, v24
	s_delay_alu instid0(VALU_DEP_1)
	v_cmp_ne_u16_e32 vcc_lo, 0, v24
	s_wait_alu 0xfffd
	v_cndmask_b32_e64 v24, 0, 1, vcc_lo
.LBB794_85:
	s_wait_alu 0xfffe
	s_or_b32 exec_lo, exec_lo, s5
	v_or_b32_e32 v27, 0x1900, v0
	v_mov_b32_e32 v26, 0
	s_delay_alu instid0(VALU_DEP_2)
	v_cmp_gt_u32_e32 vcc_lo, s4, v27
	v_mov_b32_e32 v27, 0
	s_and_saveexec_b32 s5, vcc_lo
	s_cbranch_execz .LBB794_87
; %bb.86:
	v_lshlrev_b32_e32 v27, 1, v0
	global_load_u16 v27, v27, s[2:3] offset:12800
	s_wait_loadcnt 0x0
	v_and_b32_e32 v27, 0x7fff, v27
	s_delay_alu instid0(VALU_DEP_1)
	v_cmp_ne_u16_e32 vcc_lo, 0, v27
	s_wait_alu 0xfffd
	v_cndmask_b32_e64 v27, 0, 1, vcc_lo
.LBB794_87:
	s_wait_alu 0xfffe
	s_or_b32 exec_lo, exec_lo, s5
	v_or_b32_e32 v28, 0x1a00, v0
	s_mov_b32 s5, exec_lo
	s_delay_alu instid0(VALU_DEP_1)
	v_cmpx_gt_u32_e64 s4, v28
	s_cbranch_execz .LBB794_89
; %bb.88:
	v_lshlrev_b32_e32 v26, 1, v0
	global_load_u16 v26, v26, s[2:3] offset:13312
	s_wait_loadcnt 0x0
	v_and_b32_e32 v26, 0x7fff, v26
	s_delay_alu instid0(VALU_DEP_1)
	v_cmp_ne_u16_e32 vcc_lo, 0, v26
	s_wait_alu 0xfffd
	v_cndmask_b32_e64 v26, 0, 1, vcc_lo
.LBB794_89:
	s_wait_alu 0xfffe
	s_or_b32 exec_lo, exec_lo, s5
	v_or_b32_e32 v29, 0x1b00, v0
	v_mov_b32_e32 v28, 0
	s_delay_alu instid0(VALU_DEP_2)
	v_cmp_gt_u32_e32 vcc_lo, s4, v29
	v_mov_b32_e32 v29, 0
	s_and_saveexec_b32 s5, vcc_lo
	s_cbranch_execz .LBB794_91
; %bb.90:
	v_lshlrev_b32_e32 v29, 1, v0
	global_load_u16 v29, v29, s[2:3] offset:13824
	s_wait_loadcnt 0x0
	v_and_b32_e32 v29, 0x7fff, v29
	s_delay_alu instid0(VALU_DEP_1)
	v_cmp_ne_u16_e32 vcc_lo, 0, v29
	s_wait_alu 0xfffd
	v_cndmask_b32_e64 v29, 0, 1, vcc_lo
.LBB794_91:
	s_wait_alu 0xfffe
	s_or_b32 exec_lo, exec_lo, s5
	v_or_b32_e32 v30, 0x1c00, v0
	s_mov_b32 s5, exec_lo
	s_delay_alu instid0(VALU_DEP_1)
	v_cmpx_gt_u32_e64 s4, v30
	s_cbranch_execz .LBB794_93
; %bb.92:
	v_lshlrev_b32_e32 v28, 1, v0
	global_load_u16 v28, v28, s[2:3] offset:14336
	s_wait_loadcnt 0x0
	v_and_b32_e32 v28, 0x7fff, v28
	s_delay_alu instid0(VALU_DEP_1)
	v_cmp_ne_u16_e32 vcc_lo, 0, v28
	s_wait_alu 0xfffd
	v_cndmask_b32_e64 v28, 0, 1, vcc_lo
.LBB794_93:
	s_wait_alu 0xfffe
	s_or_b32 exec_lo, exec_lo, s5
	v_or_b32_e32 v31, 0x1d00, v0
	v_mov_b32_e32 v30, 0
	s_delay_alu instid0(VALU_DEP_2)
	v_cmp_gt_u32_e32 vcc_lo, s4, v31
	v_mov_b32_e32 v31, 0
	s_and_saveexec_b32 s5, vcc_lo
	s_cbranch_execz .LBB794_95
; %bb.94:
	v_lshlrev_b32_e32 v31, 1, v0
	global_load_u16 v31, v31, s[2:3] offset:14848
	s_wait_loadcnt 0x0
	v_and_b32_e32 v31, 0x7fff, v31
	s_delay_alu instid0(VALU_DEP_1)
	v_cmp_ne_u16_e32 vcc_lo, 0, v31
	s_wait_alu 0xfffd
	v_cndmask_b32_e64 v31, 0, 1, vcc_lo
.LBB794_95:
	s_wait_alu 0xfffe
	s_or_b32 exec_lo, exec_lo, s5
	v_or_b32_e32 v32, 0x1e00, v0
	s_mov_b32 s5, exec_lo
	s_delay_alu instid0(VALU_DEP_1)
	v_cmpx_gt_u32_e64 s4, v32
	s_cbranch_execz .LBB794_97
; %bb.96:
	v_lshlrev_b32_e32 v30, 1, v0
	global_load_u16 v30, v30, s[2:3] offset:15360
	s_wait_loadcnt 0x0
	v_and_b32_e32 v30, 0x7fff, v30
	s_delay_alu instid0(VALU_DEP_1)
	v_cmp_ne_u16_e32 vcc_lo, 0, v30
	s_wait_alu 0xfffd
	v_cndmask_b32_e64 v30, 0, 1, vcc_lo
.LBB794_97:
	s_wait_alu 0xfffe
	s_or_b32 exec_lo, exec_lo, s5
	v_or_b32_e32 v33, 0x1f00, v0
	v_mov_b32_e32 v32, 0
	s_delay_alu instid0(VALU_DEP_2)
	v_cmp_gt_u32_e32 vcc_lo, s4, v33
	v_mov_b32_e32 v33, 0
	s_and_saveexec_b32 s5, vcc_lo
	s_cbranch_execz .LBB794_99
; %bb.98:
	v_lshlrev_b32_e32 v33, 1, v0
	global_load_u16 v33, v33, s[2:3] offset:15872
	s_wait_loadcnt 0x0
	v_and_b32_e32 v33, 0x7fff, v33
	s_delay_alu instid0(VALU_DEP_1)
	v_cmp_ne_u16_e32 vcc_lo, 0, v33
	s_wait_alu 0xfffd
	v_cndmask_b32_e64 v33, 0, 1, vcc_lo
.LBB794_99:
	s_wait_alu 0xfffe
	s_or_b32 exec_lo, exec_lo, s5
	v_or_b32_e32 v34, 0x2000, v0
	s_mov_b32 s5, exec_lo
	s_delay_alu instid0(VALU_DEP_1)
	v_cmpx_gt_u32_e64 s4, v34
	s_cbranch_execz .LBB794_101
; %bb.100:
	v_lshlrev_b32_e32 v32, 1, v0
	global_load_u16 v32, v32, s[2:3] offset:16384
	s_wait_loadcnt 0x0
	v_and_b32_e32 v32, 0x7fff, v32
	s_delay_alu instid0(VALU_DEP_1)
	v_cmp_ne_u16_e32 vcc_lo, 0, v32
	s_wait_alu 0xfffd
	v_cndmask_b32_e64 v32, 0, 1, vcc_lo
.LBB794_101:
	s_wait_alu 0xfffe
	s_or_b32 exec_lo, exec_lo, s5
	v_or_b32_e32 v35, 0x2100, v0
	v_mov_b32_e32 v34, 0
	s_delay_alu instid0(VALU_DEP_2)
	v_cmp_gt_u32_e32 vcc_lo, s4, v35
	v_mov_b32_e32 v35, 0
	s_and_saveexec_b32 s5, vcc_lo
	s_cbranch_execz .LBB794_103
; %bb.102:
	v_lshlrev_b32_e32 v35, 1, v0
	global_load_u16 v35, v35, s[2:3] offset:16896
	s_wait_loadcnt 0x0
	v_and_b32_e32 v35, 0x7fff, v35
	s_delay_alu instid0(VALU_DEP_1)
	v_cmp_ne_u16_e32 vcc_lo, 0, v35
	s_wait_alu 0xfffd
	v_cndmask_b32_e64 v35, 0, 1, vcc_lo
.LBB794_103:
	s_wait_alu 0xfffe
	s_or_b32 exec_lo, exec_lo, s5
	v_or_b32_e32 v36, 0x2200, v0
	s_mov_b32 s5, exec_lo
	s_delay_alu instid0(VALU_DEP_1)
	v_cmpx_gt_u32_e64 s4, v36
	s_cbranch_execz .LBB794_105
; %bb.104:
	v_lshlrev_b32_e32 v34, 1, v0
	global_load_u16 v34, v34, s[2:3] offset:17408
	s_wait_loadcnt 0x0
	v_and_b32_e32 v34, 0x7fff, v34
	s_delay_alu instid0(VALU_DEP_1)
	v_cmp_ne_u16_e32 vcc_lo, 0, v34
	s_wait_alu 0xfffd
	v_cndmask_b32_e64 v34, 0, 1, vcc_lo
.LBB794_105:
	s_wait_alu 0xfffe
	s_or_b32 exec_lo, exec_lo, s5
	v_or_b32_e32 v37, 0x2300, v0
	v_mov_b32_e32 v36, 0
	s_delay_alu instid0(VALU_DEP_2)
	v_cmp_gt_u32_e32 vcc_lo, s4, v37
	v_mov_b32_e32 v37, 0
	s_and_saveexec_b32 s5, vcc_lo
	s_cbranch_execz .LBB794_107
; %bb.106:
	v_lshlrev_b32_e32 v37, 1, v0
	global_load_u16 v37, v37, s[2:3] offset:17920
	s_wait_loadcnt 0x0
	v_and_b32_e32 v37, 0x7fff, v37
	s_delay_alu instid0(VALU_DEP_1)
	v_cmp_ne_u16_e32 vcc_lo, 0, v37
	s_wait_alu 0xfffd
	v_cndmask_b32_e64 v37, 0, 1, vcc_lo
.LBB794_107:
	s_wait_alu 0xfffe
	s_or_b32 exec_lo, exec_lo, s5
	v_or_b32_e32 v38, 0x2400, v0
	s_mov_b32 s5, exec_lo
	s_delay_alu instid0(VALU_DEP_1)
	v_cmpx_gt_u32_e64 s4, v38
	s_cbranch_execz .LBB794_109
; %bb.108:
	v_lshlrev_b32_e32 v36, 1, v0
	global_load_u16 v36, v36, s[2:3] offset:18432
	s_wait_loadcnt 0x0
	v_and_b32_e32 v36, 0x7fff, v36
	s_delay_alu instid0(VALU_DEP_1)
	v_cmp_ne_u16_e32 vcc_lo, 0, v36
	s_wait_alu 0xfffd
	v_cndmask_b32_e64 v36, 0, 1, vcc_lo
.LBB794_109:
	s_wait_alu 0xfffe
	s_or_b32 exec_lo, exec_lo, s5
	v_or_b32_e32 v39, 0x2500, v0
	v_mov_b32_e32 v38, 0
	s_delay_alu instid0(VALU_DEP_2)
	v_cmp_gt_u32_e32 vcc_lo, s4, v39
	v_mov_b32_e32 v39, 0
	s_and_saveexec_b32 s5, vcc_lo
	s_cbranch_execz .LBB794_111
; %bb.110:
	v_lshlrev_b32_e32 v39, 1, v0
	global_load_u16 v39, v39, s[2:3] offset:18944
	s_wait_loadcnt 0x0
	v_and_b32_e32 v39, 0x7fff, v39
	s_delay_alu instid0(VALU_DEP_1)
	v_cmp_ne_u16_e32 vcc_lo, 0, v39
	s_wait_alu 0xfffd
	v_cndmask_b32_e64 v39, 0, 1, vcc_lo
.LBB794_111:
	s_wait_alu 0xfffe
	s_or_b32 exec_lo, exec_lo, s5
	v_or_b32_e32 v40, 0x2600, v0
	s_mov_b32 s5, exec_lo
	s_delay_alu instid0(VALU_DEP_1)
	v_cmpx_gt_u32_e64 s4, v40
	s_cbranch_execz .LBB794_113
; %bb.112:
	v_lshlrev_b32_e32 v38, 1, v0
	global_load_u16 v38, v38, s[2:3] offset:19456
	s_wait_loadcnt 0x0
	v_and_b32_e32 v38, 0x7fff, v38
	s_delay_alu instid0(VALU_DEP_1)
	v_cmp_ne_u16_e32 vcc_lo, 0, v38
	s_wait_alu 0xfffd
	v_cndmask_b32_e64 v38, 0, 1, vcc_lo
.LBB794_113:
	s_wait_alu 0xfffe
	s_or_b32 exec_lo, exec_lo, s5
	v_or_b32_e32 v41, 0x2700, v0
	v_mov_b32_e32 v40, 0
	s_delay_alu instid0(VALU_DEP_2)
	v_cmp_gt_u32_e32 vcc_lo, s4, v41
	v_mov_b32_e32 v41, 0
	s_and_saveexec_b32 s5, vcc_lo
	s_cbranch_execz .LBB794_115
; %bb.114:
	v_lshlrev_b32_e32 v41, 1, v0
	global_load_u16 v41, v41, s[2:3] offset:19968
	s_wait_loadcnt 0x0
	v_and_b32_e32 v41, 0x7fff, v41
	s_delay_alu instid0(VALU_DEP_1)
	v_cmp_ne_u16_e32 vcc_lo, 0, v41
	s_wait_alu 0xfffd
	v_cndmask_b32_e64 v41, 0, 1, vcc_lo
.LBB794_115:
	s_wait_alu 0xfffe
	s_or_b32 exec_lo, exec_lo, s5
	v_or_b32_e32 v42, 0x2800, v0
	s_mov_b32 s5, exec_lo
	s_delay_alu instid0(VALU_DEP_1)
	v_cmpx_gt_u32_e64 s4, v42
	s_cbranch_execz .LBB794_117
; %bb.116:
	v_lshlrev_b32_e32 v40, 1, v0
	global_load_u16 v40, v40, s[2:3] offset:20480
	s_wait_loadcnt 0x0
	v_and_b32_e32 v40, 0x7fff, v40
	s_delay_alu instid0(VALU_DEP_1)
	v_cmp_ne_u16_e32 vcc_lo, 0, v40
	s_wait_alu 0xfffd
	v_cndmask_b32_e64 v40, 0, 1, vcc_lo
.LBB794_117:
	s_wait_alu 0xfffe
	s_or_b32 exec_lo, exec_lo, s5
	v_or_b32_e32 v43, 0x2900, v0
	v_mov_b32_e32 v42, 0
	s_delay_alu instid0(VALU_DEP_2)
	v_cmp_gt_u32_e32 vcc_lo, s4, v43
	v_mov_b32_e32 v43, 0
	s_and_saveexec_b32 s5, vcc_lo
	s_cbranch_execz .LBB794_119
; %bb.118:
	v_lshlrev_b32_e32 v43, 1, v0
	global_load_u16 v43, v43, s[2:3] offset:20992
	s_wait_loadcnt 0x0
	v_and_b32_e32 v43, 0x7fff, v43
	s_delay_alu instid0(VALU_DEP_1)
	v_cmp_ne_u16_e32 vcc_lo, 0, v43
	s_wait_alu 0xfffd
	v_cndmask_b32_e64 v43, 0, 1, vcc_lo
.LBB794_119:
	s_wait_alu 0xfffe
	s_or_b32 exec_lo, exec_lo, s5
	v_or_b32_e32 v44, 0x2a00, v0
	s_mov_b32 s5, exec_lo
	s_delay_alu instid0(VALU_DEP_1)
	v_cmpx_gt_u32_e64 s4, v44
	s_cbranch_execz .LBB794_121
; %bb.120:
	v_lshlrev_b32_e32 v42, 1, v0
	global_load_u16 v42, v42, s[2:3] offset:21504
	s_wait_loadcnt 0x0
	v_and_b32_e32 v42, 0x7fff, v42
	s_delay_alu instid0(VALU_DEP_1)
	v_cmp_ne_u16_e32 vcc_lo, 0, v42
	s_wait_alu 0xfffd
	v_cndmask_b32_e64 v42, 0, 1, vcc_lo
.LBB794_121:
	s_wait_alu 0xfffe
	s_or_b32 exec_lo, exec_lo, s5
	v_or_b32_e32 v45, 0x2b00, v0
	v_mov_b32_e32 v44, 0
	s_delay_alu instid0(VALU_DEP_2)
	v_cmp_gt_u32_e32 vcc_lo, s4, v45
	v_mov_b32_e32 v45, 0
	s_and_saveexec_b32 s5, vcc_lo
	s_cbranch_execz .LBB794_123
; %bb.122:
	v_lshlrev_b32_e32 v45, 1, v0
	global_load_u16 v45, v45, s[2:3] offset:22016
	s_wait_loadcnt 0x0
	v_and_b32_e32 v45, 0x7fff, v45
	s_delay_alu instid0(VALU_DEP_1)
	v_cmp_ne_u16_e32 vcc_lo, 0, v45
	s_wait_alu 0xfffd
	v_cndmask_b32_e64 v45, 0, 1, vcc_lo
.LBB794_123:
	s_wait_alu 0xfffe
	s_or_b32 exec_lo, exec_lo, s5
	v_or_b32_e32 v46, 0x2c00, v0
	s_mov_b32 s5, exec_lo
	s_delay_alu instid0(VALU_DEP_1)
	v_cmpx_gt_u32_e64 s4, v46
	s_cbranch_execz .LBB794_125
; %bb.124:
	v_lshlrev_b32_e32 v44, 1, v0
	global_load_u16 v44, v44, s[2:3] offset:22528
	s_wait_loadcnt 0x0
	v_and_b32_e32 v44, 0x7fff, v44
	s_delay_alu instid0(VALU_DEP_1)
	v_cmp_ne_u16_e32 vcc_lo, 0, v44
	s_wait_alu 0xfffd
	v_cndmask_b32_e64 v44, 0, 1, vcc_lo
.LBB794_125:
	s_wait_alu 0xfffe
	s_or_b32 exec_lo, exec_lo, s5
	v_or_b32_e32 v47, 0x2d00, v0
	v_mov_b32_e32 v46, 0
	s_delay_alu instid0(VALU_DEP_2)
	v_cmp_gt_u32_e32 vcc_lo, s4, v47
	v_mov_b32_e32 v47, 0
	s_and_saveexec_b32 s5, vcc_lo
	s_cbranch_execz .LBB794_127
; %bb.126:
	v_lshlrev_b32_e32 v47, 1, v0
	global_load_u16 v47, v47, s[2:3] offset:23040
	s_wait_loadcnt 0x0
	v_and_b32_e32 v47, 0x7fff, v47
	s_delay_alu instid0(VALU_DEP_1)
	v_cmp_ne_u16_e32 vcc_lo, 0, v47
	s_wait_alu 0xfffd
	v_cndmask_b32_e64 v47, 0, 1, vcc_lo
.LBB794_127:
	s_wait_alu 0xfffe
	s_or_b32 exec_lo, exec_lo, s5
	v_or_b32_e32 v48, 0x2e00, v0
	s_mov_b32 s5, exec_lo
	s_delay_alu instid0(VALU_DEP_1)
	v_cmpx_gt_u32_e64 s4, v48
	s_cbranch_execz .LBB794_129
; %bb.128:
	v_lshlrev_b32_e32 v46, 1, v0
	global_load_u16 v46, v46, s[2:3] offset:23552
	s_wait_loadcnt 0x0
	v_and_b32_e32 v46, 0x7fff, v46
	s_delay_alu instid0(VALU_DEP_1)
	v_cmp_ne_u16_e32 vcc_lo, 0, v46
	s_wait_alu 0xfffd
	v_cndmask_b32_e64 v46, 0, 1, vcc_lo
.LBB794_129:
	s_wait_alu 0xfffe
	s_or_b32 exec_lo, exec_lo, s5
	v_or_b32_e32 v49, 0x2f00, v0
	v_mov_b32_e32 v48, 0
	s_delay_alu instid0(VALU_DEP_2)
	v_cmp_gt_u32_e32 vcc_lo, s4, v49
	v_mov_b32_e32 v49, 0
	s_and_saveexec_b32 s5, vcc_lo
	s_cbranch_execz .LBB794_131
; %bb.130:
	v_lshlrev_b32_e32 v49, 1, v0
	global_load_u16 v49, v49, s[2:3] offset:24064
	s_wait_loadcnt 0x0
	v_and_b32_e32 v49, 0x7fff, v49
	s_delay_alu instid0(VALU_DEP_1)
	v_cmp_ne_u16_e32 vcc_lo, 0, v49
	s_wait_alu 0xfffd
	v_cndmask_b32_e64 v49, 0, 1, vcc_lo
.LBB794_131:
	s_wait_alu 0xfffe
	s_or_b32 exec_lo, exec_lo, s5
	v_or_b32_e32 v50, 0x3000, v0
	s_mov_b32 s5, exec_lo
	s_delay_alu instid0(VALU_DEP_1)
	v_cmpx_gt_u32_e64 s4, v50
	s_cbranch_execz .LBB794_133
; %bb.132:
	v_lshlrev_b32_e32 v48, 1, v0
	global_load_u16 v48, v48, s[2:3] offset:24576
	s_wait_loadcnt 0x0
	v_and_b32_e32 v48, 0x7fff, v48
	s_delay_alu instid0(VALU_DEP_1)
	v_cmp_ne_u16_e32 vcc_lo, 0, v48
	s_wait_alu 0xfffd
	v_cndmask_b32_e64 v48, 0, 1, vcc_lo
.LBB794_133:
	s_wait_alu 0xfffe
	s_or_b32 exec_lo, exec_lo, s5
	v_or_b32_e32 v51, 0x3100, v0
	v_mov_b32_e32 v50, 0
	s_delay_alu instid0(VALU_DEP_2)
	v_cmp_gt_u32_e32 vcc_lo, s4, v51
	v_mov_b32_e32 v51, 0
	s_and_saveexec_b32 s5, vcc_lo
	s_cbranch_execz .LBB794_135
; %bb.134:
	v_lshlrev_b32_e32 v51, 1, v0
	global_load_u16 v51, v51, s[2:3] offset:25088
	s_wait_loadcnt 0x0
	v_and_b32_e32 v51, 0x7fff, v51
	s_delay_alu instid0(VALU_DEP_1)
	v_cmp_ne_u16_e32 vcc_lo, 0, v51
	s_wait_alu 0xfffd
	v_cndmask_b32_e64 v51, 0, 1, vcc_lo
.LBB794_135:
	s_wait_alu 0xfffe
	s_or_b32 exec_lo, exec_lo, s5
	v_or_b32_e32 v52, 0x3200, v0
	s_mov_b32 s5, exec_lo
	s_delay_alu instid0(VALU_DEP_1)
	v_cmpx_gt_u32_e64 s4, v52
	s_cbranch_execz .LBB794_137
; %bb.136:
	v_lshlrev_b32_e32 v50, 1, v0
	global_load_u16 v50, v50, s[2:3] offset:25600
	s_wait_loadcnt 0x0
	v_and_b32_e32 v50, 0x7fff, v50
	s_delay_alu instid0(VALU_DEP_1)
	v_cmp_ne_u16_e32 vcc_lo, 0, v50
	s_wait_alu 0xfffd
	v_cndmask_b32_e64 v50, 0, 1, vcc_lo
.LBB794_137:
	s_wait_alu 0xfffe
	s_or_b32 exec_lo, exec_lo, s5
	v_or_b32_e32 v53, 0x3300, v0
	v_mov_b32_e32 v52, 0
	s_delay_alu instid0(VALU_DEP_2)
	v_cmp_gt_u32_e32 vcc_lo, s4, v53
	v_mov_b32_e32 v53, 0
	s_and_saveexec_b32 s5, vcc_lo
	s_cbranch_execz .LBB794_139
; %bb.138:
	v_lshlrev_b32_e32 v53, 1, v0
	global_load_u16 v53, v53, s[2:3] offset:26112
	s_wait_loadcnt 0x0
	v_and_b32_e32 v53, 0x7fff, v53
	s_delay_alu instid0(VALU_DEP_1)
	v_cmp_ne_u16_e32 vcc_lo, 0, v53
	s_wait_alu 0xfffd
	v_cndmask_b32_e64 v53, 0, 1, vcc_lo
.LBB794_139:
	s_wait_alu 0xfffe
	s_or_b32 exec_lo, exec_lo, s5
	v_or_b32_e32 v54, 0x3400, v0
	s_mov_b32 s5, exec_lo
	s_delay_alu instid0(VALU_DEP_1)
	v_cmpx_gt_u32_e64 s4, v54
	s_cbranch_execz .LBB794_141
; %bb.140:
	v_lshlrev_b32_e32 v52, 1, v0
	global_load_u16 v52, v52, s[2:3] offset:26624
	s_wait_loadcnt 0x0
	v_and_b32_e32 v52, 0x7fff, v52
	s_delay_alu instid0(VALU_DEP_1)
	v_cmp_ne_u16_e32 vcc_lo, 0, v52
	s_wait_alu 0xfffd
	v_cndmask_b32_e64 v52, 0, 1, vcc_lo
.LBB794_141:
	s_wait_alu 0xfffe
	s_or_b32 exec_lo, exec_lo, s5
	v_or_b32_e32 v55, 0x3500, v0
	v_mov_b32_e32 v54, 0
	s_delay_alu instid0(VALU_DEP_2)
	v_cmp_gt_u32_e32 vcc_lo, s4, v55
	v_mov_b32_e32 v55, 0
	s_and_saveexec_b32 s5, vcc_lo
	s_cbranch_execz .LBB794_143
; %bb.142:
	v_lshlrev_b32_e32 v55, 1, v0
	global_load_u16 v55, v55, s[2:3] offset:27136
	s_wait_loadcnt 0x0
	v_and_b32_e32 v55, 0x7fff, v55
	s_delay_alu instid0(VALU_DEP_1)
	v_cmp_ne_u16_e32 vcc_lo, 0, v55
	s_wait_alu 0xfffd
	v_cndmask_b32_e64 v55, 0, 1, vcc_lo
.LBB794_143:
	s_wait_alu 0xfffe
	s_or_b32 exec_lo, exec_lo, s5
	v_or_b32_e32 v56, 0x3600, v0
	s_mov_b32 s5, exec_lo
	s_delay_alu instid0(VALU_DEP_1)
	v_cmpx_gt_u32_e64 s4, v56
	s_cbranch_execz .LBB794_145
; %bb.144:
	v_lshlrev_b32_e32 v54, 1, v0
	global_load_u16 v54, v54, s[2:3] offset:27648
	s_wait_loadcnt 0x0
	v_and_b32_e32 v54, 0x7fff, v54
	s_delay_alu instid0(VALU_DEP_1)
	v_cmp_ne_u16_e32 vcc_lo, 0, v54
	s_wait_alu 0xfffd
	v_cndmask_b32_e64 v54, 0, 1, vcc_lo
.LBB794_145:
	s_wait_alu 0xfffe
	s_or_b32 exec_lo, exec_lo, s5
	v_or_b32_e32 v57, 0x3700, v0
	v_mov_b32_e32 v56, 0
	s_delay_alu instid0(VALU_DEP_2)
	v_cmp_gt_u32_e32 vcc_lo, s4, v57
	v_mov_b32_e32 v57, 0
	s_and_saveexec_b32 s5, vcc_lo
	s_cbranch_execz .LBB794_147
; %bb.146:
	v_lshlrev_b32_e32 v57, 1, v0
	global_load_u16 v57, v57, s[2:3] offset:28160
	s_wait_loadcnt 0x0
	v_and_b32_e32 v57, 0x7fff, v57
	s_delay_alu instid0(VALU_DEP_1)
	v_cmp_ne_u16_e32 vcc_lo, 0, v57
	s_wait_alu 0xfffd
	v_cndmask_b32_e64 v57, 0, 1, vcc_lo
.LBB794_147:
	s_wait_alu 0xfffe
	s_or_b32 exec_lo, exec_lo, s5
	v_or_b32_e32 v58, 0x3800, v0
	s_mov_b32 s5, exec_lo
	s_delay_alu instid0(VALU_DEP_1)
	v_cmpx_gt_u32_e64 s4, v58
	s_cbranch_execz .LBB794_149
; %bb.148:
	v_lshlrev_b32_e32 v56, 1, v0
	global_load_u16 v56, v56, s[2:3] offset:28672
	s_wait_loadcnt 0x0
	v_and_b32_e32 v56, 0x7fff, v56
	s_delay_alu instid0(VALU_DEP_1)
	v_cmp_ne_u16_e32 vcc_lo, 0, v56
	s_wait_alu 0xfffd
	v_cndmask_b32_e64 v56, 0, 1, vcc_lo
.LBB794_149:
	s_wait_alu 0xfffe
	s_or_b32 exec_lo, exec_lo, s5
	v_or_b32_e32 v59, 0x3900, v0
	v_mov_b32_e32 v58, 0
	s_delay_alu instid0(VALU_DEP_2)
	v_cmp_gt_u32_e32 vcc_lo, s4, v59
	v_mov_b32_e32 v59, 0
	s_and_saveexec_b32 s5, vcc_lo
	s_cbranch_execz .LBB794_151
; %bb.150:
	v_lshlrev_b32_e32 v59, 1, v0
	global_load_u16 v59, v59, s[2:3] offset:29184
	s_wait_loadcnt 0x0
	v_and_b32_e32 v59, 0x7fff, v59
	s_delay_alu instid0(VALU_DEP_1)
	v_cmp_ne_u16_e32 vcc_lo, 0, v59
	s_wait_alu 0xfffd
	v_cndmask_b32_e64 v59, 0, 1, vcc_lo
.LBB794_151:
	s_wait_alu 0xfffe
	s_or_b32 exec_lo, exec_lo, s5
	v_or_b32_e32 v60, 0x3a00, v0
	s_mov_b32 s5, exec_lo
	s_delay_alu instid0(VALU_DEP_1)
	v_cmpx_gt_u32_e64 s4, v60
	s_cbranch_execz .LBB794_153
; %bb.152:
	v_lshlrev_b32_e32 v58, 1, v0
	global_load_u16 v58, v58, s[2:3] offset:29696
	s_wait_loadcnt 0x0
	v_and_b32_e32 v58, 0x7fff, v58
	s_delay_alu instid0(VALU_DEP_1)
	v_cmp_ne_u16_e32 vcc_lo, 0, v58
	s_wait_alu 0xfffd
	v_cndmask_b32_e64 v58, 0, 1, vcc_lo
.LBB794_153:
	s_wait_alu 0xfffe
	s_or_b32 exec_lo, exec_lo, s5
	v_or_b32_e32 v61, 0x3b00, v0
	v_mov_b32_e32 v60, 0
	s_delay_alu instid0(VALU_DEP_2)
	v_cmp_gt_u32_e32 vcc_lo, s4, v61
	v_mov_b32_e32 v61, 0
	s_and_saveexec_b32 s5, vcc_lo
	s_cbranch_execz .LBB794_155
; %bb.154:
	v_lshlrev_b32_e32 v61, 1, v0
	global_load_u16 v61, v61, s[2:3] offset:30208
	s_wait_loadcnt 0x0
	v_and_b32_e32 v61, 0x7fff, v61
	s_delay_alu instid0(VALU_DEP_1)
	v_cmp_ne_u16_e32 vcc_lo, 0, v61
	s_wait_alu 0xfffd
	v_cndmask_b32_e64 v61, 0, 1, vcc_lo
.LBB794_155:
	s_wait_alu 0xfffe
	s_or_b32 exec_lo, exec_lo, s5
	v_or_b32_e32 v62, 0x3c00, v0
	s_mov_b32 s5, exec_lo
	s_delay_alu instid0(VALU_DEP_1)
	v_cmpx_gt_u32_e64 s4, v62
	s_cbranch_execz .LBB794_157
; %bb.156:
	v_lshlrev_b32_e32 v60, 1, v0
	global_load_u16 v60, v60, s[2:3] offset:30720
	s_wait_loadcnt 0x0
	v_and_b32_e32 v60, 0x7fff, v60
	s_delay_alu instid0(VALU_DEP_1)
	v_cmp_ne_u16_e32 vcc_lo, 0, v60
	s_wait_alu 0xfffd
	v_cndmask_b32_e64 v60, 0, 1, vcc_lo
.LBB794_157:
	s_wait_alu 0xfffe
	s_or_b32 exec_lo, exec_lo, s5
	v_or_b32_e32 v63, 0x3d00, v0
	v_mov_b32_e32 v62, 0
	s_delay_alu instid0(VALU_DEP_2)
	v_cmp_gt_u32_e32 vcc_lo, s4, v63
	v_mov_b32_e32 v63, 0
	s_and_saveexec_b32 s5, vcc_lo
	s_cbranch_execz .LBB794_159
; %bb.158:
	v_lshlrev_b32_e32 v63, 1, v0
	global_load_u16 v63, v63, s[2:3] offset:31232
	s_wait_loadcnt 0x0
	v_and_b32_e32 v63, 0x7fff, v63
	s_delay_alu instid0(VALU_DEP_1)
	v_cmp_ne_u16_e32 vcc_lo, 0, v63
	s_wait_alu 0xfffd
	v_cndmask_b32_e64 v63, 0, 1, vcc_lo
.LBB794_159:
	s_wait_alu 0xfffe
	s_or_b32 exec_lo, exec_lo, s5
	v_or_b32_e32 v64, 0x3e00, v0
	s_mov_b32 s5, exec_lo
	s_delay_alu instid0(VALU_DEP_1)
	v_cmpx_gt_u32_e64 s4, v64
	s_cbranch_execz .LBB794_161
; %bb.160:
	v_lshlrev_b32_e32 v62, 1, v0
	global_load_u16 v62, v62, s[2:3] offset:31744
	s_wait_loadcnt 0x0
	v_and_b32_e32 v62, 0x7fff, v62
	s_delay_alu instid0(VALU_DEP_1)
	v_cmp_ne_u16_e32 vcc_lo, 0, v62
	s_wait_alu 0xfffd
	v_cndmask_b32_e64 v62, 0, 1, vcc_lo
.LBB794_161:
	s_wait_alu 0xfffe
	s_or_b32 exec_lo, exec_lo, s5
	v_or_b32_e32 v65, 0x3f00, v0
	v_mov_b32_e32 v64, 0
	s_delay_alu instid0(VALU_DEP_2)
	v_cmp_gt_u32_e32 vcc_lo, s4, v65
	v_mov_b32_e32 v65, 0
	s_and_saveexec_b32 s5, vcc_lo
	s_cbranch_execz .LBB794_163
; %bb.162:
	v_lshlrev_b32_e32 v65, 1, v0
	global_load_u16 v65, v65, s[2:3] offset:32256
	s_wait_loadcnt 0x0
	v_and_b32_e32 v65, 0x7fff, v65
	s_delay_alu instid0(VALU_DEP_1)
	v_cmp_ne_u16_e32 vcc_lo, 0, v65
	s_wait_alu 0xfffd
	v_cndmask_b32_e64 v65, 0, 1, vcc_lo
.LBB794_163:
	s_wait_alu 0xfffe
	s_or_b32 exec_lo, exec_lo, s5
	v_or_b32_e32 v66, 0x4000, v0
	s_mov_b32 s5, exec_lo
	s_delay_alu instid0(VALU_DEP_1)
	v_cmpx_gt_u32_e64 s4, v66
	s_cbranch_execz .LBB794_165
; %bb.164:
	v_lshlrev_b32_e32 v64, 1, v0
	global_load_u16 v64, v64, s[2:3] offset:32768
	s_wait_loadcnt 0x0
	v_and_b32_e32 v64, 0x7fff, v64
	s_delay_alu instid0(VALU_DEP_1)
	v_cmp_ne_u16_e32 vcc_lo, 0, v64
	s_wait_alu 0xfffd
	v_cndmask_b32_e64 v64, 0, 1, vcc_lo
.LBB794_165:
	s_wait_alu 0xfffe
	s_or_b32 exec_lo, exec_lo, s5
	v_or_b32_e32 v67, 0x4100, v0
	v_mov_b32_e32 v66, 0
	s_delay_alu instid0(VALU_DEP_2)
	v_cmp_gt_u32_e32 vcc_lo, s4, v67
	v_mov_b32_e32 v67, 0
	s_and_saveexec_b32 s5, vcc_lo
	s_cbranch_execz .LBB794_167
; %bb.166:
	v_lshlrev_b32_e32 v67, 1, v0
	global_load_u16 v67, v67, s[2:3] offset:33280
	s_wait_loadcnt 0x0
	v_and_b32_e32 v67, 0x7fff, v67
	s_delay_alu instid0(VALU_DEP_1)
	v_cmp_ne_u16_e32 vcc_lo, 0, v67
	s_wait_alu 0xfffd
	v_cndmask_b32_e64 v67, 0, 1, vcc_lo
.LBB794_167:
	s_wait_alu 0xfffe
	s_or_b32 exec_lo, exec_lo, s5
	v_or_b32_e32 v68, 0x4200, v0
	s_mov_b32 s5, exec_lo
	s_delay_alu instid0(VALU_DEP_1)
	v_cmpx_gt_u32_e64 s4, v68
	s_cbranch_execz .LBB794_169
; %bb.168:
	v_lshlrev_b32_e32 v66, 1, v0
	global_load_u16 v66, v66, s[2:3] offset:33792
	s_wait_loadcnt 0x0
	v_and_b32_e32 v66, 0x7fff, v66
	s_delay_alu instid0(VALU_DEP_1)
	v_cmp_ne_u16_e32 vcc_lo, 0, v66
	s_wait_alu 0xfffd
	v_cndmask_b32_e64 v66, 0, 1, vcc_lo
.LBB794_169:
	s_wait_alu 0xfffe
	s_or_b32 exec_lo, exec_lo, s5
	v_or_b32_e32 v69, 0x4300, v0
	v_mov_b32_e32 v68, 0
	s_delay_alu instid0(VALU_DEP_2)
	v_cmp_gt_u32_e32 vcc_lo, s4, v69
	v_mov_b32_e32 v69, 0
	s_and_saveexec_b32 s5, vcc_lo
	s_cbranch_execz .LBB794_171
; %bb.170:
	v_lshlrev_b32_e32 v69, 1, v0
	global_load_u16 v69, v69, s[2:3] offset:34304
	s_wait_loadcnt 0x0
	v_and_b32_e32 v69, 0x7fff, v69
	s_delay_alu instid0(VALU_DEP_1)
	v_cmp_ne_u16_e32 vcc_lo, 0, v69
	s_wait_alu 0xfffd
	v_cndmask_b32_e64 v69, 0, 1, vcc_lo
.LBB794_171:
	s_wait_alu 0xfffe
	s_or_b32 exec_lo, exec_lo, s5
	v_or_b32_e32 v70, 0x4400, v0
	s_mov_b32 s5, exec_lo
	s_delay_alu instid0(VALU_DEP_1)
	v_cmpx_gt_u32_e64 s4, v70
	s_cbranch_execz .LBB794_173
; %bb.172:
	v_lshlrev_b32_e32 v68, 1, v0
	global_load_u16 v68, v68, s[2:3] offset:34816
	s_wait_loadcnt 0x0
	v_and_b32_e32 v68, 0x7fff, v68
	s_delay_alu instid0(VALU_DEP_1)
	v_cmp_ne_u16_e32 vcc_lo, 0, v68
	s_wait_alu 0xfffd
	v_cndmask_b32_e64 v68, 0, 1, vcc_lo
.LBB794_173:
	s_wait_alu 0xfffe
	s_or_b32 exec_lo, exec_lo, s5
	v_or_b32_e32 v71, 0x4500, v0
	v_mov_b32_e32 v70, 0
	s_delay_alu instid0(VALU_DEP_2)
	v_cmp_gt_u32_e32 vcc_lo, s4, v71
	v_mov_b32_e32 v71, 0
	s_and_saveexec_b32 s5, vcc_lo
	s_cbranch_execz .LBB794_175
; %bb.174:
	v_lshlrev_b32_e32 v71, 1, v0
	global_load_u16 v71, v71, s[2:3] offset:35328
	s_wait_loadcnt 0x0
	v_and_b32_e32 v71, 0x7fff, v71
	s_delay_alu instid0(VALU_DEP_1)
	v_cmp_ne_u16_e32 vcc_lo, 0, v71
	s_wait_alu 0xfffd
	v_cndmask_b32_e64 v71, 0, 1, vcc_lo
.LBB794_175:
	s_wait_alu 0xfffe
	s_or_b32 exec_lo, exec_lo, s5
	v_or_b32_e32 v72, 0x4600, v0
	s_mov_b32 s5, exec_lo
	s_delay_alu instid0(VALU_DEP_1)
	v_cmpx_gt_u32_e64 s4, v72
	s_cbranch_execz .LBB794_177
; %bb.176:
	v_lshlrev_b32_e32 v70, 1, v0
	global_load_u16 v70, v70, s[2:3] offset:35840
	s_wait_loadcnt 0x0
	v_and_b32_e32 v70, 0x7fff, v70
	s_delay_alu instid0(VALU_DEP_1)
	v_cmp_ne_u16_e32 vcc_lo, 0, v70
	s_wait_alu 0xfffd
	v_cndmask_b32_e64 v70, 0, 1, vcc_lo
.LBB794_177:
	s_wait_alu 0xfffe
	s_or_b32 exec_lo, exec_lo, s5
	v_or_b32_e32 v73, 0x4700, v0
	v_mov_b32_e32 v72, 0
	s_delay_alu instid0(VALU_DEP_2)
	v_cmp_gt_u32_e32 vcc_lo, s4, v73
	v_mov_b32_e32 v73, 0
	s_and_saveexec_b32 s5, vcc_lo
	s_cbranch_execz .LBB794_179
; %bb.178:
	v_lshlrev_b32_e32 v73, 1, v0
	global_load_u16 v73, v73, s[2:3] offset:36352
	s_wait_loadcnt 0x0
	v_and_b32_e32 v73, 0x7fff, v73
	s_delay_alu instid0(VALU_DEP_1)
	v_cmp_ne_u16_e32 vcc_lo, 0, v73
	s_wait_alu 0xfffd
	v_cndmask_b32_e64 v73, 0, 1, vcc_lo
.LBB794_179:
	s_wait_alu 0xfffe
	s_or_b32 exec_lo, exec_lo, s5
	v_or_b32_e32 v74, 0x4800, v0
	s_mov_b32 s5, exec_lo
	s_delay_alu instid0(VALU_DEP_1)
	v_cmpx_gt_u32_e64 s4, v74
	s_cbranch_execz .LBB794_181
; %bb.180:
	v_lshlrev_b32_e32 v72, 1, v0
	global_load_u16 v72, v72, s[2:3] offset:36864
	s_wait_loadcnt 0x0
	v_and_b32_e32 v72, 0x7fff, v72
	s_delay_alu instid0(VALU_DEP_1)
	v_cmp_ne_u16_e32 vcc_lo, 0, v72
	s_wait_alu 0xfffd
	v_cndmask_b32_e64 v72, 0, 1, vcc_lo
.LBB794_181:
	s_wait_alu 0xfffe
	s_or_b32 exec_lo, exec_lo, s5
	v_or_b32_e32 v75, 0x4900, v0
	v_mov_b32_e32 v74, 0
	s_delay_alu instid0(VALU_DEP_2)
	v_cmp_gt_u32_e32 vcc_lo, s4, v75
	v_mov_b32_e32 v75, 0
	s_and_saveexec_b32 s5, vcc_lo
	s_cbranch_execz .LBB794_183
; %bb.182:
	v_lshlrev_b32_e32 v75, 1, v0
	global_load_u16 v75, v75, s[2:3] offset:37376
	s_wait_loadcnt 0x0
	v_and_b32_e32 v75, 0x7fff, v75
	s_delay_alu instid0(VALU_DEP_1)
	v_cmp_ne_u16_e32 vcc_lo, 0, v75
	s_wait_alu 0xfffd
	v_cndmask_b32_e64 v75, 0, 1, vcc_lo
.LBB794_183:
	s_wait_alu 0xfffe
	s_or_b32 exec_lo, exec_lo, s5
	v_or_b32_e32 v76, 0x4a00, v0
	s_mov_b32 s5, exec_lo
	s_delay_alu instid0(VALU_DEP_1)
	v_cmpx_gt_u32_e64 s4, v76
	s_cbranch_execz .LBB794_185
; %bb.184:
	v_lshlrev_b32_e32 v74, 1, v0
	global_load_u16 v74, v74, s[2:3] offset:37888
	s_wait_loadcnt 0x0
	v_and_b32_e32 v74, 0x7fff, v74
	s_delay_alu instid0(VALU_DEP_1)
	v_cmp_ne_u16_e32 vcc_lo, 0, v74
	s_wait_alu 0xfffd
	v_cndmask_b32_e64 v74, 0, 1, vcc_lo
.LBB794_185:
	s_wait_alu 0xfffe
	s_or_b32 exec_lo, exec_lo, s5
	v_or_b32_e32 v77, 0x4b00, v0
	v_mov_b32_e32 v76, 0
	s_delay_alu instid0(VALU_DEP_2)
	v_cmp_gt_u32_e32 vcc_lo, s4, v77
	v_mov_b32_e32 v77, 0
	s_and_saveexec_b32 s5, vcc_lo
	s_cbranch_execz .LBB794_187
; %bb.186:
	v_lshlrev_b32_e32 v77, 1, v0
	global_load_u16 v77, v77, s[2:3] offset:38400
	s_wait_loadcnt 0x0
	v_and_b32_e32 v77, 0x7fff, v77
	s_delay_alu instid0(VALU_DEP_1)
	v_cmp_ne_u16_e32 vcc_lo, 0, v77
	s_wait_alu 0xfffd
	v_cndmask_b32_e64 v77, 0, 1, vcc_lo
.LBB794_187:
	s_wait_alu 0xfffe
	s_or_b32 exec_lo, exec_lo, s5
	v_or_b32_e32 v78, 0x4c00, v0
	s_mov_b32 s5, exec_lo
	s_delay_alu instid0(VALU_DEP_1)
	v_cmpx_gt_u32_e64 s4, v78
	s_cbranch_execz .LBB794_189
; %bb.188:
	v_lshlrev_b32_e32 v76, 1, v0
	global_load_u16 v76, v76, s[2:3] offset:38912
	s_wait_loadcnt 0x0
	v_and_b32_e32 v76, 0x7fff, v76
	s_delay_alu instid0(VALU_DEP_1)
	v_cmp_ne_u16_e32 vcc_lo, 0, v76
	s_wait_alu 0xfffd
	v_cndmask_b32_e64 v76, 0, 1, vcc_lo
.LBB794_189:
	s_wait_alu 0xfffe
	s_or_b32 exec_lo, exec_lo, s5
	v_or_b32_e32 v79, 0x4d00, v0
	v_mov_b32_e32 v78, 0
	s_delay_alu instid0(VALU_DEP_2)
	v_cmp_gt_u32_e32 vcc_lo, s4, v79
	v_mov_b32_e32 v79, 0
	s_and_saveexec_b32 s5, vcc_lo
	s_cbranch_execz .LBB794_191
; %bb.190:
	v_lshlrev_b32_e32 v79, 1, v0
	global_load_u16 v79, v79, s[2:3] offset:39424
	s_wait_loadcnt 0x0
	v_and_b32_e32 v79, 0x7fff, v79
	s_delay_alu instid0(VALU_DEP_1)
	v_cmp_ne_u16_e32 vcc_lo, 0, v79
	s_wait_alu 0xfffd
	v_cndmask_b32_e64 v79, 0, 1, vcc_lo
.LBB794_191:
	s_wait_alu 0xfffe
	s_or_b32 exec_lo, exec_lo, s5
	v_or_b32_e32 v80, 0x4e00, v0
	s_mov_b32 s5, exec_lo
	s_delay_alu instid0(VALU_DEP_1)
	v_cmpx_gt_u32_e64 s4, v80
	s_cbranch_execz .LBB794_193
; %bb.192:
	v_lshlrev_b32_e32 v78, 1, v0
	global_load_u16 v78, v78, s[2:3] offset:39936
	s_wait_loadcnt 0x0
	v_and_b32_e32 v78, 0x7fff, v78
	s_delay_alu instid0(VALU_DEP_1)
	v_cmp_ne_u16_e32 vcc_lo, 0, v78
	s_wait_alu 0xfffd
	v_cndmask_b32_e64 v78, 0, 1, vcc_lo
.LBB794_193:
	s_wait_alu 0xfffe
	s_or_b32 exec_lo, exec_lo, s5
	v_or_b32_e32 v81, 0x4f00, v0
	v_mov_b32_e32 v80, 0
	s_delay_alu instid0(VALU_DEP_2)
	v_cmp_gt_u32_e32 vcc_lo, s4, v81
	v_mov_b32_e32 v81, 0
	s_and_saveexec_b32 s5, vcc_lo
	s_cbranch_execz .LBB794_195
; %bb.194:
	v_lshlrev_b32_e32 v81, 1, v0
	global_load_u16 v81, v81, s[2:3] offset:40448
	s_wait_loadcnt 0x0
	v_and_b32_e32 v81, 0x7fff, v81
	s_delay_alu instid0(VALU_DEP_1)
	v_cmp_ne_u16_e32 vcc_lo, 0, v81
	s_wait_alu 0xfffd
	v_cndmask_b32_e64 v81, 0, 1, vcc_lo
.LBB794_195:
	s_wait_alu 0xfffe
	s_or_b32 exec_lo, exec_lo, s5
	v_or_b32_e32 v82, 0x5000, v0
	s_mov_b32 s5, exec_lo
	s_delay_alu instid0(VALU_DEP_1)
	v_cmpx_gt_u32_e64 s4, v82
	s_cbranch_execz .LBB794_197
; %bb.196:
	v_lshlrev_b32_e32 v80, 1, v0
	global_load_u16 v80, v80, s[2:3] offset:40960
	s_wait_loadcnt 0x0
	v_and_b32_e32 v80, 0x7fff, v80
	s_delay_alu instid0(VALU_DEP_1)
	v_cmp_ne_u16_e32 vcc_lo, 0, v80
	s_wait_alu 0xfffd
	v_cndmask_b32_e64 v80, 0, 1, vcc_lo
.LBB794_197:
	s_wait_alu 0xfffe
	s_or_b32 exec_lo, exec_lo, s5
	v_or_b32_e32 v83, 0x5100, v0
	v_mov_b32_e32 v82, 0
	s_delay_alu instid0(VALU_DEP_2)
	v_cmp_gt_u32_e32 vcc_lo, s4, v83
	v_mov_b32_e32 v83, 0
	s_and_saveexec_b32 s5, vcc_lo
	s_cbranch_execz .LBB794_199
; %bb.198:
	v_lshlrev_b32_e32 v83, 1, v0
	global_load_u16 v83, v83, s[2:3] offset:41472
	s_wait_loadcnt 0x0
	v_and_b32_e32 v83, 0x7fff, v83
	s_delay_alu instid0(VALU_DEP_1)
	v_cmp_ne_u16_e32 vcc_lo, 0, v83
	s_wait_alu 0xfffd
	v_cndmask_b32_e64 v83, 0, 1, vcc_lo
.LBB794_199:
	s_wait_alu 0xfffe
	s_or_b32 exec_lo, exec_lo, s5
	v_or_b32_e32 v84, 0x5200, v0
	s_mov_b32 s5, exec_lo
	s_delay_alu instid0(VALU_DEP_1)
	v_cmpx_gt_u32_e64 s4, v84
	s_cbranch_execz .LBB794_201
; %bb.200:
	v_lshlrev_b32_e32 v82, 1, v0
	global_load_u16 v82, v82, s[2:3] offset:41984
	s_wait_loadcnt 0x0
	v_and_b32_e32 v82, 0x7fff, v82
	s_delay_alu instid0(VALU_DEP_1)
	v_cmp_ne_u16_e32 vcc_lo, 0, v82
	s_wait_alu 0xfffd
	v_cndmask_b32_e64 v82, 0, 1, vcc_lo
.LBB794_201:
	s_wait_alu 0xfffe
	s_or_b32 exec_lo, exec_lo, s5
	v_or_b32_e32 v85, 0x5300, v0
	v_mov_b32_e32 v84, 0
	s_delay_alu instid0(VALU_DEP_2)
	v_cmp_gt_u32_e32 vcc_lo, s4, v85
	v_mov_b32_e32 v85, 0
	s_and_saveexec_b32 s5, vcc_lo
	s_cbranch_execz .LBB794_203
; %bb.202:
	v_lshlrev_b32_e32 v85, 1, v0
	global_load_u16 v85, v85, s[2:3] offset:42496
	s_wait_loadcnt 0x0
	v_and_b32_e32 v85, 0x7fff, v85
	s_delay_alu instid0(VALU_DEP_1)
	v_cmp_ne_u16_e32 vcc_lo, 0, v85
	s_wait_alu 0xfffd
	v_cndmask_b32_e64 v85, 0, 1, vcc_lo
.LBB794_203:
	s_wait_alu 0xfffe
	s_or_b32 exec_lo, exec_lo, s5
	v_or_b32_e32 v86, 0x5400, v0
	s_mov_b32 s5, exec_lo
	s_delay_alu instid0(VALU_DEP_1)
	v_cmpx_gt_u32_e64 s4, v86
	s_cbranch_execz .LBB794_205
; %bb.204:
	v_lshlrev_b32_e32 v84, 1, v0
	global_load_u16 v84, v84, s[2:3] offset:43008
	s_wait_loadcnt 0x0
	v_and_b32_e32 v84, 0x7fff, v84
	s_delay_alu instid0(VALU_DEP_1)
	v_cmp_ne_u16_e32 vcc_lo, 0, v84
	s_wait_alu 0xfffd
	v_cndmask_b32_e64 v84, 0, 1, vcc_lo
.LBB794_205:
	s_wait_alu 0xfffe
	s_or_b32 exec_lo, exec_lo, s5
	v_or_b32_e32 v87, 0x5500, v0
	v_mov_b32_e32 v86, 0
	s_delay_alu instid0(VALU_DEP_2)
	v_cmp_gt_u32_e32 vcc_lo, s4, v87
	v_mov_b32_e32 v87, 0
	s_and_saveexec_b32 s5, vcc_lo
	s_cbranch_execz .LBB794_207
; %bb.206:
	v_lshlrev_b32_e32 v87, 1, v0
	global_load_u16 v87, v87, s[2:3] offset:43520
	s_wait_loadcnt 0x0
	v_and_b32_e32 v87, 0x7fff, v87
	s_delay_alu instid0(VALU_DEP_1)
	v_cmp_ne_u16_e32 vcc_lo, 0, v87
	s_wait_alu 0xfffd
	v_cndmask_b32_e64 v87, 0, 1, vcc_lo
.LBB794_207:
	s_wait_alu 0xfffe
	s_or_b32 exec_lo, exec_lo, s5
	v_or_b32_e32 v88, 0x5600, v0
	s_mov_b32 s5, exec_lo
	s_delay_alu instid0(VALU_DEP_1)
	v_cmpx_gt_u32_e64 s4, v88
	s_cbranch_execz .LBB794_209
; %bb.208:
	v_lshlrev_b32_e32 v86, 1, v0
	global_load_u16 v86, v86, s[2:3] offset:44032
	s_wait_loadcnt 0x0
	v_and_b32_e32 v86, 0x7fff, v86
	s_delay_alu instid0(VALU_DEP_1)
	v_cmp_ne_u16_e32 vcc_lo, 0, v86
	s_wait_alu 0xfffd
	v_cndmask_b32_e64 v86, 0, 1, vcc_lo
.LBB794_209:
	s_wait_alu 0xfffe
	s_or_b32 exec_lo, exec_lo, s5
	v_or_b32_e32 v89, 0x5700, v0
	v_mov_b32_e32 v88, 0
	s_delay_alu instid0(VALU_DEP_2)
	v_cmp_gt_u32_e32 vcc_lo, s4, v89
	v_mov_b32_e32 v89, 0
	s_and_saveexec_b32 s5, vcc_lo
	s_cbranch_execz .LBB794_211
; %bb.210:
	v_lshlrev_b32_e32 v89, 1, v0
	global_load_u16 v89, v89, s[2:3] offset:44544
	s_wait_loadcnt 0x0
	v_and_b32_e32 v89, 0x7fff, v89
	s_delay_alu instid0(VALU_DEP_1)
	v_cmp_ne_u16_e32 vcc_lo, 0, v89
	s_wait_alu 0xfffd
	v_cndmask_b32_e64 v89, 0, 1, vcc_lo
.LBB794_211:
	s_wait_alu 0xfffe
	s_or_b32 exec_lo, exec_lo, s5
	v_or_b32_e32 v90, 0x5800, v0
	s_mov_b32 s5, exec_lo
	s_delay_alu instid0(VALU_DEP_1)
	v_cmpx_gt_u32_e64 s4, v90
	s_cbranch_execz .LBB794_213
; %bb.212:
	v_lshlrev_b32_e32 v88, 1, v0
	global_load_u16 v88, v88, s[2:3] offset:45056
	s_wait_loadcnt 0x0
	v_and_b32_e32 v88, 0x7fff, v88
	s_delay_alu instid0(VALU_DEP_1)
	v_cmp_ne_u16_e32 vcc_lo, 0, v88
	s_wait_alu 0xfffd
	v_cndmask_b32_e64 v88, 0, 1, vcc_lo
.LBB794_213:
	s_wait_alu 0xfffe
	s_or_b32 exec_lo, exec_lo, s5
	v_or_b32_e32 v91, 0x5900, v0
	v_mov_b32_e32 v90, 0
	s_delay_alu instid0(VALU_DEP_2)
	v_cmp_gt_u32_e32 vcc_lo, s4, v91
	v_mov_b32_e32 v91, 0
	s_and_saveexec_b32 s5, vcc_lo
	s_cbranch_execz .LBB794_215
; %bb.214:
	v_lshlrev_b32_e32 v91, 1, v0
	global_load_u16 v91, v91, s[2:3] offset:45568
	s_wait_loadcnt 0x0
	v_and_b32_e32 v91, 0x7fff, v91
	s_delay_alu instid0(VALU_DEP_1)
	v_cmp_ne_u16_e32 vcc_lo, 0, v91
	s_wait_alu 0xfffd
	v_cndmask_b32_e64 v91, 0, 1, vcc_lo
.LBB794_215:
	s_wait_alu 0xfffe
	s_or_b32 exec_lo, exec_lo, s5
	v_or_b32_e32 v92, 0x5a00, v0
	s_mov_b32 s5, exec_lo
	s_delay_alu instid0(VALU_DEP_1)
	v_cmpx_gt_u32_e64 s4, v92
	s_cbranch_execz .LBB794_217
; %bb.216:
	v_lshlrev_b32_e32 v90, 1, v0
	global_load_u16 v90, v90, s[2:3] offset:46080
	s_wait_loadcnt 0x0
	v_and_b32_e32 v90, 0x7fff, v90
	s_delay_alu instid0(VALU_DEP_1)
	v_cmp_ne_u16_e32 vcc_lo, 0, v90
	s_wait_alu 0xfffd
	v_cndmask_b32_e64 v90, 0, 1, vcc_lo
.LBB794_217:
	s_wait_alu 0xfffe
	s_or_b32 exec_lo, exec_lo, s5
	v_or_b32_e32 v93, 0x5b00, v0
	v_mov_b32_e32 v92, 0
	s_delay_alu instid0(VALU_DEP_2)
	v_cmp_gt_u32_e32 vcc_lo, s4, v93
	v_mov_b32_e32 v93, 0
	s_and_saveexec_b32 s5, vcc_lo
	s_cbranch_execz .LBB794_219
; %bb.218:
	v_lshlrev_b32_e32 v93, 1, v0
	global_load_u16 v93, v93, s[2:3] offset:46592
	s_wait_loadcnt 0x0
	v_and_b32_e32 v93, 0x7fff, v93
	s_delay_alu instid0(VALU_DEP_1)
	v_cmp_ne_u16_e32 vcc_lo, 0, v93
	s_wait_alu 0xfffd
	v_cndmask_b32_e64 v93, 0, 1, vcc_lo
.LBB794_219:
	s_wait_alu 0xfffe
	s_or_b32 exec_lo, exec_lo, s5
	v_or_b32_e32 v94, 0x5c00, v0
	s_mov_b32 s5, exec_lo
	s_delay_alu instid0(VALU_DEP_1)
	v_cmpx_gt_u32_e64 s4, v94
	s_cbranch_execz .LBB794_221
; %bb.220:
	v_lshlrev_b32_e32 v92, 1, v0
	global_load_u16 v92, v92, s[2:3] offset:47104
	s_wait_loadcnt 0x0
	v_and_b32_e32 v92, 0x7fff, v92
	s_delay_alu instid0(VALU_DEP_1)
	v_cmp_ne_u16_e32 vcc_lo, 0, v92
	s_wait_alu 0xfffd
	v_cndmask_b32_e64 v92, 0, 1, vcc_lo
.LBB794_221:
	s_wait_alu 0xfffe
	s_or_b32 exec_lo, exec_lo, s5
	v_or_b32_e32 v95, 0x5d00, v0
	v_mov_b32_e32 v94, 0
	s_delay_alu instid0(VALU_DEP_2)
	v_cmp_gt_u32_e32 vcc_lo, s4, v95
	v_mov_b32_e32 v95, 0
	s_and_saveexec_b32 s5, vcc_lo
	s_cbranch_execz .LBB794_223
; %bb.222:
	v_lshlrev_b32_e32 v95, 1, v0
	global_load_u16 v95, v95, s[2:3] offset:47616
	s_wait_loadcnt 0x0
	v_and_b32_e32 v95, 0x7fff, v95
	s_delay_alu instid0(VALU_DEP_1)
	v_cmp_ne_u16_e32 vcc_lo, 0, v95
	s_wait_alu 0xfffd
	v_cndmask_b32_e64 v95, 0, 1, vcc_lo
.LBB794_223:
	s_wait_alu 0xfffe
	s_or_b32 exec_lo, exec_lo, s5
	v_or_b32_e32 v96, 0x5e00, v0
	s_mov_b32 s5, exec_lo
	s_delay_alu instid0(VALU_DEP_1)
	v_cmpx_gt_u32_e64 s4, v96
	s_cbranch_execz .LBB794_225
; %bb.224:
	v_lshlrev_b32_e32 v94, 1, v0
	global_load_u16 v94, v94, s[2:3] offset:48128
	s_wait_loadcnt 0x0
	v_and_b32_e32 v94, 0x7fff, v94
	s_delay_alu instid0(VALU_DEP_1)
	v_cmp_ne_u16_e32 vcc_lo, 0, v94
	s_wait_alu 0xfffd
	v_cndmask_b32_e64 v94, 0, 1, vcc_lo
.LBB794_225:
	s_wait_alu 0xfffe
	s_or_b32 exec_lo, exec_lo, s5
	v_or_b32_e32 v97, 0x5f00, v0
	v_mov_b32_e32 v96, 0
	s_delay_alu instid0(VALU_DEP_2)
	v_cmp_gt_u32_e32 vcc_lo, s4, v97
	v_mov_b32_e32 v97, 0
	s_and_saveexec_b32 s5, vcc_lo
	s_cbranch_execz .LBB794_227
; %bb.226:
	v_lshlrev_b32_e32 v97, 1, v0
	global_load_u16 v97, v97, s[2:3] offset:48640
	s_wait_loadcnt 0x0
	v_and_b32_e32 v97, 0x7fff, v97
	s_delay_alu instid0(VALU_DEP_1)
	v_cmp_ne_u16_e32 vcc_lo, 0, v97
	s_wait_alu 0xfffd
	v_cndmask_b32_e64 v97, 0, 1, vcc_lo
.LBB794_227:
	s_wait_alu 0xfffe
	s_or_b32 exec_lo, exec_lo, s5
	v_or_b32_e32 v98, 0x6000, v0
	s_mov_b32 s5, exec_lo
	s_delay_alu instid0(VALU_DEP_1)
	v_cmpx_gt_u32_e64 s4, v98
	s_cbranch_execz .LBB794_229
; %bb.228:
	v_lshlrev_b32_e32 v96, 1, v0
	global_load_u16 v96, v96, s[2:3] offset:49152
	s_wait_loadcnt 0x0
	v_and_b32_e32 v96, 0x7fff, v96
	s_delay_alu instid0(VALU_DEP_1)
	v_cmp_ne_u16_e32 vcc_lo, 0, v96
	s_wait_alu 0xfffd
	v_cndmask_b32_e64 v96, 0, 1, vcc_lo
.LBB794_229:
	s_wait_alu 0xfffe
	s_or_b32 exec_lo, exec_lo, s5
	v_or_b32_e32 v99, 0x6100, v0
	v_mov_b32_e32 v98, 0
	s_delay_alu instid0(VALU_DEP_2)
	v_cmp_gt_u32_e32 vcc_lo, s4, v99
	v_mov_b32_e32 v99, 0
	s_and_saveexec_b32 s5, vcc_lo
	s_cbranch_execz .LBB794_231
; %bb.230:
	v_lshlrev_b32_e32 v99, 1, v0
	global_load_u16 v99, v99, s[2:3] offset:49664
	s_wait_loadcnt 0x0
	v_and_b32_e32 v99, 0x7fff, v99
	s_delay_alu instid0(VALU_DEP_1)
	v_cmp_ne_u16_e32 vcc_lo, 0, v99
	s_wait_alu 0xfffd
	v_cndmask_b32_e64 v99, 0, 1, vcc_lo
.LBB794_231:
	s_wait_alu 0xfffe
	s_or_b32 exec_lo, exec_lo, s5
	v_or_b32_e32 v100, 0x6200, v0
	s_mov_b32 s5, exec_lo
	s_delay_alu instid0(VALU_DEP_1)
	v_cmpx_gt_u32_e64 s4, v100
	s_cbranch_execz .LBB794_233
; %bb.232:
	v_lshlrev_b32_e32 v98, 1, v0
	global_load_u16 v98, v98, s[2:3] offset:50176
	s_wait_loadcnt 0x0
	v_and_b32_e32 v98, 0x7fff, v98
	s_delay_alu instid0(VALU_DEP_1)
	v_cmp_ne_u16_e32 vcc_lo, 0, v98
	s_wait_alu 0xfffd
	v_cndmask_b32_e64 v98, 0, 1, vcc_lo
.LBB794_233:
	s_wait_alu 0xfffe
	s_or_b32 exec_lo, exec_lo, s5
	v_or_b32_e32 v101, 0x6300, v0
	v_mov_b32_e32 v100, 0
	s_delay_alu instid0(VALU_DEP_2)
	v_cmp_gt_u32_e32 vcc_lo, s4, v101
	v_mov_b32_e32 v101, 0
	s_and_saveexec_b32 s5, vcc_lo
	s_cbranch_execz .LBB794_235
; %bb.234:
	v_lshlrev_b32_e32 v101, 1, v0
	global_load_u16 v101, v101, s[2:3] offset:50688
	s_wait_loadcnt 0x0
	v_and_b32_e32 v101, 0x7fff, v101
	s_delay_alu instid0(VALU_DEP_1)
	v_cmp_ne_u16_e32 vcc_lo, 0, v101
	s_wait_alu 0xfffd
	v_cndmask_b32_e64 v101, 0, 1, vcc_lo
.LBB794_235:
	s_wait_alu 0xfffe
	s_or_b32 exec_lo, exec_lo, s5
	v_or_b32_e32 v102, 0x6400, v0
	s_mov_b32 s5, exec_lo
	s_delay_alu instid0(VALU_DEP_1)
	v_cmpx_gt_u32_e64 s4, v102
	s_cbranch_execz .LBB794_237
; %bb.236:
	v_lshlrev_b32_e32 v100, 1, v0
	global_load_u16 v100, v100, s[2:3] offset:51200
	s_wait_loadcnt 0x0
	v_and_b32_e32 v100, 0x7fff, v100
	s_delay_alu instid0(VALU_DEP_1)
	v_cmp_ne_u16_e32 vcc_lo, 0, v100
	s_wait_alu 0xfffd
	v_cndmask_b32_e64 v100, 0, 1, vcc_lo
.LBB794_237:
	s_wait_alu 0xfffe
	s_or_b32 exec_lo, exec_lo, s5
	v_or_b32_e32 v103, 0x6500, v0
	v_mov_b32_e32 v102, 0
	s_delay_alu instid0(VALU_DEP_2)
	v_cmp_gt_u32_e32 vcc_lo, s4, v103
	v_mov_b32_e32 v103, 0
	s_and_saveexec_b32 s5, vcc_lo
	s_cbranch_execz .LBB794_239
; %bb.238:
	v_lshlrev_b32_e32 v103, 1, v0
	global_load_u16 v103, v103, s[2:3] offset:51712
	s_wait_loadcnt 0x0
	v_and_b32_e32 v103, 0x7fff, v103
	s_delay_alu instid0(VALU_DEP_1)
	v_cmp_ne_u16_e32 vcc_lo, 0, v103
	s_wait_alu 0xfffd
	v_cndmask_b32_e64 v103, 0, 1, vcc_lo
.LBB794_239:
	s_wait_alu 0xfffe
	s_or_b32 exec_lo, exec_lo, s5
	v_or_b32_e32 v104, 0x6600, v0
	s_mov_b32 s5, exec_lo
	s_delay_alu instid0(VALU_DEP_1)
	v_cmpx_gt_u32_e64 s4, v104
	s_cbranch_execz .LBB794_241
; %bb.240:
	v_lshlrev_b32_e32 v102, 1, v0
	global_load_u16 v102, v102, s[2:3] offset:52224
	s_wait_loadcnt 0x0
	v_and_b32_e32 v102, 0x7fff, v102
	s_delay_alu instid0(VALU_DEP_1)
	v_cmp_ne_u16_e32 vcc_lo, 0, v102
	s_wait_alu 0xfffd
	v_cndmask_b32_e64 v102, 0, 1, vcc_lo
.LBB794_241:
	s_wait_alu 0xfffe
	s_or_b32 exec_lo, exec_lo, s5
	v_or_b32_e32 v105, 0x6700, v0
	v_mov_b32_e32 v104, 0
	s_delay_alu instid0(VALU_DEP_2)
	v_cmp_gt_u32_e32 vcc_lo, s4, v105
	v_mov_b32_e32 v105, 0
	s_and_saveexec_b32 s5, vcc_lo
	s_cbranch_execz .LBB794_243
; %bb.242:
	v_lshlrev_b32_e32 v105, 1, v0
	global_load_u16 v105, v105, s[2:3] offset:52736
	s_wait_loadcnt 0x0
	v_and_b32_e32 v105, 0x7fff, v105
	s_delay_alu instid0(VALU_DEP_1)
	v_cmp_ne_u16_e32 vcc_lo, 0, v105
	s_wait_alu 0xfffd
	v_cndmask_b32_e64 v105, 0, 1, vcc_lo
.LBB794_243:
	s_wait_alu 0xfffe
	s_or_b32 exec_lo, exec_lo, s5
	v_or_b32_e32 v106, 0x6800, v0
	s_mov_b32 s5, exec_lo
	s_delay_alu instid0(VALU_DEP_1)
	v_cmpx_gt_u32_e64 s4, v106
	s_cbranch_execz .LBB794_245
; %bb.244:
	v_lshlrev_b32_e32 v104, 1, v0
	global_load_u16 v104, v104, s[2:3] offset:53248
	s_wait_loadcnt 0x0
	v_and_b32_e32 v104, 0x7fff, v104
	s_delay_alu instid0(VALU_DEP_1)
	v_cmp_ne_u16_e32 vcc_lo, 0, v104
	s_wait_alu 0xfffd
	v_cndmask_b32_e64 v104, 0, 1, vcc_lo
.LBB794_245:
	s_wait_alu 0xfffe
	s_or_b32 exec_lo, exec_lo, s5
	v_or_b32_e32 v107, 0x6900, v0
	v_mov_b32_e32 v106, 0
	s_delay_alu instid0(VALU_DEP_2)
	v_cmp_gt_u32_e32 vcc_lo, s4, v107
	v_mov_b32_e32 v107, 0
	s_and_saveexec_b32 s5, vcc_lo
	s_cbranch_execz .LBB794_247
; %bb.246:
	v_lshlrev_b32_e32 v107, 1, v0
	global_load_u16 v107, v107, s[2:3] offset:53760
	s_wait_loadcnt 0x0
	v_and_b32_e32 v107, 0x7fff, v107
	s_delay_alu instid0(VALU_DEP_1)
	v_cmp_ne_u16_e32 vcc_lo, 0, v107
	s_wait_alu 0xfffd
	v_cndmask_b32_e64 v107, 0, 1, vcc_lo
.LBB794_247:
	s_wait_alu 0xfffe
	s_or_b32 exec_lo, exec_lo, s5
	v_or_b32_e32 v108, 0x6a00, v0
	s_mov_b32 s5, exec_lo
	s_delay_alu instid0(VALU_DEP_1)
	v_cmpx_gt_u32_e64 s4, v108
	s_cbranch_execz .LBB794_249
; %bb.248:
	v_lshlrev_b32_e32 v106, 1, v0
	global_load_u16 v106, v106, s[2:3] offset:54272
	s_wait_loadcnt 0x0
	v_and_b32_e32 v106, 0x7fff, v106
	s_delay_alu instid0(VALU_DEP_1)
	v_cmp_ne_u16_e32 vcc_lo, 0, v106
	s_wait_alu 0xfffd
	v_cndmask_b32_e64 v106, 0, 1, vcc_lo
.LBB794_249:
	s_wait_alu 0xfffe
	s_or_b32 exec_lo, exec_lo, s5
	v_or_b32_e32 v109, 0x6b00, v0
	v_mov_b32_e32 v108, 0
	s_delay_alu instid0(VALU_DEP_2)
	v_cmp_gt_u32_e32 vcc_lo, s4, v109
	v_mov_b32_e32 v109, 0
	s_and_saveexec_b32 s5, vcc_lo
	s_cbranch_execz .LBB794_251
; %bb.250:
	v_lshlrev_b32_e32 v109, 1, v0
	global_load_u16 v109, v109, s[2:3] offset:54784
	s_wait_loadcnt 0x0
	v_and_b32_e32 v109, 0x7fff, v109
	s_delay_alu instid0(VALU_DEP_1)
	v_cmp_ne_u16_e32 vcc_lo, 0, v109
	s_wait_alu 0xfffd
	v_cndmask_b32_e64 v109, 0, 1, vcc_lo
.LBB794_251:
	s_wait_alu 0xfffe
	s_or_b32 exec_lo, exec_lo, s5
	v_or_b32_e32 v110, 0x6c00, v0
	s_mov_b32 s5, exec_lo
	s_delay_alu instid0(VALU_DEP_1)
	v_cmpx_gt_u32_e64 s4, v110
	s_cbranch_execz .LBB794_253
; %bb.252:
	v_lshlrev_b32_e32 v108, 1, v0
	global_load_u16 v108, v108, s[2:3] offset:55296
	s_wait_loadcnt 0x0
	v_and_b32_e32 v108, 0x7fff, v108
	s_delay_alu instid0(VALU_DEP_1)
	v_cmp_ne_u16_e32 vcc_lo, 0, v108
	s_wait_alu 0xfffd
	v_cndmask_b32_e64 v108, 0, 1, vcc_lo
.LBB794_253:
	s_wait_alu 0xfffe
	s_or_b32 exec_lo, exec_lo, s5
	v_or_b32_e32 v111, 0x6d00, v0
	v_mov_b32_e32 v110, 0
	s_delay_alu instid0(VALU_DEP_2)
	v_cmp_gt_u32_e32 vcc_lo, s4, v111
	v_mov_b32_e32 v111, 0
	s_and_saveexec_b32 s5, vcc_lo
	s_cbranch_execz .LBB794_255
; %bb.254:
	v_lshlrev_b32_e32 v111, 1, v0
	global_load_u16 v111, v111, s[2:3] offset:55808
	s_wait_loadcnt 0x0
	v_and_b32_e32 v111, 0x7fff, v111
	s_delay_alu instid0(VALU_DEP_1)
	v_cmp_ne_u16_e32 vcc_lo, 0, v111
	s_wait_alu 0xfffd
	v_cndmask_b32_e64 v111, 0, 1, vcc_lo
.LBB794_255:
	s_wait_alu 0xfffe
	s_or_b32 exec_lo, exec_lo, s5
	v_or_b32_e32 v112, 0x6e00, v0
	s_mov_b32 s5, exec_lo
	s_delay_alu instid0(VALU_DEP_1)
	v_cmpx_gt_u32_e64 s4, v112
	s_cbranch_execz .LBB794_257
; %bb.256:
	v_lshlrev_b32_e32 v110, 1, v0
	global_load_u16 v110, v110, s[2:3] offset:56320
	s_wait_loadcnt 0x0
	v_and_b32_e32 v110, 0x7fff, v110
	s_delay_alu instid0(VALU_DEP_1)
	v_cmp_ne_u16_e32 vcc_lo, 0, v110
	s_wait_alu 0xfffd
	v_cndmask_b32_e64 v110, 0, 1, vcc_lo
.LBB794_257:
	s_wait_alu 0xfffe
	s_or_b32 exec_lo, exec_lo, s5
	v_or_b32_e32 v113, 0x6f00, v0
	v_mov_b32_e32 v112, 0
	s_delay_alu instid0(VALU_DEP_2)
	v_cmp_gt_u32_e32 vcc_lo, s4, v113
	v_mov_b32_e32 v113, 0
	s_and_saveexec_b32 s5, vcc_lo
	s_cbranch_execz .LBB794_259
; %bb.258:
	v_lshlrev_b32_e32 v113, 1, v0
	global_load_u16 v113, v113, s[2:3] offset:56832
	s_wait_loadcnt 0x0
	v_and_b32_e32 v113, 0x7fff, v113
	s_delay_alu instid0(VALU_DEP_1)
	v_cmp_ne_u16_e32 vcc_lo, 0, v113
	s_wait_alu 0xfffd
	v_cndmask_b32_e64 v113, 0, 1, vcc_lo
.LBB794_259:
	s_wait_alu 0xfffe
	s_or_b32 exec_lo, exec_lo, s5
	v_or_b32_e32 v114, 0x7000, v0
	s_mov_b32 s5, exec_lo
	s_delay_alu instid0(VALU_DEP_1)
	v_cmpx_gt_u32_e64 s4, v114
	s_cbranch_execz .LBB794_261
; %bb.260:
	v_lshlrev_b32_e32 v112, 1, v0
	global_load_u16 v112, v112, s[2:3] offset:57344
	s_wait_loadcnt 0x0
	v_and_b32_e32 v112, 0x7fff, v112
	s_delay_alu instid0(VALU_DEP_1)
	v_cmp_ne_u16_e32 vcc_lo, 0, v112
	s_wait_alu 0xfffd
	v_cndmask_b32_e64 v112, 0, 1, vcc_lo
.LBB794_261:
	s_wait_alu 0xfffe
	s_or_b32 exec_lo, exec_lo, s5
	v_or_b32_e32 v115, 0x7100, v0
	v_mov_b32_e32 v114, 0
	s_delay_alu instid0(VALU_DEP_2)
	v_cmp_gt_u32_e32 vcc_lo, s4, v115
	v_mov_b32_e32 v115, 0
	s_and_saveexec_b32 s5, vcc_lo
	s_cbranch_execz .LBB794_263
; %bb.262:
	v_lshlrev_b32_e32 v115, 1, v0
	global_load_u16 v115, v115, s[2:3] offset:57856
	s_wait_loadcnt 0x0
	v_and_b32_e32 v115, 0x7fff, v115
	s_delay_alu instid0(VALU_DEP_1)
	v_cmp_ne_u16_e32 vcc_lo, 0, v115
	s_wait_alu 0xfffd
	v_cndmask_b32_e64 v115, 0, 1, vcc_lo
.LBB794_263:
	s_wait_alu 0xfffe
	s_or_b32 exec_lo, exec_lo, s5
	v_or_b32_e32 v116, 0x7200, v0
	s_mov_b32 s5, exec_lo
	s_delay_alu instid0(VALU_DEP_1)
	v_cmpx_gt_u32_e64 s4, v116
	s_cbranch_execz .LBB794_265
; %bb.264:
	v_lshlrev_b32_e32 v114, 1, v0
	global_load_u16 v114, v114, s[2:3] offset:58368
	s_wait_loadcnt 0x0
	v_and_b32_e32 v114, 0x7fff, v114
	s_delay_alu instid0(VALU_DEP_1)
	v_cmp_ne_u16_e32 vcc_lo, 0, v114
	s_wait_alu 0xfffd
	v_cndmask_b32_e64 v114, 0, 1, vcc_lo
.LBB794_265:
	s_wait_alu 0xfffe
	s_or_b32 exec_lo, exec_lo, s5
	v_or_b32_e32 v117, 0x7300, v0
	v_mov_b32_e32 v116, 0
	s_delay_alu instid0(VALU_DEP_2)
	v_cmp_gt_u32_e32 vcc_lo, s4, v117
	v_mov_b32_e32 v117, 0
	s_and_saveexec_b32 s5, vcc_lo
	s_cbranch_execz .LBB794_267
; %bb.266:
	v_lshlrev_b32_e32 v117, 1, v0
	global_load_u16 v117, v117, s[2:3] offset:58880
	s_wait_loadcnt 0x0
	v_and_b32_e32 v117, 0x7fff, v117
	s_delay_alu instid0(VALU_DEP_1)
	v_cmp_ne_u16_e32 vcc_lo, 0, v117
	s_wait_alu 0xfffd
	v_cndmask_b32_e64 v117, 0, 1, vcc_lo
.LBB794_267:
	s_wait_alu 0xfffe
	s_or_b32 exec_lo, exec_lo, s5
	v_or_b32_e32 v118, 0x7400, v0
	s_mov_b32 s5, exec_lo
	s_delay_alu instid0(VALU_DEP_1)
	v_cmpx_gt_u32_e64 s4, v118
	s_cbranch_execz .LBB794_269
; %bb.268:
	v_lshlrev_b32_e32 v116, 1, v0
	global_load_u16 v116, v116, s[2:3] offset:59392
	s_wait_loadcnt 0x0
	v_and_b32_e32 v116, 0x7fff, v116
	s_delay_alu instid0(VALU_DEP_1)
	v_cmp_ne_u16_e32 vcc_lo, 0, v116
	s_wait_alu 0xfffd
	v_cndmask_b32_e64 v116, 0, 1, vcc_lo
.LBB794_269:
	s_wait_alu 0xfffe
	s_or_b32 exec_lo, exec_lo, s5
	v_or_b32_e32 v119, 0x7500, v0
	v_mov_b32_e32 v118, 0
	s_delay_alu instid0(VALU_DEP_2)
	v_cmp_gt_u32_e32 vcc_lo, s4, v119
	v_mov_b32_e32 v119, 0
	s_and_saveexec_b32 s5, vcc_lo
	s_cbranch_execz .LBB794_271
; %bb.270:
	v_lshlrev_b32_e32 v119, 1, v0
	global_load_u16 v119, v119, s[2:3] offset:59904
	s_wait_loadcnt 0x0
	v_and_b32_e32 v119, 0x7fff, v119
	s_delay_alu instid0(VALU_DEP_1)
	v_cmp_ne_u16_e32 vcc_lo, 0, v119
	s_wait_alu 0xfffd
	v_cndmask_b32_e64 v119, 0, 1, vcc_lo
.LBB794_271:
	s_wait_alu 0xfffe
	s_or_b32 exec_lo, exec_lo, s5
	v_or_b32_e32 v120, 0x7600, v0
	s_mov_b32 s5, exec_lo
	s_delay_alu instid0(VALU_DEP_1)
	v_cmpx_gt_u32_e64 s4, v120
	s_cbranch_execz .LBB794_273
; %bb.272:
	v_lshlrev_b32_e32 v118, 1, v0
	global_load_u16 v118, v118, s[2:3] offset:60416
	s_wait_loadcnt 0x0
	v_and_b32_e32 v118, 0x7fff, v118
	s_delay_alu instid0(VALU_DEP_1)
	v_cmp_ne_u16_e32 vcc_lo, 0, v118
	s_wait_alu 0xfffd
	v_cndmask_b32_e64 v118, 0, 1, vcc_lo
.LBB794_273:
	s_wait_alu 0xfffe
	s_or_b32 exec_lo, exec_lo, s5
	v_or_b32_e32 v121, 0x7700, v0
	v_mov_b32_e32 v120, 0
	s_delay_alu instid0(VALU_DEP_2)
	v_cmp_gt_u32_e32 vcc_lo, s4, v121
	v_mov_b32_e32 v121, 0
	s_and_saveexec_b32 s5, vcc_lo
	s_cbranch_execz .LBB794_275
; %bb.274:
	v_lshlrev_b32_e32 v121, 1, v0
	global_load_u16 v121, v121, s[2:3] offset:60928
	s_wait_loadcnt 0x0
	v_and_b32_e32 v121, 0x7fff, v121
	s_delay_alu instid0(VALU_DEP_1)
	v_cmp_ne_u16_e32 vcc_lo, 0, v121
	s_wait_alu 0xfffd
	v_cndmask_b32_e64 v121, 0, 1, vcc_lo
.LBB794_275:
	s_wait_alu 0xfffe
	s_or_b32 exec_lo, exec_lo, s5
	v_or_b32_e32 v122, 0x7800, v0
	s_mov_b32 s5, exec_lo
	s_delay_alu instid0(VALU_DEP_1)
	v_cmpx_gt_u32_e64 s4, v122
	s_cbranch_execz .LBB794_277
; %bb.276:
	v_lshlrev_b32_e32 v120, 1, v0
	global_load_u16 v120, v120, s[2:3] offset:61440
	s_wait_loadcnt 0x0
	v_and_b32_e32 v120, 0x7fff, v120
	s_delay_alu instid0(VALU_DEP_1)
	v_cmp_ne_u16_e32 vcc_lo, 0, v120
	s_wait_alu 0xfffd
	v_cndmask_b32_e64 v120, 0, 1, vcc_lo
.LBB794_277:
	s_wait_alu 0xfffe
	s_or_b32 exec_lo, exec_lo, s5
	v_or_b32_e32 v123, 0x7900, v0
	v_mov_b32_e32 v122, 0
	s_delay_alu instid0(VALU_DEP_2)
	v_cmp_gt_u32_e32 vcc_lo, s4, v123
	v_mov_b32_e32 v123, 0
	s_and_saveexec_b32 s5, vcc_lo
	s_cbranch_execz .LBB794_279
; %bb.278:
	v_lshlrev_b32_e32 v123, 1, v0
	global_load_u16 v123, v123, s[2:3] offset:61952
	s_wait_loadcnt 0x0
	v_and_b32_e32 v123, 0x7fff, v123
	s_delay_alu instid0(VALU_DEP_1)
	v_cmp_ne_u16_e32 vcc_lo, 0, v123
	s_wait_alu 0xfffd
	v_cndmask_b32_e64 v123, 0, 1, vcc_lo
.LBB794_279:
	s_wait_alu 0xfffe
	s_or_b32 exec_lo, exec_lo, s5
	v_or_b32_e32 v124, 0x7a00, v0
	s_mov_b32 s5, exec_lo
	s_delay_alu instid0(VALU_DEP_1)
	v_cmpx_gt_u32_e64 s4, v124
	s_cbranch_execz .LBB794_281
; %bb.280:
	v_lshlrev_b32_e32 v122, 1, v0
	global_load_u16 v122, v122, s[2:3] offset:62464
	s_wait_loadcnt 0x0
	v_and_b32_e32 v122, 0x7fff, v122
	s_delay_alu instid0(VALU_DEP_1)
	v_cmp_ne_u16_e32 vcc_lo, 0, v122
	s_wait_alu 0xfffd
	v_cndmask_b32_e64 v122, 0, 1, vcc_lo
.LBB794_281:
	s_wait_alu 0xfffe
	s_or_b32 exec_lo, exec_lo, s5
	v_or_b32_e32 v125, 0x7b00, v0
	v_mov_b32_e32 v124, 0
	s_delay_alu instid0(VALU_DEP_2)
	v_cmp_gt_u32_e32 vcc_lo, s4, v125
	v_mov_b32_e32 v125, 0
	s_and_saveexec_b32 s5, vcc_lo
	s_cbranch_execz .LBB794_283
; %bb.282:
	v_lshlrev_b32_e32 v125, 1, v0
	global_load_u16 v125, v125, s[2:3] offset:62976
	s_wait_loadcnt 0x0
	v_and_b32_e32 v125, 0x7fff, v125
	s_delay_alu instid0(VALU_DEP_1)
	v_cmp_ne_u16_e32 vcc_lo, 0, v125
	s_wait_alu 0xfffd
	v_cndmask_b32_e64 v125, 0, 1, vcc_lo
.LBB794_283:
	s_wait_alu 0xfffe
	s_or_b32 exec_lo, exec_lo, s5
	v_or_b32_e32 v126, 0x7c00, v0
	s_mov_b32 s5, exec_lo
	s_delay_alu instid0(VALU_DEP_1)
	v_cmpx_gt_u32_e64 s4, v126
	s_cbranch_execz .LBB794_285
; %bb.284:
	v_lshlrev_b32_e32 v124, 1, v0
	global_load_u16 v124, v124, s[2:3] offset:63488
	s_wait_loadcnt 0x0
	v_and_b32_e32 v124, 0x7fff, v124
	s_delay_alu instid0(VALU_DEP_1)
	v_cmp_ne_u16_e32 vcc_lo, 0, v124
	s_wait_alu 0xfffd
	v_cndmask_b32_e64 v124, 0, 1, vcc_lo
.LBB794_285:
	s_wait_alu 0xfffe
	s_or_b32 exec_lo, exec_lo, s5
	v_or_b32_e32 v127, 0x7d00, v0
	v_mov_b32_e32 v126, 0
	s_delay_alu instid0(VALU_DEP_2)
	v_cmp_gt_u32_e32 vcc_lo, s4, v127
	v_mov_b32_e32 v127, 0
	s_and_saveexec_b32 s5, vcc_lo
	s_cbranch_execz .LBB794_287
; %bb.286:
	v_lshlrev_b32_e32 v127, 1, v0
	global_load_u16 v127, v127, s[2:3] offset:64000
	s_wait_loadcnt 0x0
	v_and_b32_e32 v127, 0x7fff, v127
	s_delay_alu instid0(VALU_DEP_1)
	v_cmp_ne_u16_e32 vcc_lo, 0, v127
	s_wait_alu 0xfffd
	v_cndmask_b32_e64 v127, 0, 1, vcc_lo
.LBB794_287:
	s_wait_alu 0xfffe
	s_or_b32 exec_lo, exec_lo, s5
	v_or_b32_e32 v128, 0x7e00, v0
	s_mov_b32 s5, exec_lo
	s_delay_alu instid0(VALU_DEP_1)
	v_cmpx_gt_u32_e64 s4, v128
	s_cbranch_execz .LBB794_289
; %bb.288:
	v_lshlrev_b32_e32 v126, 1, v0
	global_load_u16 v126, v126, s[2:3] offset:64512
	s_wait_loadcnt 0x0
	v_and_b32_e32 v126, 0x7fff, v126
	s_delay_alu instid0(VALU_DEP_1)
	v_cmp_ne_u16_e32 vcc_lo, 0, v126
	s_wait_alu 0xfffd
	v_cndmask_b32_e64 v126, 0, 1, vcc_lo
.LBB794_289:
	s_wait_alu 0xfffe
	s_or_b32 exec_lo, exec_lo, s5
	v_or_b32_e32 v128, 0x7f00, v0
	s_delay_alu instid0(VALU_DEP_1)
	v_cmp_gt_u32_e32 vcc_lo, s4, v128
	v_mov_b32_e32 v128, 0
	s_and_saveexec_b32 s5, vcc_lo
	s_cbranch_execz .LBB794_291
; %bb.290:
	v_lshlrev_b32_e32 v128, 1, v0
	global_load_u16 v128, v128, s[2:3] offset:65024
	s_wait_loadcnt 0x0
	v_and_b32_e32 v128, 0x7fff, v128
	s_delay_alu instid0(VALU_DEP_1) | instskip(SKIP_1) | instid1(VALU_DEP_1)
	v_cmp_ne_u16_e64 vcc_lo, 0, v128
	s_wait_alu 0xfffd
	v_cndmask_b32_e64 v128, 0, 1, vcc_lo
.LBB794_291:
	s_wait_alu 0xfffe
	s_or_b32 exec_lo, exec_lo, s5
	v_add_nc_u32_e32 v1, v3, v1
	s_min_u32 s2, s4, 0x100
	s_mov_b32 s3, exec_lo
	s_delay_alu instid0(VALU_DEP_1) | instskip(SKIP_1) | instid1(VALU_DEP_2)
	v_add3_u32 v1, v1, v2, v5
	v_mbcnt_lo_u32_b32 v2, -1, 0
	v_add3_u32 v1, v1, v4, v7
	s_delay_alu instid0(VALU_DEP_2) | instskip(SKIP_1) | instid1(VALU_DEP_3)
	v_cmp_ne_u32_e32 vcc_lo, 31, v2
	v_add_nc_u32_e32 v5, 1, v2
	v_add3_u32 v1, v1, v6, v9
	s_wait_alu 0xfffd
	v_add_co_ci_u32_e64 v3, null, 0, v2, vcc_lo
	v_cmp_gt_u32_e32 vcc_lo, 30, v2
	s_delay_alu instid0(VALU_DEP_3) | instskip(NEXT) | instid1(VALU_DEP_3)
	v_add3_u32 v1, v1, v8, v11
	v_lshlrev_b32_e32 v3, 2, v3
	s_wait_alu 0xfffd
	v_cndmask_b32_e64 v6, 0, 2, vcc_lo
	s_delay_alu instid0(VALU_DEP_3) | instskip(NEXT) | instid1(VALU_DEP_1)
	v_add3_u32 v1, v1, v10, v13
	v_add3_u32 v1, v1, v12, v15
	s_delay_alu instid0(VALU_DEP_1) | instskip(NEXT) | instid1(VALU_DEP_1)
	v_add3_u32 v1, v1, v14, v17
	v_add3_u32 v1, v1, v16, v19
	s_delay_alu instid0(VALU_DEP_1) | instskip(NEXT) | instid1(VALU_DEP_1)
	;; [unrolled: 3-line block ×28, first 2 shown]
	v_add3_u32 v1, v1, v122, v125
	v_add3_u32 v1, v1, v124, v127
	s_delay_alu instid0(VALU_DEP_1) | instskip(SKIP_2) | instid1(VALU_DEP_1)
	v_add3_u32 v1, v1, v126, v128
	ds_bpermute_b32 v3, v3, v1
	v_and_b32_e32 v4, 0xe0, v0
	v_sub_nc_u32_e64 v4, s2, v4 clamp
	s_delay_alu instid0(VALU_DEP_1)
	v_cmp_lt_u32_e32 vcc_lo, v5, v4
	v_add_lshl_u32 v5, v6, v2, 2
	s_wait_dscnt 0x0
	s_wait_alu 0xfffd
	v_cndmask_b32_e32 v3, 0, v3, vcc_lo
	v_cmp_gt_u32_e32 vcc_lo, 28, v2
	s_delay_alu instid0(VALU_DEP_2) | instskip(SKIP_4) | instid1(VALU_DEP_1)
	v_add_nc_u32_e32 v1, v3, v1
	s_wait_alu 0xfffd
	v_cndmask_b32_e64 v6, 0, 4, vcc_lo
	ds_bpermute_b32 v3, v5, v1
	v_add_nc_u32_e32 v5, 2, v2
	v_cmp_lt_u32_e32 vcc_lo, v5, v4
	v_add_lshl_u32 v5, v6, v2, 2
	s_wait_dscnt 0x0
	s_wait_alu 0xfffd
	v_cndmask_b32_e32 v3, 0, v3, vcc_lo
	v_cmp_gt_u32_e32 vcc_lo, 24, v2
	s_delay_alu instid0(VALU_DEP_2) | instskip(SKIP_4) | instid1(VALU_DEP_1)
	v_add_nc_u32_e32 v1, v1, v3
	s_wait_alu 0xfffd
	v_cndmask_b32_e64 v6, 0, 8, vcc_lo
	ds_bpermute_b32 v3, v5, v1
	v_add_nc_u32_e32 v5, 4, v2
	v_cmp_lt_u32_e32 vcc_lo, v5, v4
	v_add_lshl_u32 v5, v6, v2, 2
	s_wait_dscnt 0x0
	s_wait_alu 0xfffd
	v_dual_cndmask_b32 v3, 0, v3 :: v_dual_add_nc_u32 v6, 8, v2
	s_delay_alu instid0(VALU_DEP_1) | instskip(NEXT) | instid1(VALU_DEP_2)
	v_cmp_lt_u32_e32 vcc_lo, v6, v4
	v_add_nc_u32_e32 v1, v1, v3
	v_lshlrev_b32_e32 v3, 2, v2
	ds_bpermute_b32 v5, v5, v1
	v_or_b32_e32 v6, 64, v3
	s_wait_dscnt 0x0
	s_wait_alu 0xfffd
	v_cndmask_b32_e32 v5, 0, v5, vcc_lo
	s_delay_alu instid0(VALU_DEP_1) | instskip(SKIP_2) | instid1(VALU_DEP_1)
	v_add_nc_u32_e32 v1, v1, v5
	ds_bpermute_b32 v5, v6, v1
	v_add_nc_u32_e32 v6, 16, v2
	v_cmp_lt_u32_e32 vcc_lo, v6, v4
	s_wait_dscnt 0x0
	s_wait_alu 0xfffd
	v_cndmask_b32_e32 v4, 0, v5, vcc_lo
	s_delay_alu instid0(VALU_DEP_1)
	v_add_nc_u32_e32 v1, v1, v4
	v_cmpx_eq_u32_e32 0, v2
; %bb.292:
	v_lshrrev_b32_e32 v4, 3, v0
	s_delay_alu instid0(VALU_DEP_1)
	v_and_b32_e32 v4, 28, v4
	ds_store_b32 v4, v1 offset:256
; %bb.293:
	s_or_b32 exec_lo, exec_lo, s3
	s_delay_alu instid0(SALU_CYCLE_1)
	s_mov_b32 s3, exec_lo
	s_wait_loadcnt_dscnt 0x0
	s_barrier_signal -1
	s_barrier_wait -1
	global_inv scope:SCOPE_SE
	v_cmpx_gt_u32_e32 8, v0
	s_cbranch_execz .LBB794_295
; %bb.294:
	ds_load_b32 v1, v3 offset:256
	v_and_b32_e32 v4, 7, v2
	s_add_co_i32 s2, s2, 31
	s_wait_alu 0xfffe
	s_lshr_b32 s2, s2, 5
	s_delay_alu instid0(VALU_DEP_1) | instskip(SKIP_4) | instid1(VALU_DEP_2)
	v_cmp_ne_u32_e32 vcc_lo, 7, v4
	v_add_nc_u32_e32 v6, 1, v4
	s_wait_alu 0xfffd
	v_add_co_ci_u32_e64 v5, null, 0, v2, vcc_lo
	v_cmp_gt_u32_e32 vcc_lo, 6, v4
	v_lshlrev_b32_e32 v5, 2, v5
	s_wait_alu 0xfffd
	v_cndmask_b32_e64 v7, 0, 2, vcc_lo
	s_wait_alu 0xfffe
	v_cmp_gt_u32_e32 vcc_lo, s2, v6
	s_wait_dscnt 0x0
	ds_bpermute_b32 v5, v5, v1
	v_add_lshl_u32 v2, v7, v2, 2
	s_wait_dscnt 0x0
	s_wait_alu 0xfffd
	v_cndmask_b32_e32 v5, 0, v5, vcc_lo
	s_delay_alu instid0(VALU_DEP_1)
	v_add_nc_u32_e32 v1, v5, v1
	v_add_nc_u32_e32 v5, 2, v4
	ds_bpermute_b32 v2, v2, v1
	v_cmp_gt_u32_e32 vcc_lo, s2, v5
	s_wait_dscnt 0x0
	s_wait_alu 0xfffd
	v_cndmask_b32_e32 v2, 0, v2, vcc_lo
	s_delay_alu instid0(VALU_DEP_1)
	v_add_nc_u32_e32 v1, v1, v2
	v_or_b32_e32 v2, 16, v3
	v_add_nc_u32_e32 v3, 4, v4
	ds_bpermute_b32 v2, v2, v1
	v_cmp_gt_u32_e32 vcc_lo, s2, v3
	s_wait_dscnt 0x0
	s_wait_alu 0xfffd
	v_cndmask_b32_e32 v2, 0, v2, vcc_lo
	s_delay_alu instid0(VALU_DEP_1)
	v_add_nc_u32_e32 v1, v1, v2
.LBB794_295:
	s_wait_alu 0xfffe
	s_or_b32 exec_lo, exec_lo, s3
	v_cmp_eq_u32_e64 s2, 0, v0
	s_and_b32 vcc_lo, exec_lo, s6
	s_wait_alu 0xfffe
	s_cbranch_vccnz .LBB794_24
	s_branch .LBB794_11
.LBB794_296:
	s_mov_b32 s3, -1
                                        ; implicit-def: $vgpr1
.LBB794_297:
	s_delay_alu instid0(SALU_CYCLE_1)
	s_and_b32 vcc_lo, exec_lo, s3
	s_wait_alu 0xfffe
	s_cbranch_vccz .LBB794_367
; %bb.298:
	v_mov_b32_e32 v1, 0
	s_sub_co_i32 s45, s36, s2
	s_delay_alu instid0(SALU_CYCLE_1) | instskip(NEXT) | instid1(VALU_DEP_2)
	v_cmp_gt_u32_e32 vcc_lo, s45, v0
	v_dual_mov_b32 v2, v1 :: v_dual_mov_b32 v3, v1
	v_dual_mov_b32 v4, v1 :: v_dual_mov_b32 v5, v1
	;; [unrolled: 1-line block ×15, first 2 shown]
	v_mov_b32_e32 v32, v1
	s_and_saveexec_b32 s2, vcc_lo
	s_cbranch_execz .LBB794_300
; %bb.299:
	v_dual_mov_b32 v3, v1 :: v_dual_lshlrev_b32 v2, 1, v0
	v_dual_mov_b32 v30, v1 :: v_dual_mov_b32 v33, v1
	v_dual_mov_b32 v4, v1 :: v_dual_mov_b32 v5, v1
	global_load_u16 v2, v2, s[42:43]
	v_dual_mov_b32 v6, v1 :: v_dual_mov_b32 v7, v1
	v_dual_mov_b32 v8, v1 :: v_dual_mov_b32 v9, v1
	;; [unrolled: 1-line block ×13, first 2 shown]
	s_wait_loadcnt 0x0
	v_and_b32_e32 v2, 0x7fff, v2
	s_delay_alu instid0(VALU_DEP_1) | instskip(SKIP_2) | instid1(VALU_DEP_1)
	v_cmp_ne_u16_e32 vcc_lo, 0, v2
	s_wait_alu 0xfffd
	v_cndmask_b32_e64 v2, 0, 1, vcc_lo
	v_mov_b32_e32 v1, v2
	v_mov_b32_e32 v2, v3
	;; [unrolled: 1-line block ×32, first 2 shown]
.LBB794_300:
	s_or_b32 exec_lo, exec_lo, s2
	v_or_b32_e32 v33, 0x100, v0
	s_delay_alu instid0(VALU_DEP_1)
	v_cmp_gt_u32_e32 vcc_lo, s45, v33
	s_and_saveexec_b32 s3, vcc_lo
	s_cbranch_execz .LBB794_302
; %bb.301:
	v_lshlrev_b32_e32 v2, 1, v0
	global_load_u16 v2, v2, s[42:43] offset:512
	s_wait_loadcnt 0x0
	v_and_b32_e32 v2, 0x7fff, v2
	s_delay_alu instid0(VALU_DEP_1) | instskip(NEXT) | instid1(VALU_DEP_1)
	v_cmp_ne_u16_e64 s2, 0, v2
	v_cndmask_b32_e64 v2, 0, 1, s2
.LBB794_302:
	s_or_b32 exec_lo, exec_lo, s3
	v_or_b32_e32 v33, 0x200, v0
	s_delay_alu instid0(VALU_DEP_1)
	v_cmp_gt_u32_e64 s2, s45, v33
	s_and_saveexec_b32 s4, s2
	s_cbranch_execz .LBB794_304
; %bb.303:
	v_lshlrev_b32_e32 v3, 1, v0
	global_load_u16 v3, v3, s[42:43] offset:1024
	s_wait_loadcnt 0x0
	v_and_b32_e32 v3, 0x7fff, v3
	s_delay_alu instid0(VALU_DEP_1) | instskip(SKIP_1) | instid1(VALU_DEP_1)
	v_cmp_ne_u16_e64 s3, 0, v3
	s_wait_alu 0xf1ff
	v_cndmask_b32_e64 v3, 0, 1, s3
.LBB794_304:
	s_or_b32 exec_lo, exec_lo, s4
	v_or_b32_e32 v33, 0x300, v0
	s_delay_alu instid0(VALU_DEP_1)
	v_cmp_gt_u32_e64 s3, s45, v33
	s_and_saveexec_b32 s5, s3
	s_cbranch_execz .LBB794_306
; %bb.305:
	v_lshlrev_b32_e32 v4, 1, v0
	global_load_u16 v4, v4, s[42:43] offset:1536
	s_wait_loadcnt 0x0
	v_and_b32_e32 v4, 0x7fff, v4
	s_delay_alu instid0(VALU_DEP_1) | instskip(NEXT) | instid1(VALU_DEP_1)
	v_cmp_ne_u16_e64 s4, 0, v4
	v_cndmask_b32_e64 v4, 0, 1, s4
.LBB794_306:
	s_or_b32 exec_lo, exec_lo, s5
	v_or_b32_e32 v33, 0x400, v0
	s_delay_alu instid0(VALU_DEP_1)
	v_cmp_gt_u32_e64 s4, s45, v33
	s_and_saveexec_b32 s6, s4
	s_cbranch_execz .LBB794_308
; %bb.307:
	v_lshlrev_b32_e32 v5, 1, v0
	global_load_u16 v5, v5, s[42:43] offset:2048
	s_wait_loadcnt 0x0
	v_and_b32_e32 v5, 0x7fff, v5
	s_delay_alu instid0(VALU_DEP_1) | instskip(SKIP_1) | instid1(VALU_DEP_1)
	v_cmp_ne_u16_e64 s5, 0, v5
	s_wait_alu 0xf1ff
	v_cndmask_b32_e64 v5, 0, 1, s5
.LBB794_308:
	s_or_b32 exec_lo, exec_lo, s6
	v_or_b32_e32 v33, 0x500, v0
	s_delay_alu instid0(VALU_DEP_1)
	v_cmp_gt_u32_e64 s5, s45, v33
	s_and_saveexec_b32 s7, s5
	;; [unrolled: 31-line block ×15, first 2 shown]
	s_cbranch_execz .LBB794_362
; %bb.361:
	v_lshlrev_b32_e32 v32, 1, v0
	global_load_u16 v32, v32, s[42:43] offset:15872
	s_wait_loadcnt 0x0
	v_and_b32_e32 v32, 0x7fff, v32
	s_delay_alu instid0(VALU_DEP_1) | instskip(NEXT) | instid1(VALU_DEP_1)
	v_cmp_ne_u16_e64 s33, 0, v32
	v_cndmask_b32_e64 v32, 0, 1, s33
.LBB794_362:
	s_or_b32 exec_lo, exec_lo, s46
	v_cndmask_b32_e32 v2, 0, v2, vcc_lo
	v_cndmask_b32_e64 v3, 0, v3, s2
	v_cndmask_b32_e64 v4, 0, v4, s3
	s_min_u32 s2, s45, 0x100
	s_mov_b32 s3, exec_lo
	v_add_nc_u32_e32 v1, v2, v1
	v_cndmask_b32_e64 v2, 0, v5, s4
	v_cndmask_b32_e64 v5, 0, v6, s5
	v_cndmask_b32_e64 v6, 0, v30, s29
	s_delay_alu instid0(VALU_DEP_4) | instskip(SKIP_3) | instid1(VALU_DEP_4)
	v_add3_u32 v1, v1, v3, v4
	v_cndmask_b32_e64 v3, 0, v7, s6
	v_cndmask_b32_e64 v4, 0, v8, s7
	;; [unrolled: 1-line block ×3, first 2 shown]
	v_add3_u32 v1, v1, v2, v5
	v_cndmask_b32_e64 v2, 0, v9, s8
	v_cndmask_b32_e64 v5, 0, v10, s9
	s_delay_alu instid0(VALU_DEP_3) | instskip(SKIP_2) | instid1(VALU_DEP_3)
	v_add3_u32 v1, v1, v3, v4
	v_cndmask_b32_e64 v3, 0, v11, s10
	v_cndmask_b32_e64 v4, 0, v12, s11
	v_add3_u32 v1, v1, v2, v5
	v_cndmask_b32_e64 v2, 0, v13, s12
	v_cndmask_b32_e64 v5, 0, v14, s13
	s_delay_alu instid0(VALU_DEP_3) | instskip(SKIP_2) | instid1(VALU_DEP_3)
	v_add3_u32 v1, v1, v3, v4
	v_cndmask_b32_e64 v3, 0, v15, s14
	v_cndmask_b32_e64 v4, 0, v16, s15
	;; [unrolled: 7-line block ×5, first 2 shown]
	v_add3_u32 v1, v1, v2, v5
	v_mbcnt_lo_u32_b32 v2, -1, 0
	v_cndmask_b32_e64 v5, 0, v29, s28
	s_delay_alu instid0(VALU_DEP_3) | instskip(NEXT) | instid1(VALU_DEP_3)
	v_add3_u32 v1, v1, v3, v4
	v_cmp_ne_u32_e32 vcc_lo, 31, v2
	v_cndmask_b32_e64 v3, 0, v32, s31
	s_delay_alu instid0(VALU_DEP_3)
	v_add3_u32 v1, v1, v5, v6
	s_wait_alu 0xfffd
	v_add_co_ci_u32_e64 v4, null, 0, v2, vcc_lo
	v_add_nc_u32_e32 v5, 1, v2
	v_cmp_gt_u32_e32 vcc_lo, 30, v2
	v_add3_u32 v1, v1, v7, v3
	s_delay_alu instid0(VALU_DEP_4)
	v_lshlrev_b32_e32 v4, 2, v4
	s_wait_alu 0xfffd
	v_cndmask_b32_e64 v6, 0, 2, vcc_lo
	ds_bpermute_b32 v3, v4, v1
	v_and_b32_e32 v4, 0xe0, v0
	s_wait_alu 0xfffe
	s_delay_alu instid0(VALU_DEP_1) | instskip(NEXT) | instid1(VALU_DEP_1)
	v_sub_nc_u32_e64 v4, s2, v4 clamp
	v_cmp_lt_u32_e32 vcc_lo, v5, v4
	v_add_lshl_u32 v5, v6, v2, 2
	s_wait_dscnt 0x0
	s_wait_alu 0xfffd
	v_cndmask_b32_e32 v3, 0, v3, vcc_lo
	v_cmp_gt_u32_e32 vcc_lo, 28, v2
	s_delay_alu instid0(VALU_DEP_2) | instskip(SKIP_4) | instid1(VALU_DEP_1)
	v_add_nc_u32_e32 v1, v1, v3
	s_wait_alu 0xfffd
	v_cndmask_b32_e64 v6, 0, 4, vcc_lo
	ds_bpermute_b32 v3, v5, v1
	v_add_nc_u32_e32 v5, 2, v2
	v_cmp_lt_u32_e32 vcc_lo, v5, v4
	v_add_lshl_u32 v5, v6, v2, 2
	s_wait_dscnt 0x0
	s_wait_alu 0xfffd
	v_cndmask_b32_e32 v3, 0, v3, vcc_lo
	v_cmp_gt_u32_e32 vcc_lo, 24, v2
	s_delay_alu instid0(VALU_DEP_2) | instskip(SKIP_4) | instid1(VALU_DEP_1)
	v_add_nc_u32_e32 v1, v1, v3
	s_wait_alu 0xfffd
	v_cndmask_b32_e64 v6, 0, 8, vcc_lo
	ds_bpermute_b32 v3, v5, v1
	v_add_nc_u32_e32 v5, 4, v2
	v_cmp_lt_u32_e32 vcc_lo, v5, v4
	v_add_lshl_u32 v5, v6, v2, 2
	s_wait_dscnt 0x0
	s_wait_alu 0xfffd
	v_cndmask_b32_e32 v3, 0, v3, vcc_lo
	s_delay_alu instid0(VALU_DEP_1) | instskip(SKIP_3) | instid1(VALU_DEP_1)
	v_add_nc_u32_e32 v1, v1, v3
	v_lshlrev_b32_e32 v3, 2, v2
	ds_bpermute_b32 v5, v5, v1
	v_add_nc_u32_e32 v6, 8, v2
	v_cmp_lt_u32_e32 vcc_lo, v6, v4
	v_or_b32_e32 v6, 64, v3
	s_wait_dscnt 0x0
	s_wait_alu 0xfffd
	v_cndmask_b32_e32 v5, 0, v5, vcc_lo
	s_delay_alu instid0(VALU_DEP_1) | instskip(SKIP_2) | instid1(VALU_DEP_1)
	v_add_nc_u32_e32 v1, v1, v5
	ds_bpermute_b32 v5, v6, v1
	v_add_nc_u32_e32 v6, 16, v2
	v_cmp_lt_u32_e32 vcc_lo, v6, v4
	s_wait_dscnt 0x0
	s_wait_alu 0xfffd
	v_cndmask_b32_e32 v4, 0, v5, vcc_lo
	s_delay_alu instid0(VALU_DEP_1)
	v_add_nc_u32_e32 v1, v1, v4
	v_cmpx_eq_u32_e32 0, v2
; %bb.363:
	v_lshrrev_b32_e32 v4, 3, v0
	s_delay_alu instid0(VALU_DEP_1)
	v_and_b32_e32 v4, 28, v4
	ds_store_b32 v4, v1 offset:256
; %bb.364:
	s_or_b32 exec_lo, exec_lo, s3
	s_delay_alu instid0(SALU_CYCLE_1)
	s_mov_b32 s3, exec_lo
	s_wait_loadcnt_dscnt 0x0
	s_barrier_signal -1
	s_barrier_wait -1
	global_inv scope:SCOPE_SE
	v_cmpx_gt_u32_e32 8, v0
	s_cbranch_execz .LBB794_366
; %bb.365:
	ds_load_b32 v1, v3 offset:256
	v_and_b32_e32 v4, 7, v2
	s_add_co_i32 s2, s2, 31
	s_wait_alu 0xfffe
	s_lshr_b32 s2, s2, 5
	s_delay_alu instid0(VALU_DEP_1) | instskip(SKIP_4) | instid1(VALU_DEP_2)
	v_cmp_ne_u32_e32 vcc_lo, 7, v4
	v_add_nc_u32_e32 v6, 1, v4
	s_wait_alu 0xfffd
	v_add_co_ci_u32_e64 v5, null, 0, v2, vcc_lo
	v_cmp_gt_u32_e32 vcc_lo, 6, v4
	v_lshlrev_b32_e32 v5, 2, v5
	s_wait_alu 0xfffd
	v_cndmask_b32_e64 v7, 0, 2, vcc_lo
	s_wait_alu 0xfffe
	v_cmp_gt_u32_e32 vcc_lo, s2, v6
	s_wait_dscnt 0x0
	ds_bpermute_b32 v5, v5, v1
	v_add_lshl_u32 v2, v7, v2, 2
	s_wait_dscnt 0x0
	s_wait_alu 0xfffd
	v_cndmask_b32_e32 v5, 0, v5, vcc_lo
	s_delay_alu instid0(VALU_DEP_1)
	v_add_nc_u32_e32 v1, v5, v1
	v_add_nc_u32_e32 v5, 2, v4
	ds_bpermute_b32 v2, v2, v1
	v_cmp_gt_u32_e32 vcc_lo, s2, v5
	s_wait_dscnt 0x0
	s_wait_alu 0xfffd
	v_cndmask_b32_e32 v2, 0, v2, vcc_lo
	s_delay_alu instid0(VALU_DEP_1)
	v_add_nc_u32_e32 v1, v1, v2
	v_or_b32_e32 v2, 16, v3
	v_add_nc_u32_e32 v3, 4, v4
	ds_bpermute_b32 v2, v2, v1
	v_cmp_gt_u32_e32 vcc_lo, s2, v3
	s_wait_dscnt 0x0
	s_wait_alu 0xfffd
	v_cndmask_b32_e32 v2, 0, v2, vcc_lo
	s_delay_alu instid0(VALU_DEP_1)
	v_add_nc_u32_e32 v1, v1, v2
.LBB794_366:
	s_wait_alu 0xfffe
	s_or_b32 exec_lo, exec_lo, s3
.LBB794_367:
	v_cmp_eq_u32_e64 s2, 0, v0
	s_branch .LBB794_512
.LBB794_368:
	s_cmp_eq_u32 s44, 16
	s_cbranch_scc0 .LBB794_375
; %bb.369:
	s_mov_b32 s35, 0
	s_lshl_b32 s2, s34, 12
	s_mov_b32 s3, s35
	s_lshr_b64 s[4:5], s[36:37], 12
	s_lshl_b64 s[6:7], s[2:3], 1
	s_cmp_lg_u64 s[4:5], s[34:35]
	s_add_nc_u64 s[16:17], s[40:41], s[6:7]
	s_cbranch_scc0 .LBB794_533
; %bb.370:
	v_lshlrev_b32_e32 v1, 1, v0
	s_mov_b32 s3, exec_lo
	s_clause 0xf
	global_load_u16 v2, v1, s[16:17]
	global_load_u16 v3, v1, s[16:17] offset:512
	global_load_u16 v4, v1, s[16:17] offset:1024
	;; [unrolled: 1-line block ×15, first 2 shown]
	s_wait_loadcnt 0xf
	v_and_b32_e32 v2, 0x7fff, v2
	s_wait_loadcnt 0xe
	v_and_b32_e32 v3, 0x7fff, v3
	;; [unrolled: 2-line block ×5, first 2 shown]
	v_cmp_ne_u16_e32 vcc_lo, 0, v2
	s_wait_loadcnt 0x9
	v_and_b32_e32 v8, 0x7fff, v8
	v_and_b32_e32 v7, 0x7fff, v7
	s_wait_loadcnt 0x7
	v_and_b32_e32 v10, 0x7fff, v10
	v_and_b32_e32 v9, 0x7fff, v9
	v_cndmask_b32_e64 v2, 0, 1, vcc_lo
	v_cmp_ne_u16_e32 vcc_lo, 0, v4
	s_wait_loadcnt 0x5
	v_and_b32_e32 v12, 0x7fff, v12
	v_and_b32_e32 v11, 0x7fff, v11
	s_wait_loadcnt 0x3
	v_and_b32_e32 v14, 0x7fff, v14
	v_and_b32_e32 v13, 0x7fff, v13
	s_wait_alu 0xfffd
	v_cndmask_b32_e64 v4, 0, 1, vcc_lo
	v_cmp_ne_u16_e32 vcc_lo, 0, v3
	s_wait_loadcnt 0x1
	v_and_b32_e32 v16, 0x7fff, v16
	v_and_b32_e32 v15, 0x7fff, v15
	s_wait_loadcnt 0x0
	v_and_b32_e32 v1, 0x7fff, v1
	s_wait_alu 0xfffd
	v_add_co_ci_u32_e64 v2, null, 0, v2, vcc_lo
	v_cmp_ne_u16_e32 vcc_lo, 0, v6
	s_wait_alu 0xfffd
	v_cndmask_b32_e64 v3, 0, 1, vcc_lo
	v_cmp_ne_u16_e32 vcc_lo, 0, v5
	s_wait_alu 0xfffd
	v_add_co_ci_u32_e64 v2, null, v2, v4, vcc_lo
	v_cmp_ne_u16_e32 vcc_lo, 0, v8
	s_wait_alu 0xfffd
	v_cndmask_b32_e64 v4, 0, 1, vcc_lo
	v_cmp_ne_u16_e32 vcc_lo, 0, v7
	;; [unrolled: 6-line block ×6, first 2 shown]
	s_wait_alu 0xfffd
	v_add_co_ci_u32_e64 v2, null, v2, v3, vcc_lo
	v_cmp_ne_u16_e32 vcc_lo, 0, v1
	s_wait_alu 0xfffd
	s_delay_alu instid0(VALU_DEP_2) | instskip(NEXT) | instid1(VALU_DEP_1)
	v_add_co_ci_u32_e64 v1, null, v2, v4, vcc_lo
	v_mov_b32_dpp v2, v1 quad_perm:[1,0,3,2] row_mask:0xf bank_mask:0xf
	s_delay_alu instid0(VALU_DEP_1) | instskip(NEXT) | instid1(VALU_DEP_1)
	v_add_nc_u32_e32 v1, v1, v2
	v_mov_b32_dpp v2, v1 quad_perm:[2,3,0,1] row_mask:0xf bank_mask:0xf
	s_delay_alu instid0(VALU_DEP_1) | instskip(NEXT) | instid1(VALU_DEP_1)
	v_add_nc_u32_e32 v1, v1, v2
	v_mov_b32_dpp v2, v1 row_ror:4 row_mask:0xf bank_mask:0xf
	s_delay_alu instid0(VALU_DEP_1) | instskip(NEXT) | instid1(VALU_DEP_1)
	v_add_nc_u32_e32 v1, v1, v2
	v_mov_b32_dpp v2, v1 row_ror:8 row_mask:0xf bank_mask:0xf
	s_delay_alu instid0(VALU_DEP_1)
	v_add_nc_u32_e32 v1, v1, v2
	ds_swizzle_b32 v2, v1 offset:swizzle(BROADCAST,32,15)
	s_wait_dscnt 0x0
	v_dual_mov_b32 v2, 0 :: v_dual_add_nc_u32 v1, v1, v2
	ds_bpermute_b32 v1, v2, v1 offset:124
	v_mbcnt_lo_u32_b32 v2, -1, 0
	s_delay_alu instid0(VALU_DEP_1)
	v_cmpx_eq_u32_e32 0, v2
	s_cbranch_execz .LBB794_372
; %bb.371:
	v_lshrrev_b32_e32 v3, 3, v0
	s_delay_alu instid0(VALU_DEP_1)
	v_and_b32_e32 v3, 28, v3
	s_wait_dscnt 0x0
	ds_store_b32 v3, v1 offset:32
.LBB794_372:
	s_or_b32 exec_lo, exec_lo, s3
	s_delay_alu instid0(SALU_CYCLE_1)
	s_mov_b32 s3, exec_lo
	s_wait_dscnt 0x0
	s_barrier_signal -1
	s_barrier_wait -1
	global_inv scope:SCOPE_SE
	v_cmpx_gt_u32_e32 32, v0
	s_cbranch_execz .LBB794_374
; %bb.373:
	v_and_b32_e32 v1, 7, v2
	s_delay_alu instid0(VALU_DEP_1)
	v_lshlrev_b32_e32 v3, 2, v1
	v_cmp_ne_u32_e32 vcc_lo, 7, v1
	ds_load_b32 v3, v3 offset:32
	s_wait_alu 0xfffd
	v_add_co_ci_u32_e64 v4, null, 0, v2, vcc_lo
	v_cmp_gt_u32_e32 vcc_lo, 6, v1
	s_delay_alu instid0(VALU_DEP_2) | instskip(SKIP_2) | instid1(VALU_DEP_1)
	v_lshlrev_b32_e32 v4, 2, v4
	s_wait_alu 0xfffd
	v_cndmask_b32_e64 v1, 0, 2, vcc_lo
	v_add_lshl_u32 v1, v1, v2, 2
	v_lshlrev_b32_e32 v2, 2, v2
	s_delay_alu instid0(VALU_DEP_1)
	v_or_b32_e32 v2, 16, v2
	s_wait_dscnt 0x0
	ds_bpermute_b32 v4, v4, v3
	s_wait_dscnt 0x0
	v_add_nc_u32_e32 v3, v4, v3
	ds_bpermute_b32 v1, v1, v3
	s_wait_dscnt 0x0
	v_add_nc_u32_e32 v1, v1, v3
	;; [unrolled: 3-line block ×3, first 2 shown]
.LBB794_374:
	s_or_b32 exec_lo, exec_lo, s3
	s_mov_b32 s3, 0
	s_branch .LBB794_534
.LBB794_375:
                                        ; implicit-def: $vgpr1
	s_branch .LBB794_623
.LBB794_376:
	s_mov_b32 s5, -1
                                        ; implicit-def: $vgpr1
.LBB794_377:
	s_wait_alu 0xfffe
	s_and_b32 vcc_lo, exec_lo, s5
	s_wait_alu 0xfffe
	s_cbranch_vccz .LBB794_511
; %bb.378:
	s_sub_co_i32 s4, s36, s4
	s_mov_b32 s5, exec_lo
                                        ; implicit-def: $vgpr1
	s_wait_alu 0xfffe
	v_cmpx_gt_u32_e64 s4, v0
	s_cbranch_execz .LBB794_380
; %bb.379:
	v_lshlrev_b32_e32 v1, 1, v0
	global_load_u16 v1, v1, s[2:3]
	s_wait_loadcnt 0x0
	v_and_b32_e32 v1, 0x7fff, v1
	s_delay_alu instid0(VALU_DEP_1)
	v_cmp_ne_u16_e32 vcc_lo, 0, v1
	s_wait_alu 0xfffd
	v_cndmask_b32_e64 v1, 0, 1, vcc_lo
.LBB794_380:
	s_or_b32 exec_lo, exec_lo, s5
	v_or_b32_e32 v3, 0x100, v0
	v_mov_b32_e32 v2, 0
	s_delay_alu instid0(VALU_DEP_2)
	v_cmp_gt_u32_e32 vcc_lo, s4, v3
	v_mov_b32_e32 v3, 0
	s_and_saveexec_b32 s5, vcc_lo
	s_cbranch_execz .LBB794_382
; %bb.381:
	v_lshlrev_b32_e32 v3, 1, v0
	global_load_u16 v3, v3, s[2:3] offset:512
	s_wait_loadcnt 0x0
	v_and_b32_e32 v3, 0x7fff, v3
	s_delay_alu instid0(VALU_DEP_1)
	v_cmp_ne_u16_e32 vcc_lo, 0, v3
	s_wait_alu 0xfffd
	v_cndmask_b32_e64 v3, 0, 1, vcc_lo
.LBB794_382:
	s_wait_alu 0xfffe
	s_or_b32 exec_lo, exec_lo, s5
	v_or_b32_e32 v4, 0x200, v0
	s_mov_b32 s5, exec_lo
	s_delay_alu instid0(VALU_DEP_1)
	v_cmpx_gt_u32_e64 s4, v4
	s_cbranch_execz .LBB794_384
; %bb.383:
	v_lshlrev_b32_e32 v2, 1, v0
	global_load_u16 v2, v2, s[2:3] offset:1024
	s_wait_loadcnt 0x0
	v_and_b32_e32 v2, 0x7fff, v2
	s_delay_alu instid0(VALU_DEP_1)
	v_cmp_ne_u16_e32 vcc_lo, 0, v2
	s_wait_alu 0xfffd
	v_cndmask_b32_e64 v2, 0, 1, vcc_lo
.LBB794_384:
	s_wait_alu 0xfffe
	s_or_b32 exec_lo, exec_lo, s5
	v_or_b32_e32 v5, 0x300, v0
	v_mov_b32_e32 v4, 0
	s_delay_alu instid0(VALU_DEP_2)
	v_cmp_gt_u32_e32 vcc_lo, s4, v5
	v_mov_b32_e32 v5, 0
	s_and_saveexec_b32 s5, vcc_lo
	s_cbranch_execz .LBB794_386
; %bb.385:
	v_lshlrev_b32_e32 v5, 1, v0
	global_load_u16 v5, v5, s[2:3] offset:1536
	s_wait_loadcnt 0x0
	v_and_b32_e32 v5, 0x7fff, v5
	s_delay_alu instid0(VALU_DEP_1)
	v_cmp_ne_u16_e32 vcc_lo, 0, v5
	s_wait_alu 0xfffd
	v_cndmask_b32_e64 v5, 0, 1, vcc_lo
.LBB794_386:
	s_wait_alu 0xfffe
	s_or_b32 exec_lo, exec_lo, s5
	v_or_b32_e32 v6, 0x400, v0
	s_mov_b32 s5, exec_lo
	s_delay_alu instid0(VALU_DEP_1)
	v_cmpx_gt_u32_e64 s4, v6
	s_cbranch_execz .LBB794_388
; %bb.387:
	v_lshlrev_b32_e32 v4, 1, v0
	global_load_u16 v4, v4, s[2:3] offset:2048
	s_wait_loadcnt 0x0
	v_and_b32_e32 v4, 0x7fff, v4
	s_delay_alu instid0(VALU_DEP_1)
	v_cmp_ne_u16_e32 vcc_lo, 0, v4
	s_wait_alu 0xfffd
	v_cndmask_b32_e64 v4, 0, 1, vcc_lo
.LBB794_388:
	s_wait_alu 0xfffe
	;; [unrolled: 36-line block ×31, first 2 shown]
	s_or_b32 exec_lo, exec_lo, s5
	v_or_b32_e32 v64, 0x3f00, v0
	s_delay_alu instid0(VALU_DEP_1)
	v_cmp_gt_u32_e32 vcc_lo, s4, v64
	v_mov_b32_e32 v64, 0
	s_and_saveexec_b32 s5, vcc_lo
	s_cbranch_execz .LBB794_506
; %bb.505:
	v_lshlrev_b32_e32 v64, 1, v0
	global_load_u16 v64, v64, s[2:3] offset:32256
	s_wait_loadcnt 0x0
	v_and_b32_e32 v64, 0x7fff, v64
	s_delay_alu instid0(VALU_DEP_1)
	v_cmp_ne_u16_e32 vcc_lo, 0, v64
	s_wait_alu 0xfffd
	v_cndmask_b32_e64 v64, 0, 1, vcc_lo
.LBB794_506:
	s_wait_alu 0xfffe
	s_or_b32 exec_lo, exec_lo, s5
	v_add_nc_u32_e32 v1, v3, v1
	s_min_u32 s2, s4, 0x100
	s_mov_b32 s3, exec_lo
	s_delay_alu instid0(VALU_DEP_1) | instskip(SKIP_1) | instid1(VALU_DEP_2)
	v_add3_u32 v1, v1, v2, v5
	v_mbcnt_lo_u32_b32 v2, -1, 0
	v_add3_u32 v1, v1, v4, v7
	s_delay_alu instid0(VALU_DEP_2) | instskip(SKIP_1) | instid1(VALU_DEP_3)
	v_cmp_ne_u32_e32 vcc_lo, 31, v2
	v_add_nc_u32_e32 v5, 1, v2
	v_add3_u32 v1, v1, v6, v9
	s_wait_alu 0xfffd
	v_add_co_ci_u32_e64 v3, null, 0, v2, vcc_lo
	v_cmp_gt_u32_e32 vcc_lo, 30, v2
	s_delay_alu instid0(VALU_DEP_3) | instskip(NEXT) | instid1(VALU_DEP_3)
	v_add3_u32 v1, v1, v8, v11
	v_lshlrev_b32_e32 v3, 2, v3
	s_wait_alu 0xfffd
	v_cndmask_b32_e64 v6, 0, 2, vcc_lo
	s_delay_alu instid0(VALU_DEP_3) | instskip(NEXT) | instid1(VALU_DEP_1)
	v_add3_u32 v1, v1, v10, v13
	v_add3_u32 v1, v1, v12, v15
	s_delay_alu instid0(VALU_DEP_1) | instskip(NEXT) | instid1(VALU_DEP_1)
	v_add3_u32 v1, v1, v14, v17
	v_add3_u32 v1, v1, v16, v19
	s_delay_alu instid0(VALU_DEP_1) | instskip(NEXT) | instid1(VALU_DEP_1)
	;; [unrolled: 3-line block ×12, first 2 shown]
	v_add3_u32 v1, v1, v58, v61
	v_add3_u32 v1, v1, v60, v63
	s_delay_alu instid0(VALU_DEP_1) | instskip(SKIP_3) | instid1(VALU_DEP_1)
	v_add3_u32 v1, v1, v62, v64
	ds_bpermute_b32 v3, v3, v1
	v_and_b32_e32 v4, 0xe0, v0
	s_wait_alu 0xfffe
	v_sub_nc_u32_e64 v4, s2, v4 clamp
	s_delay_alu instid0(VALU_DEP_1)
	v_cmp_lt_u32_e32 vcc_lo, v5, v4
	v_add_lshl_u32 v5, v6, v2, 2
	s_wait_dscnt 0x0
	s_wait_alu 0xfffd
	v_cndmask_b32_e32 v3, 0, v3, vcc_lo
	v_cmp_gt_u32_e32 vcc_lo, 28, v2
	s_delay_alu instid0(VALU_DEP_2) | instskip(SKIP_4) | instid1(VALU_DEP_1)
	v_add_nc_u32_e32 v1, v3, v1
	s_wait_alu 0xfffd
	v_cndmask_b32_e64 v6, 0, 4, vcc_lo
	ds_bpermute_b32 v3, v5, v1
	v_add_nc_u32_e32 v5, 2, v2
	v_cmp_lt_u32_e32 vcc_lo, v5, v4
	v_add_lshl_u32 v5, v6, v2, 2
	s_wait_dscnt 0x0
	s_wait_alu 0xfffd
	v_cndmask_b32_e32 v3, 0, v3, vcc_lo
	v_cmp_gt_u32_e32 vcc_lo, 24, v2
	s_delay_alu instid0(VALU_DEP_2) | instskip(SKIP_4) | instid1(VALU_DEP_1)
	v_add_nc_u32_e32 v1, v1, v3
	s_wait_alu 0xfffd
	v_cndmask_b32_e64 v6, 0, 8, vcc_lo
	ds_bpermute_b32 v3, v5, v1
	v_add_nc_u32_e32 v5, 4, v2
	v_cmp_lt_u32_e32 vcc_lo, v5, v4
	v_add_lshl_u32 v5, v6, v2, 2
	s_wait_dscnt 0x0
	s_wait_alu 0xfffd
	v_dual_cndmask_b32 v3, 0, v3 :: v_dual_add_nc_u32 v6, 8, v2
	s_delay_alu instid0(VALU_DEP_1) | instskip(NEXT) | instid1(VALU_DEP_2)
	v_cmp_lt_u32_e32 vcc_lo, v6, v4
	v_add_nc_u32_e32 v1, v1, v3
	v_lshlrev_b32_e32 v3, 2, v2
	ds_bpermute_b32 v5, v5, v1
	v_or_b32_e32 v6, 64, v3
	s_wait_dscnt 0x0
	s_wait_alu 0xfffd
	v_cndmask_b32_e32 v5, 0, v5, vcc_lo
	s_delay_alu instid0(VALU_DEP_1) | instskip(SKIP_2) | instid1(VALU_DEP_1)
	v_add_nc_u32_e32 v1, v1, v5
	ds_bpermute_b32 v5, v6, v1
	v_add_nc_u32_e32 v6, 16, v2
	v_cmp_lt_u32_e32 vcc_lo, v6, v4
	s_wait_dscnt 0x0
	s_wait_alu 0xfffd
	v_cndmask_b32_e32 v4, 0, v5, vcc_lo
	s_delay_alu instid0(VALU_DEP_1)
	v_add_nc_u32_e32 v1, v1, v4
	v_cmpx_eq_u32_e32 0, v2
; %bb.507:
	v_lshrrev_b32_e32 v4, 3, v0
	s_delay_alu instid0(VALU_DEP_1)
	v_and_b32_e32 v4, 28, v4
	ds_store_b32 v4, v1 offset:256
; %bb.508:
	s_or_b32 exec_lo, exec_lo, s3
	s_delay_alu instid0(SALU_CYCLE_1)
	s_mov_b32 s3, exec_lo
	s_wait_loadcnt_dscnt 0x0
	s_barrier_signal -1
	s_barrier_wait -1
	global_inv scope:SCOPE_SE
	v_cmpx_gt_u32_e32 8, v0
	s_cbranch_execz .LBB794_510
; %bb.509:
	ds_load_b32 v1, v3 offset:256
	v_and_b32_e32 v4, 7, v2
	s_add_co_i32 s2, s2, 31
	s_wait_alu 0xfffe
	s_lshr_b32 s2, s2, 5
	s_delay_alu instid0(VALU_DEP_1) | instskip(SKIP_4) | instid1(VALU_DEP_2)
	v_cmp_ne_u32_e32 vcc_lo, 7, v4
	v_add_nc_u32_e32 v6, 1, v4
	s_wait_alu 0xfffd
	v_add_co_ci_u32_e64 v5, null, 0, v2, vcc_lo
	v_cmp_gt_u32_e32 vcc_lo, 6, v4
	v_lshlrev_b32_e32 v5, 2, v5
	s_wait_alu 0xfffd
	v_cndmask_b32_e64 v7, 0, 2, vcc_lo
	s_wait_alu 0xfffe
	v_cmp_gt_u32_e32 vcc_lo, s2, v6
	s_wait_dscnt 0x0
	ds_bpermute_b32 v5, v5, v1
	v_add_lshl_u32 v2, v7, v2, 2
	s_wait_dscnt 0x0
	s_wait_alu 0xfffd
	v_cndmask_b32_e32 v5, 0, v5, vcc_lo
	s_delay_alu instid0(VALU_DEP_1)
	v_add_nc_u32_e32 v1, v5, v1
	v_add_nc_u32_e32 v5, 2, v4
	ds_bpermute_b32 v2, v2, v1
	v_cmp_gt_u32_e32 vcc_lo, s2, v5
	s_wait_dscnt 0x0
	s_wait_alu 0xfffd
	v_cndmask_b32_e32 v2, 0, v2, vcc_lo
	s_delay_alu instid0(VALU_DEP_1)
	v_add_nc_u32_e32 v1, v1, v2
	v_or_b32_e32 v2, 16, v3
	v_add_nc_u32_e32 v3, 4, v4
	ds_bpermute_b32 v2, v2, v1
	v_cmp_gt_u32_e32 vcc_lo, s2, v3
	s_wait_dscnt 0x0
	s_wait_alu 0xfffd
	v_cndmask_b32_e32 v2, 0, v2, vcc_lo
	s_delay_alu instid0(VALU_DEP_1)
	v_add_nc_u32_e32 v1, v1, v2
.LBB794_510:
	s_wait_alu 0xfffe
	s_or_b32 exec_lo, exec_lo, s3
.LBB794_511:
	v_cmp_eq_u32_e64 s2, 0, v0
.LBB794_512:
	s_branch .LBB794_623
.LBB794_513:
	s_cmp_gt_i32 s44, 3
	s_cbranch_scc0 .LBB794_522
; %bb.514:
	s_cmp_gt_i32 s44, 7
	s_cbranch_scc0 .LBB794_523
; %bb.515:
	s_cmp_eq_u32 s44, 8
	s_cbranch_scc0 .LBB794_531
; %bb.516:
	s_mov_b32 s35, 0
	s_lshl_b32 s2, s34, 11
	s_mov_b32 s3, s35
	s_lshr_b64 s[4:5], s[36:37], 11
	s_lshl_b64 s[6:7], s[2:3], 1
	s_cmp_lg_u64 s[4:5], s[34:35]
	s_add_nc_u64 s[8:9], s[40:41], s[6:7]
	s_cbranch_scc0 .LBB794_573
; %bb.517:
	v_lshlrev_b32_e32 v1, 1, v0
	s_mov_b32 s3, exec_lo
	s_clause 0x7
	global_load_u16 v2, v1, s[8:9]
	global_load_u16 v3, v1, s[8:9] offset:512
	global_load_u16 v4, v1, s[8:9] offset:1024
	;; [unrolled: 1-line block ×7, first 2 shown]
	s_wait_loadcnt 0x7
	v_and_b32_e32 v2, 0x7fff, v2
	s_wait_loadcnt 0x6
	v_and_b32_e32 v3, 0x7fff, v3
	;; [unrolled: 2-line block ×5, first 2 shown]
	v_cmp_ne_u16_e32 vcc_lo, 0, v2
	s_wait_loadcnt 0x1
	v_and_b32_e32 v8, 0x7fff, v8
	v_and_b32_e32 v7, 0x7fff, v7
	s_wait_loadcnt 0x0
	v_and_b32_e32 v1, 0x7fff, v1
	v_cndmask_b32_e64 v2, 0, 1, vcc_lo
	v_cmp_ne_u16_e32 vcc_lo, 0, v4
	s_wait_alu 0xfffd
	v_cndmask_b32_e64 v4, 0, 1, vcc_lo
	v_cmp_ne_u16_e32 vcc_lo, 0, v3
	s_wait_alu 0xfffd
	v_add_co_ci_u32_e64 v2, null, 0, v2, vcc_lo
	v_cmp_ne_u16_e32 vcc_lo, 0, v6
	s_wait_alu 0xfffd
	v_cndmask_b32_e64 v3, 0, 1, vcc_lo
	v_cmp_ne_u16_e32 vcc_lo, 0, v5
	s_wait_alu 0xfffd
	v_add_co_ci_u32_e64 v2, null, v2, v4, vcc_lo
	;; [unrolled: 6-line block ×3, first 2 shown]
	v_cmp_ne_u16_e32 vcc_lo, 0, v1
	s_wait_alu 0xfffd
	s_delay_alu instid0(VALU_DEP_2) | instskip(NEXT) | instid1(VALU_DEP_1)
	v_add_co_ci_u32_e64 v1, null, v2, v4, vcc_lo
	v_mov_b32_dpp v2, v1 quad_perm:[1,0,3,2] row_mask:0xf bank_mask:0xf
	s_delay_alu instid0(VALU_DEP_1) | instskip(NEXT) | instid1(VALU_DEP_1)
	v_add_nc_u32_e32 v1, v1, v2
	v_mov_b32_dpp v2, v1 quad_perm:[2,3,0,1] row_mask:0xf bank_mask:0xf
	s_delay_alu instid0(VALU_DEP_1) | instskip(NEXT) | instid1(VALU_DEP_1)
	v_add_nc_u32_e32 v1, v1, v2
	v_mov_b32_dpp v2, v1 row_ror:4 row_mask:0xf bank_mask:0xf
	s_delay_alu instid0(VALU_DEP_1) | instskip(NEXT) | instid1(VALU_DEP_1)
	v_add_nc_u32_e32 v1, v1, v2
	v_mov_b32_dpp v2, v1 row_ror:8 row_mask:0xf bank_mask:0xf
	s_delay_alu instid0(VALU_DEP_1)
	v_add_nc_u32_e32 v1, v1, v2
	ds_swizzle_b32 v2, v1 offset:swizzle(BROADCAST,32,15)
	s_wait_dscnt 0x0
	v_dual_mov_b32 v2, 0 :: v_dual_add_nc_u32 v1, v1, v2
	ds_bpermute_b32 v1, v2, v1 offset:124
	v_mbcnt_lo_u32_b32 v2, -1, 0
	s_delay_alu instid0(VALU_DEP_1)
	v_cmpx_eq_u32_e32 0, v2
	s_cbranch_execz .LBB794_519
; %bb.518:
	v_lshrrev_b32_e32 v3, 3, v0
	s_delay_alu instid0(VALU_DEP_1)
	v_and_b32_e32 v3, 28, v3
	s_wait_dscnt 0x0
	ds_store_b32 v3, v1 offset:224
.LBB794_519:
	s_or_b32 exec_lo, exec_lo, s3
	s_delay_alu instid0(SALU_CYCLE_1)
	s_mov_b32 s3, exec_lo
	s_wait_dscnt 0x0
	s_barrier_signal -1
	s_barrier_wait -1
	global_inv scope:SCOPE_SE
	v_cmpx_gt_u32_e32 32, v0
	s_cbranch_execz .LBB794_521
; %bb.520:
	v_lshl_or_b32 v1, v2, 2, 0xe0
	v_and_b32_e32 v3, 7, v2
	ds_load_b32 v1, v1
	v_cmp_ne_u32_e32 vcc_lo, 7, v3
	s_wait_alu 0xfffd
	v_add_co_ci_u32_e64 v4, null, 0, v2, vcc_lo
	v_cmp_gt_u32_e32 vcc_lo, 6, v3
	s_delay_alu instid0(VALU_DEP_2) | instskip(SKIP_2) | instid1(VALU_DEP_1)
	v_lshlrev_b32_e32 v4, 2, v4
	s_wait_alu 0xfffd
	v_cndmask_b32_e64 v3, 0, 2, vcc_lo
	v_add_lshl_u32 v3, v3, v2, 2
	v_lshlrev_b32_e32 v2, 2, v2
	s_wait_dscnt 0x0
	ds_bpermute_b32 v4, v4, v1
	v_or_b32_e32 v2, 16, v2
	s_wait_dscnt 0x0
	v_add_nc_u32_e32 v1, v4, v1
	ds_bpermute_b32 v3, v3, v1
	s_wait_dscnt 0x0
	v_add_nc_u32_e32 v1, v3, v1
	ds_bpermute_b32 v2, v2, v1
	s_wait_dscnt 0x0
	v_add_nc_u32_e32 v1, v2, v1
.LBB794_521:
	s_or_b32 exec_lo, exec_lo, s3
	s_mov_b32 s3, 0
	s_branch .LBB794_574
.LBB794_522:
                                        ; implicit-def: $vgpr1
	s_cbranch_execnz .LBB794_614
	s_branch .LBB794_623
.LBB794_523:
                                        ; implicit-def: $vgpr1
	s_cbranch_execz .LBB794_597
; %bb.524:
	s_cmp_eq_u32 s44, 4
	s_cbranch_scc0 .LBB794_532
; %bb.525:
	s_mov_b32 s35, 0
	s_lshl_b32 s2, s34, 10
	s_mov_b32 s3, s35
	s_lshr_b64 s[4:5], s[36:37], 10
	s_lshl_b64 s[6:7], s[2:3], 1
	s_cmp_lg_u64 s[4:5], s[34:35]
	s_add_nc_u64 s[4:5], s[40:41], s[6:7]
	s_cbranch_scc0 .LBB794_598
; %bb.526:
	v_lshlrev_b32_e32 v1, 1, v0
	s_mov_b32 s3, exec_lo
	s_clause 0x3
	global_load_u16 v2, v1, s[4:5]
	global_load_u16 v3, v1, s[4:5] offset:1024
	global_load_u16 v4, v1, s[4:5] offset:512
	global_load_u16 v1, v1, s[4:5] offset:1536
	s_wait_loadcnt 0x3
	v_and_b32_e32 v2, 0x7fff, v2
	s_wait_loadcnt 0x2
	v_and_b32_e32 v3, 0x7fff, v3
	;; [unrolled: 2-line block ×4, first 2 shown]
	v_cmp_ne_u16_e32 vcc_lo, 0, v2
	v_cndmask_b32_e64 v2, 0, 1, vcc_lo
	v_cmp_ne_u16_e32 vcc_lo, 0, v3
	s_wait_alu 0xfffd
	v_cndmask_b32_e64 v3, 0, 1, vcc_lo
	v_cmp_ne_u16_e32 vcc_lo, 0, v4
	s_wait_alu 0xfffd
	v_add_co_ci_u32_e64 v2, null, 0, v2, vcc_lo
	v_cmp_ne_u16_e32 vcc_lo, 0, v1
	s_wait_alu 0xfffd
	s_delay_alu instid0(VALU_DEP_2) | instskip(NEXT) | instid1(VALU_DEP_1)
	v_add_co_ci_u32_e64 v1, null, v2, v3, vcc_lo
	v_mov_b32_dpp v2, v1 quad_perm:[1,0,3,2] row_mask:0xf bank_mask:0xf
	s_delay_alu instid0(VALU_DEP_1) | instskip(NEXT) | instid1(VALU_DEP_1)
	v_add_nc_u32_e32 v1, v1, v2
	v_mov_b32_dpp v2, v1 quad_perm:[2,3,0,1] row_mask:0xf bank_mask:0xf
	s_delay_alu instid0(VALU_DEP_1) | instskip(NEXT) | instid1(VALU_DEP_1)
	v_add_nc_u32_e32 v1, v1, v2
	v_mov_b32_dpp v2, v1 row_ror:4 row_mask:0xf bank_mask:0xf
	s_delay_alu instid0(VALU_DEP_1) | instskip(NEXT) | instid1(VALU_DEP_1)
	v_add_nc_u32_e32 v1, v1, v2
	v_mov_b32_dpp v2, v1 row_ror:8 row_mask:0xf bank_mask:0xf
	s_delay_alu instid0(VALU_DEP_1)
	v_add_nc_u32_e32 v1, v1, v2
	ds_swizzle_b32 v2, v1 offset:swizzle(BROADCAST,32,15)
	s_wait_dscnt 0x0
	v_dual_mov_b32 v2, 0 :: v_dual_add_nc_u32 v1, v1, v2
	ds_bpermute_b32 v1, v2, v1 offset:124
	v_mbcnt_lo_u32_b32 v2, -1, 0
	s_delay_alu instid0(VALU_DEP_1)
	v_cmpx_eq_u32_e32 0, v2
	s_cbranch_execz .LBB794_528
; %bb.527:
	v_lshrrev_b32_e32 v3, 3, v0
	s_delay_alu instid0(VALU_DEP_1)
	v_and_b32_e32 v3, 28, v3
	s_wait_dscnt 0x0
	ds_store_b32 v3, v1 offset:160
.LBB794_528:
	s_or_b32 exec_lo, exec_lo, s3
	s_delay_alu instid0(SALU_CYCLE_1)
	s_mov_b32 s3, exec_lo
	s_wait_dscnt 0x0
	s_barrier_signal -1
	s_barrier_wait -1
	global_inv scope:SCOPE_SE
	v_cmpx_gt_u32_e32 32, v0
	s_cbranch_execz .LBB794_530
; %bb.529:
	v_and_b32_e32 v1, 7, v2
	s_delay_alu instid0(VALU_DEP_1)
	v_lshlrev_b32_e32 v3, 2, v1
	v_cmp_ne_u32_e32 vcc_lo, 7, v1
	ds_load_b32 v3, v3 offset:160
	s_wait_alu 0xfffd
	v_add_co_ci_u32_e64 v4, null, 0, v2, vcc_lo
	v_cmp_gt_u32_e32 vcc_lo, 6, v1
	s_delay_alu instid0(VALU_DEP_2) | instskip(SKIP_2) | instid1(VALU_DEP_1)
	v_lshlrev_b32_e32 v4, 2, v4
	s_wait_alu 0xfffd
	v_cndmask_b32_e64 v1, 0, 2, vcc_lo
	v_add_lshl_u32 v1, v1, v2, 2
	v_lshlrev_b32_e32 v2, 2, v2
	s_delay_alu instid0(VALU_DEP_1)
	v_or_b32_e32 v2, 16, v2
	s_wait_dscnt 0x0
	ds_bpermute_b32 v4, v4, v3
	s_wait_dscnt 0x0
	v_add_nc_u32_e32 v3, v4, v3
	ds_bpermute_b32 v1, v1, v3
	s_wait_dscnt 0x0
	v_add_nc_u32_e32 v1, v1, v3
	;; [unrolled: 3-line block ×3, first 2 shown]
.LBB794_530:
	s_or_b32 exec_lo, exec_lo, s3
	s_mov_b32 s3, 0
	s_branch .LBB794_599
.LBB794_531:
                                        ; implicit-def: $vgpr1
	s_branch .LBB794_597
.LBB794_532:
                                        ; implicit-def: $vgpr1
	s_branch .LBB794_623
.LBB794_533:
	s_mov_b32 s3, -1
                                        ; implicit-def: $vgpr1
.LBB794_534:
	s_delay_alu instid0(SALU_CYCLE_1)
	s_and_b32 vcc_lo, exec_lo, s3
	s_wait_alu 0xfffe
	s_cbranch_vccz .LBB794_572
; %bb.535:
	v_mov_b32_e32 v1, 0
	s_sub_co_i32 s18, s36, s2
	s_mov_b32 s2, exec_lo
	s_delay_alu instid0(VALU_DEP_1)
	v_dual_mov_b32 v2, v1 :: v_dual_mov_b32 v3, v1
	v_dual_mov_b32 v4, v1 :: v_dual_mov_b32 v5, v1
	;; [unrolled: 1-line block ×7, first 2 shown]
	v_mov_b32_e32 v16, v1
	v_cmpx_gt_u32_e64 s18, v0
	s_cbranch_execz .LBB794_537
; %bb.536:
	v_dual_mov_b32 v3, v1 :: v_dual_lshlrev_b32 v2, 1, v0
	v_dual_mov_b32 v14, v1 :: v_dual_mov_b32 v17, v1
	v_dual_mov_b32 v4, v1 :: v_dual_mov_b32 v5, v1
	global_load_u16 v2, v2, s[16:17]
	v_dual_mov_b32 v6, v1 :: v_dual_mov_b32 v7, v1
	v_dual_mov_b32 v8, v1 :: v_dual_mov_b32 v9, v1
	;; [unrolled: 1-line block ×5, first 2 shown]
	s_wait_loadcnt 0x0
	v_and_b32_e32 v2, 0x7fff, v2
	s_delay_alu instid0(VALU_DEP_1) | instskip(SKIP_2) | instid1(VALU_DEP_1)
	v_cmp_ne_u16_e32 vcc_lo, 0, v2
	s_wait_alu 0xfffd
	v_cndmask_b32_e64 v2, 0, 1, vcc_lo
	v_and_b32_e32 v2, 0xffff, v2
	s_delay_alu instid0(VALU_DEP_1)
	v_mov_b32_e32 v1, v2
	v_mov_b32_e32 v2, v3
	;; [unrolled: 1-line block ×16, first 2 shown]
.LBB794_537:
	s_or_b32 exec_lo, exec_lo, s2
	v_or_b32_e32 v17, 0x100, v0
	s_delay_alu instid0(VALU_DEP_1)
	v_cmp_gt_u32_e32 vcc_lo, s18, v17
	s_and_saveexec_b32 s3, vcc_lo
	s_cbranch_execz .LBB794_539
; %bb.538:
	v_lshlrev_b32_e32 v2, 1, v0
	global_load_u16 v2, v2, s[16:17] offset:512
	s_wait_loadcnt 0x0
	v_and_b32_e32 v2, 0x7fff, v2
	s_delay_alu instid0(VALU_DEP_1) | instskip(NEXT) | instid1(VALU_DEP_1)
	v_cmp_ne_u16_e64 s2, 0, v2
	v_cndmask_b32_e64 v2, 0, 1, s2
.LBB794_539:
	s_or_b32 exec_lo, exec_lo, s3
	v_or_b32_e32 v17, 0x200, v0
	s_delay_alu instid0(VALU_DEP_1)
	v_cmp_gt_u32_e64 s2, s18, v17
	s_and_saveexec_b32 s4, s2
	s_cbranch_execz .LBB794_541
; %bb.540:
	v_lshlrev_b32_e32 v3, 1, v0
	global_load_u16 v3, v3, s[16:17] offset:1024
	s_wait_loadcnt 0x0
	v_and_b32_e32 v3, 0x7fff, v3
	s_delay_alu instid0(VALU_DEP_1) | instskip(SKIP_1) | instid1(VALU_DEP_1)
	v_cmp_ne_u16_e64 s3, 0, v3
	s_wait_alu 0xf1ff
	v_cndmask_b32_e64 v3, 0, 1, s3
.LBB794_541:
	s_or_b32 exec_lo, exec_lo, s4
	v_or_b32_e32 v17, 0x300, v0
	s_delay_alu instid0(VALU_DEP_1)
	v_cmp_gt_u32_e64 s3, s18, v17
	s_and_saveexec_b32 s5, s3
	s_cbranch_execz .LBB794_543
; %bb.542:
	v_lshlrev_b32_e32 v4, 1, v0
	global_load_u16 v4, v4, s[16:17] offset:1536
	s_wait_loadcnt 0x0
	v_and_b32_e32 v4, 0x7fff, v4
	s_delay_alu instid0(VALU_DEP_1) | instskip(NEXT) | instid1(VALU_DEP_1)
	v_cmp_ne_u16_e64 s4, 0, v4
	v_cndmask_b32_e64 v4, 0, 1, s4
.LBB794_543:
	s_or_b32 exec_lo, exec_lo, s5
	v_or_b32_e32 v17, 0x400, v0
	s_delay_alu instid0(VALU_DEP_1)
	v_cmp_gt_u32_e64 s4, s18, v17
	s_and_saveexec_b32 s6, s4
	s_cbranch_execz .LBB794_545
; %bb.544:
	v_lshlrev_b32_e32 v5, 1, v0
	global_load_u16 v5, v5, s[16:17] offset:2048
	s_wait_loadcnt 0x0
	v_and_b32_e32 v5, 0x7fff, v5
	s_delay_alu instid0(VALU_DEP_1) | instskip(SKIP_1) | instid1(VALU_DEP_1)
	v_cmp_ne_u16_e64 s5, 0, v5
	s_wait_alu 0xf1ff
	v_cndmask_b32_e64 v5, 0, 1, s5
.LBB794_545:
	s_or_b32 exec_lo, exec_lo, s6
	v_or_b32_e32 v17, 0x500, v0
	s_delay_alu instid0(VALU_DEP_1)
	v_cmp_gt_u32_e64 s5, s18, v17
	s_and_saveexec_b32 s7, s5
	;; [unrolled: 31-line block ×6, first 2 shown]
	s_cbranch_execz .LBB794_563
; %bb.562:
	v_lshlrev_b32_e32 v14, 1, v0
	global_load_u16 v14, v14, s[16:17] offset:6656
	s_wait_loadcnt 0x0
	v_and_b32_e32 v14, 0x7fff, v14
	s_delay_alu instid0(VALU_DEP_1) | instskip(NEXT) | instid1(VALU_DEP_1)
	v_cmp_ne_u16_e64 s14, 0, v14
	v_cndmask_b32_e64 v14, 0, 1, s14
.LBB794_563:
	s_or_b32 exec_lo, exec_lo, s15
	v_or_b32_e32 v17, 0xe00, v0
	s_delay_alu instid0(VALU_DEP_1)
	v_cmp_gt_u32_e64 s14, s18, v17
	s_and_saveexec_b32 s19, s14
	s_cbranch_execz .LBB794_565
; %bb.564:
	v_lshlrev_b32_e32 v15, 1, v0
	global_load_u16 v15, v15, s[16:17] offset:7168
	s_wait_loadcnt 0x0
	v_and_b32_e32 v15, 0x7fff, v15
	s_delay_alu instid0(VALU_DEP_1) | instskip(SKIP_1) | instid1(VALU_DEP_1)
	v_cmp_ne_u16_e64 s15, 0, v15
	s_wait_alu 0xf1ff
	v_cndmask_b32_e64 v15, 0, 1, s15
.LBB794_565:
	s_wait_alu 0xfffe
	s_or_b32 exec_lo, exec_lo, s19
	v_or_b32_e32 v17, 0xf00, v0
	s_delay_alu instid0(VALU_DEP_1)
	v_cmp_gt_u32_e64 s15, s18, v17
	s_and_saveexec_b32 s19, s15
	s_cbranch_execz .LBB794_567
; %bb.566:
	v_lshlrev_b32_e32 v16, 1, v0
	global_load_u16 v16, v16, s[16:17] offset:7680
	s_wait_loadcnt 0x0
	v_and_b32_e32 v16, 0x7fff, v16
	s_delay_alu instid0(VALU_DEP_1) | instskip(NEXT) | instid1(VALU_DEP_1)
	v_cmp_ne_u16_e64 s16, 0, v16
	v_cndmask_b32_e64 v16, 0, 1, s16
.LBB794_567:
	s_wait_alu 0xfffe
	s_or_b32 exec_lo, exec_lo, s19
	v_cndmask_b32_e32 v2, 0, v2, vcc_lo
	v_cndmask_b32_e64 v3, 0, v3, s2
	v_cndmask_b32_e64 v4, 0, v4, s3
	s_min_u32 s2, s18, 0x100
	s_mov_b32 s3, exec_lo
	v_add_nc_u32_e32 v1, v2, v1
	v_cndmask_b32_e64 v2, 0, v5, s4
	v_cndmask_b32_e64 v5, 0, v6, s5
	v_cndmask_b32_e64 v6, 0, v14, s13
	s_delay_alu instid0(VALU_DEP_4) | instskip(SKIP_3) | instid1(VALU_DEP_4)
	v_add3_u32 v1, v1, v3, v4
	v_cndmask_b32_e64 v3, 0, v7, s6
	v_cndmask_b32_e64 v4, 0, v8, s7
	;; [unrolled: 1-line block ×3, first 2 shown]
	v_add3_u32 v1, v1, v2, v5
	v_cndmask_b32_e64 v2, 0, v9, s8
	v_cndmask_b32_e64 v5, 0, v10, s9
	s_delay_alu instid0(VALU_DEP_3) | instskip(SKIP_2) | instid1(VALU_DEP_3)
	v_add3_u32 v1, v1, v3, v4
	v_cndmask_b32_e64 v3, 0, v11, s10
	v_cndmask_b32_e64 v4, 0, v12, s11
	v_add3_u32 v1, v1, v2, v5
	v_mbcnt_lo_u32_b32 v2, -1, 0
	v_cndmask_b32_e64 v5, 0, v13, s12
	s_delay_alu instid0(VALU_DEP_3) | instskip(NEXT) | instid1(VALU_DEP_3)
	v_add3_u32 v1, v1, v3, v4
	v_cmp_ne_u32_e32 vcc_lo, 31, v2
	v_cndmask_b32_e64 v3, 0, v16, s15
	s_delay_alu instid0(VALU_DEP_3)
	v_add3_u32 v1, v1, v5, v6
	s_wait_alu 0xfffd
	v_add_co_ci_u32_e64 v4, null, 0, v2, vcc_lo
	v_add_nc_u32_e32 v5, 1, v2
	v_cmp_gt_u32_e32 vcc_lo, 30, v2
	v_add3_u32 v1, v1, v7, v3
	s_delay_alu instid0(VALU_DEP_4)
	v_lshlrev_b32_e32 v4, 2, v4
	s_wait_alu 0xfffd
	v_cndmask_b32_e64 v6, 0, 2, vcc_lo
	ds_bpermute_b32 v3, v4, v1
	v_and_b32_e32 v4, 0xe0, v0
	s_wait_alu 0xfffe
	s_delay_alu instid0(VALU_DEP_1) | instskip(NEXT) | instid1(VALU_DEP_1)
	v_sub_nc_u32_e64 v4, s2, v4 clamp
	v_cmp_lt_u32_e32 vcc_lo, v5, v4
	v_add_lshl_u32 v5, v6, v2, 2
	s_wait_dscnt 0x0
	s_wait_alu 0xfffd
	v_cndmask_b32_e32 v3, 0, v3, vcc_lo
	v_cmp_gt_u32_e32 vcc_lo, 28, v2
	s_delay_alu instid0(VALU_DEP_2) | instskip(SKIP_4) | instid1(VALU_DEP_1)
	v_add_nc_u32_e32 v1, v1, v3
	s_wait_alu 0xfffd
	v_cndmask_b32_e64 v6, 0, 4, vcc_lo
	ds_bpermute_b32 v3, v5, v1
	v_add_nc_u32_e32 v5, 2, v2
	v_cmp_lt_u32_e32 vcc_lo, v5, v4
	v_add_lshl_u32 v5, v6, v2, 2
	s_wait_dscnt 0x0
	s_wait_alu 0xfffd
	v_cndmask_b32_e32 v3, 0, v3, vcc_lo
	v_cmp_gt_u32_e32 vcc_lo, 24, v2
	s_delay_alu instid0(VALU_DEP_2) | instskip(SKIP_4) | instid1(VALU_DEP_1)
	v_add_nc_u32_e32 v1, v1, v3
	s_wait_alu 0xfffd
	v_cndmask_b32_e64 v6, 0, 8, vcc_lo
	ds_bpermute_b32 v3, v5, v1
	v_add_nc_u32_e32 v5, 4, v2
	v_cmp_lt_u32_e32 vcc_lo, v5, v4
	v_add_lshl_u32 v5, v6, v2, 2
	s_wait_dscnt 0x0
	s_wait_alu 0xfffd
	v_cndmask_b32_e32 v3, 0, v3, vcc_lo
	s_delay_alu instid0(VALU_DEP_1) | instskip(SKIP_3) | instid1(VALU_DEP_1)
	v_add_nc_u32_e32 v1, v1, v3
	v_lshlrev_b32_e32 v3, 2, v2
	ds_bpermute_b32 v5, v5, v1
	v_add_nc_u32_e32 v6, 8, v2
	v_cmp_lt_u32_e32 vcc_lo, v6, v4
	v_or_b32_e32 v6, 64, v3
	s_wait_dscnt 0x0
	s_wait_alu 0xfffd
	v_cndmask_b32_e32 v5, 0, v5, vcc_lo
	s_delay_alu instid0(VALU_DEP_1) | instskip(SKIP_2) | instid1(VALU_DEP_1)
	v_add_nc_u32_e32 v1, v1, v5
	ds_bpermute_b32 v5, v6, v1
	v_add_nc_u32_e32 v6, 16, v2
	v_cmp_lt_u32_e32 vcc_lo, v6, v4
	s_wait_dscnt 0x0
	s_wait_alu 0xfffd
	v_cndmask_b32_e32 v4, 0, v5, vcc_lo
	s_delay_alu instid0(VALU_DEP_1)
	v_add_nc_u32_e32 v1, v1, v4
	v_cmpx_eq_u32_e32 0, v2
; %bb.568:
	v_lshrrev_b32_e32 v4, 3, v0
	s_delay_alu instid0(VALU_DEP_1)
	v_and_b32_e32 v4, 28, v4
	ds_store_b32 v4, v1 offset:256
; %bb.569:
	s_or_b32 exec_lo, exec_lo, s3
	s_delay_alu instid0(SALU_CYCLE_1)
	s_mov_b32 s3, exec_lo
	s_wait_loadcnt_dscnt 0x0
	s_barrier_signal -1
	s_barrier_wait -1
	global_inv scope:SCOPE_SE
	v_cmpx_gt_u32_e32 8, v0
	s_cbranch_execz .LBB794_571
; %bb.570:
	ds_load_b32 v1, v3 offset:256
	v_and_b32_e32 v4, 7, v2
	s_add_co_i32 s2, s2, 31
	s_wait_alu 0xfffe
	s_lshr_b32 s2, s2, 5
	s_delay_alu instid0(VALU_DEP_1) | instskip(SKIP_4) | instid1(VALU_DEP_2)
	v_cmp_ne_u32_e32 vcc_lo, 7, v4
	v_add_nc_u32_e32 v6, 1, v4
	s_wait_alu 0xfffd
	v_add_co_ci_u32_e64 v5, null, 0, v2, vcc_lo
	v_cmp_gt_u32_e32 vcc_lo, 6, v4
	v_lshlrev_b32_e32 v5, 2, v5
	s_wait_alu 0xfffd
	v_cndmask_b32_e64 v7, 0, 2, vcc_lo
	s_wait_alu 0xfffe
	v_cmp_gt_u32_e32 vcc_lo, s2, v6
	s_wait_dscnt 0x0
	ds_bpermute_b32 v5, v5, v1
	v_add_lshl_u32 v2, v7, v2, 2
	s_wait_dscnt 0x0
	s_wait_alu 0xfffd
	v_cndmask_b32_e32 v5, 0, v5, vcc_lo
	s_delay_alu instid0(VALU_DEP_1)
	v_add_nc_u32_e32 v1, v5, v1
	v_add_nc_u32_e32 v5, 2, v4
	ds_bpermute_b32 v2, v2, v1
	v_cmp_gt_u32_e32 vcc_lo, s2, v5
	s_wait_dscnt 0x0
	s_wait_alu 0xfffd
	v_cndmask_b32_e32 v2, 0, v2, vcc_lo
	s_delay_alu instid0(VALU_DEP_1)
	v_add_nc_u32_e32 v1, v1, v2
	v_or_b32_e32 v2, 16, v3
	v_add_nc_u32_e32 v3, 4, v4
	ds_bpermute_b32 v2, v2, v1
	v_cmp_gt_u32_e32 vcc_lo, s2, v3
	s_wait_dscnt 0x0
	s_wait_alu 0xfffd
	v_cndmask_b32_e32 v2, 0, v2, vcc_lo
	s_delay_alu instid0(VALU_DEP_1)
	v_add_nc_u32_e32 v1, v1, v2
.LBB794_571:
	s_wait_alu 0xfffe
	s_or_b32 exec_lo, exec_lo, s3
.LBB794_572:
	v_cmp_eq_u32_e64 s2, 0, v0
	s_branch .LBB794_623
.LBB794_573:
	s_mov_b32 s3, -1
                                        ; implicit-def: $vgpr1
.LBB794_574:
	s_delay_alu instid0(SALU_CYCLE_1)
	s_and_b32 vcc_lo, exec_lo, s3
	s_wait_alu 0xfffe
	s_cbranch_vccz .LBB794_596
; %bb.575:
	v_mov_b32_e32 v1, 0
	s_sub_co_i32 s10, s36, s2
	s_mov_b32 s2, exec_lo
	s_delay_alu instid0(VALU_DEP_1)
	v_dual_mov_b32 v2, v1 :: v_dual_mov_b32 v3, v1
	v_dual_mov_b32 v4, v1 :: v_dual_mov_b32 v5, v1
	;; [unrolled: 1-line block ×3, first 2 shown]
	v_mov_b32_e32 v8, v1
	v_cmpx_gt_u32_e64 s10, v0
	s_cbranch_execz .LBB794_577
; %bb.576:
	v_dual_mov_b32 v3, v1 :: v_dual_lshlrev_b32 v2, 1, v0
	v_dual_mov_b32 v6, v1 :: v_dual_mov_b32 v9, v1
	v_dual_mov_b32 v4, v1 :: v_dual_mov_b32 v7, v1
	global_load_u16 v2, v2, s[8:9]
	v_dual_mov_b32 v8, v1 :: v_dual_mov_b32 v5, v1
	s_wait_loadcnt 0x0
	v_and_b32_e32 v2, 0x7fff, v2
	s_delay_alu instid0(VALU_DEP_1) | instskip(SKIP_2) | instid1(VALU_DEP_1)
	v_cmp_ne_u16_e32 vcc_lo, 0, v2
	s_wait_alu 0xfffd
	v_cndmask_b32_e64 v2, 0, 1, vcc_lo
	v_and_b32_e32 v2, 0xffff, v2
	s_delay_alu instid0(VALU_DEP_1)
	v_mov_b32_e32 v1, v2
	v_mov_b32_e32 v2, v3
	;; [unrolled: 1-line block ×8, first 2 shown]
.LBB794_577:
	s_or_b32 exec_lo, exec_lo, s2
	v_or_b32_e32 v9, 0x100, v0
	s_delay_alu instid0(VALU_DEP_1)
	v_cmp_gt_u32_e32 vcc_lo, s10, v9
	s_and_saveexec_b32 s3, vcc_lo
	s_cbranch_execz .LBB794_579
; %bb.578:
	v_lshlrev_b32_e32 v2, 1, v0
	global_load_u16 v2, v2, s[8:9] offset:512
	s_wait_loadcnt 0x0
	v_and_b32_e32 v2, 0x7fff, v2
	s_delay_alu instid0(VALU_DEP_1) | instskip(NEXT) | instid1(VALU_DEP_1)
	v_cmp_ne_u16_e64 s2, 0, v2
	v_cndmask_b32_e64 v2, 0, 1, s2
.LBB794_579:
	s_or_b32 exec_lo, exec_lo, s3
	v_or_b32_e32 v9, 0x200, v0
	s_delay_alu instid0(VALU_DEP_1)
	v_cmp_gt_u32_e64 s2, s10, v9
	s_and_saveexec_b32 s4, s2
	s_cbranch_execz .LBB794_581
; %bb.580:
	v_lshlrev_b32_e32 v3, 1, v0
	global_load_u16 v3, v3, s[8:9] offset:1024
	s_wait_loadcnt 0x0
	v_and_b32_e32 v3, 0x7fff, v3
	s_delay_alu instid0(VALU_DEP_1) | instskip(SKIP_1) | instid1(VALU_DEP_1)
	v_cmp_ne_u16_e64 s3, 0, v3
	s_wait_alu 0xf1ff
	v_cndmask_b32_e64 v3, 0, 1, s3
.LBB794_581:
	s_or_b32 exec_lo, exec_lo, s4
	v_or_b32_e32 v9, 0x300, v0
	s_delay_alu instid0(VALU_DEP_1)
	v_cmp_gt_u32_e64 s3, s10, v9
	s_and_saveexec_b32 s5, s3
	s_cbranch_execz .LBB794_583
; %bb.582:
	v_lshlrev_b32_e32 v4, 1, v0
	global_load_u16 v4, v4, s[8:9] offset:1536
	s_wait_loadcnt 0x0
	v_and_b32_e32 v4, 0x7fff, v4
	s_delay_alu instid0(VALU_DEP_1) | instskip(NEXT) | instid1(VALU_DEP_1)
	v_cmp_ne_u16_e64 s4, 0, v4
	v_cndmask_b32_e64 v4, 0, 1, s4
.LBB794_583:
	s_or_b32 exec_lo, exec_lo, s5
	v_or_b32_e32 v9, 0x400, v0
	s_delay_alu instid0(VALU_DEP_1)
	v_cmp_gt_u32_e64 s4, s10, v9
	s_and_saveexec_b32 s6, s4
	s_cbranch_execz .LBB794_585
; %bb.584:
	v_lshlrev_b32_e32 v5, 1, v0
	global_load_u16 v5, v5, s[8:9] offset:2048
	s_wait_loadcnt 0x0
	v_and_b32_e32 v5, 0x7fff, v5
	s_delay_alu instid0(VALU_DEP_1) | instskip(SKIP_1) | instid1(VALU_DEP_1)
	v_cmp_ne_u16_e64 s5, 0, v5
	s_wait_alu 0xf1ff
	v_cndmask_b32_e64 v5, 0, 1, s5
.LBB794_585:
	s_or_b32 exec_lo, exec_lo, s6
	v_or_b32_e32 v9, 0x500, v0
	s_delay_alu instid0(VALU_DEP_1)
	v_cmp_gt_u32_e64 s5, s10, v9
	s_and_saveexec_b32 s7, s5
	s_cbranch_execz .LBB794_587
; %bb.586:
	v_lshlrev_b32_e32 v6, 1, v0
	global_load_u16 v6, v6, s[8:9] offset:2560
	s_wait_loadcnt 0x0
	v_and_b32_e32 v6, 0x7fff, v6
	s_delay_alu instid0(VALU_DEP_1) | instskip(NEXT) | instid1(VALU_DEP_1)
	v_cmp_ne_u16_e64 s6, 0, v6
	v_cndmask_b32_e64 v6, 0, 1, s6
.LBB794_587:
	s_or_b32 exec_lo, exec_lo, s7
	v_or_b32_e32 v9, 0x600, v0
	s_delay_alu instid0(VALU_DEP_1)
	v_cmp_gt_u32_e64 s6, s10, v9
	s_and_saveexec_b32 s11, s6
	s_cbranch_execz .LBB794_589
; %bb.588:
	v_lshlrev_b32_e32 v7, 1, v0
	global_load_u16 v7, v7, s[8:9] offset:3072
	s_wait_loadcnt 0x0
	v_and_b32_e32 v7, 0x7fff, v7
	s_delay_alu instid0(VALU_DEP_1) | instskip(SKIP_1) | instid1(VALU_DEP_1)
	v_cmp_ne_u16_e64 s7, 0, v7
	s_wait_alu 0xf1ff
	v_cndmask_b32_e64 v7, 0, 1, s7
.LBB794_589:
	s_wait_alu 0xfffe
	s_or_b32 exec_lo, exec_lo, s11
	v_or_b32_e32 v9, 0x700, v0
	s_delay_alu instid0(VALU_DEP_1)
	v_cmp_gt_u32_e64 s7, s10, v9
	s_and_saveexec_b32 s11, s7
	s_cbranch_execz .LBB794_591
; %bb.590:
	v_lshlrev_b32_e32 v8, 1, v0
	global_load_u16 v8, v8, s[8:9] offset:3584
	s_wait_loadcnt 0x0
	v_and_b32_e32 v8, 0x7fff, v8
	s_delay_alu instid0(VALU_DEP_1) | instskip(NEXT) | instid1(VALU_DEP_1)
	v_cmp_ne_u16_e64 s8, 0, v8
	v_cndmask_b32_e64 v8, 0, 1, s8
.LBB794_591:
	s_wait_alu 0xfffe
	s_or_b32 exec_lo, exec_lo, s11
	v_cndmask_b32_e32 v2, 0, v2, vcc_lo
	v_cndmask_b32_e64 v3, 0, v3, s2
	v_cndmask_b32_e64 v4, 0, v4, s3
	;; [unrolled: 1-line block ×4, first 2 shown]
	v_add_nc_u32_e32 v1, v2, v1
	v_mbcnt_lo_u32_b32 v2, -1, 0
	v_cndmask_b32_e64 v7, 0, v7, s6
	s_min_u32 s2, s10, 0x100
	s_mov_b32 s3, exec_lo
	v_add3_u32 v1, v1, v3, v4
	v_cmp_ne_u32_e32 vcc_lo, 31, v2
	v_cndmask_b32_e64 v3, 0, v8, s7
	s_delay_alu instid0(VALU_DEP_3)
	v_add3_u32 v1, v1, v5, v6
	s_wait_alu 0xfffd
	v_add_co_ci_u32_e64 v4, null, 0, v2, vcc_lo
	v_add_nc_u32_e32 v5, 1, v2
	v_cmp_gt_u32_e32 vcc_lo, 30, v2
	v_add3_u32 v1, v1, v7, v3
	s_delay_alu instid0(VALU_DEP_4)
	v_lshlrev_b32_e32 v4, 2, v4
	s_wait_alu 0xfffd
	v_cndmask_b32_e64 v6, 0, 2, vcc_lo
	ds_bpermute_b32 v3, v4, v1
	v_and_b32_e32 v4, 0xe0, v0
	s_wait_alu 0xfffe
	s_delay_alu instid0(VALU_DEP_1) | instskip(NEXT) | instid1(VALU_DEP_1)
	v_sub_nc_u32_e64 v4, s2, v4 clamp
	v_cmp_lt_u32_e32 vcc_lo, v5, v4
	v_add_lshl_u32 v5, v6, v2, 2
	s_wait_dscnt 0x0
	s_wait_alu 0xfffd
	v_cndmask_b32_e32 v3, 0, v3, vcc_lo
	v_cmp_gt_u32_e32 vcc_lo, 28, v2
	s_delay_alu instid0(VALU_DEP_2) | instskip(SKIP_4) | instid1(VALU_DEP_1)
	v_add_nc_u32_e32 v1, v1, v3
	s_wait_alu 0xfffd
	v_cndmask_b32_e64 v6, 0, 4, vcc_lo
	ds_bpermute_b32 v3, v5, v1
	v_add_nc_u32_e32 v5, 2, v2
	v_cmp_lt_u32_e32 vcc_lo, v5, v4
	v_add_lshl_u32 v5, v6, v2, 2
	s_wait_dscnt 0x0
	s_wait_alu 0xfffd
	v_cndmask_b32_e32 v3, 0, v3, vcc_lo
	v_cmp_gt_u32_e32 vcc_lo, 24, v2
	s_delay_alu instid0(VALU_DEP_2) | instskip(SKIP_4) | instid1(VALU_DEP_1)
	v_add_nc_u32_e32 v1, v1, v3
	s_wait_alu 0xfffd
	v_cndmask_b32_e64 v6, 0, 8, vcc_lo
	ds_bpermute_b32 v3, v5, v1
	v_add_nc_u32_e32 v5, 4, v2
	v_cmp_lt_u32_e32 vcc_lo, v5, v4
	v_add_lshl_u32 v5, v6, v2, 2
	s_wait_dscnt 0x0
	s_wait_alu 0xfffd
	v_cndmask_b32_e32 v3, 0, v3, vcc_lo
	s_delay_alu instid0(VALU_DEP_1) | instskip(SKIP_3) | instid1(VALU_DEP_1)
	v_add_nc_u32_e32 v1, v1, v3
	v_lshlrev_b32_e32 v3, 2, v2
	ds_bpermute_b32 v5, v5, v1
	v_add_nc_u32_e32 v6, 8, v2
	v_cmp_lt_u32_e32 vcc_lo, v6, v4
	v_or_b32_e32 v6, 64, v3
	s_wait_dscnt 0x0
	s_wait_alu 0xfffd
	v_cndmask_b32_e32 v5, 0, v5, vcc_lo
	s_delay_alu instid0(VALU_DEP_1) | instskip(SKIP_2) | instid1(VALU_DEP_1)
	v_add_nc_u32_e32 v1, v1, v5
	ds_bpermute_b32 v5, v6, v1
	v_add_nc_u32_e32 v6, 16, v2
	v_cmp_lt_u32_e32 vcc_lo, v6, v4
	s_wait_dscnt 0x0
	s_wait_alu 0xfffd
	v_cndmask_b32_e32 v4, 0, v5, vcc_lo
	s_delay_alu instid0(VALU_DEP_1)
	v_add_nc_u32_e32 v1, v1, v4
	v_cmpx_eq_u32_e32 0, v2
; %bb.592:
	v_lshrrev_b32_e32 v4, 3, v0
	s_delay_alu instid0(VALU_DEP_1)
	v_and_b32_e32 v4, 28, v4
	ds_store_b32 v4, v1 offset:256
; %bb.593:
	s_or_b32 exec_lo, exec_lo, s3
	s_delay_alu instid0(SALU_CYCLE_1)
	s_mov_b32 s3, exec_lo
	s_wait_loadcnt_dscnt 0x0
	s_barrier_signal -1
	s_barrier_wait -1
	global_inv scope:SCOPE_SE
	v_cmpx_gt_u32_e32 8, v0
	s_cbranch_execz .LBB794_595
; %bb.594:
	ds_load_b32 v1, v3 offset:256
	v_and_b32_e32 v4, 7, v2
	s_add_co_i32 s2, s2, 31
	s_wait_alu 0xfffe
	s_lshr_b32 s2, s2, 5
	s_delay_alu instid0(VALU_DEP_1) | instskip(SKIP_4) | instid1(VALU_DEP_2)
	v_cmp_ne_u32_e32 vcc_lo, 7, v4
	v_add_nc_u32_e32 v6, 1, v4
	s_wait_alu 0xfffd
	v_add_co_ci_u32_e64 v5, null, 0, v2, vcc_lo
	v_cmp_gt_u32_e32 vcc_lo, 6, v4
	v_lshlrev_b32_e32 v5, 2, v5
	s_wait_alu 0xfffd
	v_cndmask_b32_e64 v7, 0, 2, vcc_lo
	s_wait_alu 0xfffe
	v_cmp_gt_u32_e32 vcc_lo, s2, v6
	s_wait_dscnt 0x0
	ds_bpermute_b32 v5, v5, v1
	v_add_lshl_u32 v2, v7, v2, 2
	s_wait_dscnt 0x0
	s_wait_alu 0xfffd
	v_cndmask_b32_e32 v5, 0, v5, vcc_lo
	s_delay_alu instid0(VALU_DEP_1)
	v_add_nc_u32_e32 v1, v5, v1
	v_add_nc_u32_e32 v5, 2, v4
	ds_bpermute_b32 v2, v2, v1
	v_cmp_gt_u32_e32 vcc_lo, s2, v5
	s_wait_dscnt 0x0
	s_wait_alu 0xfffd
	v_cndmask_b32_e32 v2, 0, v2, vcc_lo
	s_delay_alu instid0(VALU_DEP_1)
	v_add_nc_u32_e32 v1, v1, v2
	v_or_b32_e32 v2, 16, v3
	v_add_nc_u32_e32 v3, 4, v4
	ds_bpermute_b32 v2, v2, v1
	v_cmp_gt_u32_e32 vcc_lo, s2, v3
	s_wait_dscnt 0x0
	s_wait_alu 0xfffd
	v_cndmask_b32_e32 v2, 0, v2, vcc_lo
	s_delay_alu instid0(VALU_DEP_1)
	v_add_nc_u32_e32 v1, v1, v2
.LBB794_595:
	s_wait_alu 0xfffe
	s_or_b32 exec_lo, exec_lo, s3
.LBB794_596:
	v_cmp_eq_u32_e64 s2, 0, v0
.LBB794_597:
	s_branch .LBB794_623
.LBB794_598:
	s_mov_b32 s3, -1
                                        ; implicit-def: $vgpr1
.LBB794_599:
	s_delay_alu instid0(SALU_CYCLE_1)
	s_and_b32 vcc_lo, exec_lo, s3
	s_wait_alu 0xfffe
	s_cbranch_vccz .LBB794_613
; %bb.600:
	v_mov_b32_e32 v1, 0
	s_sub_co_i32 s6, s36, s2
	s_mov_b32 s2, exec_lo
	s_delay_alu instid0(VALU_DEP_1)
	v_dual_mov_b32 v2, v1 :: v_dual_mov_b32 v3, v1
	v_mov_b32_e32 v4, v1
	v_cmpx_gt_u32_e64 s6, v0
	s_cbranch_execz .LBB794_602
; %bb.601:
	v_dual_mov_b32 v3, v1 :: v_dual_lshlrev_b32 v2, 1, v0
	v_dual_mov_b32 v4, v1 :: v_dual_mov_b32 v5, v1
	global_load_u16 v2, v2, s[4:5]
	s_wait_loadcnt 0x0
	v_and_b32_e32 v2, 0x7fff, v2
	s_delay_alu instid0(VALU_DEP_1) | instskip(SKIP_2) | instid1(VALU_DEP_1)
	v_cmp_ne_u16_e32 vcc_lo, 0, v2
	s_wait_alu 0xfffd
	v_cndmask_b32_e64 v2, 0, 1, vcc_lo
	v_and_b32_e32 v2, 0xffff, v2
	s_delay_alu instid0(VALU_DEP_1)
	v_mov_b32_e32 v1, v2
	v_mov_b32_e32 v2, v3
	;; [unrolled: 1-line block ×4, first 2 shown]
.LBB794_602:
	s_or_b32 exec_lo, exec_lo, s2
	v_or_b32_e32 v5, 0x100, v0
	s_delay_alu instid0(VALU_DEP_1)
	v_cmp_gt_u32_e32 vcc_lo, s6, v5
	s_and_saveexec_b32 s3, vcc_lo
	s_cbranch_execz .LBB794_604
; %bb.603:
	v_lshlrev_b32_e32 v2, 1, v0
	global_load_u16 v2, v2, s[4:5] offset:512
	s_wait_loadcnt 0x0
	v_and_b32_e32 v2, 0x7fff, v2
	s_delay_alu instid0(VALU_DEP_1) | instskip(NEXT) | instid1(VALU_DEP_1)
	v_cmp_ne_u16_e64 s2, 0, v2
	v_cndmask_b32_e64 v2, 0, 1, s2
.LBB794_604:
	s_or_b32 exec_lo, exec_lo, s3
	v_or_b32_e32 v5, 0x200, v0
	s_delay_alu instid0(VALU_DEP_1)
	v_cmp_gt_u32_e64 s2, s6, v5
	s_and_saveexec_b32 s7, s2
	s_cbranch_execz .LBB794_606
; %bb.605:
	v_lshlrev_b32_e32 v3, 1, v0
	global_load_u16 v3, v3, s[4:5] offset:1024
	s_wait_loadcnt 0x0
	v_and_b32_e32 v3, 0x7fff, v3
	s_delay_alu instid0(VALU_DEP_1) | instskip(SKIP_1) | instid1(VALU_DEP_1)
	v_cmp_ne_u16_e64 s3, 0, v3
	s_wait_alu 0xf1ff
	v_cndmask_b32_e64 v3, 0, 1, s3
.LBB794_606:
	s_wait_alu 0xfffe
	s_or_b32 exec_lo, exec_lo, s7
	v_or_b32_e32 v5, 0x300, v0
	s_delay_alu instid0(VALU_DEP_1)
	v_cmp_gt_u32_e64 s3, s6, v5
	s_and_saveexec_b32 s7, s3
	s_cbranch_execz .LBB794_608
; %bb.607:
	v_lshlrev_b32_e32 v4, 1, v0
	global_load_u16 v4, v4, s[4:5] offset:1536
	s_wait_loadcnt 0x0
	v_and_b32_e32 v4, 0x7fff, v4
	s_delay_alu instid0(VALU_DEP_1) | instskip(NEXT) | instid1(VALU_DEP_1)
	v_cmp_ne_u16_e64 s4, 0, v4
	v_cndmask_b32_e64 v4, 0, 1, s4
.LBB794_608:
	s_wait_alu 0xfffe
	s_or_b32 exec_lo, exec_lo, s7
	v_cndmask_b32_e32 v5, 0, v2, vcc_lo
	v_mbcnt_lo_u32_b32 v2, -1, 0
	v_cndmask_b32_e64 v3, 0, v3, s2
	v_cndmask_b32_e64 v4, 0, v4, s3
	s_min_u32 s2, s6, 0x100
	v_add_nc_u32_e32 v1, v5, v1
	v_cmp_ne_u32_e32 vcc_lo, 31, v2
	s_mov_b32 s3, exec_lo
	s_delay_alu instid0(VALU_DEP_2) | instskip(SKIP_4) | instid1(VALU_DEP_3)
	v_add3_u32 v1, v1, v3, v4
	s_wait_alu 0xfffd
	v_add_co_ci_u32_e64 v5, null, 0, v2, vcc_lo
	v_and_b32_e32 v4, 0xe0, v0
	v_cmp_gt_u32_e32 vcc_lo, 30, v2
	v_lshlrev_b32_e32 v3, 2, v5
	v_add_nc_u32_e32 v5, 1, v2
	s_wait_alu 0xfffe
	v_sub_nc_u32_e64 v4, s2, v4 clamp
	s_wait_alu 0xfffd
	v_cndmask_b32_e64 v6, 0, 2, vcc_lo
	ds_bpermute_b32 v3, v3, v1
	v_cmp_lt_u32_e32 vcc_lo, v5, v4
	v_add_lshl_u32 v5, v6, v2, 2
	s_wait_dscnt 0x0
	s_wait_alu 0xfffd
	v_cndmask_b32_e32 v3, 0, v3, vcc_lo
	v_cmp_gt_u32_e32 vcc_lo, 28, v2
	s_delay_alu instid0(VALU_DEP_2) | instskip(SKIP_4) | instid1(VALU_DEP_1)
	v_add_nc_u32_e32 v1, v3, v1
	s_wait_alu 0xfffd
	v_cndmask_b32_e64 v6, 0, 4, vcc_lo
	ds_bpermute_b32 v3, v5, v1
	v_add_nc_u32_e32 v5, 2, v2
	v_cmp_lt_u32_e32 vcc_lo, v5, v4
	v_add_lshl_u32 v5, v6, v2, 2
	s_wait_dscnt 0x0
	s_wait_alu 0xfffd
	v_cndmask_b32_e32 v3, 0, v3, vcc_lo
	v_cmp_gt_u32_e32 vcc_lo, 24, v2
	s_delay_alu instid0(VALU_DEP_2) | instskip(SKIP_4) | instid1(VALU_DEP_1)
	v_add_nc_u32_e32 v1, v1, v3
	s_wait_alu 0xfffd
	v_cndmask_b32_e64 v6, 0, 8, vcc_lo
	ds_bpermute_b32 v3, v5, v1
	v_add_nc_u32_e32 v5, 4, v2
	v_cmp_lt_u32_e32 vcc_lo, v5, v4
	v_add_lshl_u32 v5, v6, v2, 2
	s_wait_dscnt 0x0
	s_wait_alu 0xfffd
	v_dual_cndmask_b32 v3, 0, v3 :: v_dual_add_nc_u32 v6, 8, v2
	s_delay_alu instid0(VALU_DEP_1) | instskip(NEXT) | instid1(VALU_DEP_2)
	v_cmp_lt_u32_e32 vcc_lo, v6, v4
	v_add_nc_u32_e32 v1, v1, v3
	v_lshlrev_b32_e32 v3, 2, v2
	ds_bpermute_b32 v5, v5, v1
	v_or_b32_e32 v6, 64, v3
	s_wait_dscnt 0x0
	s_wait_alu 0xfffd
	v_cndmask_b32_e32 v5, 0, v5, vcc_lo
	s_delay_alu instid0(VALU_DEP_1) | instskip(SKIP_2) | instid1(VALU_DEP_1)
	v_add_nc_u32_e32 v1, v1, v5
	ds_bpermute_b32 v5, v6, v1
	v_add_nc_u32_e32 v6, 16, v2
	v_cmp_lt_u32_e32 vcc_lo, v6, v4
	s_wait_dscnt 0x0
	s_wait_alu 0xfffd
	v_cndmask_b32_e32 v4, 0, v5, vcc_lo
	s_delay_alu instid0(VALU_DEP_1)
	v_add_nc_u32_e32 v1, v1, v4
	v_cmpx_eq_u32_e32 0, v2
; %bb.609:
	v_lshrrev_b32_e32 v4, 3, v0
	s_delay_alu instid0(VALU_DEP_1)
	v_and_b32_e32 v4, 28, v4
	ds_store_b32 v4, v1 offset:256
; %bb.610:
	s_or_b32 exec_lo, exec_lo, s3
	s_delay_alu instid0(SALU_CYCLE_1)
	s_mov_b32 s3, exec_lo
	s_wait_loadcnt_dscnt 0x0
	s_barrier_signal -1
	s_barrier_wait -1
	global_inv scope:SCOPE_SE
	v_cmpx_gt_u32_e32 8, v0
	s_cbranch_execz .LBB794_612
; %bb.611:
	ds_load_b32 v1, v3 offset:256
	v_and_b32_e32 v4, 7, v2
	s_add_co_i32 s2, s2, 31
	s_wait_alu 0xfffe
	s_lshr_b32 s2, s2, 5
	s_delay_alu instid0(VALU_DEP_1) | instskip(SKIP_4) | instid1(VALU_DEP_2)
	v_cmp_ne_u32_e32 vcc_lo, 7, v4
	v_add_nc_u32_e32 v6, 1, v4
	s_wait_alu 0xfffd
	v_add_co_ci_u32_e64 v5, null, 0, v2, vcc_lo
	v_cmp_gt_u32_e32 vcc_lo, 6, v4
	v_lshlrev_b32_e32 v5, 2, v5
	s_wait_alu 0xfffd
	v_cndmask_b32_e64 v7, 0, 2, vcc_lo
	s_wait_alu 0xfffe
	v_cmp_gt_u32_e32 vcc_lo, s2, v6
	s_wait_dscnt 0x0
	ds_bpermute_b32 v5, v5, v1
	v_add_lshl_u32 v2, v7, v2, 2
	s_wait_dscnt 0x0
	s_wait_alu 0xfffd
	v_cndmask_b32_e32 v5, 0, v5, vcc_lo
	s_delay_alu instid0(VALU_DEP_1)
	v_add_nc_u32_e32 v1, v5, v1
	v_add_nc_u32_e32 v5, 2, v4
	ds_bpermute_b32 v2, v2, v1
	v_cmp_gt_u32_e32 vcc_lo, s2, v5
	s_wait_dscnt 0x0
	s_wait_alu 0xfffd
	v_cndmask_b32_e32 v2, 0, v2, vcc_lo
	s_delay_alu instid0(VALU_DEP_1)
	v_add_nc_u32_e32 v1, v1, v2
	v_or_b32_e32 v2, 16, v3
	v_add_nc_u32_e32 v3, 4, v4
	ds_bpermute_b32 v2, v2, v1
	v_cmp_gt_u32_e32 vcc_lo, s2, v3
	s_wait_dscnt 0x0
	s_wait_alu 0xfffd
	v_cndmask_b32_e32 v2, 0, v2, vcc_lo
	s_delay_alu instid0(VALU_DEP_1)
	v_add_nc_u32_e32 v1, v1, v2
.LBB794_612:
	s_wait_alu 0xfffe
	s_or_b32 exec_lo, exec_lo, s3
.LBB794_613:
	v_cmp_eq_u32_e64 s2, 0, v0
	s_branch .LBB794_623
.LBB794_614:
	s_cmp_gt_i32 s44, 1
	s_cbranch_scc0 .LBB794_622
; %bb.615:
	s_cmp_eq_u32 s44, 2
	s_cbranch_scc0 .LBB794_626
; %bb.616:
	s_mov_b32 s35, 0
	s_lshl_b32 s4, s34, 9
	s_mov_b32 s5, s35
	s_lshr_b64 s[2:3], s[36:37], 9
	s_lshl_b64 s[6:7], s[4:5], 1
	s_cmp_lg_u64 s[2:3], s[34:35]
	s_add_nc_u64 s[2:3], s[40:41], s[6:7]
	s_cbranch_scc0 .LBB794_627
; %bb.617:
	v_lshlrev_b32_e32 v1, 1, v0
	s_mov_b32 s5, exec_lo
	s_clause 0x1
	global_load_u16 v2, v1, s[2:3]
	global_load_u16 v1, v1, s[2:3] offset:512
	s_wait_loadcnt 0x1
	v_and_b32_e32 v2, 0x7fff, v2
	s_wait_loadcnt 0x0
	v_and_b32_e32 v1, 0x7fff, v1
	s_delay_alu instid0(VALU_DEP_2) | instskip(SKIP_1) | instid1(VALU_DEP_3)
	v_cmp_ne_u16_e32 vcc_lo, 0, v2
	v_cndmask_b32_e64 v2, 0, 1, vcc_lo
	v_cmp_ne_u16_e32 vcc_lo, 0, v1
	s_wait_alu 0xfffd
	s_delay_alu instid0(VALU_DEP_2) | instskip(NEXT) | instid1(VALU_DEP_1)
	v_add_co_ci_u32_e64 v1, null, 0, v2, vcc_lo
	v_mov_b32_dpp v1, v1 quad_perm:[1,0,3,2] row_mask:0xf bank_mask:0xf
	s_delay_alu instid0(VALU_DEP_1) | instskip(NEXT) | instid1(VALU_DEP_1)
	v_add_co_ci_u32_e64 v1, null, v1, v2, vcc_lo
	v_mov_b32_dpp v2, v1 quad_perm:[2,3,0,1] row_mask:0xf bank_mask:0xf
	s_delay_alu instid0(VALU_DEP_1) | instskip(NEXT) | instid1(VALU_DEP_1)
	v_add_nc_u32_e32 v1, v1, v2
	v_mov_b32_dpp v2, v1 row_ror:4 row_mask:0xf bank_mask:0xf
	s_delay_alu instid0(VALU_DEP_1) | instskip(NEXT) | instid1(VALU_DEP_1)
	v_add_nc_u32_e32 v1, v1, v2
	v_mov_b32_dpp v2, v1 row_ror:8 row_mask:0xf bank_mask:0xf
	s_delay_alu instid0(VALU_DEP_1)
	v_add_nc_u32_e32 v1, v1, v2
	ds_swizzle_b32 v2, v1 offset:swizzle(BROADCAST,32,15)
	s_wait_dscnt 0x0
	v_dual_mov_b32 v2, 0 :: v_dual_add_nc_u32 v1, v1, v2
	ds_bpermute_b32 v1, v2, v1 offset:124
	v_mbcnt_lo_u32_b32 v2, -1, 0
	s_delay_alu instid0(VALU_DEP_1)
	v_cmpx_eq_u32_e32 0, v2
	s_cbranch_execz .LBB794_619
; %bb.618:
	v_lshrrev_b32_e32 v3, 3, v0
	s_delay_alu instid0(VALU_DEP_1)
	v_and_b32_e32 v3, 28, v3
	s_wait_dscnt 0x0
	ds_store_b32 v3, v1 offset:96
.LBB794_619:
	s_or_b32 exec_lo, exec_lo, s5
	s_delay_alu instid0(SALU_CYCLE_1)
	s_mov_b32 s5, exec_lo
	s_wait_dscnt 0x0
	s_barrier_signal -1
	s_barrier_wait -1
	global_inv scope:SCOPE_SE
	v_cmpx_gt_u32_e32 32, v0
	s_cbranch_execz .LBB794_621
; %bb.620:
	v_lshl_or_b32 v1, v2, 2, 0x60
	v_and_b32_e32 v3, 7, v2
	ds_load_b32 v1, v1
	v_cmp_ne_u32_e32 vcc_lo, 7, v3
	s_wait_alu 0xfffd
	v_add_co_ci_u32_e64 v4, null, 0, v2, vcc_lo
	v_cmp_gt_u32_e32 vcc_lo, 6, v3
	s_delay_alu instid0(VALU_DEP_2) | instskip(SKIP_2) | instid1(VALU_DEP_1)
	v_lshlrev_b32_e32 v4, 2, v4
	s_wait_alu 0xfffd
	v_cndmask_b32_e64 v3, 0, 2, vcc_lo
	v_add_lshl_u32 v3, v3, v2, 2
	v_lshlrev_b32_e32 v2, 2, v2
	s_wait_dscnt 0x0
	ds_bpermute_b32 v4, v4, v1
	v_or_b32_e32 v2, 16, v2
	s_wait_dscnt 0x0
	v_add_nc_u32_e32 v1, v4, v1
	ds_bpermute_b32 v3, v3, v1
	s_wait_dscnt 0x0
	v_add_nc_u32_e32 v1, v3, v1
	ds_bpermute_b32 v2, v2, v1
	s_wait_dscnt 0x0
	v_add_nc_u32_e32 v1, v2, v1
.LBB794_621:
	s_or_b32 exec_lo, exec_lo, s5
	s_mov_b32 s5, 0
	s_branch .LBB794_628
.LBB794_622:
                                        ; implicit-def: $vgpr1
	s_cbranch_execnz .LBB794_639
.LBB794_623:
	s_delay_alu instid0(VALU_DEP_1)
	s_and_saveexec_b32 s3, s2
	s_cbranch_execz .LBB794_625
.LBB794_624:
	s_load_b32 s2, s[0:1], 0x28
	s_lshl_b64 s[0:1], s[34:35], 2
	s_cmp_lg_u64 s[36:37], 0
	s_add_nc_u64 s[0:1], s[38:39], s[0:1]
	s_cselect_b32 vcc_lo, -1, 0
	s_wait_alu 0xfffe
	v_dual_cndmask_b32 v0, 0, v1 :: v_dual_mov_b32 v1, 0
	s_wait_kmcnt 0x0
	s_delay_alu instid0(VALU_DEP_1)
	v_add_nc_u32_e32 v0, s2, v0
	global_store_b32 v1, v0, s[0:1]
.LBB794_625:
	s_nop 0
	s_sendmsg sendmsg(MSG_DEALLOC_VGPRS)
	s_endpgm
.LBB794_626:
                                        ; implicit-def: $vgpr1
	s_branch .LBB794_623
.LBB794_627:
	s_mov_b32 s5, -1
                                        ; implicit-def: $vgpr1
.LBB794_628:
	s_delay_alu instid0(SALU_CYCLE_1)
	s_and_b32 vcc_lo, exec_lo, s5
	s_wait_alu 0xfffe
	s_cbranch_vccz .LBB794_638
; %bb.629:
	v_mov_b32_e32 v1, 0
	s_sub_co_i32 s4, s36, s4
	s_mov_b32 s5, exec_lo
	s_delay_alu instid0(VALU_DEP_1)
	v_mov_b32_e32 v2, v1
	v_cmpx_gt_u32_e64 s4, v0
	s_cbranch_execz .LBB794_631
; %bb.630:
	v_dual_mov_b32 v3, v1 :: v_dual_lshlrev_b32 v2, 1, v0
	global_load_u16 v2, v2, s[2:3]
	s_wait_loadcnt 0x0
	v_and_b32_e32 v2, 0x7fff, v2
	s_delay_alu instid0(VALU_DEP_1) | instskip(SKIP_2) | instid1(VALU_DEP_1)
	v_cmp_ne_u16_e32 vcc_lo, 0, v2
	s_wait_alu 0xfffd
	v_cndmask_b32_e64 v2, 0, 1, vcc_lo
	v_and_b32_e32 v2, 0xffff, v2
	s_delay_alu instid0(VALU_DEP_1)
	v_mov_b32_e32 v1, v2
	v_mov_b32_e32 v2, v3
.LBB794_631:
	s_or_b32 exec_lo, exec_lo, s5
	v_or_b32_e32 v3, 0x100, v0
	s_delay_alu instid0(VALU_DEP_1)
	v_cmp_gt_u32_e32 vcc_lo, s4, v3
	s_and_saveexec_b32 s5, vcc_lo
	s_cbranch_execz .LBB794_633
; %bb.632:
	v_lshlrev_b32_e32 v2, 1, v0
	global_load_u16 v2, v2, s[2:3] offset:512
	s_wait_loadcnt 0x0
	v_and_b32_e32 v2, 0x7fff, v2
	s_delay_alu instid0(VALU_DEP_1) | instskip(NEXT) | instid1(VALU_DEP_1)
	v_cmp_ne_u16_e64 s2, 0, v2
	v_cndmask_b32_e64 v2, 0, 1, s2
.LBB794_633:
	s_wait_alu 0xfffe
	s_or_b32 exec_lo, exec_lo, s5
	v_mbcnt_lo_u32_b32 v3, -1, 0
	s_delay_alu instid0(VALU_DEP_2) | instskip(SKIP_2) | instid1(VALU_DEP_2)
	v_cndmask_b32_e32 v2, 0, v2, vcc_lo
	s_min_u32 s2, s4, 0x100
	s_mov_b32 s3, exec_lo
	v_cmp_ne_u32_e32 vcc_lo, 31, v3
	v_add_nc_u32_e32 v5, 1, v3
	v_add_nc_u32_e32 v1, v2, v1
	s_wait_alu 0xfffd
	v_add_co_ci_u32_e64 v4, null, 0, v3, vcc_lo
	v_cmp_gt_u32_e32 vcc_lo, 30, v3
	s_delay_alu instid0(VALU_DEP_2)
	v_lshlrev_b32_e32 v2, 2, v4
	v_and_b32_e32 v4, 0xe0, v0
	s_wait_alu 0xfffd
	v_cndmask_b32_e64 v6, 0, 2, vcc_lo
	ds_bpermute_b32 v2, v2, v1
	s_wait_alu 0xfffe
	v_sub_nc_u32_e64 v4, s2, v4 clamp
	s_delay_alu instid0(VALU_DEP_1)
	v_cmp_lt_u32_e32 vcc_lo, v5, v4
	v_add_lshl_u32 v5, v6, v3, 2
	s_wait_dscnt 0x0
	s_wait_alu 0xfffd
	v_cndmask_b32_e32 v2, 0, v2, vcc_lo
	v_cmp_gt_u32_e32 vcc_lo, 28, v3
	s_delay_alu instid0(VALU_DEP_2) | instskip(SKIP_4) | instid1(VALU_DEP_1)
	v_add_nc_u32_e32 v1, v2, v1
	s_wait_alu 0xfffd
	v_cndmask_b32_e64 v6, 0, 4, vcc_lo
	ds_bpermute_b32 v2, v5, v1
	v_add_nc_u32_e32 v5, 2, v3
	v_cmp_lt_u32_e32 vcc_lo, v5, v4
	v_add_lshl_u32 v5, v6, v3, 2
	s_wait_dscnt 0x0
	s_wait_alu 0xfffd
	v_cndmask_b32_e32 v2, 0, v2, vcc_lo
	v_cmp_gt_u32_e32 vcc_lo, 24, v3
	s_delay_alu instid0(VALU_DEP_2) | instskip(SKIP_4) | instid1(VALU_DEP_1)
	v_add_nc_u32_e32 v1, v1, v2
	s_wait_alu 0xfffd
	v_cndmask_b32_e64 v6, 0, 8, vcc_lo
	ds_bpermute_b32 v2, v5, v1
	v_add_nc_u32_e32 v5, 4, v3
	v_cmp_lt_u32_e32 vcc_lo, v5, v4
	v_add_lshl_u32 v5, v6, v3, 2
	v_add_nc_u32_e32 v6, 8, v3
	s_wait_dscnt 0x0
	s_wait_alu 0xfffd
	v_cndmask_b32_e32 v2, 0, v2, vcc_lo
	s_delay_alu instid0(VALU_DEP_2) | instskip(NEXT) | instid1(VALU_DEP_2)
	v_cmp_lt_u32_e32 vcc_lo, v6, v4
	v_add_nc_u32_e32 v1, v1, v2
	v_lshlrev_b32_e32 v2, 2, v3
	ds_bpermute_b32 v5, v5, v1
	v_or_b32_e32 v6, 64, v2
	s_wait_dscnt 0x0
	s_wait_alu 0xfffd
	v_cndmask_b32_e32 v5, 0, v5, vcc_lo
	s_delay_alu instid0(VALU_DEP_1) | instskip(SKIP_2) | instid1(VALU_DEP_1)
	v_add_nc_u32_e32 v1, v1, v5
	ds_bpermute_b32 v5, v6, v1
	v_add_nc_u32_e32 v6, 16, v3
	v_cmp_lt_u32_e32 vcc_lo, v6, v4
	s_wait_dscnt 0x0
	s_wait_alu 0xfffd
	v_cndmask_b32_e32 v4, 0, v5, vcc_lo
	s_delay_alu instid0(VALU_DEP_1)
	v_add_nc_u32_e32 v1, v1, v4
	v_cmpx_eq_u32_e32 0, v3
; %bb.634:
	v_lshrrev_b32_e32 v4, 3, v0
	s_delay_alu instid0(VALU_DEP_1)
	v_and_b32_e32 v4, 28, v4
	ds_store_b32 v4, v1 offset:256
; %bb.635:
	s_or_b32 exec_lo, exec_lo, s3
	s_delay_alu instid0(SALU_CYCLE_1)
	s_mov_b32 s3, exec_lo
	s_wait_loadcnt_dscnt 0x0
	s_barrier_signal -1
	s_barrier_wait -1
	global_inv scope:SCOPE_SE
	v_cmpx_gt_u32_e32 8, v0
	s_cbranch_execz .LBB794_637
; %bb.636:
	ds_load_b32 v1, v2 offset:256
	v_and_b32_e32 v4, 7, v3
	s_add_co_i32 s2, s2, 31
	v_or_b32_e32 v2, 16, v2
	s_wait_alu 0xfffe
	s_lshr_b32 s2, s2, 5
	v_cmp_ne_u32_e32 vcc_lo, 7, v4
	v_add_nc_u32_e32 v6, 1, v4
	s_wait_alu 0xfffd
	v_add_co_ci_u32_e64 v5, null, 0, v3, vcc_lo
	v_cmp_gt_u32_e32 vcc_lo, 6, v4
	s_delay_alu instid0(VALU_DEP_2)
	v_lshlrev_b32_e32 v5, 2, v5
	s_wait_alu 0xfffd
	v_cndmask_b32_e64 v7, 0, 2, vcc_lo
	s_wait_alu 0xfffe
	v_cmp_gt_u32_e32 vcc_lo, s2, v6
	s_wait_dscnt 0x0
	ds_bpermute_b32 v5, v5, v1
	v_add_lshl_u32 v3, v7, v3, 2
	s_wait_dscnt 0x0
	s_wait_alu 0xfffd
	v_cndmask_b32_e32 v5, 0, v5, vcc_lo
	s_delay_alu instid0(VALU_DEP_1)
	v_add_nc_u32_e32 v1, v5, v1
	v_add_nc_u32_e32 v5, 2, v4
	ds_bpermute_b32 v3, v3, v1
	v_cmp_gt_u32_e32 vcc_lo, s2, v5
	s_wait_dscnt 0x0
	s_wait_alu 0xfffd
	v_cndmask_b32_e32 v3, 0, v3, vcc_lo
	s_delay_alu instid0(VALU_DEP_1)
	v_add_nc_u32_e32 v1, v1, v3
	v_add_nc_u32_e32 v3, 4, v4
	ds_bpermute_b32 v2, v2, v1
	v_cmp_gt_u32_e32 vcc_lo, s2, v3
	s_wait_dscnt 0x0
	s_wait_alu 0xfffd
	v_cndmask_b32_e32 v2, 0, v2, vcc_lo
	s_delay_alu instid0(VALU_DEP_1)
	v_add_nc_u32_e32 v1, v1, v2
.LBB794_637:
	s_wait_alu 0xfffe
	s_or_b32 exec_lo, exec_lo, s3
.LBB794_638:
	v_cmp_eq_u32_e64 s2, 0, v0
	s_branch .LBB794_623
.LBB794_639:
	s_cmp_eq_u32 s44, 1
	s_cbranch_scc0 .LBB794_647
; %bb.640:
	s_mov_b32 s3, 0
	v_mbcnt_lo_u32_b32 v2, -1, 0
	s_lshr_b64 s[4:5], s[36:37], 8
	s_mov_b32 s35, s3
	s_lshl_b32 s2, s34, 8
	s_cmp_lg_u64 s[4:5], s[34:35]
	s_cbranch_scc0 .LBB794_648
; %bb.641:
	v_lshlrev_b32_e32 v1, 1, v0
	s_lshl_b64 s[4:5], s[2:3], 1
	s_delay_alu instid0(SALU_CYCLE_1) | instskip(SKIP_4) | instid1(VALU_DEP_1)
	s_add_nc_u64 s[4:5], s[40:41], s[4:5]
	global_load_u16 v1, v1, s[4:5]
	s_mov_b32 s4, exec_lo
	s_wait_loadcnt 0x0
	v_and_b32_e32 v1, 0x7fff, v1
	v_cmp_ne_u16_e32 vcc_lo, 0, v1
	v_cndmask_b32_e64 v1, 0, 1, vcc_lo
	s_delay_alu instid0(VALU_DEP_1) | instskip(NEXT) | instid1(VALU_DEP_1)
	v_mov_b32_dpp v1, v1 quad_perm:[1,0,3,2] row_mask:0xf bank_mask:0xf
	v_add_co_ci_u32_e64 v3, null, 0, v1, vcc_lo
	s_delay_alu instid0(VALU_DEP_1) | instskip(NEXT) | instid1(VALU_DEP_1)
	v_mov_b32_dpp v3, v3 quad_perm:[2,3,0,1] row_mask:0xf bank_mask:0xf
	v_add_co_ci_u32_e64 v1, null, v3, v1, vcc_lo
	s_delay_alu instid0(VALU_DEP_1) | instskip(NEXT) | instid1(VALU_DEP_1)
	v_mov_b32_dpp v3, v1 row_ror:4 row_mask:0xf bank_mask:0xf
	v_add_nc_u32_e32 v1, v1, v3
	s_delay_alu instid0(VALU_DEP_1) | instskip(NEXT) | instid1(VALU_DEP_1)
	v_mov_b32_dpp v3, v1 row_ror:8 row_mask:0xf bank_mask:0xf
	v_add_nc_u32_e32 v1, v1, v3
	ds_swizzle_b32 v3, v1 offset:swizzle(BROADCAST,32,15)
	s_wait_dscnt 0x0
	v_add_nc_u32_e32 v1, v1, v3
	v_mov_b32_e32 v3, 0
	ds_bpermute_b32 v1, v3, v1 offset:124
	v_cmpx_eq_u32_e32 0, v2
	s_cbranch_execz .LBB794_643
; %bb.642:
	v_lshrrev_b32_e32 v3, 3, v0
	s_delay_alu instid0(VALU_DEP_1)
	v_and_b32_e32 v3, 28, v3
	s_wait_dscnt 0x0
	ds_store_b32 v3, v1 offset:64
.LBB794_643:
	s_or_b32 exec_lo, exec_lo, s4
	s_delay_alu instid0(SALU_CYCLE_1)
	s_mov_b32 s4, exec_lo
	s_wait_dscnt 0x0
	s_barrier_signal -1
	s_barrier_wait -1
	global_inv scope:SCOPE_SE
	v_cmpx_gt_u32_e32 32, v0
	s_cbranch_execz .LBB794_645
; %bb.644:
	v_and_b32_e32 v1, 7, v2
	s_delay_alu instid0(VALU_DEP_1)
	v_lshlrev_b32_e32 v3, 2, v1
	v_cmp_ne_u32_e32 vcc_lo, 7, v1
	ds_load_b32 v3, v3 offset:64
	s_wait_alu 0xfffd
	v_add_co_ci_u32_e64 v4, null, 0, v2, vcc_lo
	v_cmp_gt_u32_e32 vcc_lo, 6, v1
	s_delay_alu instid0(VALU_DEP_2) | instskip(SKIP_2) | instid1(VALU_DEP_1)
	v_lshlrev_b32_e32 v4, 2, v4
	s_wait_alu 0xfffd
	v_cndmask_b32_e64 v1, 0, 2, vcc_lo
	v_add_lshl_u32 v1, v1, v2, 2
	s_wait_dscnt 0x0
	ds_bpermute_b32 v4, v4, v3
	s_wait_dscnt 0x0
	v_add_nc_u32_e32 v3, v4, v3
	v_lshlrev_b32_e32 v4, 2, v2
	ds_bpermute_b32 v1, v1, v3
	s_wait_dscnt 0x0
	v_add_nc_u32_e32 v1, v1, v3
	v_or_b32_e32 v3, 16, v4
	ds_bpermute_b32 v3, v3, v1
	s_wait_dscnt 0x0
	v_add_nc_u32_e32 v1, v3, v1
.LBB794_645:
	s_or_b32 exec_lo, exec_lo, s4
.LBB794_646:
	v_cmp_eq_u32_e64 s2, 0, v0
	s_and_saveexec_b32 s3, s2
	s_cbranch_execnz .LBB794_624
	s_branch .LBB794_625
.LBB794_647:
                                        ; implicit-def: $vgpr1
                                        ; implicit-def: $sgpr34_sgpr35
	s_and_saveexec_b32 s3, s2
	s_cbranch_execz .LBB794_625
	s_branch .LBB794_624
.LBB794_648:
                                        ; implicit-def: $vgpr1
	s_cbranch_execz .LBB794_646
; %bb.649:
	s_sub_co_i32 s4, s36, s2
	s_mov_b32 s5, exec_lo
                                        ; implicit-def: $vgpr1
	v_cmpx_gt_u32_e64 s4, v0
	s_cbranch_execz .LBB794_651
; %bb.650:
	v_lshlrev_b32_e32 v1, 1, v0
	s_lshl_b64 s[2:3], s[2:3], 1
	s_delay_alu instid0(SALU_CYCLE_1) | instskip(SKIP_3) | instid1(VALU_DEP_1)
	s_add_nc_u64 s[2:3], s[40:41], s[2:3]
	global_load_u16 v1, v1, s[2:3]
	s_wait_loadcnt 0x0
	v_and_b32_e32 v1, 0x7fff, v1
	v_cmp_ne_u16_e32 vcc_lo, 0, v1
	v_cndmask_b32_e64 v1, 0, 1, vcc_lo
.LBB794_651:
	s_or_b32 exec_lo, exec_lo, s5
	v_cmp_ne_u32_e32 vcc_lo, 31, v2
	s_min_u32 s2, s4, 0x100
	v_add_nc_u32_e32 v5, 1, v2
	s_mov_b32 s3, exec_lo
	s_wait_alu 0xfffd
	v_add_co_ci_u32_e64 v3, null, 0, v2, vcc_lo
	v_cmp_gt_u32_e32 vcc_lo, 30, v2
	s_delay_alu instid0(VALU_DEP_2) | instskip(SKIP_4) | instid1(VALU_DEP_1)
	v_lshlrev_b32_e32 v3, 2, v3
	s_wait_alu 0xfffd
	v_cndmask_b32_e64 v6, 0, 2, vcc_lo
	ds_bpermute_b32 v3, v3, v1
	v_and_b32_e32 v4, 0xe0, v0
	v_sub_nc_u32_e64 v4, s2, v4 clamp
	s_delay_alu instid0(VALU_DEP_1)
	v_cmp_lt_u32_e32 vcc_lo, v5, v4
	v_add_lshl_u32 v5, v6, v2, 2
	s_wait_dscnt 0x0
	s_wait_alu 0xfffd
	v_cndmask_b32_e32 v3, 0, v3, vcc_lo
	v_cmp_gt_u32_e32 vcc_lo, 28, v2
	s_delay_alu instid0(VALU_DEP_2) | instskip(SKIP_4) | instid1(VALU_DEP_1)
	v_add_nc_u32_e32 v1, v3, v1
	s_wait_alu 0xfffd
	v_cndmask_b32_e64 v6, 0, 4, vcc_lo
	ds_bpermute_b32 v3, v5, v1
	v_add_nc_u32_e32 v5, 2, v2
	v_cmp_lt_u32_e32 vcc_lo, v5, v4
	v_add_lshl_u32 v5, v6, v2, 2
	s_wait_dscnt 0x0
	s_wait_alu 0xfffd
	v_cndmask_b32_e32 v3, 0, v3, vcc_lo
	v_cmp_gt_u32_e32 vcc_lo, 24, v2
	s_delay_alu instid0(VALU_DEP_2) | instskip(SKIP_4) | instid1(VALU_DEP_1)
	v_add_nc_u32_e32 v1, v1, v3
	s_wait_alu 0xfffd
	v_cndmask_b32_e64 v6, 0, 8, vcc_lo
	ds_bpermute_b32 v3, v5, v1
	v_add_nc_u32_e32 v5, 4, v2
	v_cmp_lt_u32_e32 vcc_lo, v5, v4
	v_add_lshl_u32 v5, v6, v2, 2
	s_wait_dscnt 0x0
	s_wait_alu 0xfffd
	v_dual_cndmask_b32 v3, 0, v3 :: v_dual_add_nc_u32 v6, 8, v2
	s_delay_alu instid0(VALU_DEP_1) | instskip(NEXT) | instid1(VALU_DEP_2)
	v_cmp_lt_u32_e32 vcc_lo, v6, v4
	v_add_nc_u32_e32 v1, v1, v3
	v_lshlrev_b32_e32 v3, 2, v2
	ds_bpermute_b32 v5, v5, v1
	v_or_b32_e32 v6, 64, v3
	s_wait_dscnt 0x0
	s_wait_alu 0xfffd
	v_cndmask_b32_e32 v5, 0, v5, vcc_lo
	s_delay_alu instid0(VALU_DEP_1) | instskip(SKIP_2) | instid1(VALU_DEP_1)
	v_add_nc_u32_e32 v1, v1, v5
	ds_bpermute_b32 v5, v6, v1
	v_add_nc_u32_e32 v6, 16, v2
	v_cmp_lt_u32_e32 vcc_lo, v6, v4
	s_wait_dscnt 0x0
	s_wait_alu 0xfffd
	v_cndmask_b32_e32 v4, 0, v5, vcc_lo
	s_delay_alu instid0(VALU_DEP_1)
	v_add_nc_u32_e32 v1, v1, v4
	v_cmpx_eq_u32_e32 0, v2
; %bb.652:
	v_lshrrev_b32_e32 v4, 3, v0
	s_delay_alu instid0(VALU_DEP_1)
	v_and_b32_e32 v4, 28, v4
	ds_store_b32 v4, v1 offset:256
; %bb.653:
	s_or_b32 exec_lo, exec_lo, s3
	s_delay_alu instid0(SALU_CYCLE_1)
	s_mov_b32 s3, exec_lo
	s_wait_loadcnt_dscnt 0x0
	s_barrier_signal -1
	s_barrier_wait -1
	global_inv scope:SCOPE_SE
	v_cmpx_gt_u32_e32 8, v0
	s_cbranch_execz .LBB794_655
; %bb.654:
	ds_load_b32 v1, v3 offset:256
	v_and_b32_e32 v4, 7, v2
	s_add_co_i32 s2, s2, 31
	s_wait_alu 0xfffe
	s_lshr_b32 s2, s2, 5
	s_delay_alu instid0(VALU_DEP_1) | instskip(SKIP_4) | instid1(VALU_DEP_2)
	v_cmp_ne_u32_e32 vcc_lo, 7, v4
	v_add_nc_u32_e32 v6, 1, v4
	s_wait_alu 0xfffd
	v_add_co_ci_u32_e64 v5, null, 0, v2, vcc_lo
	v_cmp_gt_u32_e32 vcc_lo, 6, v4
	v_lshlrev_b32_e32 v5, 2, v5
	s_wait_alu 0xfffd
	v_cndmask_b32_e64 v7, 0, 2, vcc_lo
	s_wait_alu 0xfffe
	v_cmp_gt_u32_e32 vcc_lo, s2, v6
	s_wait_dscnt 0x0
	ds_bpermute_b32 v5, v5, v1
	v_add_lshl_u32 v2, v7, v2, 2
	s_wait_dscnt 0x0
	s_wait_alu 0xfffd
	v_cndmask_b32_e32 v5, 0, v5, vcc_lo
	s_delay_alu instid0(VALU_DEP_1)
	v_add_nc_u32_e32 v1, v5, v1
	v_add_nc_u32_e32 v5, 2, v4
	ds_bpermute_b32 v2, v2, v1
	v_cmp_gt_u32_e32 vcc_lo, s2, v5
	s_wait_dscnt 0x0
	s_wait_alu 0xfffd
	v_cndmask_b32_e32 v2, 0, v2, vcc_lo
	s_delay_alu instid0(VALU_DEP_1)
	v_add_nc_u32_e32 v1, v1, v2
	v_or_b32_e32 v2, 16, v3
	v_add_nc_u32_e32 v3, 4, v4
	ds_bpermute_b32 v2, v2, v1
	v_cmp_gt_u32_e32 vcc_lo, s2, v3
	s_wait_dscnt 0x0
	s_wait_alu 0xfffd
	v_cndmask_b32_e32 v2, 0, v2, vcc_lo
	s_delay_alu instid0(VALU_DEP_1)
	v_add_nc_u32_e32 v1, v1, v2
.LBB794_655:
	s_wait_alu 0xfffe
	s_or_b32 exec_lo, exec_lo, s3
	v_cmp_eq_u32_e64 s2, 0, v0
	s_and_saveexec_b32 s3, s2
	s_cbranch_execnz .LBB794_624
	s_branch .LBB794_625
	.section	.rodata,"a",@progbits
	.p2align	6, 0x0
	.amdhsa_kernel _ZN7rocprim17ROCPRIM_400000_NS6detail17trampoline_kernelINS0_14default_configENS1_22reduce_config_selectorIbEEZNS1_11reduce_implILb1ES3_N6hipcub16HIPCUB_304000_NS22TransformInputIteratorIbN2at6native12_GLOBAL__N_19NonZeroOpIN3c108BFloat16EEEPKSF_lEEPiiNS8_6detail34convert_binary_result_type_wrapperINS8_3SumESJ_iEEEE10hipError_tPvRmT1_T2_T3_mT4_P12ihipStream_tbEUlT_E1_NS1_11comp_targetILNS1_3genE10ELNS1_11target_archE1201ELNS1_3gpuE5ELNS1_3repE0EEENS1_30default_config_static_selectorELNS0_4arch9wavefront6targetE0EEEvSS_
		.amdhsa_group_segment_fixed_size 288
		.amdhsa_private_segment_fixed_size 0
		.amdhsa_kernarg_size 48
		.amdhsa_user_sgpr_count 2
		.amdhsa_user_sgpr_dispatch_ptr 0
		.amdhsa_user_sgpr_queue_ptr 0
		.amdhsa_user_sgpr_kernarg_segment_ptr 1
		.amdhsa_user_sgpr_dispatch_id 0
		.amdhsa_user_sgpr_private_segment_size 0
		.amdhsa_wavefront_size32 1
		.amdhsa_uses_dynamic_stack 0
		.amdhsa_enable_private_segment 0
		.amdhsa_system_sgpr_workgroup_id_x 1
		.amdhsa_system_sgpr_workgroup_id_y 0
		.amdhsa_system_sgpr_workgroup_id_z 0
		.amdhsa_system_sgpr_workgroup_info 0
		.amdhsa_system_vgpr_workitem_id 0
		.amdhsa_next_free_vgpr 129
		.amdhsa_next_free_sgpr 47
		.amdhsa_reserve_vcc 1
		.amdhsa_float_round_mode_32 0
		.amdhsa_float_round_mode_16_64 0
		.amdhsa_float_denorm_mode_32 3
		.amdhsa_float_denorm_mode_16_64 3
		.amdhsa_fp16_overflow 0
		.amdhsa_workgroup_processor_mode 1
		.amdhsa_memory_ordered 1
		.amdhsa_forward_progress 1
		.amdhsa_inst_pref_size 255
		.amdhsa_round_robin_scheduling 0
		.amdhsa_exception_fp_ieee_invalid_op 0
		.amdhsa_exception_fp_denorm_src 0
		.amdhsa_exception_fp_ieee_div_zero 0
		.amdhsa_exception_fp_ieee_overflow 0
		.amdhsa_exception_fp_ieee_underflow 0
		.amdhsa_exception_fp_ieee_inexact 0
		.amdhsa_exception_int_div_zero 0
	.end_amdhsa_kernel
	.section	.text._ZN7rocprim17ROCPRIM_400000_NS6detail17trampoline_kernelINS0_14default_configENS1_22reduce_config_selectorIbEEZNS1_11reduce_implILb1ES3_N6hipcub16HIPCUB_304000_NS22TransformInputIteratorIbN2at6native12_GLOBAL__N_19NonZeroOpIN3c108BFloat16EEEPKSF_lEEPiiNS8_6detail34convert_binary_result_type_wrapperINS8_3SumESJ_iEEEE10hipError_tPvRmT1_T2_T3_mT4_P12ihipStream_tbEUlT_E1_NS1_11comp_targetILNS1_3genE10ELNS1_11target_archE1201ELNS1_3gpuE5ELNS1_3repE0EEENS1_30default_config_static_selectorELNS0_4arch9wavefront6targetE0EEEvSS_,"axG",@progbits,_ZN7rocprim17ROCPRIM_400000_NS6detail17trampoline_kernelINS0_14default_configENS1_22reduce_config_selectorIbEEZNS1_11reduce_implILb1ES3_N6hipcub16HIPCUB_304000_NS22TransformInputIteratorIbN2at6native12_GLOBAL__N_19NonZeroOpIN3c108BFloat16EEEPKSF_lEEPiiNS8_6detail34convert_binary_result_type_wrapperINS8_3SumESJ_iEEEE10hipError_tPvRmT1_T2_T3_mT4_P12ihipStream_tbEUlT_E1_NS1_11comp_targetILNS1_3genE10ELNS1_11target_archE1201ELNS1_3gpuE5ELNS1_3repE0EEENS1_30default_config_static_selectorELNS0_4arch9wavefront6targetE0EEEvSS_,comdat
.Lfunc_end794:
	.size	_ZN7rocprim17ROCPRIM_400000_NS6detail17trampoline_kernelINS0_14default_configENS1_22reduce_config_selectorIbEEZNS1_11reduce_implILb1ES3_N6hipcub16HIPCUB_304000_NS22TransformInputIteratorIbN2at6native12_GLOBAL__N_19NonZeroOpIN3c108BFloat16EEEPKSF_lEEPiiNS8_6detail34convert_binary_result_type_wrapperINS8_3SumESJ_iEEEE10hipError_tPvRmT1_T2_T3_mT4_P12ihipStream_tbEUlT_E1_NS1_11comp_targetILNS1_3genE10ELNS1_11target_archE1201ELNS1_3gpuE5ELNS1_3repE0EEENS1_30default_config_static_selectorELNS0_4arch9wavefront6targetE0EEEvSS_, .Lfunc_end794-_ZN7rocprim17ROCPRIM_400000_NS6detail17trampoline_kernelINS0_14default_configENS1_22reduce_config_selectorIbEEZNS1_11reduce_implILb1ES3_N6hipcub16HIPCUB_304000_NS22TransformInputIteratorIbN2at6native12_GLOBAL__N_19NonZeroOpIN3c108BFloat16EEEPKSF_lEEPiiNS8_6detail34convert_binary_result_type_wrapperINS8_3SumESJ_iEEEE10hipError_tPvRmT1_T2_T3_mT4_P12ihipStream_tbEUlT_E1_NS1_11comp_targetILNS1_3genE10ELNS1_11target_archE1201ELNS1_3gpuE5ELNS1_3repE0EEENS1_30default_config_static_selectorELNS0_4arch9wavefront6targetE0EEEvSS_
                                        ; -- End function
	.set _ZN7rocprim17ROCPRIM_400000_NS6detail17trampoline_kernelINS0_14default_configENS1_22reduce_config_selectorIbEEZNS1_11reduce_implILb1ES3_N6hipcub16HIPCUB_304000_NS22TransformInputIteratorIbN2at6native12_GLOBAL__N_19NonZeroOpIN3c108BFloat16EEEPKSF_lEEPiiNS8_6detail34convert_binary_result_type_wrapperINS8_3SumESJ_iEEEE10hipError_tPvRmT1_T2_T3_mT4_P12ihipStream_tbEUlT_E1_NS1_11comp_targetILNS1_3genE10ELNS1_11target_archE1201ELNS1_3gpuE5ELNS1_3repE0EEENS1_30default_config_static_selectorELNS0_4arch9wavefront6targetE0EEEvSS_.num_vgpr, 129
	.set _ZN7rocprim17ROCPRIM_400000_NS6detail17trampoline_kernelINS0_14default_configENS1_22reduce_config_selectorIbEEZNS1_11reduce_implILb1ES3_N6hipcub16HIPCUB_304000_NS22TransformInputIteratorIbN2at6native12_GLOBAL__N_19NonZeroOpIN3c108BFloat16EEEPKSF_lEEPiiNS8_6detail34convert_binary_result_type_wrapperINS8_3SumESJ_iEEEE10hipError_tPvRmT1_T2_T3_mT4_P12ihipStream_tbEUlT_E1_NS1_11comp_targetILNS1_3genE10ELNS1_11target_archE1201ELNS1_3gpuE5ELNS1_3repE0EEENS1_30default_config_static_selectorELNS0_4arch9wavefront6targetE0EEEvSS_.num_agpr, 0
	.set _ZN7rocprim17ROCPRIM_400000_NS6detail17trampoline_kernelINS0_14default_configENS1_22reduce_config_selectorIbEEZNS1_11reduce_implILb1ES3_N6hipcub16HIPCUB_304000_NS22TransformInputIteratorIbN2at6native12_GLOBAL__N_19NonZeroOpIN3c108BFloat16EEEPKSF_lEEPiiNS8_6detail34convert_binary_result_type_wrapperINS8_3SumESJ_iEEEE10hipError_tPvRmT1_T2_T3_mT4_P12ihipStream_tbEUlT_E1_NS1_11comp_targetILNS1_3genE10ELNS1_11target_archE1201ELNS1_3gpuE5ELNS1_3repE0EEENS1_30default_config_static_selectorELNS0_4arch9wavefront6targetE0EEEvSS_.numbered_sgpr, 47
	.set _ZN7rocprim17ROCPRIM_400000_NS6detail17trampoline_kernelINS0_14default_configENS1_22reduce_config_selectorIbEEZNS1_11reduce_implILb1ES3_N6hipcub16HIPCUB_304000_NS22TransformInputIteratorIbN2at6native12_GLOBAL__N_19NonZeroOpIN3c108BFloat16EEEPKSF_lEEPiiNS8_6detail34convert_binary_result_type_wrapperINS8_3SumESJ_iEEEE10hipError_tPvRmT1_T2_T3_mT4_P12ihipStream_tbEUlT_E1_NS1_11comp_targetILNS1_3genE10ELNS1_11target_archE1201ELNS1_3gpuE5ELNS1_3repE0EEENS1_30default_config_static_selectorELNS0_4arch9wavefront6targetE0EEEvSS_.num_named_barrier, 0
	.set _ZN7rocprim17ROCPRIM_400000_NS6detail17trampoline_kernelINS0_14default_configENS1_22reduce_config_selectorIbEEZNS1_11reduce_implILb1ES3_N6hipcub16HIPCUB_304000_NS22TransformInputIteratorIbN2at6native12_GLOBAL__N_19NonZeroOpIN3c108BFloat16EEEPKSF_lEEPiiNS8_6detail34convert_binary_result_type_wrapperINS8_3SumESJ_iEEEE10hipError_tPvRmT1_T2_T3_mT4_P12ihipStream_tbEUlT_E1_NS1_11comp_targetILNS1_3genE10ELNS1_11target_archE1201ELNS1_3gpuE5ELNS1_3repE0EEENS1_30default_config_static_selectorELNS0_4arch9wavefront6targetE0EEEvSS_.private_seg_size, 0
	.set _ZN7rocprim17ROCPRIM_400000_NS6detail17trampoline_kernelINS0_14default_configENS1_22reduce_config_selectorIbEEZNS1_11reduce_implILb1ES3_N6hipcub16HIPCUB_304000_NS22TransformInputIteratorIbN2at6native12_GLOBAL__N_19NonZeroOpIN3c108BFloat16EEEPKSF_lEEPiiNS8_6detail34convert_binary_result_type_wrapperINS8_3SumESJ_iEEEE10hipError_tPvRmT1_T2_T3_mT4_P12ihipStream_tbEUlT_E1_NS1_11comp_targetILNS1_3genE10ELNS1_11target_archE1201ELNS1_3gpuE5ELNS1_3repE0EEENS1_30default_config_static_selectorELNS0_4arch9wavefront6targetE0EEEvSS_.uses_vcc, 1
	.set _ZN7rocprim17ROCPRIM_400000_NS6detail17trampoline_kernelINS0_14default_configENS1_22reduce_config_selectorIbEEZNS1_11reduce_implILb1ES3_N6hipcub16HIPCUB_304000_NS22TransformInputIteratorIbN2at6native12_GLOBAL__N_19NonZeroOpIN3c108BFloat16EEEPKSF_lEEPiiNS8_6detail34convert_binary_result_type_wrapperINS8_3SumESJ_iEEEE10hipError_tPvRmT1_T2_T3_mT4_P12ihipStream_tbEUlT_E1_NS1_11comp_targetILNS1_3genE10ELNS1_11target_archE1201ELNS1_3gpuE5ELNS1_3repE0EEENS1_30default_config_static_selectorELNS0_4arch9wavefront6targetE0EEEvSS_.uses_flat_scratch, 0
	.set _ZN7rocprim17ROCPRIM_400000_NS6detail17trampoline_kernelINS0_14default_configENS1_22reduce_config_selectorIbEEZNS1_11reduce_implILb1ES3_N6hipcub16HIPCUB_304000_NS22TransformInputIteratorIbN2at6native12_GLOBAL__N_19NonZeroOpIN3c108BFloat16EEEPKSF_lEEPiiNS8_6detail34convert_binary_result_type_wrapperINS8_3SumESJ_iEEEE10hipError_tPvRmT1_T2_T3_mT4_P12ihipStream_tbEUlT_E1_NS1_11comp_targetILNS1_3genE10ELNS1_11target_archE1201ELNS1_3gpuE5ELNS1_3repE0EEENS1_30default_config_static_selectorELNS0_4arch9wavefront6targetE0EEEvSS_.has_dyn_sized_stack, 0
	.set _ZN7rocprim17ROCPRIM_400000_NS6detail17trampoline_kernelINS0_14default_configENS1_22reduce_config_selectorIbEEZNS1_11reduce_implILb1ES3_N6hipcub16HIPCUB_304000_NS22TransformInputIteratorIbN2at6native12_GLOBAL__N_19NonZeroOpIN3c108BFloat16EEEPKSF_lEEPiiNS8_6detail34convert_binary_result_type_wrapperINS8_3SumESJ_iEEEE10hipError_tPvRmT1_T2_T3_mT4_P12ihipStream_tbEUlT_E1_NS1_11comp_targetILNS1_3genE10ELNS1_11target_archE1201ELNS1_3gpuE5ELNS1_3repE0EEENS1_30default_config_static_selectorELNS0_4arch9wavefront6targetE0EEEvSS_.has_recursion, 0
	.set _ZN7rocprim17ROCPRIM_400000_NS6detail17trampoline_kernelINS0_14default_configENS1_22reduce_config_selectorIbEEZNS1_11reduce_implILb1ES3_N6hipcub16HIPCUB_304000_NS22TransformInputIteratorIbN2at6native12_GLOBAL__N_19NonZeroOpIN3c108BFloat16EEEPKSF_lEEPiiNS8_6detail34convert_binary_result_type_wrapperINS8_3SumESJ_iEEEE10hipError_tPvRmT1_T2_T3_mT4_P12ihipStream_tbEUlT_E1_NS1_11comp_targetILNS1_3genE10ELNS1_11target_archE1201ELNS1_3gpuE5ELNS1_3repE0EEENS1_30default_config_static_selectorELNS0_4arch9wavefront6targetE0EEEvSS_.has_indirect_call, 0
	.section	.AMDGPU.csdata,"",@progbits
; Kernel info:
; codeLenInByte = 42032
; TotalNumSgprs: 49
; NumVgprs: 129
; ScratchSize: 0
; MemoryBound: 0
; FloatMode: 240
; IeeeMode: 1
; LDSByteSize: 288 bytes/workgroup (compile time only)
; SGPRBlocks: 0
; VGPRBlocks: 16
; NumSGPRsForWavesPerEU: 49
; NumVGPRsForWavesPerEU: 129
; Occupancy: 10
; WaveLimiterHint : 1
; COMPUTE_PGM_RSRC2:SCRATCH_EN: 0
; COMPUTE_PGM_RSRC2:USER_SGPR: 2
; COMPUTE_PGM_RSRC2:TRAP_HANDLER: 0
; COMPUTE_PGM_RSRC2:TGID_X_EN: 1
; COMPUTE_PGM_RSRC2:TGID_Y_EN: 0
; COMPUTE_PGM_RSRC2:TGID_Z_EN: 0
; COMPUTE_PGM_RSRC2:TIDIG_COMP_CNT: 0
	.section	.text._ZN7rocprim17ROCPRIM_400000_NS6detail17trampoline_kernelINS0_14default_configENS1_22reduce_config_selectorIbEEZNS1_11reduce_implILb1ES3_N6hipcub16HIPCUB_304000_NS22TransformInputIteratorIbN2at6native12_GLOBAL__N_19NonZeroOpIN3c108BFloat16EEEPKSF_lEEPiiNS8_6detail34convert_binary_result_type_wrapperINS8_3SumESJ_iEEEE10hipError_tPvRmT1_T2_T3_mT4_P12ihipStream_tbEUlT_E1_NS1_11comp_targetILNS1_3genE10ELNS1_11target_archE1200ELNS1_3gpuE4ELNS1_3repE0EEENS1_30default_config_static_selectorELNS0_4arch9wavefront6targetE0EEEvSS_,"axG",@progbits,_ZN7rocprim17ROCPRIM_400000_NS6detail17trampoline_kernelINS0_14default_configENS1_22reduce_config_selectorIbEEZNS1_11reduce_implILb1ES3_N6hipcub16HIPCUB_304000_NS22TransformInputIteratorIbN2at6native12_GLOBAL__N_19NonZeroOpIN3c108BFloat16EEEPKSF_lEEPiiNS8_6detail34convert_binary_result_type_wrapperINS8_3SumESJ_iEEEE10hipError_tPvRmT1_T2_T3_mT4_P12ihipStream_tbEUlT_E1_NS1_11comp_targetILNS1_3genE10ELNS1_11target_archE1200ELNS1_3gpuE4ELNS1_3repE0EEENS1_30default_config_static_selectorELNS0_4arch9wavefront6targetE0EEEvSS_,comdat
	.globl	_ZN7rocprim17ROCPRIM_400000_NS6detail17trampoline_kernelINS0_14default_configENS1_22reduce_config_selectorIbEEZNS1_11reduce_implILb1ES3_N6hipcub16HIPCUB_304000_NS22TransformInputIteratorIbN2at6native12_GLOBAL__N_19NonZeroOpIN3c108BFloat16EEEPKSF_lEEPiiNS8_6detail34convert_binary_result_type_wrapperINS8_3SumESJ_iEEEE10hipError_tPvRmT1_T2_T3_mT4_P12ihipStream_tbEUlT_E1_NS1_11comp_targetILNS1_3genE10ELNS1_11target_archE1200ELNS1_3gpuE4ELNS1_3repE0EEENS1_30default_config_static_selectorELNS0_4arch9wavefront6targetE0EEEvSS_ ; -- Begin function _ZN7rocprim17ROCPRIM_400000_NS6detail17trampoline_kernelINS0_14default_configENS1_22reduce_config_selectorIbEEZNS1_11reduce_implILb1ES3_N6hipcub16HIPCUB_304000_NS22TransformInputIteratorIbN2at6native12_GLOBAL__N_19NonZeroOpIN3c108BFloat16EEEPKSF_lEEPiiNS8_6detail34convert_binary_result_type_wrapperINS8_3SumESJ_iEEEE10hipError_tPvRmT1_T2_T3_mT4_P12ihipStream_tbEUlT_E1_NS1_11comp_targetILNS1_3genE10ELNS1_11target_archE1200ELNS1_3gpuE4ELNS1_3repE0EEENS1_30default_config_static_selectorELNS0_4arch9wavefront6targetE0EEEvSS_
	.p2align	8
	.type	_ZN7rocprim17ROCPRIM_400000_NS6detail17trampoline_kernelINS0_14default_configENS1_22reduce_config_selectorIbEEZNS1_11reduce_implILb1ES3_N6hipcub16HIPCUB_304000_NS22TransformInputIteratorIbN2at6native12_GLOBAL__N_19NonZeroOpIN3c108BFloat16EEEPKSF_lEEPiiNS8_6detail34convert_binary_result_type_wrapperINS8_3SumESJ_iEEEE10hipError_tPvRmT1_T2_T3_mT4_P12ihipStream_tbEUlT_E1_NS1_11comp_targetILNS1_3genE10ELNS1_11target_archE1200ELNS1_3gpuE4ELNS1_3repE0EEENS1_30default_config_static_selectorELNS0_4arch9wavefront6targetE0EEEvSS_,@function
_ZN7rocprim17ROCPRIM_400000_NS6detail17trampoline_kernelINS0_14default_configENS1_22reduce_config_selectorIbEEZNS1_11reduce_implILb1ES3_N6hipcub16HIPCUB_304000_NS22TransformInputIteratorIbN2at6native12_GLOBAL__N_19NonZeroOpIN3c108BFloat16EEEPKSF_lEEPiiNS8_6detail34convert_binary_result_type_wrapperINS8_3SumESJ_iEEEE10hipError_tPvRmT1_T2_T3_mT4_P12ihipStream_tbEUlT_E1_NS1_11comp_targetILNS1_3genE10ELNS1_11target_archE1200ELNS1_3gpuE4ELNS1_3repE0EEENS1_30default_config_static_selectorELNS0_4arch9wavefront6targetE0EEEvSS_: ; @_ZN7rocprim17ROCPRIM_400000_NS6detail17trampoline_kernelINS0_14default_configENS1_22reduce_config_selectorIbEEZNS1_11reduce_implILb1ES3_N6hipcub16HIPCUB_304000_NS22TransformInputIteratorIbN2at6native12_GLOBAL__N_19NonZeroOpIN3c108BFloat16EEEPKSF_lEEPiiNS8_6detail34convert_binary_result_type_wrapperINS8_3SumESJ_iEEEE10hipError_tPvRmT1_T2_T3_mT4_P12ihipStream_tbEUlT_E1_NS1_11comp_targetILNS1_3genE10ELNS1_11target_archE1200ELNS1_3gpuE4ELNS1_3repE0EEENS1_30default_config_static_selectorELNS0_4arch9wavefront6targetE0EEEvSS_
; %bb.0:
	.section	.rodata,"a",@progbits
	.p2align	6, 0x0
	.amdhsa_kernel _ZN7rocprim17ROCPRIM_400000_NS6detail17trampoline_kernelINS0_14default_configENS1_22reduce_config_selectorIbEEZNS1_11reduce_implILb1ES3_N6hipcub16HIPCUB_304000_NS22TransformInputIteratorIbN2at6native12_GLOBAL__N_19NonZeroOpIN3c108BFloat16EEEPKSF_lEEPiiNS8_6detail34convert_binary_result_type_wrapperINS8_3SumESJ_iEEEE10hipError_tPvRmT1_T2_T3_mT4_P12ihipStream_tbEUlT_E1_NS1_11comp_targetILNS1_3genE10ELNS1_11target_archE1200ELNS1_3gpuE4ELNS1_3repE0EEENS1_30default_config_static_selectorELNS0_4arch9wavefront6targetE0EEEvSS_
		.amdhsa_group_segment_fixed_size 0
		.amdhsa_private_segment_fixed_size 0
		.amdhsa_kernarg_size 48
		.amdhsa_user_sgpr_count 2
		.amdhsa_user_sgpr_dispatch_ptr 0
		.amdhsa_user_sgpr_queue_ptr 0
		.amdhsa_user_sgpr_kernarg_segment_ptr 1
		.amdhsa_user_sgpr_dispatch_id 0
		.amdhsa_user_sgpr_private_segment_size 0
		.amdhsa_wavefront_size32 1
		.amdhsa_uses_dynamic_stack 0
		.amdhsa_enable_private_segment 0
		.amdhsa_system_sgpr_workgroup_id_x 1
		.amdhsa_system_sgpr_workgroup_id_y 0
		.amdhsa_system_sgpr_workgroup_id_z 0
		.amdhsa_system_sgpr_workgroup_info 0
		.amdhsa_system_vgpr_workitem_id 0
		.amdhsa_next_free_vgpr 1
		.amdhsa_next_free_sgpr 1
		.amdhsa_reserve_vcc 0
		.amdhsa_float_round_mode_32 0
		.amdhsa_float_round_mode_16_64 0
		.amdhsa_float_denorm_mode_32 3
		.amdhsa_float_denorm_mode_16_64 3
		.amdhsa_fp16_overflow 0
		.amdhsa_workgroup_processor_mode 1
		.amdhsa_memory_ordered 1
		.amdhsa_forward_progress 1
		.amdhsa_inst_pref_size 0
		.amdhsa_round_robin_scheduling 0
		.amdhsa_exception_fp_ieee_invalid_op 0
		.amdhsa_exception_fp_denorm_src 0
		.amdhsa_exception_fp_ieee_div_zero 0
		.amdhsa_exception_fp_ieee_overflow 0
		.amdhsa_exception_fp_ieee_underflow 0
		.amdhsa_exception_fp_ieee_inexact 0
		.amdhsa_exception_int_div_zero 0
	.end_amdhsa_kernel
	.section	.text._ZN7rocprim17ROCPRIM_400000_NS6detail17trampoline_kernelINS0_14default_configENS1_22reduce_config_selectorIbEEZNS1_11reduce_implILb1ES3_N6hipcub16HIPCUB_304000_NS22TransformInputIteratorIbN2at6native12_GLOBAL__N_19NonZeroOpIN3c108BFloat16EEEPKSF_lEEPiiNS8_6detail34convert_binary_result_type_wrapperINS8_3SumESJ_iEEEE10hipError_tPvRmT1_T2_T3_mT4_P12ihipStream_tbEUlT_E1_NS1_11comp_targetILNS1_3genE10ELNS1_11target_archE1200ELNS1_3gpuE4ELNS1_3repE0EEENS1_30default_config_static_selectorELNS0_4arch9wavefront6targetE0EEEvSS_,"axG",@progbits,_ZN7rocprim17ROCPRIM_400000_NS6detail17trampoline_kernelINS0_14default_configENS1_22reduce_config_selectorIbEEZNS1_11reduce_implILb1ES3_N6hipcub16HIPCUB_304000_NS22TransformInputIteratorIbN2at6native12_GLOBAL__N_19NonZeroOpIN3c108BFloat16EEEPKSF_lEEPiiNS8_6detail34convert_binary_result_type_wrapperINS8_3SumESJ_iEEEE10hipError_tPvRmT1_T2_T3_mT4_P12ihipStream_tbEUlT_E1_NS1_11comp_targetILNS1_3genE10ELNS1_11target_archE1200ELNS1_3gpuE4ELNS1_3repE0EEENS1_30default_config_static_selectorELNS0_4arch9wavefront6targetE0EEEvSS_,comdat
.Lfunc_end795:
	.size	_ZN7rocprim17ROCPRIM_400000_NS6detail17trampoline_kernelINS0_14default_configENS1_22reduce_config_selectorIbEEZNS1_11reduce_implILb1ES3_N6hipcub16HIPCUB_304000_NS22TransformInputIteratorIbN2at6native12_GLOBAL__N_19NonZeroOpIN3c108BFloat16EEEPKSF_lEEPiiNS8_6detail34convert_binary_result_type_wrapperINS8_3SumESJ_iEEEE10hipError_tPvRmT1_T2_T3_mT4_P12ihipStream_tbEUlT_E1_NS1_11comp_targetILNS1_3genE10ELNS1_11target_archE1200ELNS1_3gpuE4ELNS1_3repE0EEENS1_30default_config_static_selectorELNS0_4arch9wavefront6targetE0EEEvSS_, .Lfunc_end795-_ZN7rocprim17ROCPRIM_400000_NS6detail17trampoline_kernelINS0_14default_configENS1_22reduce_config_selectorIbEEZNS1_11reduce_implILb1ES3_N6hipcub16HIPCUB_304000_NS22TransformInputIteratorIbN2at6native12_GLOBAL__N_19NonZeroOpIN3c108BFloat16EEEPKSF_lEEPiiNS8_6detail34convert_binary_result_type_wrapperINS8_3SumESJ_iEEEE10hipError_tPvRmT1_T2_T3_mT4_P12ihipStream_tbEUlT_E1_NS1_11comp_targetILNS1_3genE10ELNS1_11target_archE1200ELNS1_3gpuE4ELNS1_3repE0EEENS1_30default_config_static_selectorELNS0_4arch9wavefront6targetE0EEEvSS_
                                        ; -- End function
	.set _ZN7rocprim17ROCPRIM_400000_NS6detail17trampoline_kernelINS0_14default_configENS1_22reduce_config_selectorIbEEZNS1_11reduce_implILb1ES3_N6hipcub16HIPCUB_304000_NS22TransformInputIteratorIbN2at6native12_GLOBAL__N_19NonZeroOpIN3c108BFloat16EEEPKSF_lEEPiiNS8_6detail34convert_binary_result_type_wrapperINS8_3SumESJ_iEEEE10hipError_tPvRmT1_T2_T3_mT4_P12ihipStream_tbEUlT_E1_NS1_11comp_targetILNS1_3genE10ELNS1_11target_archE1200ELNS1_3gpuE4ELNS1_3repE0EEENS1_30default_config_static_selectorELNS0_4arch9wavefront6targetE0EEEvSS_.num_vgpr, 0
	.set _ZN7rocprim17ROCPRIM_400000_NS6detail17trampoline_kernelINS0_14default_configENS1_22reduce_config_selectorIbEEZNS1_11reduce_implILb1ES3_N6hipcub16HIPCUB_304000_NS22TransformInputIteratorIbN2at6native12_GLOBAL__N_19NonZeroOpIN3c108BFloat16EEEPKSF_lEEPiiNS8_6detail34convert_binary_result_type_wrapperINS8_3SumESJ_iEEEE10hipError_tPvRmT1_T2_T3_mT4_P12ihipStream_tbEUlT_E1_NS1_11comp_targetILNS1_3genE10ELNS1_11target_archE1200ELNS1_3gpuE4ELNS1_3repE0EEENS1_30default_config_static_selectorELNS0_4arch9wavefront6targetE0EEEvSS_.num_agpr, 0
	.set _ZN7rocprim17ROCPRIM_400000_NS6detail17trampoline_kernelINS0_14default_configENS1_22reduce_config_selectorIbEEZNS1_11reduce_implILb1ES3_N6hipcub16HIPCUB_304000_NS22TransformInputIteratorIbN2at6native12_GLOBAL__N_19NonZeroOpIN3c108BFloat16EEEPKSF_lEEPiiNS8_6detail34convert_binary_result_type_wrapperINS8_3SumESJ_iEEEE10hipError_tPvRmT1_T2_T3_mT4_P12ihipStream_tbEUlT_E1_NS1_11comp_targetILNS1_3genE10ELNS1_11target_archE1200ELNS1_3gpuE4ELNS1_3repE0EEENS1_30default_config_static_selectorELNS0_4arch9wavefront6targetE0EEEvSS_.numbered_sgpr, 0
	.set _ZN7rocprim17ROCPRIM_400000_NS6detail17trampoline_kernelINS0_14default_configENS1_22reduce_config_selectorIbEEZNS1_11reduce_implILb1ES3_N6hipcub16HIPCUB_304000_NS22TransformInputIteratorIbN2at6native12_GLOBAL__N_19NonZeroOpIN3c108BFloat16EEEPKSF_lEEPiiNS8_6detail34convert_binary_result_type_wrapperINS8_3SumESJ_iEEEE10hipError_tPvRmT1_T2_T3_mT4_P12ihipStream_tbEUlT_E1_NS1_11comp_targetILNS1_3genE10ELNS1_11target_archE1200ELNS1_3gpuE4ELNS1_3repE0EEENS1_30default_config_static_selectorELNS0_4arch9wavefront6targetE0EEEvSS_.num_named_barrier, 0
	.set _ZN7rocprim17ROCPRIM_400000_NS6detail17trampoline_kernelINS0_14default_configENS1_22reduce_config_selectorIbEEZNS1_11reduce_implILb1ES3_N6hipcub16HIPCUB_304000_NS22TransformInputIteratorIbN2at6native12_GLOBAL__N_19NonZeroOpIN3c108BFloat16EEEPKSF_lEEPiiNS8_6detail34convert_binary_result_type_wrapperINS8_3SumESJ_iEEEE10hipError_tPvRmT1_T2_T3_mT4_P12ihipStream_tbEUlT_E1_NS1_11comp_targetILNS1_3genE10ELNS1_11target_archE1200ELNS1_3gpuE4ELNS1_3repE0EEENS1_30default_config_static_selectorELNS0_4arch9wavefront6targetE0EEEvSS_.private_seg_size, 0
	.set _ZN7rocprim17ROCPRIM_400000_NS6detail17trampoline_kernelINS0_14default_configENS1_22reduce_config_selectorIbEEZNS1_11reduce_implILb1ES3_N6hipcub16HIPCUB_304000_NS22TransformInputIteratorIbN2at6native12_GLOBAL__N_19NonZeroOpIN3c108BFloat16EEEPKSF_lEEPiiNS8_6detail34convert_binary_result_type_wrapperINS8_3SumESJ_iEEEE10hipError_tPvRmT1_T2_T3_mT4_P12ihipStream_tbEUlT_E1_NS1_11comp_targetILNS1_3genE10ELNS1_11target_archE1200ELNS1_3gpuE4ELNS1_3repE0EEENS1_30default_config_static_selectorELNS0_4arch9wavefront6targetE0EEEvSS_.uses_vcc, 0
	.set _ZN7rocprim17ROCPRIM_400000_NS6detail17trampoline_kernelINS0_14default_configENS1_22reduce_config_selectorIbEEZNS1_11reduce_implILb1ES3_N6hipcub16HIPCUB_304000_NS22TransformInputIteratorIbN2at6native12_GLOBAL__N_19NonZeroOpIN3c108BFloat16EEEPKSF_lEEPiiNS8_6detail34convert_binary_result_type_wrapperINS8_3SumESJ_iEEEE10hipError_tPvRmT1_T2_T3_mT4_P12ihipStream_tbEUlT_E1_NS1_11comp_targetILNS1_3genE10ELNS1_11target_archE1200ELNS1_3gpuE4ELNS1_3repE0EEENS1_30default_config_static_selectorELNS0_4arch9wavefront6targetE0EEEvSS_.uses_flat_scratch, 0
	.set _ZN7rocprim17ROCPRIM_400000_NS6detail17trampoline_kernelINS0_14default_configENS1_22reduce_config_selectorIbEEZNS1_11reduce_implILb1ES3_N6hipcub16HIPCUB_304000_NS22TransformInputIteratorIbN2at6native12_GLOBAL__N_19NonZeroOpIN3c108BFloat16EEEPKSF_lEEPiiNS8_6detail34convert_binary_result_type_wrapperINS8_3SumESJ_iEEEE10hipError_tPvRmT1_T2_T3_mT4_P12ihipStream_tbEUlT_E1_NS1_11comp_targetILNS1_3genE10ELNS1_11target_archE1200ELNS1_3gpuE4ELNS1_3repE0EEENS1_30default_config_static_selectorELNS0_4arch9wavefront6targetE0EEEvSS_.has_dyn_sized_stack, 0
	.set _ZN7rocprim17ROCPRIM_400000_NS6detail17trampoline_kernelINS0_14default_configENS1_22reduce_config_selectorIbEEZNS1_11reduce_implILb1ES3_N6hipcub16HIPCUB_304000_NS22TransformInputIteratorIbN2at6native12_GLOBAL__N_19NonZeroOpIN3c108BFloat16EEEPKSF_lEEPiiNS8_6detail34convert_binary_result_type_wrapperINS8_3SumESJ_iEEEE10hipError_tPvRmT1_T2_T3_mT4_P12ihipStream_tbEUlT_E1_NS1_11comp_targetILNS1_3genE10ELNS1_11target_archE1200ELNS1_3gpuE4ELNS1_3repE0EEENS1_30default_config_static_selectorELNS0_4arch9wavefront6targetE0EEEvSS_.has_recursion, 0
	.set _ZN7rocprim17ROCPRIM_400000_NS6detail17trampoline_kernelINS0_14default_configENS1_22reduce_config_selectorIbEEZNS1_11reduce_implILb1ES3_N6hipcub16HIPCUB_304000_NS22TransformInputIteratorIbN2at6native12_GLOBAL__N_19NonZeroOpIN3c108BFloat16EEEPKSF_lEEPiiNS8_6detail34convert_binary_result_type_wrapperINS8_3SumESJ_iEEEE10hipError_tPvRmT1_T2_T3_mT4_P12ihipStream_tbEUlT_E1_NS1_11comp_targetILNS1_3genE10ELNS1_11target_archE1200ELNS1_3gpuE4ELNS1_3repE0EEENS1_30default_config_static_selectorELNS0_4arch9wavefront6targetE0EEEvSS_.has_indirect_call, 0
	.section	.AMDGPU.csdata,"",@progbits
; Kernel info:
; codeLenInByte = 0
; TotalNumSgprs: 0
; NumVgprs: 0
; ScratchSize: 0
; MemoryBound: 0
; FloatMode: 240
; IeeeMode: 1
; LDSByteSize: 0 bytes/workgroup (compile time only)
; SGPRBlocks: 0
; VGPRBlocks: 0
; NumSGPRsForWavesPerEU: 1
; NumVGPRsForWavesPerEU: 1
; Occupancy: 16
; WaveLimiterHint : 0
; COMPUTE_PGM_RSRC2:SCRATCH_EN: 0
; COMPUTE_PGM_RSRC2:USER_SGPR: 2
; COMPUTE_PGM_RSRC2:TRAP_HANDLER: 0
; COMPUTE_PGM_RSRC2:TGID_X_EN: 1
; COMPUTE_PGM_RSRC2:TGID_Y_EN: 0
; COMPUTE_PGM_RSRC2:TGID_Z_EN: 0
; COMPUTE_PGM_RSRC2:TIDIG_COMP_CNT: 0
	.section	.text._ZN7rocprim17ROCPRIM_400000_NS6detail17trampoline_kernelINS0_14default_configENS1_22reduce_config_selectorIbEEZNS1_11reduce_implILb1ES3_N6hipcub16HIPCUB_304000_NS22TransformInputIteratorIbN2at6native12_GLOBAL__N_19NonZeroOpIN3c108BFloat16EEEPKSF_lEEPiiNS8_6detail34convert_binary_result_type_wrapperINS8_3SumESJ_iEEEE10hipError_tPvRmT1_T2_T3_mT4_P12ihipStream_tbEUlT_E1_NS1_11comp_targetILNS1_3genE9ELNS1_11target_archE1100ELNS1_3gpuE3ELNS1_3repE0EEENS1_30default_config_static_selectorELNS0_4arch9wavefront6targetE0EEEvSS_,"axG",@progbits,_ZN7rocprim17ROCPRIM_400000_NS6detail17trampoline_kernelINS0_14default_configENS1_22reduce_config_selectorIbEEZNS1_11reduce_implILb1ES3_N6hipcub16HIPCUB_304000_NS22TransformInputIteratorIbN2at6native12_GLOBAL__N_19NonZeroOpIN3c108BFloat16EEEPKSF_lEEPiiNS8_6detail34convert_binary_result_type_wrapperINS8_3SumESJ_iEEEE10hipError_tPvRmT1_T2_T3_mT4_P12ihipStream_tbEUlT_E1_NS1_11comp_targetILNS1_3genE9ELNS1_11target_archE1100ELNS1_3gpuE3ELNS1_3repE0EEENS1_30default_config_static_selectorELNS0_4arch9wavefront6targetE0EEEvSS_,comdat
	.globl	_ZN7rocprim17ROCPRIM_400000_NS6detail17trampoline_kernelINS0_14default_configENS1_22reduce_config_selectorIbEEZNS1_11reduce_implILb1ES3_N6hipcub16HIPCUB_304000_NS22TransformInputIteratorIbN2at6native12_GLOBAL__N_19NonZeroOpIN3c108BFloat16EEEPKSF_lEEPiiNS8_6detail34convert_binary_result_type_wrapperINS8_3SumESJ_iEEEE10hipError_tPvRmT1_T2_T3_mT4_P12ihipStream_tbEUlT_E1_NS1_11comp_targetILNS1_3genE9ELNS1_11target_archE1100ELNS1_3gpuE3ELNS1_3repE0EEENS1_30default_config_static_selectorELNS0_4arch9wavefront6targetE0EEEvSS_ ; -- Begin function _ZN7rocprim17ROCPRIM_400000_NS6detail17trampoline_kernelINS0_14default_configENS1_22reduce_config_selectorIbEEZNS1_11reduce_implILb1ES3_N6hipcub16HIPCUB_304000_NS22TransformInputIteratorIbN2at6native12_GLOBAL__N_19NonZeroOpIN3c108BFloat16EEEPKSF_lEEPiiNS8_6detail34convert_binary_result_type_wrapperINS8_3SumESJ_iEEEE10hipError_tPvRmT1_T2_T3_mT4_P12ihipStream_tbEUlT_E1_NS1_11comp_targetILNS1_3genE9ELNS1_11target_archE1100ELNS1_3gpuE3ELNS1_3repE0EEENS1_30default_config_static_selectorELNS0_4arch9wavefront6targetE0EEEvSS_
	.p2align	8
	.type	_ZN7rocprim17ROCPRIM_400000_NS6detail17trampoline_kernelINS0_14default_configENS1_22reduce_config_selectorIbEEZNS1_11reduce_implILb1ES3_N6hipcub16HIPCUB_304000_NS22TransformInputIteratorIbN2at6native12_GLOBAL__N_19NonZeroOpIN3c108BFloat16EEEPKSF_lEEPiiNS8_6detail34convert_binary_result_type_wrapperINS8_3SumESJ_iEEEE10hipError_tPvRmT1_T2_T3_mT4_P12ihipStream_tbEUlT_E1_NS1_11comp_targetILNS1_3genE9ELNS1_11target_archE1100ELNS1_3gpuE3ELNS1_3repE0EEENS1_30default_config_static_selectorELNS0_4arch9wavefront6targetE0EEEvSS_,@function
_ZN7rocprim17ROCPRIM_400000_NS6detail17trampoline_kernelINS0_14default_configENS1_22reduce_config_selectorIbEEZNS1_11reduce_implILb1ES3_N6hipcub16HIPCUB_304000_NS22TransformInputIteratorIbN2at6native12_GLOBAL__N_19NonZeroOpIN3c108BFloat16EEEPKSF_lEEPiiNS8_6detail34convert_binary_result_type_wrapperINS8_3SumESJ_iEEEE10hipError_tPvRmT1_T2_T3_mT4_P12ihipStream_tbEUlT_E1_NS1_11comp_targetILNS1_3genE9ELNS1_11target_archE1100ELNS1_3gpuE3ELNS1_3repE0EEENS1_30default_config_static_selectorELNS0_4arch9wavefront6targetE0EEEvSS_: ; @_ZN7rocprim17ROCPRIM_400000_NS6detail17trampoline_kernelINS0_14default_configENS1_22reduce_config_selectorIbEEZNS1_11reduce_implILb1ES3_N6hipcub16HIPCUB_304000_NS22TransformInputIteratorIbN2at6native12_GLOBAL__N_19NonZeroOpIN3c108BFloat16EEEPKSF_lEEPiiNS8_6detail34convert_binary_result_type_wrapperINS8_3SumESJ_iEEEE10hipError_tPvRmT1_T2_T3_mT4_P12ihipStream_tbEUlT_E1_NS1_11comp_targetILNS1_3genE9ELNS1_11target_archE1100ELNS1_3gpuE3ELNS1_3repE0EEENS1_30default_config_static_selectorELNS0_4arch9wavefront6targetE0EEEvSS_
; %bb.0:
	.section	.rodata,"a",@progbits
	.p2align	6, 0x0
	.amdhsa_kernel _ZN7rocprim17ROCPRIM_400000_NS6detail17trampoline_kernelINS0_14default_configENS1_22reduce_config_selectorIbEEZNS1_11reduce_implILb1ES3_N6hipcub16HIPCUB_304000_NS22TransformInputIteratorIbN2at6native12_GLOBAL__N_19NonZeroOpIN3c108BFloat16EEEPKSF_lEEPiiNS8_6detail34convert_binary_result_type_wrapperINS8_3SumESJ_iEEEE10hipError_tPvRmT1_T2_T3_mT4_P12ihipStream_tbEUlT_E1_NS1_11comp_targetILNS1_3genE9ELNS1_11target_archE1100ELNS1_3gpuE3ELNS1_3repE0EEENS1_30default_config_static_selectorELNS0_4arch9wavefront6targetE0EEEvSS_
		.amdhsa_group_segment_fixed_size 0
		.amdhsa_private_segment_fixed_size 0
		.amdhsa_kernarg_size 48
		.amdhsa_user_sgpr_count 2
		.amdhsa_user_sgpr_dispatch_ptr 0
		.amdhsa_user_sgpr_queue_ptr 0
		.amdhsa_user_sgpr_kernarg_segment_ptr 1
		.amdhsa_user_sgpr_dispatch_id 0
		.amdhsa_user_sgpr_private_segment_size 0
		.amdhsa_wavefront_size32 1
		.amdhsa_uses_dynamic_stack 0
		.amdhsa_enable_private_segment 0
		.amdhsa_system_sgpr_workgroup_id_x 1
		.amdhsa_system_sgpr_workgroup_id_y 0
		.amdhsa_system_sgpr_workgroup_id_z 0
		.amdhsa_system_sgpr_workgroup_info 0
		.amdhsa_system_vgpr_workitem_id 0
		.amdhsa_next_free_vgpr 1
		.amdhsa_next_free_sgpr 1
		.amdhsa_reserve_vcc 0
		.amdhsa_float_round_mode_32 0
		.amdhsa_float_round_mode_16_64 0
		.amdhsa_float_denorm_mode_32 3
		.amdhsa_float_denorm_mode_16_64 3
		.amdhsa_fp16_overflow 0
		.amdhsa_workgroup_processor_mode 1
		.amdhsa_memory_ordered 1
		.amdhsa_forward_progress 1
		.amdhsa_inst_pref_size 0
		.amdhsa_round_robin_scheduling 0
		.amdhsa_exception_fp_ieee_invalid_op 0
		.amdhsa_exception_fp_denorm_src 0
		.amdhsa_exception_fp_ieee_div_zero 0
		.amdhsa_exception_fp_ieee_overflow 0
		.amdhsa_exception_fp_ieee_underflow 0
		.amdhsa_exception_fp_ieee_inexact 0
		.amdhsa_exception_int_div_zero 0
	.end_amdhsa_kernel
	.section	.text._ZN7rocprim17ROCPRIM_400000_NS6detail17trampoline_kernelINS0_14default_configENS1_22reduce_config_selectorIbEEZNS1_11reduce_implILb1ES3_N6hipcub16HIPCUB_304000_NS22TransformInputIteratorIbN2at6native12_GLOBAL__N_19NonZeroOpIN3c108BFloat16EEEPKSF_lEEPiiNS8_6detail34convert_binary_result_type_wrapperINS8_3SumESJ_iEEEE10hipError_tPvRmT1_T2_T3_mT4_P12ihipStream_tbEUlT_E1_NS1_11comp_targetILNS1_3genE9ELNS1_11target_archE1100ELNS1_3gpuE3ELNS1_3repE0EEENS1_30default_config_static_selectorELNS0_4arch9wavefront6targetE0EEEvSS_,"axG",@progbits,_ZN7rocprim17ROCPRIM_400000_NS6detail17trampoline_kernelINS0_14default_configENS1_22reduce_config_selectorIbEEZNS1_11reduce_implILb1ES3_N6hipcub16HIPCUB_304000_NS22TransformInputIteratorIbN2at6native12_GLOBAL__N_19NonZeroOpIN3c108BFloat16EEEPKSF_lEEPiiNS8_6detail34convert_binary_result_type_wrapperINS8_3SumESJ_iEEEE10hipError_tPvRmT1_T2_T3_mT4_P12ihipStream_tbEUlT_E1_NS1_11comp_targetILNS1_3genE9ELNS1_11target_archE1100ELNS1_3gpuE3ELNS1_3repE0EEENS1_30default_config_static_selectorELNS0_4arch9wavefront6targetE0EEEvSS_,comdat
.Lfunc_end796:
	.size	_ZN7rocprim17ROCPRIM_400000_NS6detail17trampoline_kernelINS0_14default_configENS1_22reduce_config_selectorIbEEZNS1_11reduce_implILb1ES3_N6hipcub16HIPCUB_304000_NS22TransformInputIteratorIbN2at6native12_GLOBAL__N_19NonZeroOpIN3c108BFloat16EEEPKSF_lEEPiiNS8_6detail34convert_binary_result_type_wrapperINS8_3SumESJ_iEEEE10hipError_tPvRmT1_T2_T3_mT4_P12ihipStream_tbEUlT_E1_NS1_11comp_targetILNS1_3genE9ELNS1_11target_archE1100ELNS1_3gpuE3ELNS1_3repE0EEENS1_30default_config_static_selectorELNS0_4arch9wavefront6targetE0EEEvSS_, .Lfunc_end796-_ZN7rocprim17ROCPRIM_400000_NS6detail17trampoline_kernelINS0_14default_configENS1_22reduce_config_selectorIbEEZNS1_11reduce_implILb1ES3_N6hipcub16HIPCUB_304000_NS22TransformInputIteratorIbN2at6native12_GLOBAL__N_19NonZeroOpIN3c108BFloat16EEEPKSF_lEEPiiNS8_6detail34convert_binary_result_type_wrapperINS8_3SumESJ_iEEEE10hipError_tPvRmT1_T2_T3_mT4_P12ihipStream_tbEUlT_E1_NS1_11comp_targetILNS1_3genE9ELNS1_11target_archE1100ELNS1_3gpuE3ELNS1_3repE0EEENS1_30default_config_static_selectorELNS0_4arch9wavefront6targetE0EEEvSS_
                                        ; -- End function
	.set _ZN7rocprim17ROCPRIM_400000_NS6detail17trampoline_kernelINS0_14default_configENS1_22reduce_config_selectorIbEEZNS1_11reduce_implILb1ES3_N6hipcub16HIPCUB_304000_NS22TransformInputIteratorIbN2at6native12_GLOBAL__N_19NonZeroOpIN3c108BFloat16EEEPKSF_lEEPiiNS8_6detail34convert_binary_result_type_wrapperINS8_3SumESJ_iEEEE10hipError_tPvRmT1_T2_T3_mT4_P12ihipStream_tbEUlT_E1_NS1_11comp_targetILNS1_3genE9ELNS1_11target_archE1100ELNS1_3gpuE3ELNS1_3repE0EEENS1_30default_config_static_selectorELNS0_4arch9wavefront6targetE0EEEvSS_.num_vgpr, 0
	.set _ZN7rocprim17ROCPRIM_400000_NS6detail17trampoline_kernelINS0_14default_configENS1_22reduce_config_selectorIbEEZNS1_11reduce_implILb1ES3_N6hipcub16HIPCUB_304000_NS22TransformInputIteratorIbN2at6native12_GLOBAL__N_19NonZeroOpIN3c108BFloat16EEEPKSF_lEEPiiNS8_6detail34convert_binary_result_type_wrapperINS8_3SumESJ_iEEEE10hipError_tPvRmT1_T2_T3_mT4_P12ihipStream_tbEUlT_E1_NS1_11comp_targetILNS1_3genE9ELNS1_11target_archE1100ELNS1_3gpuE3ELNS1_3repE0EEENS1_30default_config_static_selectorELNS0_4arch9wavefront6targetE0EEEvSS_.num_agpr, 0
	.set _ZN7rocprim17ROCPRIM_400000_NS6detail17trampoline_kernelINS0_14default_configENS1_22reduce_config_selectorIbEEZNS1_11reduce_implILb1ES3_N6hipcub16HIPCUB_304000_NS22TransformInputIteratorIbN2at6native12_GLOBAL__N_19NonZeroOpIN3c108BFloat16EEEPKSF_lEEPiiNS8_6detail34convert_binary_result_type_wrapperINS8_3SumESJ_iEEEE10hipError_tPvRmT1_T2_T3_mT4_P12ihipStream_tbEUlT_E1_NS1_11comp_targetILNS1_3genE9ELNS1_11target_archE1100ELNS1_3gpuE3ELNS1_3repE0EEENS1_30default_config_static_selectorELNS0_4arch9wavefront6targetE0EEEvSS_.numbered_sgpr, 0
	.set _ZN7rocprim17ROCPRIM_400000_NS6detail17trampoline_kernelINS0_14default_configENS1_22reduce_config_selectorIbEEZNS1_11reduce_implILb1ES3_N6hipcub16HIPCUB_304000_NS22TransformInputIteratorIbN2at6native12_GLOBAL__N_19NonZeroOpIN3c108BFloat16EEEPKSF_lEEPiiNS8_6detail34convert_binary_result_type_wrapperINS8_3SumESJ_iEEEE10hipError_tPvRmT1_T2_T3_mT4_P12ihipStream_tbEUlT_E1_NS1_11comp_targetILNS1_3genE9ELNS1_11target_archE1100ELNS1_3gpuE3ELNS1_3repE0EEENS1_30default_config_static_selectorELNS0_4arch9wavefront6targetE0EEEvSS_.num_named_barrier, 0
	.set _ZN7rocprim17ROCPRIM_400000_NS6detail17trampoline_kernelINS0_14default_configENS1_22reduce_config_selectorIbEEZNS1_11reduce_implILb1ES3_N6hipcub16HIPCUB_304000_NS22TransformInputIteratorIbN2at6native12_GLOBAL__N_19NonZeroOpIN3c108BFloat16EEEPKSF_lEEPiiNS8_6detail34convert_binary_result_type_wrapperINS8_3SumESJ_iEEEE10hipError_tPvRmT1_T2_T3_mT4_P12ihipStream_tbEUlT_E1_NS1_11comp_targetILNS1_3genE9ELNS1_11target_archE1100ELNS1_3gpuE3ELNS1_3repE0EEENS1_30default_config_static_selectorELNS0_4arch9wavefront6targetE0EEEvSS_.private_seg_size, 0
	.set _ZN7rocprim17ROCPRIM_400000_NS6detail17trampoline_kernelINS0_14default_configENS1_22reduce_config_selectorIbEEZNS1_11reduce_implILb1ES3_N6hipcub16HIPCUB_304000_NS22TransformInputIteratorIbN2at6native12_GLOBAL__N_19NonZeroOpIN3c108BFloat16EEEPKSF_lEEPiiNS8_6detail34convert_binary_result_type_wrapperINS8_3SumESJ_iEEEE10hipError_tPvRmT1_T2_T3_mT4_P12ihipStream_tbEUlT_E1_NS1_11comp_targetILNS1_3genE9ELNS1_11target_archE1100ELNS1_3gpuE3ELNS1_3repE0EEENS1_30default_config_static_selectorELNS0_4arch9wavefront6targetE0EEEvSS_.uses_vcc, 0
	.set _ZN7rocprim17ROCPRIM_400000_NS6detail17trampoline_kernelINS0_14default_configENS1_22reduce_config_selectorIbEEZNS1_11reduce_implILb1ES3_N6hipcub16HIPCUB_304000_NS22TransformInputIteratorIbN2at6native12_GLOBAL__N_19NonZeroOpIN3c108BFloat16EEEPKSF_lEEPiiNS8_6detail34convert_binary_result_type_wrapperINS8_3SumESJ_iEEEE10hipError_tPvRmT1_T2_T3_mT4_P12ihipStream_tbEUlT_E1_NS1_11comp_targetILNS1_3genE9ELNS1_11target_archE1100ELNS1_3gpuE3ELNS1_3repE0EEENS1_30default_config_static_selectorELNS0_4arch9wavefront6targetE0EEEvSS_.uses_flat_scratch, 0
	.set _ZN7rocprim17ROCPRIM_400000_NS6detail17trampoline_kernelINS0_14default_configENS1_22reduce_config_selectorIbEEZNS1_11reduce_implILb1ES3_N6hipcub16HIPCUB_304000_NS22TransformInputIteratorIbN2at6native12_GLOBAL__N_19NonZeroOpIN3c108BFloat16EEEPKSF_lEEPiiNS8_6detail34convert_binary_result_type_wrapperINS8_3SumESJ_iEEEE10hipError_tPvRmT1_T2_T3_mT4_P12ihipStream_tbEUlT_E1_NS1_11comp_targetILNS1_3genE9ELNS1_11target_archE1100ELNS1_3gpuE3ELNS1_3repE0EEENS1_30default_config_static_selectorELNS0_4arch9wavefront6targetE0EEEvSS_.has_dyn_sized_stack, 0
	.set _ZN7rocprim17ROCPRIM_400000_NS6detail17trampoline_kernelINS0_14default_configENS1_22reduce_config_selectorIbEEZNS1_11reduce_implILb1ES3_N6hipcub16HIPCUB_304000_NS22TransformInputIteratorIbN2at6native12_GLOBAL__N_19NonZeroOpIN3c108BFloat16EEEPKSF_lEEPiiNS8_6detail34convert_binary_result_type_wrapperINS8_3SumESJ_iEEEE10hipError_tPvRmT1_T2_T3_mT4_P12ihipStream_tbEUlT_E1_NS1_11comp_targetILNS1_3genE9ELNS1_11target_archE1100ELNS1_3gpuE3ELNS1_3repE0EEENS1_30default_config_static_selectorELNS0_4arch9wavefront6targetE0EEEvSS_.has_recursion, 0
	.set _ZN7rocprim17ROCPRIM_400000_NS6detail17trampoline_kernelINS0_14default_configENS1_22reduce_config_selectorIbEEZNS1_11reduce_implILb1ES3_N6hipcub16HIPCUB_304000_NS22TransformInputIteratorIbN2at6native12_GLOBAL__N_19NonZeroOpIN3c108BFloat16EEEPKSF_lEEPiiNS8_6detail34convert_binary_result_type_wrapperINS8_3SumESJ_iEEEE10hipError_tPvRmT1_T2_T3_mT4_P12ihipStream_tbEUlT_E1_NS1_11comp_targetILNS1_3genE9ELNS1_11target_archE1100ELNS1_3gpuE3ELNS1_3repE0EEENS1_30default_config_static_selectorELNS0_4arch9wavefront6targetE0EEEvSS_.has_indirect_call, 0
	.section	.AMDGPU.csdata,"",@progbits
; Kernel info:
; codeLenInByte = 0
; TotalNumSgprs: 0
; NumVgprs: 0
; ScratchSize: 0
; MemoryBound: 0
; FloatMode: 240
; IeeeMode: 1
; LDSByteSize: 0 bytes/workgroup (compile time only)
; SGPRBlocks: 0
; VGPRBlocks: 0
; NumSGPRsForWavesPerEU: 1
; NumVGPRsForWavesPerEU: 1
; Occupancy: 16
; WaveLimiterHint : 0
; COMPUTE_PGM_RSRC2:SCRATCH_EN: 0
; COMPUTE_PGM_RSRC2:USER_SGPR: 2
; COMPUTE_PGM_RSRC2:TRAP_HANDLER: 0
; COMPUTE_PGM_RSRC2:TGID_X_EN: 1
; COMPUTE_PGM_RSRC2:TGID_Y_EN: 0
; COMPUTE_PGM_RSRC2:TGID_Z_EN: 0
; COMPUTE_PGM_RSRC2:TIDIG_COMP_CNT: 0
	.section	.text._ZN7rocprim17ROCPRIM_400000_NS6detail17trampoline_kernelINS0_14default_configENS1_22reduce_config_selectorIbEEZNS1_11reduce_implILb1ES3_N6hipcub16HIPCUB_304000_NS22TransformInputIteratorIbN2at6native12_GLOBAL__N_19NonZeroOpIN3c108BFloat16EEEPKSF_lEEPiiNS8_6detail34convert_binary_result_type_wrapperINS8_3SumESJ_iEEEE10hipError_tPvRmT1_T2_T3_mT4_P12ihipStream_tbEUlT_E1_NS1_11comp_targetILNS1_3genE8ELNS1_11target_archE1030ELNS1_3gpuE2ELNS1_3repE0EEENS1_30default_config_static_selectorELNS0_4arch9wavefront6targetE0EEEvSS_,"axG",@progbits,_ZN7rocprim17ROCPRIM_400000_NS6detail17trampoline_kernelINS0_14default_configENS1_22reduce_config_selectorIbEEZNS1_11reduce_implILb1ES3_N6hipcub16HIPCUB_304000_NS22TransformInputIteratorIbN2at6native12_GLOBAL__N_19NonZeroOpIN3c108BFloat16EEEPKSF_lEEPiiNS8_6detail34convert_binary_result_type_wrapperINS8_3SumESJ_iEEEE10hipError_tPvRmT1_T2_T3_mT4_P12ihipStream_tbEUlT_E1_NS1_11comp_targetILNS1_3genE8ELNS1_11target_archE1030ELNS1_3gpuE2ELNS1_3repE0EEENS1_30default_config_static_selectorELNS0_4arch9wavefront6targetE0EEEvSS_,comdat
	.globl	_ZN7rocprim17ROCPRIM_400000_NS6detail17trampoline_kernelINS0_14default_configENS1_22reduce_config_selectorIbEEZNS1_11reduce_implILb1ES3_N6hipcub16HIPCUB_304000_NS22TransformInputIteratorIbN2at6native12_GLOBAL__N_19NonZeroOpIN3c108BFloat16EEEPKSF_lEEPiiNS8_6detail34convert_binary_result_type_wrapperINS8_3SumESJ_iEEEE10hipError_tPvRmT1_T2_T3_mT4_P12ihipStream_tbEUlT_E1_NS1_11comp_targetILNS1_3genE8ELNS1_11target_archE1030ELNS1_3gpuE2ELNS1_3repE0EEENS1_30default_config_static_selectorELNS0_4arch9wavefront6targetE0EEEvSS_ ; -- Begin function _ZN7rocprim17ROCPRIM_400000_NS6detail17trampoline_kernelINS0_14default_configENS1_22reduce_config_selectorIbEEZNS1_11reduce_implILb1ES3_N6hipcub16HIPCUB_304000_NS22TransformInputIteratorIbN2at6native12_GLOBAL__N_19NonZeroOpIN3c108BFloat16EEEPKSF_lEEPiiNS8_6detail34convert_binary_result_type_wrapperINS8_3SumESJ_iEEEE10hipError_tPvRmT1_T2_T3_mT4_P12ihipStream_tbEUlT_E1_NS1_11comp_targetILNS1_3genE8ELNS1_11target_archE1030ELNS1_3gpuE2ELNS1_3repE0EEENS1_30default_config_static_selectorELNS0_4arch9wavefront6targetE0EEEvSS_
	.p2align	8
	.type	_ZN7rocprim17ROCPRIM_400000_NS6detail17trampoline_kernelINS0_14default_configENS1_22reduce_config_selectorIbEEZNS1_11reduce_implILb1ES3_N6hipcub16HIPCUB_304000_NS22TransformInputIteratorIbN2at6native12_GLOBAL__N_19NonZeroOpIN3c108BFloat16EEEPKSF_lEEPiiNS8_6detail34convert_binary_result_type_wrapperINS8_3SumESJ_iEEEE10hipError_tPvRmT1_T2_T3_mT4_P12ihipStream_tbEUlT_E1_NS1_11comp_targetILNS1_3genE8ELNS1_11target_archE1030ELNS1_3gpuE2ELNS1_3repE0EEENS1_30default_config_static_selectorELNS0_4arch9wavefront6targetE0EEEvSS_,@function
_ZN7rocprim17ROCPRIM_400000_NS6detail17trampoline_kernelINS0_14default_configENS1_22reduce_config_selectorIbEEZNS1_11reduce_implILb1ES3_N6hipcub16HIPCUB_304000_NS22TransformInputIteratorIbN2at6native12_GLOBAL__N_19NonZeroOpIN3c108BFloat16EEEPKSF_lEEPiiNS8_6detail34convert_binary_result_type_wrapperINS8_3SumESJ_iEEEE10hipError_tPvRmT1_T2_T3_mT4_P12ihipStream_tbEUlT_E1_NS1_11comp_targetILNS1_3genE8ELNS1_11target_archE1030ELNS1_3gpuE2ELNS1_3repE0EEENS1_30default_config_static_selectorELNS0_4arch9wavefront6targetE0EEEvSS_: ; @_ZN7rocprim17ROCPRIM_400000_NS6detail17trampoline_kernelINS0_14default_configENS1_22reduce_config_selectorIbEEZNS1_11reduce_implILb1ES3_N6hipcub16HIPCUB_304000_NS22TransformInputIteratorIbN2at6native12_GLOBAL__N_19NonZeroOpIN3c108BFloat16EEEPKSF_lEEPiiNS8_6detail34convert_binary_result_type_wrapperINS8_3SumESJ_iEEEE10hipError_tPvRmT1_T2_T3_mT4_P12ihipStream_tbEUlT_E1_NS1_11comp_targetILNS1_3genE8ELNS1_11target_archE1030ELNS1_3gpuE2ELNS1_3repE0EEENS1_30default_config_static_selectorELNS0_4arch9wavefront6targetE0EEEvSS_
; %bb.0:
	.section	.rodata,"a",@progbits
	.p2align	6, 0x0
	.amdhsa_kernel _ZN7rocprim17ROCPRIM_400000_NS6detail17trampoline_kernelINS0_14default_configENS1_22reduce_config_selectorIbEEZNS1_11reduce_implILb1ES3_N6hipcub16HIPCUB_304000_NS22TransformInputIteratorIbN2at6native12_GLOBAL__N_19NonZeroOpIN3c108BFloat16EEEPKSF_lEEPiiNS8_6detail34convert_binary_result_type_wrapperINS8_3SumESJ_iEEEE10hipError_tPvRmT1_T2_T3_mT4_P12ihipStream_tbEUlT_E1_NS1_11comp_targetILNS1_3genE8ELNS1_11target_archE1030ELNS1_3gpuE2ELNS1_3repE0EEENS1_30default_config_static_selectorELNS0_4arch9wavefront6targetE0EEEvSS_
		.amdhsa_group_segment_fixed_size 0
		.amdhsa_private_segment_fixed_size 0
		.amdhsa_kernarg_size 48
		.amdhsa_user_sgpr_count 2
		.amdhsa_user_sgpr_dispatch_ptr 0
		.amdhsa_user_sgpr_queue_ptr 0
		.amdhsa_user_sgpr_kernarg_segment_ptr 1
		.amdhsa_user_sgpr_dispatch_id 0
		.amdhsa_user_sgpr_private_segment_size 0
		.amdhsa_wavefront_size32 1
		.amdhsa_uses_dynamic_stack 0
		.amdhsa_enable_private_segment 0
		.amdhsa_system_sgpr_workgroup_id_x 1
		.amdhsa_system_sgpr_workgroup_id_y 0
		.amdhsa_system_sgpr_workgroup_id_z 0
		.amdhsa_system_sgpr_workgroup_info 0
		.amdhsa_system_vgpr_workitem_id 0
		.amdhsa_next_free_vgpr 1
		.amdhsa_next_free_sgpr 1
		.amdhsa_reserve_vcc 0
		.amdhsa_float_round_mode_32 0
		.amdhsa_float_round_mode_16_64 0
		.amdhsa_float_denorm_mode_32 3
		.amdhsa_float_denorm_mode_16_64 3
		.amdhsa_fp16_overflow 0
		.amdhsa_workgroup_processor_mode 1
		.amdhsa_memory_ordered 1
		.amdhsa_forward_progress 1
		.amdhsa_inst_pref_size 0
		.amdhsa_round_robin_scheduling 0
		.amdhsa_exception_fp_ieee_invalid_op 0
		.amdhsa_exception_fp_denorm_src 0
		.amdhsa_exception_fp_ieee_div_zero 0
		.amdhsa_exception_fp_ieee_overflow 0
		.amdhsa_exception_fp_ieee_underflow 0
		.amdhsa_exception_fp_ieee_inexact 0
		.amdhsa_exception_int_div_zero 0
	.end_amdhsa_kernel
	.section	.text._ZN7rocprim17ROCPRIM_400000_NS6detail17trampoline_kernelINS0_14default_configENS1_22reduce_config_selectorIbEEZNS1_11reduce_implILb1ES3_N6hipcub16HIPCUB_304000_NS22TransformInputIteratorIbN2at6native12_GLOBAL__N_19NonZeroOpIN3c108BFloat16EEEPKSF_lEEPiiNS8_6detail34convert_binary_result_type_wrapperINS8_3SumESJ_iEEEE10hipError_tPvRmT1_T2_T3_mT4_P12ihipStream_tbEUlT_E1_NS1_11comp_targetILNS1_3genE8ELNS1_11target_archE1030ELNS1_3gpuE2ELNS1_3repE0EEENS1_30default_config_static_selectorELNS0_4arch9wavefront6targetE0EEEvSS_,"axG",@progbits,_ZN7rocprim17ROCPRIM_400000_NS6detail17trampoline_kernelINS0_14default_configENS1_22reduce_config_selectorIbEEZNS1_11reduce_implILb1ES3_N6hipcub16HIPCUB_304000_NS22TransformInputIteratorIbN2at6native12_GLOBAL__N_19NonZeroOpIN3c108BFloat16EEEPKSF_lEEPiiNS8_6detail34convert_binary_result_type_wrapperINS8_3SumESJ_iEEEE10hipError_tPvRmT1_T2_T3_mT4_P12ihipStream_tbEUlT_E1_NS1_11comp_targetILNS1_3genE8ELNS1_11target_archE1030ELNS1_3gpuE2ELNS1_3repE0EEENS1_30default_config_static_selectorELNS0_4arch9wavefront6targetE0EEEvSS_,comdat
.Lfunc_end797:
	.size	_ZN7rocprim17ROCPRIM_400000_NS6detail17trampoline_kernelINS0_14default_configENS1_22reduce_config_selectorIbEEZNS1_11reduce_implILb1ES3_N6hipcub16HIPCUB_304000_NS22TransformInputIteratorIbN2at6native12_GLOBAL__N_19NonZeroOpIN3c108BFloat16EEEPKSF_lEEPiiNS8_6detail34convert_binary_result_type_wrapperINS8_3SumESJ_iEEEE10hipError_tPvRmT1_T2_T3_mT4_P12ihipStream_tbEUlT_E1_NS1_11comp_targetILNS1_3genE8ELNS1_11target_archE1030ELNS1_3gpuE2ELNS1_3repE0EEENS1_30default_config_static_selectorELNS0_4arch9wavefront6targetE0EEEvSS_, .Lfunc_end797-_ZN7rocprim17ROCPRIM_400000_NS6detail17trampoline_kernelINS0_14default_configENS1_22reduce_config_selectorIbEEZNS1_11reduce_implILb1ES3_N6hipcub16HIPCUB_304000_NS22TransformInputIteratorIbN2at6native12_GLOBAL__N_19NonZeroOpIN3c108BFloat16EEEPKSF_lEEPiiNS8_6detail34convert_binary_result_type_wrapperINS8_3SumESJ_iEEEE10hipError_tPvRmT1_T2_T3_mT4_P12ihipStream_tbEUlT_E1_NS1_11comp_targetILNS1_3genE8ELNS1_11target_archE1030ELNS1_3gpuE2ELNS1_3repE0EEENS1_30default_config_static_selectorELNS0_4arch9wavefront6targetE0EEEvSS_
                                        ; -- End function
	.set _ZN7rocprim17ROCPRIM_400000_NS6detail17trampoline_kernelINS0_14default_configENS1_22reduce_config_selectorIbEEZNS1_11reduce_implILb1ES3_N6hipcub16HIPCUB_304000_NS22TransformInputIteratorIbN2at6native12_GLOBAL__N_19NonZeroOpIN3c108BFloat16EEEPKSF_lEEPiiNS8_6detail34convert_binary_result_type_wrapperINS8_3SumESJ_iEEEE10hipError_tPvRmT1_T2_T3_mT4_P12ihipStream_tbEUlT_E1_NS1_11comp_targetILNS1_3genE8ELNS1_11target_archE1030ELNS1_3gpuE2ELNS1_3repE0EEENS1_30default_config_static_selectorELNS0_4arch9wavefront6targetE0EEEvSS_.num_vgpr, 0
	.set _ZN7rocprim17ROCPRIM_400000_NS6detail17trampoline_kernelINS0_14default_configENS1_22reduce_config_selectorIbEEZNS1_11reduce_implILb1ES3_N6hipcub16HIPCUB_304000_NS22TransformInputIteratorIbN2at6native12_GLOBAL__N_19NonZeroOpIN3c108BFloat16EEEPKSF_lEEPiiNS8_6detail34convert_binary_result_type_wrapperINS8_3SumESJ_iEEEE10hipError_tPvRmT1_T2_T3_mT4_P12ihipStream_tbEUlT_E1_NS1_11comp_targetILNS1_3genE8ELNS1_11target_archE1030ELNS1_3gpuE2ELNS1_3repE0EEENS1_30default_config_static_selectorELNS0_4arch9wavefront6targetE0EEEvSS_.num_agpr, 0
	.set _ZN7rocprim17ROCPRIM_400000_NS6detail17trampoline_kernelINS0_14default_configENS1_22reduce_config_selectorIbEEZNS1_11reduce_implILb1ES3_N6hipcub16HIPCUB_304000_NS22TransformInputIteratorIbN2at6native12_GLOBAL__N_19NonZeroOpIN3c108BFloat16EEEPKSF_lEEPiiNS8_6detail34convert_binary_result_type_wrapperINS8_3SumESJ_iEEEE10hipError_tPvRmT1_T2_T3_mT4_P12ihipStream_tbEUlT_E1_NS1_11comp_targetILNS1_3genE8ELNS1_11target_archE1030ELNS1_3gpuE2ELNS1_3repE0EEENS1_30default_config_static_selectorELNS0_4arch9wavefront6targetE0EEEvSS_.numbered_sgpr, 0
	.set _ZN7rocprim17ROCPRIM_400000_NS6detail17trampoline_kernelINS0_14default_configENS1_22reduce_config_selectorIbEEZNS1_11reduce_implILb1ES3_N6hipcub16HIPCUB_304000_NS22TransformInputIteratorIbN2at6native12_GLOBAL__N_19NonZeroOpIN3c108BFloat16EEEPKSF_lEEPiiNS8_6detail34convert_binary_result_type_wrapperINS8_3SumESJ_iEEEE10hipError_tPvRmT1_T2_T3_mT4_P12ihipStream_tbEUlT_E1_NS1_11comp_targetILNS1_3genE8ELNS1_11target_archE1030ELNS1_3gpuE2ELNS1_3repE0EEENS1_30default_config_static_selectorELNS0_4arch9wavefront6targetE0EEEvSS_.num_named_barrier, 0
	.set _ZN7rocprim17ROCPRIM_400000_NS6detail17trampoline_kernelINS0_14default_configENS1_22reduce_config_selectorIbEEZNS1_11reduce_implILb1ES3_N6hipcub16HIPCUB_304000_NS22TransformInputIteratorIbN2at6native12_GLOBAL__N_19NonZeroOpIN3c108BFloat16EEEPKSF_lEEPiiNS8_6detail34convert_binary_result_type_wrapperINS8_3SumESJ_iEEEE10hipError_tPvRmT1_T2_T3_mT4_P12ihipStream_tbEUlT_E1_NS1_11comp_targetILNS1_3genE8ELNS1_11target_archE1030ELNS1_3gpuE2ELNS1_3repE0EEENS1_30default_config_static_selectorELNS0_4arch9wavefront6targetE0EEEvSS_.private_seg_size, 0
	.set _ZN7rocprim17ROCPRIM_400000_NS6detail17trampoline_kernelINS0_14default_configENS1_22reduce_config_selectorIbEEZNS1_11reduce_implILb1ES3_N6hipcub16HIPCUB_304000_NS22TransformInputIteratorIbN2at6native12_GLOBAL__N_19NonZeroOpIN3c108BFloat16EEEPKSF_lEEPiiNS8_6detail34convert_binary_result_type_wrapperINS8_3SumESJ_iEEEE10hipError_tPvRmT1_T2_T3_mT4_P12ihipStream_tbEUlT_E1_NS1_11comp_targetILNS1_3genE8ELNS1_11target_archE1030ELNS1_3gpuE2ELNS1_3repE0EEENS1_30default_config_static_selectorELNS0_4arch9wavefront6targetE0EEEvSS_.uses_vcc, 0
	.set _ZN7rocprim17ROCPRIM_400000_NS6detail17trampoline_kernelINS0_14default_configENS1_22reduce_config_selectorIbEEZNS1_11reduce_implILb1ES3_N6hipcub16HIPCUB_304000_NS22TransformInputIteratorIbN2at6native12_GLOBAL__N_19NonZeroOpIN3c108BFloat16EEEPKSF_lEEPiiNS8_6detail34convert_binary_result_type_wrapperINS8_3SumESJ_iEEEE10hipError_tPvRmT1_T2_T3_mT4_P12ihipStream_tbEUlT_E1_NS1_11comp_targetILNS1_3genE8ELNS1_11target_archE1030ELNS1_3gpuE2ELNS1_3repE0EEENS1_30default_config_static_selectorELNS0_4arch9wavefront6targetE0EEEvSS_.uses_flat_scratch, 0
	.set _ZN7rocprim17ROCPRIM_400000_NS6detail17trampoline_kernelINS0_14default_configENS1_22reduce_config_selectorIbEEZNS1_11reduce_implILb1ES3_N6hipcub16HIPCUB_304000_NS22TransformInputIteratorIbN2at6native12_GLOBAL__N_19NonZeroOpIN3c108BFloat16EEEPKSF_lEEPiiNS8_6detail34convert_binary_result_type_wrapperINS8_3SumESJ_iEEEE10hipError_tPvRmT1_T2_T3_mT4_P12ihipStream_tbEUlT_E1_NS1_11comp_targetILNS1_3genE8ELNS1_11target_archE1030ELNS1_3gpuE2ELNS1_3repE0EEENS1_30default_config_static_selectorELNS0_4arch9wavefront6targetE0EEEvSS_.has_dyn_sized_stack, 0
	.set _ZN7rocprim17ROCPRIM_400000_NS6detail17trampoline_kernelINS0_14default_configENS1_22reduce_config_selectorIbEEZNS1_11reduce_implILb1ES3_N6hipcub16HIPCUB_304000_NS22TransformInputIteratorIbN2at6native12_GLOBAL__N_19NonZeroOpIN3c108BFloat16EEEPKSF_lEEPiiNS8_6detail34convert_binary_result_type_wrapperINS8_3SumESJ_iEEEE10hipError_tPvRmT1_T2_T3_mT4_P12ihipStream_tbEUlT_E1_NS1_11comp_targetILNS1_3genE8ELNS1_11target_archE1030ELNS1_3gpuE2ELNS1_3repE0EEENS1_30default_config_static_selectorELNS0_4arch9wavefront6targetE0EEEvSS_.has_recursion, 0
	.set _ZN7rocprim17ROCPRIM_400000_NS6detail17trampoline_kernelINS0_14default_configENS1_22reduce_config_selectorIbEEZNS1_11reduce_implILb1ES3_N6hipcub16HIPCUB_304000_NS22TransformInputIteratorIbN2at6native12_GLOBAL__N_19NonZeroOpIN3c108BFloat16EEEPKSF_lEEPiiNS8_6detail34convert_binary_result_type_wrapperINS8_3SumESJ_iEEEE10hipError_tPvRmT1_T2_T3_mT4_P12ihipStream_tbEUlT_E1_NS1_11comp_targetILNS1_3genE8ELNS1_11target_archE1030ELNS1_3gpuE2ELNS1_3repE0EEENS1_30default_config_static_selectorELNS0_4arch9wavefront6targetE0EEEvSS_.has_indirect_call, 0
	.section	.AMDGPU.csdata,"",@progbits
; Kernel info:
; codeLenInByte = 0
; TotalNumSgprs: 0
; NumVgprs: 0
; ScratchSize: 0
; MemoryBound: 0
; FloatMode: 240
; IeeeMode: 1
; LDSByteSize: 0 bytes/workgroup (compile time only)
; SGPRBlocks: 0
; VGPRBlocks: 0
; NumSGPRsForWavesPerEU: 1
; NumVGPRsForWavesPerEU: 1
; Occupancy: 16
; WaveLimiterHint : 0
; COMPUTE_PGM_RSRC2:SCRATCH_EN: 0
; COMPUTE_PGM_RSRC2:USER_SGPR: 2
; COMPUTE_PGM_RSRC2:TRAP_HANDLER: 0
; COMPUTE_PGM_RSRC2:TGID_X_EN: 1
; COMPUTE_PGM_RSRC2:TGID_Y_EN: 0
; COMPUTE_PGM_RSRC2:TGID_Z_EN: 0
; COMPUTE_PGM_RSRC2:TIDIG_COMP_CNT: 0
	.section	.text._ZN7rocprim17ROCPRIM_400000_NS6detail17trampoline_kernelINS0_14default_configENS1_25partition_config_selectorILNS1_17partition_subalgoE5ElNS0_10empty_typeEbEEZZNS1_14partition_implILS5_5ELb0ES3_mN6hipcub16HIPCUB_304000_NS21CountingInputIteratorIllEEPS6_NSA_22TransformInputIteratorIbN2at6native12_GLOBAL__N_19NonZeroOpIN3c108BFloat16EEEPKSK_lEENS0_5tupleIJPlS6_EEENSP_IJSD_SD_EEES6_PiJS6_EEE10hipError_tPvRmT3_T4_T5_T6_T7_T9_mT8_P12ihipStream_tbDpT10_ENKUlT_T0_E_clISt17integral_constantIbLb0EES1D_EEDaS18_S19_EUlS18_E_NS1_11comp_targetILNS1_3genE0ELNS1_11target_archE4294967295ELNS1_3gpuE0ELNS1_3repE0EEENS1_30default_config_static_selectorELNS0_4arch9wavefront6targetE0EEEvT1_,"axG",@progbits,_ZN7rocprim17ROCPRIM_400000_NS6detail17trampoline_kernelINS0_14default_configENS1_25partition_config_selectorILNS1_17partition_subalgoE5ElNS0_10empty_typeEbEEZZNS1_14partition_implILS5_5ELb0ES3_mN6hipcub16HIPCUB_304000_NS21CountingInputIteratorIllEEPS6_NSA_22TransformInputIteratorIbN2at6native12_GLOBAL__N_19NonZeroOpIN3c108BFloat16EEEPKSK_lEENS0_5tupleIJPlS6_EEENSP_IJSD_SD_EEES6_PiJS6_EEE10hipError_tPvRmT3_T4_T5_T6_T7_T9_mT8_P12ihipStream_tbDpT10_ENKUlT_T0_E_clISt17integral_constantIbLb0EES1D_EEDaS18_S19_EUlS18_E_NS1_11comp_targetILNS1_3genE0ELNS1_11target_archE4294967295ELNS1_3gpuE0ELNS1_3repE0EEENS1_30default_config_static_selectorELNS0_4arch9wavefront6targetE0EEEvT1_,comdat
	.globl	_ZN7rocprim17ROCPRIM_400000_NS6detail17trampoline_kernelINS0_14default_configENS1_25partition_config_selectorILNS1_17partition_subalgoE5ElNS0_10empty_typeEbEEZZNS1_14partition_implILS5_5ELb0ES3_mN6hipcub16HIPCUB_304000_NS21CountingInputIteratorIllEEPS6_NSA_22TransformInputIteratorIbN2at6native12_GLOBAL__N_19NonZeroOpIN3c108BFloat16EEEPKSK_lEENS0_5tupleIJPlS6_EEENSP_IJSD_SD_EEES6_PiJS6_EEE10hipError_tPvRmT3_T4_T5_T6_T7_T9_mT8_P12ihipStream_tbDpT10_ENKUlT_T0_E_clISt17integral_constantIbLb0EES1D_EEDaS18_S19_EUlS18_E_NS1_11comp_targetILNS1_3genE0ELNS1_11target_archE4294967295ELNS1_3gpuE0ELNS1_3repE0EEENS1_30default_config_static_selectorELNS0_4arch9wavefront6targetE0EEEvT1_ ; -- Begin function _ZN7rocprim17ROCPRIM_400000_NS6detail17trampoline_kernelINS0_14default_configENS1_25partition_config_selectorILNS1_17partition_subalgoE5ElNS0_10empty_typeEbEEZZNS1_14partition_implILS5_5ELb0ES3_mN6hipcub16HIPCUB_304000_NS21CountingInputIteratorIllEEPS6_NSA_22TransformInputIteratorIbN2at6native12_GLOBAL__N_19NonZeroOpIN3c108BFloat16EEEPKSK_lEENS0_5tupleIJPlS6_EEENSP_IJSD_SD_EEES6_PiJS6_EEE10hipError_tPvRmT3_T4_T5_T6_T7_T9_mT8_P12ihipStream_tbDpT10_ENKUlT_T0_E_clISt17integral_constantIbLb0EES1D_EEDaS18_S19_EUlS18_E_NS1_11comp_targetILNS1_3genE0ELNS1_11target_archE4294967295ELNS1_3gpuE0ELNS1_3repE0EEENS1_30default_config_static_selectorELNS0_4arch9wavefront6targetE0EEEvT1_
	.p2align	8
	.type	_ZN7rocprim17ROCPRIM_400000_NS6detail17trampoline_kernelINS0_14default_configENS1_25partition_config_selectorILNS1_17partition_subalgoE5ElNS0_10empty_typeEbEEZZNS1_14partition_implILS5_5ELb0ES3_mN6hipcub16HIPCUB_304000_NS21CountingInputIteratorIllEEPS6_NSA_22TransformInputIteratorIbN2at6native12_GLOBAL__N_19NonZeroOpIN3c108BFloat16EEEPKSK_lEENS0_5tupleIJPlS6_EEENSP_IJSD_SD_EEES6_PiJS6_EEE10hipError_tPvRmT3_T4_T5_T6_T7_T9_mT8_P12ihipStream_tbDpT10_ENKUlT_T0_E_clISt17integral_constantIbLb0EES1D_EEDaS18_S19_EUlS18_E_NS1_11comp_targetILNS1_3genE0ELNS1_11target_archE4294967295ELNS1_3gpuE0ELNS1_3repE0EEENS1_30default_config_static_selectorELNS0_4arch9wavefront6targetE0EEEvT1_,@function
_ZN7rocprim17ROCPRIM_400000_NS6detail17trampoline_kernelINS0_14default_configENS1_25partition_config_selectorILNS1_17partition_subalgoE5ElNS0_10empty_typeEbEEZZNS1_14partition_implILS5_5ELb0ES3_mN6hipcub16HIPCUB_304000_NS21CountingInputIteratorIllEEPS6_NSA_22TransformInputIteratorIbN2at6native12_GLOBAL__N_19NonZeroOpIN3c108BFloat16EEEPKSK_lEENS0_5tupleIJPlS6_EEENSP_IJSD_SD_EEES6_PiJS6_EEE10hipError_tPvRmT3_T4_T5_T6_T7_T9_mT8_P12ihipStream_tbDpT10_ENKUlT_T0_E_clISt17integral_constantIbLb0EES1D_EEDaS18_S19_EUlS18_E_NS1_11comp_targetILNS1_3genE0ELNS1_11target_archE4294967295ELNS1_3gpuE0ELNS1_3repE0EEENS1_30default_config_static_selectorELNS0_4arch9wavefront6targetE0EEEvT1_: ; @_ZN7rocprim17ROCPRIM_400000_NS6detail17trampoline_kernelINS0_14default_configENS1_25partition_config_selectorILNS1_17partition_subalgoE5ElNS0_10empty_typeEbEEZZNS1_14partition_implILS5_5ELb0ES3_mN6hipcub16HIPCUB_304000_NS21CountingInputIteratorIllEEPS6_NSA_22TransformInputIteratorIbN2at6native12_GLOBAL__N_19NonZeroOpIN3c108BFloat16EEEPKSK_lEENS0_5tupleIJPlS6_EEENSP_IJSD_SD_EEES6_PiJS6_EEE10hipError_tPvRmT3_T4_T5_T6_T7_T9_mT8_P12ihipStream_tbDpT10_ENKUlT_T0_E_clISt17integral_constantIbLb0EES1D_EEDaS18_S19_EUlS18_E_NS1_11comp_targetILNS1_3genE0ELNS1_11target_archE4294967295ELNS1_3gpuE0ELNS1_3repE0EEENS1_30default_config_static_selectorELNS0_4arch9wavefront6targetE0EEEvT1_
; %bb.0:
	.section	.rodata,"a",@progbits
	.p2align	6, 0x0
	.amdhsa_kernel _ZN7rocprim17ROCPRIM_400000_NS6detail17trampoline_kernelINS0_14default_configENS1_25partition_config_selectorILNS1_17partition_subalgoE5ElNS0_10empty_typeEbEEZZNS1_14partition_implILS5_5ELb0ES3_mN6hipcub16HIPCUB_304000_NS21CountingInputIteratorIllEEPS6_NSA_22TransformInputIteratorIbN2at6native12_GLOBAL__N_19NonZeroOpIN3c108BFloat16EEEPKSK_lEENS0_5tupleIJPlS6_EEENSP_IJSD_SD_EEES6_PiJS6_EEE10hipError_tPvRmT3_T4_T5_T6_T7_T9_mT8_P12ihipStream_tbDpT10_ENKUlT_T0_E_clISt17integral_constantIbLb0EES1D_EEDaS18_S19_EUlS18_E_NS1_11comp_targetILNS1_3genE0ELNS1_11target_archE4294967295ELNS1_3gpuE0ELNS1_3repE0EEENS1_30default_config_static_selectorELNS0_4arch9wavefront6targetE0EEEvT1_
		.amdhsa_group_segment_fixed_size 0
		.amdhsa_private_segment_fixed_size 0
		.amdhsa_kernarg_size 120
		.amdhsa_user_sgpr_count 2
		.amdhsa_user_sgpr_dispatch_ptr 0
		.amdhsa_user_sgpr_queue_ptr 0
		.amdhsa_user_sgpr_kernarg_segment_ptr 1
		.amdhsa_user_sgpr_dispatch_id 0
		.amdhsa_user_sgpr_private_segment_size 0
		.amdhsa_wavefront_size32 1
		.amdhsa_uses_dynamic_stack 0
		.amdhsa_enable_private_segment 0
		.amdhsa_system_sgpr_workgroup_id_x 1
		.amdhsa_system_sgpr_workgroup_id_y 0
		.amdhsa_system_sgpr_workgroup_id_z 0
		.amdhsa_system_sgpr_workgroup_info 0
		.amdhsa_system_vgpr_workitem_id 0
		.amdhsa_next_free_vgpr 1
		.amdhsa_next_free_sgpr 1
		.amdhsa_reserve_vcc 0
		.amdhsa_float_round_mode_32 0
		.amdhsa_float_round_mode_16_64 0
		.amdhsa_float_denorm_mode_32 3
		.amdhsa_float_denorm_mode_16_64 3
		.amdhsa_fp16_overflow 0
		.amdhsa_workgroup_processor_mode 1
		.amdhsa_memory_ordered 1
		.amdhsa_forward_progress 1
		.amdhsa_inst_pref_size 0
		.amdhsa_round_robin_scheduling 0
		.amdhsa_exception_fp_ieee_invalid_op 0
		.amdhsa_exception_fp_denorm_src 0
		.amdhsa_exception_fp_ieee_div_zero 0
		.amdhsa_exception_fp_ieee_overflow 0
		.amdhsa_exception_fp_ieee_underflow 0
		.amdhsa_exception_fp_ieee_inexact 0
		.amdhsa_exception_int_div_zero 0
	.end_amdhsa_kernel
	.section	.text._ZN7rocprim17ROCPRIM_400000_NS6detail17trampoline_kernelINS0_14default_configENS1_25partition_config_selectorILNS1_17partition_subalgoE5ElNS0_10empty_typeEbEEZZNS1_14partition_implILS5_5ELb0ES3_mN6hipcub16HIPCUB_304000_NS21CountingInputIteratorIllEEPS6_NSA_22TransformInputIteratorIbN2at6native12_GLOBAL__N_19NonZeroOpIN3c108BFloat16EEEPKSK_lEENS0_5tupleIJPlS6_EEENSP_IJSD_SD_EEES6_PiJS6_EEE10hipError_tPvRmT3_T4_T5_T6_T7_T9_mT8_P12ihipStream_tbDpT10_ENKUlT_T0_E_clISt17integral_constantIbLb0EES1D_EEDaS18_S19_EUlS18_E_NS1_11comp_targetILNS1_3genE0ELNS1_11target_archE4294967295ELNS1_3gpuE0ELNS1_3repE0EEENS1_30default_config_static_selectorELNS0_4arch9wavefront6targetE0EEEvT1_,"axG",@progbits,_ZN7rocprim17ROCPRIM_400000_NS6detail17trampoline_kernelINS0_14default_configENS1_25partition_config_selectorILNS1_17partition_subalgoE5ElNS0_10empty_typeEbEEZZNS1_14partition_implILS5_5ELb0ES3_mN6hipcub16HIPCUB_304000_NS21CountingInputIteratorIllEEPS6_NSA_22TransformInputIteratorIbN2at6native12_GLOBAL__N_19NonZeroOpIN3c108BFloat16EEEPKSK_lEENS0_5tupleIJPlS6_EEENSP_IJSD_SD_EEES6_PiJS6_EEE10hipError_tPvRmT3_T4_T5_T6_T7_T9_mT8_P12ihipStream_tbDpT10_ENKUlT_T0_E_clISt17integral_constantIbLb0EES1D_EEDaS18_S19_EUlS18_E_NS1_11comp_targetILNS1_3genE0ELNS1_11target_archE4294967295ELNS1_3gpuE0ELNS1_3repE0EEENS1_30default_config_static_selectorELNS0_4arch9wavefront6targetE0EEEvT1_,comdat
.Lfunc_end798:
	.size	_ZN7rocprim17ROCPRIM_400000_NS6detail17trampoline_kernelINS0_14default_configENS1_25partition_config_selectorILNS1_17partition_subalgoE5ElNS0_10empty_typeEbEEZZNS1_14partition_implILS5_5ELb0ES3_mN6hipcub16HIPCUB_304000_NS21CountingInputIteratorIllEEPS6_NSA_22TransformInputIteratorIbN2at6native12_GLOBAL__N_19NonZeroOpIN3c108BFloat16EEEPKSK_lEENS0_5tupleIJPlS6_EEENSP_IJSD_SD_EEES6_PiJS6_EEE10hipError_tPvRmT3_T4_T5_T6_T7_T9_mT8_P12ihipStream_tbDpT10_ENKUlT_T0_E_clISt17integral_constantIbLb0EES1D_EEDaS18_S19_EUlS18_E_NS1_11comp_targetILNS1_3genE0ELNS1_11target_archE4294967295ELNS1_3gpuE0ELNS1_3repE0EEENS1_30default_config_static_selectorELNS0_4arch9wavefront6targetE0EEEvT1_, .Lfunc_end798-_ZN7rocprim17ROCPRIM_400000_NS6detail17trampoline_kernelINS0_14default_configENS1_25partition_config_selectorILNS1_17partition_subalgoE5ElNS0_10empty_typeEbEEZZNS1_14partition_implILS5_5ELb0ES3_mN6hipcub16HIPCUB_304000_NS21CountingInputIteratorIllEEPS6_NSA_22TransformInputIteratorIbN2at6native12_GLOBAL__N_19NonZeroOpIN3c108BFloat16EEEPKSK_lEENS0_5tupleIJPlS6_EEENSP_IJSD_SD_EEES6_PiJS6_EEE10hipError_tPvRmT3_T4_T5_T6_T7_T9_mT8_P12ihipStream_tbDpT10_ENKUlT_T0_E_clISt17integral_constantIbLb0EES1D_EEDaS18_S19_EUlS18_E_NS1_11comp_targetILNS1_3genE0ELNS1_11target_archE4294967295ELNS1_3gpuE0ELNS1_3repE0EEENS1_30default_config_static_selectorELNS0_4arch9wavefront6targetE0EEEvT1_
                                        ; -- End function
	.set _ZN7rocprim17ROCPRIM_400000_NS6detail17trampoline_kernelINS0_14default_configENS1_25partition_config_selectorILNS1_17partition_subalgoE5ElNS0_10empty_typeEbEEZZNS1_14partition_implILS5_5ELb0ES3_mN6hipcub16HIPCUB_304000_NS21CountingInputIteratorIllEEPS6_NSA_22TransformInputIteratorIbN2at6native12_GLOBAL__N_19NonZeroOpIN3c108BFloat16EEEPKSK_lEENS0_5tupleIJPlS6_EEENSP_IJSD_SD_EEES6_PiJS6_EEE10hipError_tPvRmT3_T4_T5_T6_T7_T9_mT8_P12ihipStream_tbDpT10_ENKUlT_T0_E_clISt17integral_constantIbLb0EES1D_EEDaS18_S19_EUlS18_E_NS1_11comp_targetILNS1_3genE0ELNS1_11target_archE4294967295ELNS1_3gpuE0ELNS1_3repE0EEENS1_30default_config_static_selectorELNS0_4arch9wavefront6targetE0EEEvT1_.num_vgpr, 0
	.set _ZN7rocprim17ROCPRIM_400000_NS6detail17trampoline_kernelINS0_14default_configENS1_25partition_config_selectorILNS1_17partition_subalgoE5ElNS0_10empty_typeEbEEZZNS1_14partition_implILS5_5ELb0ES3_mN6hipcub16HIPCUB_304000_NS21CountingInputIteratorIllEEPS6_NSA_22TransformInputIteratorIbN2at6native12_GLOBAL__N_19NonZeroOpIN3c108BFloat16EEEPKSK_lEENS0_5tupleIJPlS6_EEENSP_IJSD_SD_EEES6_PiJS6_EEE10hipError_tPvRmT3_T4_T5_T6_T7_T9_mT8_P12ihipStream_tbDpT10_ENKUlT_T0_E_clISt17integral_constantIbLb0EES1D_EEDaS18_S19_EUlS18_E_NS1_11comp_targetILNS1_3genE0ELNS1_11target_archE4294967295ELNS1_3gpuE0ELNS1_3repE0EEENS1_30default_config_static_selectorELNS0_4arch9wavefront6targetE0EEEvT1_.num_agpr, 0
	.set _ZN7rocprim17ROCPRIM_400000_NS6detail17trampoline_kernelINS0_14default_configENS1_25partition_config_selectorILNS1_17partition_subalgoE5ElNS0_10empty_typeEbEEZZNS1_14partition_implILS5_5ELb0ES3_mN6hipcub16HIPCUB_304000_NS21CountingInputIteratorIllEEPS6_NSA_22TransformInputIteratorIbN2at6native12_GLOBAL__N_19NonZeroOpIN3c108BFloat16EEEPKSK_lEENS0_5tupleIJPlS6_EEENSP_IJSD_SD_EEES6_PiJS6_EEE10hipError_tPvRmT3_T4_T5_T6_T7_T9_mT8_P12ihipStream_tbDpT10_ENKUlT_T0_E_clISt17integral_constantIbLb0EES1D_EEDaS18_S19_EUlS18_E_NS1_11comp_targetILNS1_3genE0ELNS1_11target_archE4294967295ELNS1_3gpuE0ELNS1_3repE0EEENS1_30default_config_static_selectorELNS0_4arch9wavefront6targetE0EEEvT1_.numbered_sgpr, 0
	.set _ZN7rocprim17ROCPRIM_400000_NS6detail17trampoline_kernelINS0_14default_configENS1_25partition_config_selectorILNS1_17partition_subalgoE5ElNS0_10empty_typeEbEEZZNS1_14partition_implILS5_5ELb0ES3_mN6hipcub16HIPCUB_304000_NS21CountingInputIteratorIllEEPS6_NSA_22TransformInputIteratorIbN2at6native12_GLOBAL__N_19NonZeroOpIN3c108BFloat16EEEPKSK_lEENS0_5tupleIJPlS6_EEENSP_IJSD_SD_EEES6_PiJS6_EEE10hipError_tPvRmT3_T4_T5_T6_T7_T9_mT8_P12ihipStream_tbDpT10_ENKUlT_T0_E_clISt17integral_constantIbLb0EES1D_EEDaS18_S19_EUlS18_E_NS1_11comp_targetILNS1_3genE0ELNS1_11target_archE4294967295ELNS1_3gpuE0ELNS1_3repE0EEENS1_30default_config_static_selectorELNS0_4arch9wavefront6targetE0EEEvT1_.num_named_barrier, 0
	.set _ZN7rocprim17ROCPRIM_400000_NS6detail17trampoline_kernelINS0_14default_configENS1_25partition_config_selectorILNS1_17partition_subalgoE5ElNS0_10empty_typeEbEEZZNS1_14partition_implILS5_5ELb0ES3_mN6hipcub16HIPCUB_304000_NS21CountingInputIteratorIllEEPS6_NSA_22TransformInputIteratorIbN2at6native12_GLOBAL__N_19NonZeroOpIN3c108BFloat16EEEPKSK_lEENS0_5tupleIJPlS6_EEENSP_IJSD_SD_EEES6_PiJS6_EEE10hipError_tPvRmT3_T4_T5_T6_T7_T9_mT8_P12ihipStream_tbDpT10_ENKUlT_T0_E_clISt17integral_constantIbLb0EES1D_EEDaS18_S19_EUlS18_E_NS1_11comp_targetILNS1_3genE0ELNS1_11target_archE4294967295ELNS1_3gpuE0ELNS1_3repE0EEENS1_30default_config_static_selectorELNS0_4arch9wavefront6targetE0EEEvT1_.private_seg_size, 0
	.set _ZN7rocprim17ROCPRIM_400000_NS6detail17trampoline_kernelINS0_14default_configENS1_25partition_config_selectorILNS1_17partition_subalgoE5ElNS0_10empty_typeEbEEZZNS1_14partition_implILS5_5ELb0ES3_mN6hipcub16HIPCUB_304000_NS21CountingInputIteratorIllEEPS6_NSA_22TransformInputIteratorIbN2at6native12_GLOBAL__N_19NonZeroOpIN3c108BFloat16EEEPKSK_lEENS0_5tupleIJPlS6_EEENSP_IJSD_SD_EEES6_PiJS6_EEE10hipError_tPvRmT3_T4_T5_T6_T7_T9_mT8_P12ihipStream_tbDpT10_ENKUlT_T0_E_clISt17integral_constantIbLb0EES1D_EEDaS18_S19_EUlS18_E_NS1_11comp_targetILNS1_3genE0ELNS1_11target_archE4294967295ELNS1_3gpuE0ELNS1_3repE0EEENS1_30default_config_static_selectorELNS0_4arch9wavefront6targetE0EEEvT1_.uses_vcc, 0
	.set _ZN7rocprim17ROCPRIM_400000_NS6detail17trampoline_kernelINS0_14default_configENS1_25partition_config_selectorILNS1_17partition_subalgoE5ElNS0_10empty_typeEbEEZZNS1_14partition_implILS5_5ELb0ES3_mN6hipcub16HIPCUB_304000_NS21CountingInputIteratorIllEEPS6_NSA_22TransformInputIteratorIbN2at6native12_GLOBAL__N_19NonZeroOpIN3c108BFloat16EEEPKSK_lEENS0_5tupleIJPlS6_EEENSP_IJSD_SD_EEES6_PiJS6_EEE10hipError_tPvRmT3_T4_T5_T6_T7_T9_mT8_P12ihipStream_tbDpT10_ENKUlT_T0_E_clISt17integral_constantIbLb0EES1D_EEDaS18_S19_EUlS18_E_NS1_11comp_targetILNS1_3genE0ELNS1_11target_archE4294967295ELNS1_3gpuE0ELNS1_3repE0EEENS1_30default_config_static_selectorELNS0_4arch9wavefront6targetE0EEEvT1_.uses_flat_scratch, 0
	.set _ZN7rocprim17ROCPRIM_400000_NS6detail17trampoline_kernelINS0_14default_configENS1_25partition_config_selectorILNS1_17partition_subalgoE5ElNS0_10empty_typeEbEEZZNS1_14partition_implILS5_5ELb0ES3_mN6hipcub16HIPCUB_304000_NS21CountingInputIteratorIllEEPS6_NSA_22TransformInputIteratorIbN2at6native12_GLOBAL__N_19NonZeroOpIN3c108BFloat16EEEPKSK_lEENS0_5tupleIJPlS6_EEENSP_IJSD_SD_EEES6_PiJS6_EEE10hipError_tPvRmT3_T4_T5_T6_T7_T9_mT8_P12ihipStream_tbDpT10_ENKUlT_T0_E_clISt17integral_constantIbLb0EES1D_EEDaS18_S19_EUlS18_E_NS1_11comp_targetILNS1_3genE0ELNS1_11target_archE4294967295ELNS1_3gpuE0ELNS1_3repE0EEENS1_30default_config_static_selectorELNS0_4arch9wavefront6targetE0EEEvT1_.has_dyn_sized_stack, 0
	.set _ZN7rocprim17ROCPRIM_400000_NS6detail17trampoline_kernelINS0_14default_configENS1_25partition_config_selectorILNS1_17partition_subalgoE5ElNS0_10empty_typeEbEEZZNS1_14partition_implILS5_5ELb0ES3_mN6hipcub16HIPCUB_304000_NS21CountingInputIteratorIllEEPS6_NSA_22TransformInputIteratorIbN2at6native12_GLOBAL__N_19NonZeroOpIN3c108BFloat16EEEPKSK_lEENS0_5tupleIJPlS6_EEENSP_IJSD_SD_EEES6_PiJS6_EEE10hipError_tPvRmT3_T4_T5_T6_T7_T9_mT8_P12ihipStream_tbDpT10_ENKUlT_T0_E_clISt17integral_constantIbLb0EES1D_EEDaS18_S19_EUlS18_E_NS1_11comp_targetILNS1_3genE0ELNS1_11target_archE4294967295ELNS1_3gpuE0ELNS1_3repE0EEENS1_30default_config_static_selectorELNS0_4arch9wavefront6targetE0EEEvT1_.has_recursion, 0
	.set _ZN7rocprim17ROCPRIM_400000_NS6detail17trampoline_kernelINS0_14default_configENS1_25partition_config_selectorILNS1_17partition_subalgoE5ElNS0_10empty_typeEbEEZZNS1_14partition_implILS5_5ELb0ES3_mN6hipcub16HIPCUB_304000_NS21CountingInputIteratorIllEEPS6_NSA_22TransformInputIteratorIbN2at6native12_GLOBAL__N_19NonZeroOpIN3c108BFloat16EEEPKSK_lEENS0_5tupleIJPlS6_EEENSP_IJSD_SD_EEES6_PiJS6_EEE10hipError_tPvRmT3_T4_T5_T6_T7_T9_mT8_P12ihipStream_tbDpT10_ENKUlT_T0_E_clISt17integral_constantIbLb0EES1D_EEDaS18_S19_EUlS18_E_NS1_11comp_targetILNS1_3genE0ELNS1_11target_archE4294967295ELNS1_3gpuE0ELNS1_3repE0EEENS1_30default_config_static_selectorELNS0_4arch9wavefront6targetE0EEEvT1_.has_indirect_call, 0
	.section	.AMDGPU.csdata,"",@progbits
; Kernel info:
; codeLenInByte = 0
; TotalNumSgprs: 0
; NumVgprs: 0
; ScratchSize: 0
; MemoryBound: 0
; FloatMode: 240
; IeeeMode: 1
; LDSByteSize: 0 bytes/workgroup (compile time only)
; SGPRBlocks: 0
; VGPRBlocks: 0
; NumSGPRsForWavesPerEU: 1
; NumVGPRsForWavesPerEU: 1
; Occupancy: 16
; WaveLimiterHint : 0
; COMPUTE_PGM_RSRC2:SCRATCH_EN: 0
; COMPUTE_PGM_RSRC2:USER_SGPR: 2
; COMPUTE_PGM_RSRC2:TRAP_HANDLER: 0
; COMPUTE_PGM_RSRC2:TGID_X_EN: 1
; COMPUTE_PGM_RSRC2:TGID_Y_EN: 0
; COMPUTE_PGM_RSRC2:TGID_Z_EN: 0
; COMPUTE_PGM_RSRC2:TIDIG_COMP_CNT: 0
	.section	.text._ZN7rocprim17ROCPRIM_400000_NS6detail17trampoline_kernelINS0_14default_configENS1_25partition_config_selectorILNS1_17partition_subalgoE5ElNS0_10empty_typeEbEEZZNS1_14partition_implILS5_5ELb0ES3_mN6hipcub16HIPCUB_304000_NS21CountingInputIteratorIllEEPS6_NSA_22TransformInputIteratorIbN2at6native12_GLOBAL__N_19NonZeroOpIN3c108BFloat16EEEPKSK_lEENS0_5tupleIJPlS6_EEENSP_IJSD_SD_EEES6_PiJS6_EEE10hipError_tPvRmT3_T4_T5_T6_T7_T9_mT8_P12ihipStream_tbDpT10_ENKUlT_T0_E_clISt17integral_constantIbLb0EES1D_EEDaS18_S19_EUlS18_E_NS1_11comp_targetILNS1_3genE5ELNS1_11target_archE942ELNS1_3gpuE9ELNS1_3repE0EEENS1_30default_config_static_selectorELNS0_4arch9wavefront6targetE0EEEvT1_,"axG",@progbits,_ZN7rocprim17ROCPRIM_400000_NS6detail17trampoline_kernelINS0_14default_configENS1_25partition_config_selectorILNS1_17partition_subalgoE5ElNS0_10empty_typeEbEEZZNS1_14partition_implILS5_5ELb0ES3_mN6hipcub16HIPCUB_304000_NS21CountingInputIteratorIllEEPS6_NSA_22TransformInputIteratorIbN2at6native12_GLOBAL__N_19NonZeroOpIN3c108BFloat16EEEPKSK_lEENS0_5tupleIJPlS6_EEENSP_IJSD_SD_EEES6_PiJS6_EEE10hipError_tPvRmT3_T4_T5_T6_T7_T9_mT8_P12ihipStream_tbDpT10_ENKUlT_T0_E_clISt17integral_constantIbLb0EES1D_EEDaS18_S19_EUlS18_E_NS1_11comp_targetILNS1_3genE5ELNS1_11target_archE942ELNS1_3gpuE9ELNS1_3repE0EEENS1_30default_config_static_selectorELNS0_4arch9wavefront6targetE0EEEvT1_,comdat
	.globl	_ZN7rocprim17ROCPRIM_400000_NS6detail17trampoline_kernelINS0_14default_configENS1_25partition_config_selectorILNS1_17partition_subalgoE5ElNS0_10empty_typeEbEEZZNS1_14partition_implILS5_5ELb0ES3_mN6hipcub16HIPCUB_304000_NS21CountingInputIteratorIllEEPS6_NSA_22TransformInputIteratorIbN2at6native12_GLOBAL__N_19NonZeroOpIN3c108BFloat16EEEPKSK_lEENS0_5tupleIJPlS6_EEENSP_IJSD_SD_EEES6_PiJS6_EEE10hipError_tPvRmT3_T4_T5_T6_T7_T9_mT8_P12ihipStream_tbDpT10_ENKUlT_T0_E_clISt17integral_constantIbLb0EES1D_EEDaS18_S19_EUlS18_E_NS1_11comp_targetILNS1_3genE5ELNS1_11target_archE942ELNS1_3gpuE9ELNS1_3repE0EEENS1_30default_config_static_selectorELNS0_4arch9wavefront6targetE0EEEvT1_ ; -- Begin function _ZN7rocprim17ROCPRIM_400000_NS6detail17trampoline_kernelINS0_14default_configENS1_25partition_config_selectorILNS1_17partition_subalgoE5ElNS0_10empty_typeEbEEZZNS1_14partition_implILS5_5ELb0ES3_mN6hipcub16HIPCUB_304000_NS21CountingInputIteratorIllEEPS6_NSA_22TransformInputIteratorIbN2at6native12_GLOBAL__N_19NonZeroOpIN3c108BFloat16EEEPKSK_lEENS0_5tupleIJPlS6_EEENSP_IJSD_SD_EEES6_PiJS6_EEE10hipError_tPvRmT3_T4_T5_T6_T7_T9_mT8_P12ihipStream_tbDpT10_ENKUlT_T0_E_clISt17integral_constantIbLb0EES1D_EEDaS18_S19_EUlS18_E_NS1_11comp_targetILNS1_3genE5ELNS1_11target_archE942ELNS1_3gpuE9ELNS1_3repE0EEENS1_30default_config_static_selectorELNS0_4arch9wavefront6targetE0EEEvT1_
	.p2align	8
	.type	_ZN7rocprim17ROCPRIM_400000_NS6detail17trampoline_kernelINS0_14default_configENS1_25partition_config_selectorILNS1_17partition_subalgoE5ElNS0_10empty_typeEbEEZZNS1_14partition_implILS5_5ELb0ES3_mN6hipcub16HIPCUB_304000_NS21CountingInputIteratorIllEEPS6_NSA_22TransformInputIteratorIbN2at6native12_GLOBAL__N_19NonZeroOpIN3c108BFloat16EEEPKSK_lEENS0_5tupleIJPlS6_EEENSP_IJSD_SD_EEES6_PiJS6_EEE10hipError_tPvRmT3_T4_T5_T6_T7_T9_mT8_P12ihipStream_tbDpT10_ENKUlT_T0_E_clISt17integral_constantIbLb0EES1D_EEDaS18_S19_EUlS18_E_NS1_11comp_targetILNS1_3genE5ELNS1_11target_archE942ELNS1_3gpuE9ELNS1_3repE0EEENS1_30default_config_static_selectorELNS0_4arch9wavefront6targetE0EEEvT1_,@function
_ZN7rocprim17ROCPRIM_400000_NS6detail17trampoline_kernelINS0_14default_configENS1_25partition_config_selectorILNS1_17partition_subalgoE5ElNS0_10empty_typeEbEEZZNS1_14partition_implILS5_5ELb0ES3_mN6hipcub16HIPCUB_304000_NS21CountingInputIteratorIllEEPS6_NSA_22TransformInputIteratorIbN2at6native12_GLOBAL__N_19NonZeroOpIN3c108BFloat16EEEPKSK_lEENS0_5tupleIJPlS6_EEENSP_IJSD_SD_EEES6_PiJS6_EEE10hipError_tPvRmT3_T4_T5_T6_T7_T9_mT8_P12ihipStream_tbDpT10_ENKUlT_T0_E_clISt17integral_constantIbLb0EES1D_EEDaS18_S19_EUlS18_E_NS1_11comp_targetILNS1_3genE5ELNS1_11target_archE942ELNS1_3gpuE9ELNS1_3repE0EEENS1_30default_config_static_selectorELNS0_4arch9wavefront6targetE0EEEvT1_: ; @_ZN7rocprim17ROCPRIM_400000_NS6detail17trampoline_kernelINS0_14default_configENS1_25partition_config_selectorILNS1_17partition_subalgoE5ElNS0_10empty_typeEbEEZZNS1_14partition_implILS5_5ELb0ES3_mN6hipcub16HIPCUB_304000_NS21CountingInputIteratorIllEEPS6_NSA_22TransformInputIteratorIbN2at6native12_GLOBAL__N_19NonZeroOpIN3c108BFloat16EEEPKSK_lEENS0_5tupleIJPlS6_EEENSP_IJSD_SD_EEES6_PiJS6_EEE10hipError_tPvRmT3_T4_T5_T6_T7_T9_mT8_P12ihipStream_tbDpT10_ENKUlT_T0_E_clISt17integral_constantIbLb0EES1D_EEDaS18_S19_EUlS18_E_NS1_11comp_targetILNS1_3genE5ELNS1_11target_archE942ELNS1_3gpuE9ELNS1_3repE0EEENS1_30default_config_static_selectorELNS0_4arch9wavefront6targetE0EEEvT1_
; %bb.0:
	.section	.rodata,"a",@progbits
	.p2align	6, 0x0
	.amdhsa_kernel _ZN7rocprim17ROCPRIM_400000_NS6detail17trampoline_kernelINS0_14default_configENS1_25partition_config_selectorILNS1_17partition_subalgoE5ElNS0_10empty_typeEbEEZZNS1_14partition_implILS5_5ELb0ES3_mN6hipcub16HIPCUB_304000_NS21CountingInputIteratorIllEEPS6_NSA_22TransformInputIteratorIbN2at6native12_GLOBAL__N_19NonZeroOpIN3c108BFloat16EEEPKSK_lEENS0_5tupleIJPlS6_EEENSP_IJSD_SD_EEES6_PiJS6_EEE10hipError_tPvRmT3_T4_T5_T6_T7_T9_mT8_P12ihipStream_tbDpT10_ENKUlT_T0_E_clISt17integral_constantIbLb0EES1D_EEDaS18_S19_EUlS18_E_NS1_11comp_targetILNS1_3genE5ELNS1_11target_archE942ELNS1_3gpuE9ELNS1_3repE0EEENS1_30default_config_static_selectorELNS0_4arch9wavefront6targetE0EEEvT1_
		.amdhsa_group_segment_fixed_size 0
		.amdhsa_private_segment_fixed_size 0
		.amdhsa_kernarg_size 120
		.amdhsa_user_sgpr_count 2
		.amdhsa_user_sgpr_dispatch_ptr 0
		.amdhsa_user_sgpr_queue_ptr 0
		.amdhsa_user_sgpr_kernarg_segment_ptr 1
		.amdhsa_user_sgpr_dispatch_id 0
		.amdhsa_user_sgpr_private_segment_size 0
		.amdhsa_wavefront_size32 1
		.amdhsa_uses_dynamic_stack 0
		.amdhsa_enable_private_segment 0
		.amdhsa_system_sgpr_workgroup_id_x 1
		.amdhsa_system_sgpr_workgroup_id_y 0
		.amdhsa_system_sgpr_workgroup_id_z 0
		.amdhsa_system_sgpr_workgroup_info 0
		.amdhsa_system_vgpr_workitem_id 0
		.amdhsa_next_free_vgpr 1
		.amdhsa_next_free_sgpr 1
		.amdhsa_reserve_vcc 0
		.amdhsa_float_round_mode_32 0
		.amdhsa_float_round_mode_16_64 0
		.amdhsa_float_denorm_mode_32 3
		.amdhsa_float_denorm_mode_16_64 3
		.amdhsa_fp16_overflow 0
		.amdhsa_workgroup_processor_mode 1
		.amdhsa_memory_ordered 1
		.amdhsa_forward_progress 1
		.amdhsa_inst_pref_size 0
		.amdhsa_round_robin_scheduling 0
		.amdhsa_exception_fp_ieee_invalid_op 0
		.amdhsa_exception_fp_denorm_src 0
		.amdhsa_exception_fp_ieee_div_zero 0
		.amdhsa_exception_fp_ieee_overflow 0
		.amdhsa_exception_fp_ieee_underflow 0
		.amdhsa_exception_fp_ieee_inexact 0
		.amdhsa_exception_int_div_zero 0
	.end_amdhsa_kernel
	.section	.text._ZN7rocprim17ROCPRIM_400000_NS6detail17trampoline_kernelINS0_14default_configENS1_25partition_config_selectorILNS1_17partition_subalgoE5ElNS0_10empty_typeEbEEZZNS1_14partition_implILS5_5ELb0ES3_mN6hipcub16HIPCUB_304000_NS21CountingInputIteratorIllEEPS6_NSA_22TransformInputIteratorIbN2at6native12_GLOBAL__N_19NonZeroOpIN3c108BFloat16EEEPKSK_lEENS0_5tupleIJPlS6_EEENSP_IJSD_SD_EEES6_PiJS6_EEE10hipError_tPvRmT3_T4_T5_T6_T7_T9_mT8_P12ihipStream_tbDpT10_ENKUlT_T0_E_clISt17integral_constantIbLb0EES1D_EEDaS18_S19_EUlS18_E_NS1_11comp_targetILNS1_3genE5ELNS1_11target_archE942ELNS1_3gpuE9ELNS1_3repE0EEENS1_30default_config_static_selectorELNS0_4arch9wavefront6targetE0EEEvT1_,"axG",@progbits,_ZN7rocprim17ROCPRIM_400000_NS6detail17trampoline_kernelINS0_14default_configENS1_25partition_config_selectorILNS1_17partition_subalgoE5ElNS0_10empty_typeEbEEZZNS1_14partition_implILS5_5ELb0ES3_mN6hipcub16HIPCUB_304000_NS21CountingInputIteratorIllEEPS6_NSA_22TransformInputIteratorIbN2at6native12_GLOBAL__N_19NonZeroOpIN3c108BFloat16EEEPKSK_lEENS0_5tupleIJPlS6_EEENSP_IJSD_SD_EEES6_PiJS6_EEE10hipError_tPvRmT3_T4_T5_T6_T7_T9_mT8_P12ihipStream_tbDpT10_ENKUlT_T0_E_clISt17integral_constantIbLb0EES1D_EEDaS18_S19_EUlS18_E_NS1_11comp_targetILNS1_3genE5ELNS1_11target_archE942ELNS1_3gpuE9ELNS1_3repE0EEENS1_30default_config_static_selectorELNS0_4arch9wavefront6targetE0EEEvT1_,comdat
.Lfunc_end799:
	.size	_ZN7rocprim17ROCPRIM_400000_NS6detail17trampoline_kernelINS0_14default_configENS1_25partition_config_selectorILNS1_17partition_subalgoE5ElNS0_10empty_typeEbEEZZNS1_14partition_implILS5_5ELb0ES3_mN6hipcub16HIPCUB_304000_NS21CountingInputIteratorIllEEPS6_NSA_22TransformInputIteratorIbN2at6native12_GLOBAL__N_19NonZeroOpIN3c108BFloat16EEEPKSK_lEENS0_5tupleIJPlS6_EEENSP_IJSD_SD_EEES6_PiJS6_EEE10hipError_tPvRmT3_T4_T5_T6_T7_T9_mT8_P12ihipStream_tbDpT10_ENKUlT_T0_E_clISt17integral_constantIbLb0EES1D_EEDaS18_S19_EUlS18_E_NS1_11comp_targetILNS1_3genE5ELNS1_11target_archE942ELNS1_3gpuE9ELNS1_3repE0EEENS1_30default_config_static_selectorELNS0_4arch9wavefront6targetE0EEEvT1_, .Lfunc_end799-_ZN7rocprim17ROCPRIM_400000_NS6detail17trampoline_kernelINS0_14default_configENS1_25partition_config_selectorILNS1_17partition_subalgoE5ElNS0_10empty_typeEbEEZZNS1_14partition_implILS5_5ELb0ES3_mN6hipcub16HIPCUB_304000_NS21CountingInputIteratorIllEEPS6_NSA_22TransformInputIteratorIbN2at6native12_GLOBAL__N_19NonZeroOpIN3c108BFloat16EEEPKSK_lEENS0_5tupleIJPlS6_EEENSP_IJSD_SD_EEES6_PiJS6_EEE10hipError_tPvRmT3_T4_T5_T6_T7_T9_mT8_P12ihipStream_tbDpT10_ENKUlT_T0_E_clISt17integral_constantIbLb0EES1D_EEDaS18_S19_EUlS18_E_NS1_11comp_targetILNS1_3genE5ELNS1_11target_archE942ELNS1_3gpuE9ELNS1_3repE0EEENS1_30default_config_static_selectorELNS0_4arch9wavefront6targetE0EEEvT1_
                                        ; -- End function
	.set _ZN7rocprim17ROCPRIM_400000_NS6detail17trampoline_kernelINS0_14default_configENS1_25partition_config_selectorILNS1_17partition_subalgoE5ElNS0_10empty_typeEbEEZZNS1_14partition_implILS5_5ELb0ES3_mN6hipcub16HIPCUB_304000_NS21CountingInputIteratorIllEEPS6_NSA_22TransformInputIteratorIbN2at6native12_GLOBAL__N_19NonZeroOpIN3c108BFloat16EEEPKSK_lEENS0_5tupleIJPlS6_EEENSP_IJSD_SD_EEES6_PiJS6_EEE10hipError_tPvRmT3_T4_T5_T6_T7_T9_mT8_P12ihipStream_tbDpT10_ENKUlT_T0_E_clISt17integral_constantIbLb0EES1D_EEDaS18_S19_EUlS18_E_NS1_11comp_targetILNS1_3genE5ELNS1_11target_archE942ELNS1_3gpuE9ELNS1_3repE0EEENS1_30default_config_static_selectorELNS0_4arch9wavefront6targetE0EEEvT1_.num_vgpr, 0
	.set _ZN7rocprim17ROCPRIM_400000_NS6detail17trampoline_kernelINS0_14default_configENS1_25partition_config_selectorILNS1_17partition_subalgoE5ElNS0_10empty_typeEbEEZZNS1_14partition_implILS5_5ELb0ES3_mN6hipcub16HIPCUB_304000_NS21CountingInputIteratorIllEEPS6_NSA_22TransformInputIteratorIbN2at6native12_GLOBAL__N_19NonZeroOpIN3c108BFloat16EEEPKSK_lEENS0_5tupleIJPlS6_EEENSP_IJSD_SD_EEES6_PiJS6_EEE10hipError_tPvRmT3_T4_T5_T6_T7_T9_mT8_P12ihipStream_tbDpT10_ENKUlT_T0_E_clISt17integral_constantIbLb0EES1D_EEDaS18_S19_EUlS18_E_NS1_11comp_targetILNS1_3genE5ELNS1_11target_archE942ELNS1_3gpuE9ELNS1_3repE0EEENS1_30default_config_static_selectorELNS0_4arch9wavefront6targetE0EEEvT1_.num_agpr, 0
	.set _ZN7rocprim17ROCPRIM_400000_NS6detail17trampoline_kernelINS0_14default_configENS1_25partition_config_selectorILNS1_17partition_subalgoE5ElNS0_10empty_typeEbEEZZNS1_14partition_implILS5_5ELb0ES3_mN6hipcub16HIPCUB_304000_NS21CountingInputIteratorIllEEPS6_NSA_22TransformInputIteratorIbN2at6native12_GLOBAL__N_19NonZeroOpIN3c108BFloat16EEEPKSK_lEENS0_5tupleIJPlS6_EEENSP_IJSD_SD_EEES6_PiJS6_EEE10hipError_tPvRmT3_T4_T5_T6_T7_T9_mT8_P12ihipStream_tbDpT10_ENKUlT_T0_E_clISt17integral_constantIbLb0EES1D_EEDaS18_S19_EUlS18_E_NS1_11comp_targetILNS1_3genE5ELNS1_11target_archE942ELNS1_3gpuE9ELNS1_3repE0EEENS1_30default_config_static_selectorELNS0_4arch9wavefront6targetE0EEEvT1_.numbered_sgpr, 0
	.set _ZN7rocprim17ROCPRIM_400000_NS6detail17trampoline_kernelINS0_14default_configENS1_25partition_config_selectorILNS1_17partition_subalgoE5ElNS0_10empty_typeEbEEZZNS1_14partition_implILS5_5ELb0ES3_mN6hipcub16HIPCUB_304000_NS21CountingInputIteratorIllEEPS6_NSA_22TransformInputIteratorIbN2at6native12_GLOBAL__N_19NonZeroOpIN3c108BFloat16EEEPKSK_lEENS0_5tupleIJPlS6_EEENSP_IJSD_SD_EEES6_PiJS6_EEE10hipError_tPvRmT3_T4_T5_T6_T7_T9_mT8_P12ihipStream_tbDpT10_ENKUlT_T0_E_clISt17integral_constantIbLb0EES1D_EEDaS18_S19_EUlS18_E_NS1_11comp_targetILNS1_3genE5ELNS1_11target_archE942ELNS1_3gpuE9ELNS1_3repE0EEENS1_30default_config_static_selectorELNS0_4arch9wavefront6targetE0EEEvT1_.num_named_barrier, 0
	.set _ZN7rocprim17ROCPRIM_400000_NS6detail17trampoline_kernelINS0_14default_configENS1_25partition_config_selectorILNS1_17partition_subalgoE5ElNS0_10empty_typeEbEEZZNS1_14partition_implILS5_5ELb0ES3_mN6hipcub16HIPCUB_304000_NS21CountingInputIteratorIllEEPS6_NSA_22TransformInputIteratorIbN2at6native12_GLOBAL__N_19NonZeroOpIN3c108BFloat16EEEPKSK_lEENS0_5tupleIJPlS6_EEENSP_IJSD_SD_EEES6_PiJS6_EEE10hipError_tPvRmT3_T4_T5_T6_T7_T9_mT8_P12ihipStream_tbDpT10_ENKUlT_T0_E_clISt17integral_constantIbLb0EES1D_EEDaS18_S19_EUlS18_E_NS1_11comp_targetILNS1_3genE5ELNS1_11target_archE942ELNS1_3gpuE9ELNS1_3repE0EEENS1_30default_config_static_selectorELNS0_4arch9wavefront6targetE0EEEvT1_.private_seg_size, 0
	.set _ZN7rocprim17ROCPRIM_400000_NS6detail17trampoline_kernelINS0_14default_configENS1_25partition_config_selectorILNS1_17partition_subalgoE5ElNS0_10empty_typeEbEEZZNS1_14partition_implILS5_5ELb0ES3_mN6hipcub16HIPCUB_304000_NS21CountingInputIteratorIllEEPS6_NSA_22TransformInputIteratorIbN2at6native12_GLOBAL__N_19NonZeroOpIN3c108BFloat16EEEPKSK_lEENS0_5tupleIJPlS6_EEENSP_IJSD_SD_EEES6_PiJS6_EEE10hipError_tPvRmT3_T4_T5_T6_T7_T9_mT8_P12ihipStream_tbDpT10_ENKUlT_T0_E_clISt17integral_constantIbLb0EES1D_EEDaS18_S19_EUlS18_E_NS1_11comp_targetILNS1_3genE5ELNS1_11target_archE942ELNS1_3gpuE9ELNS1_3repE0EEENS1_30default_config_static_selectorELNS0_4arch9wavefront6targetE0EEEvT1_.uses_vcc, 0
	.set _ZN7rocprim17ROCPRIM_400000_NS6detail17trampoline_kernelINS0_14default_configENS1_25partition_config_selectorILNS1_17partition_subalgoE5ElNS0_10empty_typeEbEEZZNS1_14partition_implILS5_5ELb0ES3_mN6hipcub16HIPCUB_304000_NS21CountingInputIteratorIllEEPS6_NSA_22TransformInputIteratorIbN2at6native12_GLOBAL__N_19NonZeroOpIN3c108BFloat16EEEPKSK_lEENS0_5tupleIJPlS6_EEENSP_IJSD_SD_EEES6_PiJS6_EEE10hipError_tPvRmT3_T4_T5_T6_T7_T9_mT8_P12ihipStream_tbDpT10_ENKUlT_T0_E_clISt17integral_constantIbLb0EES1D_EEDaS18_S19_EUlS18_E_NS1_11comp_targetILNS1_3genE5ELNS1_11target_archE942ELNS1_3gpuE9ELNS1_3repE0EEENS1_30default_config_static_selectorELNS0_4arch9wavefront6targetE0EEEvT1_.uses_flat_scratch, 0
	.set _ZN7rocprim17ROCPRIM_400000_NS6detail17trampoline_kernelINS0_14default_configENS1_25partition_config_selectorILNS1_17partition_subalgoE5ElNS0_10empty_typeEbEEZZNS1_14partition_implILS5_5ELb0ES3_mN6hipcub16HIPCUB_304000_NS21CountingInputIteratorIllEEPS6_NSA_22TransformInputIteratorIbN2at6native12_GLOBAL__N_19NonZeroOpIN3c108BFloat16EEEPKSK_lEENS0_5tupleIJPlS6_EEENSP_IJSD_SD_EEES6_PiJS6_EEE10hipError_tPvRmT3_T4_T5_T6_T7_T9_mT8_P12ihipStream_tbDpT10_ENKUlT_T0_E_clISt17integral_constantIbLb0EES1D_EEDaS18_S19_EUlS18_E_NS1_11comp_targetILNS1_3genE5ELNS1_11target_archE942ELNS1_3gpuE9ELNS1_3repE0EEENS1_30default_config_static_selectorELNS0_4arch9wavefront6targetE0EEEvT1_.has_dyn_sized_stack, 0
	.set _ZN7rocprim17ROCPRIM_400000_NS6detail17trampoline_kernelINS0_14default_configENS1_25partition_config_selectorILNS1_17partition_subalgoE5ElNS0_10empty_typeEbEEZZNS1_14partition_implILS5_5ELb0ES3_mN6hipcub16HIPCUB_304000_NS21CountingInputIteratorIllEEPS6_NSA_22TransformInputIteratorIbN2at6native12_GLOBAL__N_19NonZeroOpIN3c108BFloat16EEEPKSK_lEENS0_5tupleIJPlS6_EEENSP_IJSD_SD_EEES6_PiJS6_EEE10hipError_tPvRmT3_T4_T5_T6_T7_T9_mT8_P12ihipStream_tbDpT10_ENKUlT_T0_E_clISt17integral_constantIbLb0EES1D_EEDaS18_S19_EUlS18_E_NS1_11comp_targetILNS1_3genE5ELNS1_11target_archE942ELNS1_3gpuE9ELNS1_3repE0EEENS1_30default_config_static_selectorELNS0_4arch9wavefront6targetE0EEEvT1_.has_recursion, 0
	.set _ZN7rocprim17ROCPRIM_400000_NS6detail17trampoline_kernelINS0_14default_configENS1_25partition_config_selectorILNS1_17partition_subalgoE5ElNS0_10empty_typeEbEEZZNS1_14partition_implILS5_5ELb0ES3_mN6hipcub16HIPCUB_304000_NS21CountingInputIteratorIllEEPS6_NSA_22TransformInputIteratorIbN2at6native12_GLOBAL__N_19NonZeroOpIN3c108BFloat16EEEPKSK_lEENS0_5tupleIJPlS6_EEENSP_IJSD_SD_EEES6_PiJS6_EEE10hipError_tPvRmT3_T4_T5_T6_T7_T9_mT8_P12ihipStream_tbDpT10_ENKUlT_T0_E_clISt17integral_constantIbLb0EES1D_EEDaS18_S19_EUlS18_E_NS1_11comp_targetILNS1_3genE5ELNS1_11target_archE942ELNS1_3gpuE9ELNS1_3repE0EEENS1_30default_config_static_selectorELNS0_4arch9wavefront6targetE0EEEvT1_.has_indirect_call, 0
	.section	.AMDGPU.csdata,"",@progbits
; Kernel info:
; codeLenInByte = 0
; TotalNumSgprs: 0
; NumVgprs: 0
; ScratchSize: 0
; MemoryBound: 0
; FloatMode: 240
; IeeeMode: 1
; LDSByteSize: 0 bytes/workgroup (compile time only)
; SGPRBlocks: 0
; VGPRBlocks: 0
; NumSGPRsForWavesPerEU: 1
; NumVGPRsForWavesPerEU: 1
; Occupancy: 16
; WaveLimiterHint : 0
; COMPUTE_PGM_RSRC2:SCRATCH_EN: 0
; COMPUTE_PGM_RSRC2:USER_SGPR: 2
; COMPUTE_PGM_RSRC2:TRAP_HANDLER: 0
; COMPUTE_PGM_RSRC2:TGID_X_EN: 1
; COMPUTE_PGM_RSRC2:TGID_Y_EN: 0
; COMPUTE_PGM_RSRC2:TGID_Z_EN: 0
; COMPUTE_PGM_RSRC2:TIDIG_COMP_CNT: 0
	.section	.text._ZN7rocprim17ROCPRIM_400000_NS6detail17trampoline_kernelINS0_14default_configENS1_25partition_config_selectorILNS1_17partition_subalgoE5ElNS0_10empty_typeEbEEZZNS1_14partition_implILS5_5ELb0ES3_mN6hipcub16HIPCUB_304000_NS21CountingInputIteratorIllEEPS6_NSA_22TransformInputIteratorIbN2at6native12_GLOBAL__N_19NonZeroOpIN3c108BFloat16EEEPKSK_lEENS0_5tupleIJPlS6_EEENSP_IJSD_SD_EEES6_PiJS6_EEE10hipError_tPvRmT3_T4_T5_T6_T7_T9_mT8_P12ihipStream_tbDpT10_ENKUlT_T0_E_clISt17integral_constantIbLb0EES1D_EEDaS18_S19_EUlS18_E_NS1_11comp_targetILNS1_3genE4ELNS1_11target_archE910ELNS1_3gpuE8ELNS1_3repE0EEENS1_30default_config_static_selectorELNS0_4arch9wavefront6targetE0EEEvT1_,"axG",@progbits,_ZN7rocprim17ROCPRIM_400000_NS6detail17trampoline_kernelINS0_14default_configENS1_25partition_config_selectorILNS1_17partition_subalgoE5ElNS0_10empty_typeEbEEZZNS1_14partition_implILS5_5ELb0ES3_mN6hipcub16HIPCUB_304000_NS21CountingInputIteratorIllEEPS6_NSA_22TransformInputIteratorIbN2at6native12_GLOBAL__N_19NonZeroOpIN3c108BFloat16EEEPKSK_lEENS0_5tupleIJPlS6_EEENSP_IJSD_SD_EEES6_PiJS6_EEE10hipError_tPvRmT3_T4_T5_T6_T7_T9_mT8_P12ihipStream_tbDpT10_ENKUlT_T0_E_clISt17integral_constantIbLb0EES1D_EEDaS18_S19_EUlS18_E_NS1_11comp_targetILNS1_3genE4ELNS1_11target_archE910ELNS1_3gpuE8ELNS1_3repE0EEENS1_30default_config_static_selectorELNS0_4arch9wavefront6targetE0EEEvT1_,comdat
	.globl	_ZN7rocprim17ROCPRIM_400000_NS6detail17trampoline_kernelINS0_14default_configENS1_25partition_config_selectorILNS1_17partition_subalgoE5ElNS0_10empty_typeEbEEZZNS1_14partition_implILS5_5ELb0ES3_mN6hipcub16HIPCUB_304000_NS21CountingInputIteratorIllEEPS6_NSA_22TransformInputIteratorIbN2at6native12_GLOBAL__N_19NonZeroOpIN3c108BFloat16EEEPKSK_lEENS0_5tupleIJPlS6_EEENSP_IJSD_SD_EEES6_PiJS6_EEE10hipError_tPvRmT3_T4_T5_T6_T7_T9_mT8_P12ihipStream_tbDpT10_ENKUlT_T0_E_clISt17integral_constantIbLb0EES1D_EEDaS18_S19_EUlS18_E_NS1_11comp_targetILNS1_3genE4ELNS1_11target_archE910ELNS1_3gpuE8ELNS1_3repE0EEENS1_30default_config_static_selectorELNS0_4arch9wavefront6targetE0EEEvT1_ ; -- Begin function _ZN7rocprim17ROCPRIM_400000_NS6detail17trampoline_kernelINS0_14default_configENS1_25partition_config_selectorILNS1_17partition_subalgoE5ElNS0_10empty_typeEbEEZZNS1_14partition_implILS5_5ELb0ES3_mN6hipcub16HIPCUB_304000_NS21CountingInputIteratorIllEEPS6_NSA_22TransformInputIteratorIbN2at6native12_GLOBAL__N_19NonZeroOpIN3c108BFloat16EEEPKSK_lEENS0_5tupleIJPlS6_EEENSP_IJSD_SD_EEES6_PiJS6_EEE10hipError_tPvRmT3_T4_T5_T6_T7_T9_mT8_P12ihipStream_tbDpT10_ENKUlT_T0_E_clISt17integral_constantIbLb0EES1D_EEDaS18_S19_EUlS18_E_NS1_11comp_targetILNS1_3genE4ELNS1_11target_archE910ELNS1_3gpuE8ELNS1_3repE0EEENS1_30default_config_static_selectorELNS0_4arch9wavefront6targetE0EEEvT1_
	.p2align	8
	.type	_ZN7rocprim17ROCPRIM_400000_NS6detail17trampoline_kernelINS0_14default_configENS1_25partition_config_selectorILNS1_17partition_subalgoE5ElNS0_10empty_typeEbEEZZNS1_14partition_implILS5_5ELb0ES3_mN6hipcub16HIPCUB_304000_NS21CountingInputIteratorIllEEPS6_NSA_22TransformInputIteratorIbN2at6native12_GLOBAL__N_19NonZeroOpIN3c108BFloat16EEEPKSK_lEENS0_5tupleIJPlS6_EEENSP_IJSD_SD_EEES6_PiJS6_EEE10hipError_tPvRmT3_T4_T5_T6_T7_T9_mT8_P12ihipStream_tbDpT10_ENKUlT_T0_E_clISt17integral_constantIbLb0EES1D_EEDaS18_S19_EUlS18_E_NS1_11comp_targetILNS1_3genE4ELNS1_11target_archE910ELNS1_3gpuE8ELNS1_3repE0EEENS1_30default_config_static_selectorELNS0_4arch9wavefront6targetE0EEEvT1_,@function
_ZN7rocprim17ROCPRIM_400000_NS6detail17trampoline_kernelINS0_14default_configENS1_25partition_config_selectorILNS1_17partition_subalgoE5ElNS0_10empty_typeEbEEZZNS1_14partition_implILS5_5ELb0ES3_mN6hipcub16HIPCUB_304000_NS21CountingInputIteratorIllEEPS6_NSA_22TransformInputIteratorIbN2at6native12_GLOBAL__N_19NonZeroOpIN3c108BFloat16EEEPKSK_lEENS0_5tupleIJPlS6_EEENSP_IJSD_SD_EEES6_PiJS6_EEE10hipError_tPvRmT3_T4_T5_T6_T7_T9_mT8_P12ihipStream_tbDpT10_ENKUlT_T0_E_clISt17integral_constantIbLb0EES1D_EEDaS18_S19_EUlS18_E_NS1_11comp_targetILNS1_3genE4ELNS1_11target_archE910ELNS1_3gpuE8ELNS1_3repE0EEENS1_30default_config_static_selectorELNS0_4arch9wavefront6targetE0EEEvT1_: ; @_ZN7rocprim17ROCPRIM_400000_NS6detail17trampoline_kernelINS0_14default_configENS1_25partition_config_selectorILNS1_17partition_subalgoE5ElNS0_10empty_typeEbEEZZNS1_14partition_implILS5_5ELb0ES3_mN6hipcub16HIPCUB_304000_NS21CountingInputIteratorIllEEPS6_NSA_22TransformInputIteratorIbN2at6native12_GLOBAL__N_19NonZeroOpIN3c108BFloat16EEEPKSK_lEENS0_5tupleIJPlS6_EEENSP_IJSD_SD_EEES6_PiJS6_EEE10hipError_tPvRmT3_T4_T5_T6_T7_T9_mT8_P12ihipStream_tbDpT10_ENKUlT_T0_E_clISt17integral_constantIbLb0EES1D_EEDaS18_S19_EUlS18_E_NS1_11comp_targetILNS1_3genE4ELNS1_11target_archE910ELNS1_3gpuE8ELNS1_3repE0EEENS1_30default_config_static_selectorELNS0_4arch9wavefront6targetE0EEEvT1_
; %bb.0:
	.section	.rodata,"a",@progbits
	.p2align	6, 0x0
	.amdhsa_kernel _ZN7rocprim17ROCPRIM_400000_NS6detail17trampoline_kernelINS0_14default_configENS1_25partition_config_selectorILNS1_17partition_subalgoE5ElNS0_10empty_typeEbEEZZNS1_14partition_implILS5_5ELb0ES3_mN6hipcub16HIPCUB_304000_NS21CountingInputIteratorIllEEPS6_NSA_22TransformInputIteratorIbN2at6native12_GLOBAL__N_19NonZeroOpIN3c108BFloat16EEEPKSK_lEENS0_5tupleIJPlS6_EEENSP_IJSD_SD_EEES6_PiJS6_EEE10hipError_tPvRmT3_T4_T5_T6_T7_T9_mT8_P12ihipStream_tbDpT10_ENKUlT_T0_E_clISt17integral_constantIbLb0EES1D_EEDaS18_S19_EUlS18_E_NS1_11comp_targetILNS1_3genE4ELNS1_11target_archE910ELNS1_3gpuE8ELNS1_3repE0EEENS1_30default_config_static_selectorELNS0_4arch9wavefront6targetE0EEEvT1_
		.amdhsa_group_segment_fixed_size 0
		.amdhsa_private_segment_fixed_size 0
		.amdhsa_kernarg_size 120
		.amdhsa_user_sgpr_count 2
		.amdhsa_user_sgpr_dispatch_ptr 0
		.amdhsa_user_sgpr_queue_ptr 0
		.amdhsa_user_sgpr_kernarg_segment_ptr 1
		.amdhsa_user_sgpr_dispatch_id 0
		.amdhsa_user_sgpr_private_segment_size 0
		.amdhsa_wavefront_size32 1
		.amdhsa_uses_dynamic_stack 0
		.amdhsa_enable_private_segment 0
		.amdhsa_system_sgpr_workgroup_id_x 1
		.amdhsa_system_sgpr_workgroup_id_y 0
		.amdhsa_system_sgpr_workgroup_id_z 0
		.amdhsa_system_sgpr_workgroup_info 0
		.amdhsa_system_vgpr_workitem_id 0
		.amdhsa_next_free_vgpr 1
		.amdhsa_next_free_sgpr 1
		.amdhsa_reserve_vcc 0
		.amdhsa_float_round_mode_32 0
		.amdhsa_float_round_mode_16_64 0
		.amdhsa_float_denorm_mode_32 3
		.amdhsa_float_denorm_mode_16_64 3
		.amdhsa_fp16_overflow 0
		.amdhsa_workgroup_processor_mode 1
		.amdhsa_memory_ordered 1
		.amdhsa_forward_progress 1
		.amdhsa_inst_pref_size 0
		.amdhsa_round_robin_scheduling 0
		.amdhsa_exception_fp_ieee_invalid_op 0
		.amdhsa_exception_fp_denorm_src 0
		.amdhsa_exception_fp_ieee_div_zero 0
		.amdhsa_exception_fp_ieee_overflow 0
		.amdhsa_exception_fp_ieee_underflow 0
		.amdhsa_exception_fp_ieee_inexact 0
		.amdhsa_exception_int_div_zero 0
	.end_amdhsa_kernel
	.section	.text._ZN7rocprim17ROCPRIM_400000_NS6detail17trampoline_kernelINS0_14default_configENS1_25partition_config_selectorILNS1_17partition_subalgoE5ElNS0_10empty_typeEbEEZZNS1_14partition_implILS5_5ELb0ES3_mN6hipcub16HIPCUB_304000_NS21CountingInputIteratorIllEEPS6_NSA_22TransformInputIteratorIbN2at6native12_GLOBAL__N_19NonZeroOpIN3c108BFloat16EEEPKSK_lEENS0_5tupleIJPlS6_EEENSP_IJSD_SD_EEES6_PiJS6_EEE10hipError_tPvRmT3_T4_T5_T6_T7_T9_mT8_P12ihipStream_tbDpT10_ENKUlT_T0_E_clISt17integral_constantIbLb0EES1D_EEDaS18_S19_EUlS18_E_NS1_11comp_targetILNS1_3genE4ELNS1_11target_archE910ELNS1_3gpuE8ELNS1_3repE0EEENS1_30default_config_static_selectorELNS0_4arch9wavefront6targetE0EEEvT1_,"axG",@progbits,_ZN7rocprim17ROCPRIM_400000_NS6detail17trampoline_kernelINS0_14default_configENS1_25partition_config_selectorILNS1_17partition_subalgoE5ElNS0_10empty_typeEbEEZZNS1_14partition_implILS5_5ELb0ES3_mN6hipcub16HIPCUB_304000_NS21CountingInputIteratorIllEEPS6_NSA_22TransformInputIteratorIbN2at6native12_GLOBAL__N_19NonZeroOpIN3c108BFloat16EEEPKSK_lEENS0_5tupleIJPlS6_EEENSP_IJSD_SD_EEES6_PiJS6_EEE10hipError_tPvRmT3_T4_T5_T6_T7_T9_mT8_P12ihipStream_tbDpT10_ENKUlT_T0_E_clISt17integral_constantIbLb0EES1D_EEDaS18_S19_EUlS18_E_NS1_11comp_targetILNS1_3genE4ELNS1_11target_archE910ELNS1_3gpuE8ELNS1_3repE0EEENS1_30default_config_static_selectorELNS0_4arch9wavefront6targetE0EEEvT1_,comdat
.Lfunc_end800:
	.size	_ZN7rocprim17ROCPRIM_400000_NS6detail17trampoline_kernelINS0_14default_configENS1_25partition_config_selectorILNS1_17partition_subalgoE5ElNS0_10empty_typeEbEEZZNS1_14partition_implILS5_5ELb0ES3_mN6hipcub16HIPCUB_304000_NS21CountingInputIteratorIllEEPS6_NSA_22TransformInputIteratorIbN2at6native12_GLOBAL__N_19NonZeroOpIN3c108BFloat16EEEPKSK_lEENS0_5tupleIJPlS6_EEENSP_IJSD_SD_EEES6_PiJS6_EEE10hipError_tPvRmT3_T4_T5_T6_T7_T9_mT8_P12ihipStream_tbDpT10_ENKUlT_T0_E_clISt17integral_constantIbLb0EES1D_EEDaS18_S19_EUlS18_E_NS1_11comp_targetILNS1_3genE4ELNS1_11target_archE910ELNS1_3gpuE8ELNS1_3repE0EEENS1_30default_config_static_selectorELNS0_4arch9wavefront6targetE0EEEvT1_, .Lfunc_end800-_ZN7rocprim17ROCPRIM_400000_NS6detail17trampoline_kernelINS0_14default_configENS1_25partition_config_selectorILNS1_17partition_subalgoE5ElNS0_10empty_typeEbEEZZNS1_14partition_implILS5_5ELb0ES3_mN6hipcub16HIPCUB_304000_NS21CountingInputIteratorIllEEPS6_NSA_22TransformInputIteratorIbN2at6native12_GLOBAL__N_19NonZeroOpIN3c108BFloat16EEEPKSK_lEENS0_5tupleIJPlS6_EEENSP_IJSD_SD_EEES6_PiJS6_EEE10hipError_tPvRmT3_T4_T5_T6_T7_T9_mT8_P12ihipStream_tbDpT10_ENKUlT_T0_E_clISt17integral_constantIbLb0EES1D_EEDaS18_S19_EUlS18_E_NS1_11comp_targetILNS1_3genE4ELNS1_11target_archE910ELNS1_3gpuE8ELNS1_3repE0EEENS1_30default_config_static_selectorELNS0_4arch9wavefront6targetE0EEEvT1_
                                        ; -- End function
	.set _ZN7rocprim17ROCPRIM_400000_NS6detail17trampoline_kernelINS0_14default_configENS1_25partition_config_selectorILNS1_17partition_subalgoE5ElNS0_10empty_typeEbEEZZNS1_14partition_implILS5_5ELb0ES3_mN6hipcub16HIPCUB_304000_NS21CountingInputIteratorIllEEPS6_NSA_22TransformInputIteratorIbN2at6native12_GLOBAL__N_19NonZeroOpIN3c108BFloat16EEEPKSK_lEENS0_5tupleIJPlS6_EEENSP_IJSD_SD_EEES6_PiJS6_EEE10hipError_tPvRmT3_T4_T5_T6_T7_T9_mT8_P12ihipStream_tbDpT10_ENKUlT_T0_E_clISt17integral_constantIbLb0EES1D_EEDaS18_S19_EUlS18_E_NS1_11comp_targetILNS1_3genE4ELNS1_11target_archE910ELNS1_3gpuE8ELNS1_3repE0EEENS1_30default_config_static_selectorELNS0_4arch9wavefront6targetE0EEEvT1_.num_vgpr, 0
	.set _ZN7rocprim17ROCPRIM_400000_NS6detail17trampoline_kernelINS0_14default_configENS1_25partition_config_selectorILNS1_17partition_subalgoE5ElNS0_10empty_typeEbEEZZNS1_14partition_implILS5_5ELb0ES3_mN6hipcub16HIPCUB_304000_NS21CountingInputIteratorIllEEPS6_NSA_22TransformInputIteratorIbN2at6native12_GLOBAL__N_19NonZeroOpIN3c108BFloat16EEEPKSK_lEENS0_5tupleIJPlS6_EEENSP_IJSD_SD_EEES6_PiJS6_EEE10hipError_tPvRmT3_T4_T5_T6_T7_T9_mT8_P12ihipStream_tbDpT10_ENKUlT_T0_E_clISt17integral_constantIbLb0EES1D_EEDaS18_S19_EUlS18_E_NS1_11comp_targetILNS1_3genE4ELNS1_11target_archE910ELNS1_3gpuE8ELNS1_3repE0EEENS1_30default_config_static_selectorELNS0_4arch9wavefront6targetE0EEEvT1_.num_agpr, 0
	.set _ZN7rocprim17ROCPRIM_400000_NS6detail17trampoline_kernelINS0_14default_configENS1_25partition_config_selectorILNS1_17partition_subalgoE5ElNS0_10empty_typeEbEEZZNS1_14partition_implILS5_5ELb0ES3_mN6hipcub16HIPCUB_304000_NS21CountingInputIteratorIllEEPS6_NSA_22TransformInputIteratorIbN2at6native12_GLOBAL__N_19NonZeroOpIN3c108BFloat16EEEPKSK_lEENS0_5tupleIJPlS6_EEENSP_IJSD_SD_EEES6_PiJS6_EEE10hipError_tPvRmT3_T4_T5_T6_T7_T9_mT8_P12ihipStream_tbDpT10_ENKUlT_T0_E_clISt17integral_constantIbLb0EES1D_EEDaS18_S19_EUlS18_E_NS1_11comp_targetILNS1_3genE4ELNS1_11target_archE910ELNS1_3gpuE8ELNS1_3repE0EEENS1_30default_config_static_selectorELNS0_4arch9wavefront6targetE0EEEvT1_.numbered_sgpr, 0
	.set _ZN7rocprim17ROCPRIM_400000_NS6detail17trampoline_kernelINS0_14default_configENS1_25partition_config_selectorILNS1_17partition_subalgoE5ElNS0_10empty_typeEbEEZZNS1_14partition_implILS5_5ELb0ES3_mN6hipcub16HIPCUB_304000_NS21CountingInputIteratorIllEEPS6_NSA_22TransformInputIteratorIbN2at6native12_GLOBAL__N_19NonZeroOpIN3c108BFloat16EEEPKSK_lEENS0_5tupleIJPlS6_EEENSP_IJSD_SD_EEES6_PiJS6_EEE10hipError_tPvRmT3_T4_T5_T6_T7_T9_mT8_P12ihipStream_tbDpT10_ENKUlT_T0_E_clISt17integral_constantIbLb0EES1D_EEDaS18_S19_EUlS18_E_NS1_11comp_targetILNS1_3genE4ELNS1_11target_archE910ELNS1_3gpuE8ELNS1_3repE0EEENS1_30default_config_static_selectorELNS0_4arch9wavefront6targetE0EEEvT1_.num_named_barrier, 0
	.set _ZN7rocprim17ROCPRIM_400000_NS6detail17trampoline_kernelINS0_14default_configENS1_25partition_config_selectorILNS1_17partition_subalgoE5ElNS0_10empty_typeEbEEZZNS1_14partition_implILS5_5ELb0ES3_mN6hipcub16HIPCUB_304000_NS21CountingInputIteratorIllEEPS6_NSA_22TransformInputIteratorIbN2at6native12_GLOBAL__N_19NonZeroOpIN3c108BFloat16EEEPKSK_lEENS0_5tupleIJPlS6_EEENSP_IJSD_SD_EEES6_PiJS6_EEE10hipError_tPvRmT3_T4_T5_T6_T7_T9_mT8_P12ihipStream_tbDpT10_ENKUlT_T0_E_clISt17integral_constantIbLb0EES1D_EEDaS18_S19_EUlS18_E_NS1_11comp_targetILNS1_3genE4ELNS1_11target_archE910ELNS1_3gpuE8ELNS1_3repE0EEENS1_30default_config_static_selectorELNS0_4arch9wavefront6targetE0EEEvT1_.private_seg_size, 0
	.set _ZN7rocprim17ROCPRIM_400000_NS6detail17trampoline_kernelINS0_14default_configENS1_25partition_config_selectorILNS1_17partition_subalgoE5ElNS0_10empty_typeEbEEZZNS1_14partition_implILS5_5ELb0ES3_mN6hipcub16HIPCUB_304000_NS21CountingInputIteratorIllEEPS6_NSA_22TransformInputIteratorIbN2at6native12_GLOBAL__N_19NonZeroOpIN3c108BFloat16EEEPKSK_lEENS0_5tupleIJPlS6_EEENSP_IJSD_SD_EEES6_PiJS6_EEE10hipError_tPvRmT3_T4_T5_T6_T7_T9_mT8_P12ihipStream_tbDpT10_ENKUlT_T0_E_clISt17integral_constantIbLb0EES1D_EEDaS18_S19_EUlS18_E_NS1_11comp_targetILNS1_3genE4ELNS1_11target_archE910ELNS1_3gpuE8ELNS1_3repE0EEENS1_30default_config_static_selectorELNS0_4arch9wavefront6targetE0EEEvT1_.uses_vcc, 0
	.set _ZN7rocprim17ROCPRIM_400000_NS6detail17trampoline_kernelINS0_14default_configENS1_25partition_config_selectorILNS1_17partition_subalgoE5ElNS0_10empty_typeEbEEZZNS1_14partition_implILS5_5ELb0ES3_mN6hipcub16HIPCUB_304000_NS21CountingInputIteratorIllEEPS6_NSA_22TransformInputIteratorIbN2at6native12_GLOBAL__N_19NonZeroOpIN3c108BFloat16EEEPKSK_lEENS0_5tupleIJPlS6_EEENSP_IJSD_SD_EEES6_PiJS6_EEE10hipError_tPvRmT3_T4_T5_T6_T7_T9_mT8_P12ihipStream_tbDpT10_ENKUlT_T0_E_clISt17integral_constantIbLb0EES1D_EEDaS18_S19_EUlS18_E_NS1_11comp_targetILNS1_3genE4ELNS1_11target_archE910ELNS1_3gpuE8ELNS1_3repE0EEENS1_30default_config_static_selectorELNS0_4arch9wavefront6targetE0EEEvT1_.uses_flat_scratch, 0
	.set _ZN7rocprim17ROCPRIM_400000_NS6detail17trampoline_kernelINS0_14default_configENS1_25partition_config_selectorILNS1_17partition_subalgoE5ElNS0_10empty_typeEbEEZZNS1_14partition_implILS5_5ELb0ES3_mN6hipcub16HIPCUB_304000_NS21CountingInputIteratorIllEEPS6_NSA_22TransformInputIteratorIbN2at6native12_GLOBAL__N_19NonZeroOpIN3c108BFloat16EEEPKSK_lEENS0_5tupleIJPlS6_EEENSP_IJSD_SD_EEES6_PiJS6_EEE10hipError_tPvRmT3_T4_T5_T6_T7_T9_mT8_P12ihipStream_tbDpT10_ENKUlT_T0_E_clISt17integral_constantIbLb0EES1D_EEDaS18_S19_EUlS18_E_NS1_11comp_targetILNS1_3genE4ELNS1_11target_archE910ELNS1_3gpuE8ELNS1_3repE0EEENS1_30default_config_static_selectorELNS0_4arch9wavefront6targetE0EEEvT1_.has_dyn_sized_stack, 0
	.set _ZN7rocprim17ROCPRIM_400000_NS6detail17trampoline_kernelINS0_14default_configENS1_25partition_config_selectorILNS1_17partition_subalgoE5ElNS0_10empty_typeEbEEZZNS1_14partition_implILS5_5ELb0ES3_mN6hipcub16HIPCUB_304000_NS21CountingInputIteratorIllEEPS6_NSA_22TransformInputIteratorIbN2at6native12_GLOBAL__N_19NonZeroOpIN3c108BFloat16EEEPKSK_lEENS0_5tupleIJPlS6_EEENSP_IJSD_SD_EEES6_PiJS6_EEE10hipError_tPvRmT3_T4_T5_T6_T7_T9_mT8_P12ihipStream_tbDpT10_ENKUlT_T0_E_clISt17integral_constantIbLb0EES1D_EEDaS18_S19_EUlS18_E_NS1_11comp_targetILNS1_3genE4ELNS1_11target_archE910ELNS1_3gpuE8ELNS1_3repE0EEENS1_30default_config_static_selectorELNS0_4arch9wavefront6targetE0EEEvT1_.has_recursion, 0
	.set _ZN7rocprim17ROCPRIM_400000_NS6detail17trampoline_kernelINS0_14default_configENS1_25partition_config_selectorILNS1_17partition_subalgoE5ElNS0_10empty_typeEbEEZZNS1_14partition_implILS5_5ELb0ES3_mN6hipcub16HIPCUB_304000_NS21CountingInputIteratorIllEEPS6_NSA_22TransformInputIteratorIbN2at6native12_GLOBAL__N_19NonZeroOpIN3c108BFloat16EEEPKSK_lEENS0_5tupleIJPlS6_EEENSP_IJSD_SD_EEES6_PiJS6_EEE10hipError_tPvRmT3_T4_T5_T6_T7_T9_mT8_P12ihipStream_tbDpT10_ENKUlT_T0_E_clISt17integral_constantIbLb0EES1D_EEDaS18_S19_EUlS18_E_NS1_11comp_targetILNS1_3genE4ELNS1_11target_archE910ELNS1_3gpuE8ELNS1_3repE0EEENS1_30default_config_static_selectorELNS0_4arch9wavefront6targetE0EEEvT1_.has_indirect_call, 0
	.section	.AMDGPU.csdata,"",@progbits
; Kernel info:
; codeLenInByte = 0
; TotalNumSgprs: 0
; NumVgprs: 0
; ScratchSize: 0
; MemoryBound: 0
; FloatMode: 240
; IeeeMode: 1
; LDSByteSize: 0 bytes/workgroup (compile time only)
; SGPRBlocks: 0
; VGPRBlocks: 0
; NumSGPRsForWavesPerEU: 1
; NumVGPRsForWavesPerEU: 1
; Occupancy: 16
; WaveLimiterHint : 0
; COMPUTE_PGM_RSRC2:SCRATCH_EN: 0
; COMPUTE_PGM_RSRC2:USER_SGPR: 2
; COMPUTE_PGM_RSRC2:TRAP_HANDLER: 0
; COMPUTE_PGM_RSRC2:TGID_X_EN: 1
; COMPUTE_PGM_RSRC2:TGID_Y_EN: 0
; COMPUTE_PGM_RSRC2:TGID_Z_EN: 0
; COMPUTE_PGM_RSRC2:TIDIG_COMP_CNT: 0
	.section	.text._ZN7rocprim17ROCPRIM_400000_NS6detail17trampoline_kernelINS0_14default_configENS1_25partition_config_selectorILNS1_17partition_subalgoE5ElNS0_10empty_typeEbEEZZNS1_14partition_implILS5_5ELb0ES3_mN6hipcub16HIPCUB_304000_NS21CountingInputIteratorIllEEPS6_NSA_22TransformInputIteratorIbN2at6native12_GLOBAL__N_19NonZeroOpIN3c108BFloat16EEEPKSK_lEENS0_5tupleIJPlS6_EEENSP_IJSD_SD_EEES6_PiJS6_EEE10hipError_tPvRmT3_T4_T5_T6_T7_T9_mT8_P12ihipStream_tbDpT10_ENKUlT_T0_E_clISt17integral_constantIbLb0EES1D_EEDaS18_S19_EUlS18_E_NS1_11comp_targetILNS1_3genE3ELNS1_11target_archE908ELNS1_3gpuE7ELNS1_3repE0EEENS1_30default_config_static_selectorELNS0_4arch9wavefront6targetE0EEEvT1_,"axG",@progbits,_ZN7rocprim17ROCPRIM_400000_NS6detail17trampoline_kernelINS0_14default_configENS1_25partition_config_selectorILNS1_17partition_subalgoE5ElNS0_10empty_typeEbEEZZNS1_14partition_implILS5_5ELb0ES3_mN6hipcub16HIPCUB_304000_NS21CountingInputIteratorIllEEPS6_NSA_22TransformInputIteratorIbN2at6native12_GLOBAL__N_19NonZeroOpIN3c108BFloat16EEEPKSK_lEENS0_5tupleIJPlS6_EEENSP_IJSD_SD_EEES6_PiJS6_EEE10hipError_tPvRmT3_T4_T5_T6_T7_T9_mT8_P12ihipStream_tbDpT10_ENKUlT_T0_E_clISt17integral_constantIbLb0EES1D_EEDaS18_S19_EUlS18_E_NS1_11comp_targetILNS1_3genE3ELNS1_11target_archE908ELNS1_3gpuE7ELNS1_3repE0EEENS1_30default_config_static_selectorELNS0_4arch9wavefront6targetE0EEEvT1_,comdat
	.globl	_ZN7rocprim17ROCPRIM_400000_NS6detail17trampoline_kernelINS0_14default_configENS1_25partition_config_selectorILNS1_17partition_subalgoE5ElNS0_10empty_typeEbEEZZNS1_14partition_implILS5_5ELb0ES3_mN6hipcub16HIPCUB_304000_NS21CountingInputIteratorIllEEPS6_NSA_22TransformInputIteratorIbN2at6native12_GLOBAL__N_19NonZeroOpIN3c108BFloat16EEEPKSK_lEENS0_5tupleIJPlS6_EEENSP_IJSD_SD_EEES6_PiJS6_EEE10hipError_tPvRmT3_T4_T5_T6_T7_T9_mT8_P12ihipStream_tbDpT10_ENKUlT_T0_E_clISt17integral_constantIbLb0EES1D_EEDaS18_S19_EUlS18_E_NS1_11comp_targetILNS1_3genE3ELNS1_11target_archE908ELNS1_3gpuE7ELNS1_3repE0EEENS1_30default_config_static_selectorELNS0_4arch9wavefront6targetE0EEEvT1_ ; -- Begin function _ZN7rocprim17ROCPRIM_400000_NS6detail17trampoline_kernelINS0_14default_configENS1_25partition_config_selectorILNS1_17partition_subalgoE5ElNS0_10empty_typeEbEEZZNS1_14partition_implILS5_5ELb0ES3_mN6hipcub16HIPCUB_304000_NS21CountingInputIteratorIllEEPS6_NSA_22TransformInputIteratorIbN2at6native12_GLOBAL__N_19NonZeroOpIN3c108BFloat16EEEPKSK_lEENS0_5tupleIJPlS6_EEENSP_IJSD_SD_EEES6_PiJS6_EEE10hipError_tPvRmT3_T4_T5_T6_T7_T9_mT8_P12ihipStream_tbDpT10_ENKUlT_T0_E_clISt17integral_constantIbLb0EES1D_EEDaS18_S19_EUlS18_E_NS1_11comp_targetILNS1_3genE3ELNS1_11target_archE908ELNS1_3gpuE7ELNS1_3repE0EEENS1_30default_config_static_selectorELNS0_4arch9wavefront6targetE0EEEvT1_
	.p2align	8
	.type	_ZN7rocprim17ROCPRIM_400000_NS6detail17trampoline_kernelINS0_14default_configENS1_25partition_config_selectorILNS1_17partition_subalgoE5ElNS0_10empty_typeEbEEZZNS1_14partition_implILS5_5ELb0ES3_mN6hipcub16HIPCUB_304000_NS21CountingInputIteratorIllEEPS6_NSA_22TransformInputIteratorIbN2at6native12_GLOBAL__N_19NonZeroOpIN3c108BFloat16EEEPKSK_lEENS0_5tupleIJPlS6_EEENSP_IJSD_SD_EEES6_PiJS6_EEE10hipError_tPvRmT3_T4_T5_T6_T7_T9_mT8_P12ihipStream_tbDpT10_ENKUlT_T0_E_clISt17integral_constantIbLb0EES1D_EEDaS18_S19_EUlS18_E_NS1_11comp_targetILNS1_3genE3ELNS1_11target_archE908ELNS1_3gpuE7ELNS1_3repE0EEENS1_30default_config_static_selectorELNS0_4arch9wavefront6targetE0EEEvT1_,@function
_ZN7rocprim17ROCPRIM_400000_NS6detail17trampoline_kernelINS0_14default_configENS1_25partition_config_selectorILNS1_17partition_subalgoE5ElNS0_10empty_typeEbEEZZNS1_14partition_implILS5_5ELb0ES3_mN6hipcub16HIPCUB_304000_NS21CountingInputIteratorIllEEPS6_NSA_22TransformInputIteratorIbN2at6native12_GLOBAL__N_19NonZeroOpIN3c108BFloat16EEEPKSK_lEENS0_5tupleIJPlS6_EEENSP_IJSD_SD_EEES6_PiJS6_EEE10hipError_tPvRmT3_T4_T5_T6_T7_T9_mT8_P12ihipStream_tbDpT10_ENKUlT_T0_E_clISt17integral_constantIbLb0EES1D_EEDaS18_S19_EUlS18_E_NS1_11comp_targetILNS1_3genE3ELNS1_11target_archE908ELNS1_3gpuE7ELNS1_3repE0EEENS1_30default_config_static_selectorELNS0_4arch9wavefront6targetE0EEEvT1_: ; @_ZN7rocprim17ROCPRIM_400000_NS6detail17trampoline_kernelINS0_14default_configENS1_25partition_config_selectorILNS1_17partition_subalgoE5ElNS0_10empty_typeEbEEZZNS1_14partition_implILS5_5ELb0ES3_mN6hipcub16HIPCUB_304000_NS21CountingInputIteratorIllEEPS6_NSA_22TransformInputIteratorIbN2at6native12_GLOBAL__N_19NonZeroOpIN3c108BFloat16EEEPKSK_lEENS0_5tupleIJPlS6_EEENSP_IJSD_SD_EEES6_PiJS6_EEE10hipError_tPvRmT3_T4_T5_T6_T7_T9_mT8_P12ihipStream_tbDpT10_ENKUlT_T0_E_clISt17integral_constantIbLb0EES1D_EEDaS18_S19_EUlS18_E_NS1_11comp_targetILNS1_3genE3ELNS1_11target_archE908ELNS1_3gpuE7ELNS1_3repE0EEENS1_30default_config_static_selectorELNS0_4arch9wavefront6targetE0EEEvT1_
; %bb.0:
	.section	.rodata,"a",@progbits
	.p2align	6, 0x0
	.amdhsa_kernel _ZN7rocprim17ROCPRIM_400000_NS6detail17trampoline_kernelINS0_14default_configENS1_25partition_config_selectorILNS1_17partition_subalgoE5ElNS0_10empty_typeEbEEZZNS1_14partition_implILS5_5ELb0ES3_mN6hipcub16HIPCUB_304000_NS21CountingInputIteratorIllEEPS6_NSA_22TransformInputIteratorIbN2at6native12_GLOBAL__N_19NonZeroOpIN3c108BFloat16EEEPKSK_lEENS0_5tupleIJPlS6_EEENSP_IJSD_SD_EEES6_PiJS6_EEE10hipError_tPvRmT3_T4_T5_T6_T7_T9_mT8_P12ihipStream_tbDpT10_ENKUlT_T0_E_clISt17integral_constantIbLb0EES1D_EEDaS18_S19_EUlS18_E_NS1_11comp_targetILNS1_3genE3ELNS1_11target_archE908ELNS1_3gpuE7ELNS1_3repE0EEENS1_30default_config_static_selectorELNS0_4arch9wavefront6targetE0EEEvT1_
		.amdhsa_group_segment_fixed_size 0
		.amdhsa_private_segment_fixed_size 0
		.amdhsa_kernarg_size 120
		.amdhsa_user_sgpr_count 2
		.amdhsa_user_sgpr_dispatch_ptr 0
		.amdhsa_user_sgpr_queue_ptr 0
		.amdhsa_user_sgpr_kernarg_segment_ptr 1
		.amdhsa_user_sgpr_dispatch_id 0
		.amdhsa_user_sgpr_private_segment_size 0
		.amdhsa_wavefront_size32 1
		.amdhsa_uses_dynamic_stack 0
		.amdhsa_enable_private_segment 0
		.amdhsa_system_sgpr_workgroup_id_x 1
		.amdhsa_system_sgpr_workgroup_id_y 0
		.amdhsa_system_sgpr_workgroup_id_z 0
		.amdhsa_system_sgpr_workgroup_info 0
		.amdhsa_system_vgpr_workitem_id 0
		.amdhsa_next_free_vgpr 1
		.amdhsa_next_free_sgpr 1
		.amdhsa_reserve_vcc 0
		.amdhsa_float_round_mode_32 0
		.amdhsa_float_round_mode_16_64 0
		.amdhsa_float_denorm_mode_32 3
		.amdhsa_float_denorm_mode_16_64 3
		.amdhsa_fp16_overflow 0
		.amdhsa_workgroup_processor_mode 1
		.amdhsa_memory_ordered 1
		.amdhsa_forward_progress 1
		.amdhsa_inst_pref_size 0
		.amdhsa_round_robin_scheduling 0
		.amdhsa_exception_fp_ieee_invalid_op 0
		.amdhsa_exception_fp_denorm_src 0
		.amdhsa_exception_fp_ieee_div_zero 0
		.amdhsa_exception_fp_ieee_overflow 0
		.amdhsa_exception_fp_ieee_underflow 0
		.amdhsa_exception_fp_ieee_inexact 0
		.amdhsa_exception_int_div_zero 0
	.end_amdhsa_kernel
	.section	.text._ZN7rocprim17ROCPRIM_400000_NS6detail17trampoline_kernelINS0_14default_configENS1_25partition_config_selectorILNS1_17partition_subalgoE5ElNS0_10empty_typeEbEEZZNS1_14partition_implILS5_5ELb0ES3_mN6hipcub16HIPCUB_304000_NS21CountingInputIteratorIllEEPS6_NSA_22TransformInputIteratorIbN2at6native12_GLOBAL__N_19NonZeroOpIN3c108BFloat16EEEPKSK_lEENS0_5tupleIJPlS6_EEENSP_IJSD_SD_EEES6_PiJS6_EEE10hipError_tPvRmT3_T4_T5_T6_T7_T9_mT8_P12ihipStream_tbDpT10_ENKUlT_T0_E_clISt17integral_constantIbLb0EES1D_EEDaS18_S19_EUlS18_E_NS1_11comp_targetILNS1_3genE3ELNS1_11target_archE908ELNS1_3gpuE7ELNS1_3repE0EEENS1_30default_config_static_selectorELNS0_4arch9wavefront6targetE0EEEvT1_,"axG",@progbits,_ZN7rocprim17ROCPRIM_400000_NS6detail17trampoline_kernelINS0_14default_configENS1_25partition_config_selectorILNS1_17partition_subalgoE5ElNS0_10empty_typeEbEEZZNS1_14partition_implILS5_5ELb0ES3_mN6hipcub16HIPCUB_304000_NS21CountingInputIteratorIllEEPS6_NSA_22TransformInputIteratorIbN2at6native12_GLOBAL__N_19NonZeroOpIN3c108BFloat16EEEPKSK_lEENS0_5tupleIJPlS6_EEENSP_IJSD_SD_EEES6_PiJS6_EEE10hipError_tPvRmT3_T4_T5_T6_T7_T9_mT8_P12ihipStream_tbDpT10_ENKUlT_T0_E_clISt17integral_constantIbLb0EES1D_EEDaS18_S19_EUlS18_E_NS1_11comp_targetILNS1_3genE3ELNS1_11target_archE908ELNS1_3gpuE7ELNS1_3repE0EEENS1_30default_config_static_selectorELNS0_4arch9wavefront6targetE0EEEvT1_,comdat
.Lfunc_end801:
	.size	_ZN7rocprim17ROCPRIM_400000_NS6detail17trampoline_kernelINS0_14default_configENS1_25partition_config_selectorILNS1_17partition_subalgoE5ElNS0_10empty_typeEbEEZZNS1_14partition_implILS5_5ELb0ES3_mN6hipcub16HIPCUB_304000_NS21CountingInputIteratorIllEEPS6_NSA_22TransformInputIteratorIbN2at6native12_GLOBAL__N_19NonZeroOpIN3c108BFloat16EEEPKSK_lEENS0_5tupleIJPlS6_EEENSP_IJSD_SD_EEES6_PiJS6_EEE10hipError_tPvRmT3_T4_T5_T6_T7_T9_mT8_P12ihipStream_tbDpT10_ENKUlT_T0_E_clISt17integral_constantIbLb0EES1D_EEDaS18_S19_EUlS18_E_NS1_11comp_targetILNS1_3genE3ELNS1_11target_archE908ELNS1_3gpuE7ELNS1_3repE0EEENS1_30default_config_static_selectorELNS0_4arch9wavefront6targetE0EEEvT1_, .Lfunc_end801-_ZN7rocprim17ROCPRIM_400000_NS6detail17trampoline_kernelINS0_14default_configENS1_25partition_config_selectorILNS1_17partition_subalgoE5ElNS0_10empty_typeEbEEZZNS1_14partition_implILS5_5ELb0ES3_mN6hipcub16HIPCUB_304000_NS21CountingInputIteratorIllEEPS6_NSA_22TransformInputIteratorIbN2at6native12_GLOBAL__N_19NonZeroOpIN3c108BFloat16EEEPKSK_lEENS0_5tupleIJPlS6_EEENSP_IJSD_SD_EEES6_PiJS6_EEE10hipError_tPvRmT3_T4_T5_T6_T7_T9_mT8_P12ihipStream_tbDpT10_ENKUlT_T0_E_clISt17integral_constantIbLb0EES1D_EEDaS18_S19_EUlS18_E_NS1_11comp_targetILNS1_3genE3ELNS1_11target_archE908ELNS1_3gpuE7ELNS1_3repE0EEENS1_30default_config_static_selectorELNS0_4arch9wavefront6targetE0EEEvT1_
                                        ; -- End function
	.set _ZN7rocprim17ROCPRIM_400000_NS6detail17trampoline_kernelINS0_14default_configENS1_25partition_config_selectorILNS1_17partition_subalgoE5ElNS0_10empty_typeEbEEZZNS1_14partition_implILS5_5ELb0ES3_mN6hipcub16HIPCUB_304000_NS21CountingInputIteratorIllEEPS6_NSA_22TransformInputIteratorIbN2at6native12_GLOBAL__N_19NonZeroOpIN3c108BFloat16EEEPKSK_lEENS0_5tupleIJPlS6_EEENSP_IJSD_SD_EEES6_PiJS6_EEE10hipError_tPvRmT3_T4_T5_T6_T7_T9_mT8_P12ihipStream_tbDpT10_ENKUlT_T0_E_clISt17integral_constantIbLb0EES1D_EEDaS18_S19_EUlS18_E_NS1_11comp_targetILNS1_3genE3ELNS1_11target_archE908ELNS1_3gpuE7ELNS1_3repE0EEENS1_30default_config_static_selectorELNS0_4arch9wavefront6targetE0EEEvT1_.num_vgpr, 0
	.set _ZN7rocprim17ROCPRIM_400000_NS6detail17trampoline_kernelINS0_14default_configENS1_25partition_config_selectorILNS1_17partition_subalgoE5ElNS0_10empty_typeEbEEZZNS1_14partition_implILS5_5ELb0ES3_mN6hipcub16HIPCUB_304000_NS21CountingInputIteratorIllEEPS6_NSA_22TransformInputIteratorIbN2at6native12_GLOBAL__N_19NonZeroOpIN3c108BFloat16EEEPKSK_lEENS0_5tupleIJPlS6_EEENSP_IJSD_SD_EEES6_PiJS6_EEE10hipError_tPvRmT3_T4_T5_T6_T7_T9_mT8_P12ihipStream_tbDpT10_ENKUlT_T0_E_clISt17integral_constantIbLb0EES1D_EEDaS18_S19_EUlS18_E_NS1_11comp_targetILNS1_3genE3ELNS1_11target_archE908ELNS1_3gpuE7ELNS1_3repE0EEENS1_30default_config_static_selectorELNS0_4arch9wavefront6targetE0EEEvT1_.num_agpr, 0
	.set _ZN7rocprim17ROCPRIM_400000_NS6detail17trampoline_kernelINS0_14default_configENS1_25partition_config_selectorILNS1_17partition_subalgoE5ElNS0_10empty_typeEbEEZZNS1_14partition_implILS5_5ELb0ES3_mN6hipcub16HIPCUB_304000_NS21CountingInputIteratorIllEEPS6_NSA_22TransformInputIteratorIbN2at6native12_GLOBAL__N_19NonZeroOpIN3c108BFloat16EEEPKSK_lEENS0_5tupleIJPlS6_EEENSP_IJSD_SD_EEES6_PiJS6_EEE10hipError_tPvRmT3_T4_T5_T6_T7_T9_mT8_P12ihipStream_tbDpT10_ENKUlT_T0_E_clISt17integral_constantIbLb0EES1D_EEDaS18_S19_EUlS18_E_NS1_11comp_targetILNS1_3genE3ELNS1_11target_archE908ELNS1_3gpuE7ELNS1_3repE0EEENS1_30default_config_static_selectorELNS0_4arch9wavefront6targetE0EEEvT1_.numbered_sgpr, 0
	.set _ZN7rocprim17ROCPRIM_400000_NS6detail17trampoline_kernelINS0_14default_configENS1_25partition_config_selectorILNS1_17partition_subalgoE5ElNS0_10empty_typeEbEEZZNS1_14partition_implILS5_5ELb0ES3_mN6hipcub16HIPCUB_304000_NS21CountingInputIteratorIllEEPS6_NSA_22TransformInputIteratorIbN2at6native12_GLOBAL__N_19NonZeroOpIN3c108BFloat16EEEPKSK_lEENS0_5tupleIJPlS6_EEENSP_IJSD_SD_EEES6_PiJS6_EEE10hipError_tPvRmT3_T4_T5_T6_T7_T9_mT8_P12ihipStream_tbDpT10_ENKUlT_T0_E_clISt17integral_constantIbLb0EES1D_EEDaS18_S19_EUlS18_E_NS1_11comp_targetILNS1_3genE3ELNS1_11target_archE908ELNS1_3gpuE7ELNS1_3repE0EEENS1_30default_config_static_selectorELNS0_4arch9wavefront6targetE0EEEvT1_.num_named_barrier, 0
	.set _ZN7rocprim17ROCPRIM_400000_NS6detail17trampoline_kernelINS0_14default_configENS1_25partition_config_selectorILNS1_17partition_subalgoE5ElNS0_10empty_typeEbEEZZNS1_14partition_implILS5_5ELb0ES3_mN6hipcub16HIPCUB_304000_NS21CountingInputIteratorIllEEPS6_NSA_22TransformInputIteratorIbN2at6native12_GLOBAL__N_19NonZeroOpIN3c108BFloat16EEEPKSK_lEENS0_5tupleIJPlS6_EEENSP_IJSD_SD_EEES6_PiJS6_EEE10hipError_tPvRmT3_T4_T5_T6_T7_T9_mT8_P12ihipStream_tbDpT10_ENKUlT_T0_E_clISt17integral_constantIbLb0EES1D_EEDaS18_S19_EUlS18_E_NS1_11comp_targetILNS1_3genE3ELNS1_11target_archE908ELNS1_3gpuE7ELNS1_3repE0EEENS1_30default_config_static_selectorELNS0_4arch9wavefront6targetE0EEEvT1_.private_seg_size, 0
	.set _ZN7rocprim17ROCPRIM_400000_NS6detail17trampoline_kernelINS0_14default_configENS1_25partition_config_selectorILNS1_17partition_subalgoE5ElNS0_10empty_typeEbEEZZNS1_14partition_implILS5_5ELb0ES3_mN6hipcub16HIPCUB_304000_NS21CountingInputIteratorIllEEPS6_NSA_22TransformInputIteratorIbN2at6native12_GLOBAL__N_19NonZeroOpIN3c108BFloat16EEEPKSK_lEENS0_5tupleIJPlS6_EEENSP_IJSD_SD_EEES6_PiJS6_EEE10hipError_tPvRmT3_T4_T5_T6_T7_T9_mT8_P12ihipStream_tbDpT10_ENKUlT_T0_E_clISt17integral_constantIbLb0EES1D_EEDaS18_S19_EUlS18_E_NS1_11comp_targetILNS1_3genE3ELNS1_11target_archE908ELNS1_3gpuE7ELNS1_3repE0EEENS1_30default_config_static_selectorELNS0_4arch9wavefront6targetE0EEEvT1_.uses_vcc, 0
	.set _ZN7rocprim17ROCPRIM_400000_NS6detail17trampoline_kernelINS0_14default_configENS1_25partition_config_selectorILNS1_17partition_subalgoE5ElNS0_10empty_typeEbEEZZNS1_14partition_implILS5_5ELb0ES3_mN6hipcub16HIPCUB_304000_NS21CountingInputIteratorIllEEPS6_NSA_22TransformInputIteratorIbN2at6native12_GLOBAL__N_19NonZeroOpIN3c108BFloat16EEEPKSK_lEENS0_5tupleIJPlS6_EEENSP_IJSD_SD_EEES6_PiJS6_EEE10hipError_tPvRmT3_T4_T5_T6_T7_T9_mT8_P12ihipStream_tbDpT10_ENKUlT_T0_E_clISt17integral_constantIbLb0EES1D_EEDaS18_S19_EUlS18_E_NS1_11comp_targetILNS1_3genE3ELNS1_11target_archE908ELNS1_3gpuE7ELNS1_3repE0EEENS1_30default_config_static_selectorELNS0_4arch9wavefront6targetE0EEEvT1_.uses_flat_scratch, 0
	.set _ZN7rocprim17ROCPRIM_400000_NS6detail17trampoline_kernelINS0_14default_configENS1_25partition_config_selectorILNS1_17partition_subalgoE5ElNS0_10empty_typeEbEEZZNS1_14partition_implILS5_5ELb0ES3_mN6hipcub16HIPCUB_304000_NS21CountingInputIteratorIllEEPS6_NSA_22TransformInputIteratorIbN2at6native12_GLOBAL__N_19NonZeroOpIN3c108BFloat16EEEPKSK_lEENS0_5tupleIJPlS6_EEENSP_IJSD_SD_EEES6_PiJS6_EEE10hipError_tPvRmT3_T4_T5_T6_T7_T9_mT8_P12ihipStream_tbDpT10_ENKUlT_T0_E_clISt17integral_constantIbLb0EES1D_EEDaS18_S19_EUlS18_E_NS1_11comp_targetILNS1_3genE3ELNS1_11target_archE908ELNS1_3gpuE7ELNS1_3repE0EEENS1_30default_config_static_selectorELNS0_4arch9wavefront6targetE0EEEvT1_.has_dyn_sized_stack, 0
	.set _ZN7rocprim17ROCPRIM_400000_NS6detail17trampoline_kernelINS0_14default_configENS1_25partition_config_selectorILNS1_17partition_subalgoE5ElNS0_10empty_typeEbEEZZNS1_14partition_implILS5_5ELb0ES3_mN6hipcub16HIPCUB_304000_NS21CountingInputIteratorIllEEPS6_NSA_22TransformInputIteratorIbN2at6native12_GLOBAL__N_19NonZeroOpIN3c108BFloat16EEEPKSK_lEENS0_5tupleIJPlS6_EEENSP_IJSD_SD_EEES6_PiJS6_EEE10hipError_tPvRmT3_T4_T5_T6_T7_T9_mT8_P12ihipStream_tbDpT10_ENKUlT_T0_E_clISt17integral_constantIbLb0EES1D_EEDaS18_S19_EUlS18_E_NS1_11comp_targetILNS1_3genE3ELNS1_11target_archE908ELNS1_3gpuE7ELNS1_3repE0EEENS1_30default_config_static_selectorELNS0_4arch9wavefront6targetE0EEEvT1_.has_recursion, 0
	.set _ZN7rocprim17ROCPRIM_400000_NS6detail17trampoline_kernelINS0_14default_configENS1_25partition_config_selectorILNS1_17partition_subalgoE5ElNS0_10empty_typeEbEEZZNS1_14partition_implILS5_5ELb0ES3_mN6hipcub16HIPCUB_304000_NS21CountingInputIteratorIllEEPS6_NSA_22TransformInputIteratorIbN2at6native12_GLOBAL__N_19NonZeroOpIN3c108BFloat16EEEPKSK_lEENS0_5tupleIJPlS6_EEENSP_IJSD_SD_EEES6_PiJS6_EEE10hipError_tPvRmT3_T4_T5_T6_T7_T9_mT8_P12ihipStream_tbDpT10_ENKUlT_T0_E_clISt17integral_constantIbLb0EES1D_EEDaS18_S19_EUlS18_E_NS1_11comp_targetILNS1_3genE3ELNS1_11target_archE908ELNS1_3gpuE7ELNS1_3repE0EEENS1_30default_config_static_selectorELNS0_4arch9wavefront6targetE0EEEvT1_.has_indirect_call, 0
	.section	.AMDGPU.csdata,"",@progbits
; Kernel info:
; codeLenInByte = 0
; TotalNumSgprs: 0
; NumVgprs: 0
; ScratchSize: 0
; MemoryBound: 0
; FloatMode: 240
; IeeeMode: 1
; LDSByteSize: 0 bytes/workgroup (compile time only)
; SGPRBlocks: 0
; VGPRBlocks: 0
; NumSGPRsForWavesPerEU: 1
; NumVGPRsForWavesPerEU: 1
; Occupancy: 16
; WaveLimiterHint : 0
; COMPUTE_PGM_RSRC2:SCRATCH_EN: 0
; COMPUTE_PGM_RSRC2:USER_SGPR: 2
; COMPUTE_PGM_RSRC2:TRAP_HANDLER: 0
; COMPUTE_PGM_RSRC2:TGID_X_EN: 1
; COMPUTE_PGM_RSRC2:TGID_Y_EN: 0
; COMPUTE_PGM_RSRC2:TGID_Z_EN: 0
; COMPUTE_PGM_RSRC2:TIDIG_COMP_CNT: 0
	.section	.text._ZN7rocprim17ROCPRIM_400000_NS6detail17trampoline_kernelINS0_14default_configENS1_25partition_config_selectorILNS1_17partition_subalgoE5ElNS0_10empty_typeEbEEZZNS1_14partition_implILS5_5ELb0ES3_mN6hipcub16HIPCUB_304000_NS21CountingInputIteratorIllEEPS6_NSA_22TransformInputIteratorIbN2at6native12_GLOBAL__N_19NonZeroOpIN3c108BFloat16EEEPKSK_lEENS0_5tupleIJPlS6_EEENSP_IJSD_SD_EEES6_PiJS6_EEE10hipError_tPvRmT3_T4_T5_T6_T7_T9_mT8_P12ihipStream_tbDpT10_ENKUlT_T0_E_clISt17integral_constantIbLb0EES1D_EEDaS18_S19_EUlS18_E_NS1_11comp_targetILNS1_3genE2ELNS1_11target_archE906ELNS1_3gpuE6ELNS1_3repE0EEENS1_30default_config_static_selectorELNS0_4arch9wavefront6targetE0EEEvT1_,"axG",@progbits,_ZN7rocprim17ROCPRIM_400000_NS6detail17trampoline_kernelINS0_14default_configENS1_25partition_config_selectorILNS1_17partition_subalgoE5ElNS0_10empty_typeEbEEZZNS1_14partition_implILS5_5ELb0ES3_mN6hipcub16HIPCUB_304000_NS21CountingInputIteratorIllEEPS6_NSA_22TransformInputIteratorIbN2at6native12_GLOBAL__N_19NonZeroOpIN3c108BFloat16EEEPKSK_lEENS0_5tupleIJPlS6_EEENSP_IJSD_SD_EEES6_PiJS6_EEE10hipError_tPvRmT3_T4_T5_T6_T7_T9_mT8_P12ihipStream_tbDpT10_ENKUlT_T0_E_clISt17integral_constantIbLb0EES1D_EEDaS18_S19_EUlS18_E_NS1_11comp_targetILNS1_3genE2ELNS1_11target_archE906ELNS1_3gpuE6ELNS1_3repE0EEENS1_30default_config_static_selectorELNS0_4arch9wavefront6targetE0EEEvT1_,comdat
	.globl	_ZN7rocprim17ROCPRIM_400000_NS6detail17trampoline_kernelINS0_14default_configENS1_25partition_config_selectorILNS1_17partition_subalgoE5ElNS0_10empty_typeEbEEZZNS1_14partition_implILS5_5ELb0ES3_mN6hipcub16HIPCUB_304000_NS21CountingInputIteratorIllEEPS6_NSA_22TransformInputIteratorIbN2at6native12_GLOBAL__N_19NonZeroOpIN3c108BFloat16EEEPKSK_lEENS0_5tupleIJPlS6_EEENSP_IJSD_SD_EEES6_PiJS6_EEE10hipError_tPvRmT3_T4_T5_T6_T7_T9_mT8_P12ihipStream_tbDpT10_ENKUlT_T0_E_clISt17integral_constantIbLb0EES1D_EEDaS18_S19_EUlS18_E_NS1_11comp_targetILNS1_3genE2ELNS1_11target_archE906ELNS1_3gpuE6ELNS1_3repE0EEENS1_30default_config_static_selectorELNS0_4arch9wavefront6targetE0EEEvT1_ ; -- Begin function _ZN7rocprim17ROCPRIM_400000_NS6detail17trampoline_kernelINS0_14default_configENS1_25partition_config_selectorILNS1_17partition_subalgoE5ElNS0_10empty_typeEbEEZZNS1_14partition_implILS5_5ELb0ES3_mN6hipcub16HIPCUB_304000_NS21CountingInputIteratorIllEEPS6_NSA_22TransformInputIteratorIbN2at6native12_GLOBAL__N_19NonZeroOpIN3c108BFloat16EEEPKSK_lEENS0_5tupleIJPlS6_EEENSP_IJSD_SD_EEES6_PiJS6_EEE10hipError_tPvRmT3_T4_T5_T6_T7_T9_mT8_P12ihipStream_tbDpT10_ENKUlT_T0_E_clISt17integral_constantIbLb0EES1D_EEDaS18_S19_EUlS18_E_NS1_11comp_targetILNS1_3genE2ELNS1_11target_archE906ELNS1_3gpuE6ELNS1_3repE0EEENS1_30default_config_static_selectorELNS0_4arch9wavefront6targetE0EEEvT1_
	.p2align	8
	.type	_ZN7rocprim17ROCPRIM_400000_NS6detail17trampoline_kernelINS0_14default_configENS1_25partition_config_selectorILNS1_17partition_subalgoE5ElNS0_10empty_typeEbEEZZNS1_14partition_implILS5_5ELb0ES3_mN6hipcub16HIPCUB_304000_NS21CountingInputIteratorIllEEPS6_NSA_22TransformInputIteratorIbN2at6native12_GLOBAL__N_19NonZeroOpIN3c108BFloat16EEEPKSK_lEENS0_5tupleIJPlS6_EEENSP_IJSD_SD_EEES6_PiJS6_EEE10hipError_tPvRmT3_T4_T5_T6_T7_T9_mT8_P12ihipStream_tbDpT10_ENKUlT_T0_E_clISt17integral_constantIbLb0EES1D_EEDaS18_S19_EUlS18_E_NS1_11comp_targetILNS1_3genE2ELNS1_11target_archE906ELNS1_3gpuE6ELNS1_3repE0EEENS1_30default_config_static_selectorELNS0_4arch9wavefront6targetE0EEEvT1_,@function
_ZN7rocprim17ROCPRIM_400000_NS6detail17trampoline_kernelINS0_14default_configENS1_25partition_config_selectorILNS1_17partition_subalgoE5ElNS0_10empty_typeEbEEZZNS1_14partition_implILS5_5ELb0ES3_mN6hipcub16HIPCUB_304000_NS21CountingInputIteratorIllEEPS6_NSA_22TransformInputIteratorIbN2at6native12_GLOBAL__N_19NonZeroOpIN3c108BFloat16EEEPKSK_lEENS0_5tupleIJPlS6_EEENSP_IJSD_SD_EEES6_PiJS6_EEE10hipError_tPvRmT3_T4_T5_T6_T7_T9_mT8_P12ihipStream_tbDpT10_ENKUlT_T0_E_clISt17integral_constantIbLb0EES1D_EEDaS18_S19_EUlS18_E_NS1_11comp_targetILNS1_3genE2ELNS1_11target_archE906ELNS1_3gpuE6ELNS1_3repE0EEENS1_30default_config_static_selectorELNS0_4arch9wavefront6targetE0EEEvT1_: ; @_ZN7rocprim17ROCPRIM_400000_NS6detail17trampoline_kernelINS0_14default_configENS1_25partition_config_selectorILNS1_17partition_subalgoE5ElNS0_10empty_typeEbEEZZNS1_14partition_implILS5_5ELb0ES3_mN6hipcub16HIPCUB_304000_NS21CountingInputIteratorIllEEPS6_NSA_22TransformInputIteratorIbN2at6native12_GLOBAL__N_19NonZeroOpIN3c108BFloat16EEEPKSK_lEENS0_5tupleIJPlS6_EEENSP_IJSD_SD_EEES6_PiJS6_EEE10hipError_tPvRmT3_T4_T5_T6_T7_T9_mT8_P12ihipStream_tbDpT10_ENKUlT_T0_E_clISt17integral_constantIbLb0EES1D_EEDaS18_S19_EUlS18_E_NS1_11comp_targetILNS1_3genE2ELNS1_11target_archE906ELNS1_3gpuE6ELNS1_3repE0EEENS1_30default_config_static_selectorELNS0_4arch9wavefront6targetE0EEEvT1_
; %bb.0:
	.section	.rodata,"a",@progbits
	.p2align	6, 0x0
	.amdhsa_kernel _ZN7rocprim17ROCPRIM_400000_NS6detail17trampoline_kernelINS0_14default_configENS1_25partition_config_selectorILNS1_17partition_subalgoE5ElNS0_10empty_typeEbEEZZNS1_14partition_implILS5_5ELb0ES3_mN6hipcub16HIPCUB_304000_NS21CountingInputIteratorIllEEPS6_NSA_22TransformInputIteratorIbN2at6native12_GLOBAL__N_19NonZeroOpIN3c108BFloat16EEEPKSK_lEENS0_5tupleIJPlS6_EEENSP_IJSD_SD_EEES6_PiJS6_EEE10hipError_tPvRmT3_T4_T5_T6_T7_T9_mT8_P12ihipStream_tbDpT10_ENKUlT_T0_E_clISt17integral_constantIbLb0EES1D_EEDaS18_S19_EUlS18_E_NS1_11comp_targetILNS1_3genE2ELNS1_11target_archE906ELNS1_3gpuE6ELNS1_3repE0EEENS1_30default_config_static_selectorELNS0_4arch9wavefront6targetE0EEEvT1_
		.amdhsa_group_segment_fixed_size 0
		.amdhsa_private_segment_fixed_size 0
		.amdhsa_kernarg_size 120
		.amdhsa_user_sgpr_count 2
		.amdhsa_user_sgpr_dispatch_ptr 0
		.amdhsa_user_sgpr_queue_ptr 0
		.amdhsa_user_sgpr_kernarg_segment_ptr 1
		.amdhsa_user_sgpr_dispatch_id 0
		.amdhsa_user_sgpr_private_segment_size 0
		.amdhsa_wavefront_size32 1
		.amdhsa_uses_dynamic_stack 0
		.amdhsa_enable_private_segment 0
		.amdhsa_system_sgpr_workgroup_id_x 1
		.amdhsa_system_sgpr_workgroup_id_y 0
		.amdhsa_system_sgpr_workgroup_id_z 0
		.amdhsa_system_sgpr_workgroup_info 0
		.amdhsa_system_vgpr_workitem_id 0
		.amdhsa_next_free_vgpr 1
		.amdhsa_next_free_sgpr 1
		.amdhsa_reserve_vcc 0
		.amdhsa_float_round_mode_32 0
		.amdhsa_float_round_mode_16_64 0
		.amdhsa_float_denorm_mode_32 3
		.amdhsa_float_denorm_mode_16_64 3
		.amdhsa_fp16_overflow 0
		.amdhsa_workgroup_processor_mode 1
		.amdhsa_memory_ordered 1
		.amdhsa_forward_progress 1
		.amdhsa_inst_pref_size 0
		.amdhsa_round_robin_scheduling 0
		.amdhsa_exception_fp_ieee_invalid_op 0
		.amdhsa_exception_fp_denorm_src 0
		.amdhsa_exception_fp_ieee_div_zero 0
		.amdhsa_exception_fp_ieee_overflow 0
		.amdhsa_exception_fp_ieee_underflow 0
		.amdhsa_exception_fp_ieee_inexact 0
		.amdhsa_exception_int_div_zero 0
	.end_amdhsa_kernel
	.section	.text._ZN7rocprim17ROCPRIM_400000_NS6detail17trampoline_kernelINS0_14default_configENS1_25partition_config_selectorILNS1_17partition_subalgoE5ElNS0_10empty_typeEbEEZZNS1_14partition_implILS5_5ELb0ES3_mN6hipcub16HIPCUB_304000_NS21CountingInputIteratorIllEEPS6_NSA_22TransformInputIteratorIbN2at6native12_GLOBAL__N_19NonZeroOpIN3c108BFloat16EEEPKSK_lEENS0_5tupleIJPlS6_EEENSP_IJSD_SD_EEES6_PiJS6_EEE10hipError_tPvRmT3_T4_T5_T6_T7_T9_mT8_P12ihipStream_tbDpT10_ENKUlT_T0_E_clISt17integral_constantIbLb0EES1D_EEDaS18_S19_EUlS18_E_NS1_11comp_targetILNS1_3genE2ELNS1_11target_archE906ELNS1_3gpuE6ELNS1_3repE0EEENS1_30default_config_static_selectorELNS0_4arch9wavefront6targetE0EEEvT1_,"axG",@progbits,_ZN7rocprim17ROCPRIM_400000_NS6detail17trampoline_kernelINS0_14default_configENS1_25partition_config_selectorILNS1_17partition_subalgoE5ElNS0_10empty_typeEbEEZZNS1_14partition_implILS5_5ELb0ES3_mN6hipcub16HIPCUB_304000_NS21CountingInputIteratorIllEEPS6_NSA_22TransformInputIteratorIbN2at6native12_GLOBAL__N_19NonZeroOpIN3c108BFloat16EEEPKSK_lEENS0_5tupleIJPlS6_EEENSP_IJSD_SD_EEES6_PiJS6_EEE10hipError_tPvRmT3_T4_T5_T6_T7_T9_mT8_P12ihipStream_tbDpT10_ENKUlT_T0_E_clISt17integral_constantIbLb0EES1D_EEDaS18_S19_EUlS18_E_NS1_11comp_targetILNS1_3genE2ELNS1_11target_archE906ELNS1_3gpuE6ELNS1_3repE0EEENS1_30default_config_static_selectorELNS0_4arch9wavefront6targetE0EEEvT1_,comdat
.Lfunc_end802:
	.size	_ZN7rocprim17ROCPRIM_400000_NS6detail17trampoline_kernelINS0_14default_configENS1_25partition_config_selectorILNS1_17partition_subalgoE5ElNS0_10empty_typeEbEEZZNS1_14partition_implILS5_5ELb0ES3_mN6hipcub16HIPCUB_304000_NS21CountingInputIteratorIllEEPS6_NSA_22TransformInputIteratorIbN2at6native12_GLOBAL__N_19NonZeroOpIN3c108BFloat16EEEPKSK_lEENS0_5tupleIJPlS6_EEENSP_IJSD_SD_EEES6_PiJS6_EEE10hipError_tPvRmT3_T4_T5_T6_T7_T9_mT8_P12ihipStream_tbDpT10_ENKUlT_T0_E_clISt17integral_constantIbLb0EES1D_EEDaS18_S19_EUlS18_E_NS1_11comp_targetILNS1_3genE2ELNS1_11target_archE906ELNS1_3gpuE6ELNS1_3repE0EEENS1_30default_config_static_selectorELNS0_4arch9wavefront6targetE0EEEvT1_, .Lfunc_end802-_ZN7rocprim17ROCPRIM_400000_NS6detail17trampoline_kernelINS0_14default_configENS1_25partition_config_selectorILNS1_17partition_subalgoE5ElNS0_10empty_typeEbEEZZNS1_14partition_implILS5_5ELb0ES3_mN6hipcub16HIPCUB_304000_NS21CountingInputIteratorIllEEPS6_NSA_22TransformInputIteratorIbN2at6native12_GLOBAL__N_19NonZeroOpIN3c108BFloat16EEEPKSK_lEENS0_5tupleIJPlS6_EEENSP_IJSD_SD_EEES6_PiJS6_EEE10hipError_tPvRmT3_T4_T5_T6_T7_T9_mT8_P12ihipStream_tbDpT10_ENKUlT_T0_E_clISt17integral_constantIbLb0EES1D_EEDaS18_S19_EUlS18_E_NS1_11comp_targetILNS1_3genE2ELNS1_11target_archE906ELNS1_3gpuE6ELNS1_3repE0EEENS1_30default_config_static_selectorELNS0_4arch9wavefront6targetE0EEEvT1_
                                        ; -- End function
	.set _ZN7rocprim17ROCPRIM_400000_NS6detail17trampoline_kernelINS0_14default_configENS1_25partition_config_selectorILNS1_17partition_subalgoE5ElNS0_10empty_typeEbEEZZNS1_14partition_implILS5_5ELb0ES3_mN6hipcub16HIPCUB_304000_NS21CountingInputIteratorIllEEPS6_NSA_22TransformInputIteratorIbN2at6native12_GLOBAL__N_19NonZeroOpIN3c108BFloat16EEEPKSK_lEENS0_5tupleIJPlS6_EEENSP_IJSD_SD_EEES6_PiJS6_EEE10hipError_tPvRmT3_T4_T5_T6_T7_T9_mT8_P12ihipStream_tbDpT10_ENKUlT_T0_E_clISt17integral_constantIbLb0EES1D_EEDaS18_S19_EUlS18_E_NS1_11comp_targetILNS1_3genE2ELNS1_11target_archE906ELNS1_3gpuE6ELNS1_3repE0EEENS1_30default_config_static_selectorELNS0_4arch9wavefront6targetE0EEEvT1_.num_vgpr, 0
	.set _ZN7rocprim17ROCPRIM_400000_NS6detail17trampoline_kernelINS0_14default_configENS1_25partition_config_selectorILNS1_17partition_subalgoE5ElNS0_10empty_typeEbEEZZNS1_14partition_implILS5_5ELb0ES3_mN6hipcub16HIPCUB_304000_NS21CountingInputIteratorIllEEPS6_NSA_22TransformInputIteratorIbN2at6native12_GLOBAL__N_19NonZeroOpIN3c108BFloat16EEEPKSK_lEENS0_5tupleIJPlS6_EEENSP_IJSD_SD_EEES6_PiJS6_EEE10hipError_tPvRmT3_T4_T5_T6_T7_T9_mT8_P12ihipStream_tbDpT10_ENKUlT_T0_E_clISt17integral_constantIbLb0EES1D_EEDaS18_S19_EUlS18_E_NS1_11comp_targetILNS1_3genE2ELNS1_11target_archE906ELNS1_3gpuE6ELNS1_3repE0EEENS1_30default_config_static_selectorELNS0_4arch9wavefront6targetE0EEEvT1_.num_agpr, 0
	.set _ZN7rocprim17ROCPRIM_400000_NS6detail17trampoline_kernelINS0_14default_configENS1_25partition_config_selectorILNS1_17partition_subalgoE5ElNS0_10empty_typeEbEEZZNS1_14partition_implILS5_5ELb0ES3_mN6hipcub16HIPCUB_304000_NS21CountingInputIteratorIllEEPS6_NSA_22TransformInputIteratorIbN2at6native12_GLOBAL__N_19NonZeroOpIN3c108BFloat16EEEPKSK_lEENS0_5tupleIJPlS6_EEENSP_IJSD_SD_EEES6_PiJS6_EEE10hipError_tPvRmT3_T4_T5_T6_T7_T9_mT8_P12ihipStream_tbDpT10_ENKUlT_T0_E_clISt17integral_constantIbLb0EES1D_EEDaS18_S19_EUlS18_E_NS1_11comp_targetILNS1_3genE2ELNS1_11target_archE906ELNS1_3gpuE6ELNS1_3repE0EEENS1_30default_config_static_selectorELNS0_4arch9wavefront6targetE0EEEvT1_.numbered_sgpr, 0
	.set _ZN7rocprim17ROCPRIM_400000_NS6detail17trampoline_kernelINS0_14default_configENS1_25partition_config_selectorILNS1_17partition_subalgoE5ElNS0_10empty_typeEbEEZZNS1_14partition_implILS5_5ELb0ES3_mN6hipcub16HIPCUB_304000_NS21CountingInputIteratorIllEEPS6_NSA_22TransformInputIteratorIbN2at6native12_GLOBAL__N_19NonZeroOpIN3c108BFloat16EEEPKSK_lEENS0_5tupleIJPlS6_EEENSP_IJSD_SD_EEES6_PiJS6_EEE10hipError_tPvRmT3_T4_T5_T6_T7_T9_mT8_P12ihipStream_tbDpT10_ENKUlT_T0_E_clISt17integral_constantIbLb0EES1D_EEDaS18_S19_EUlS18_E_NS1_11comp_targetILNS1_3genE2ELNS1_11target_archE906ELNS1_3gpuE6ELNS1_3repE0EEENS1_30default_config_static_selectorELNS0_4arch9wavefront6targetE0EEEvT1_.num_named_barrier, 0
	.set _ZN7rocprim17ROCPRIM_400000_NS6detail17trampoline_kernelINS0_14default_configENS1_25partition_config_selectorILNS1_17partition_subalgoE5ElNS0_10empty_typeEbEEZZNS1_14partition_implILS5_5ELb0ES3_mN6hipcub16HIPCUB_304000_NS21CountingInputIteratorIllEEPS6_NSA_22TransformInputIteratorIbN2at6native12_GLOBAL__N_19NonZeroOpIN3c108BFloat16EEEPKSK_lEENS0_5tupleIJPlS6_EEENSP_IJSD_SD_EEES6_PiJS6_EEE10hipError_tPvRmT3_T4_T5_T6_T7_T9_mT8_P12ihipStream_tbDpT10_ENKUlT_T0_E_clISt17integral_constantIbLb0EES1D_EEDaS18_S19_EUlS18_E_NS1_11comp_targetILNS1_3genE2ELNS1_11target_archE906ELNS1_3gpuE6ELNS1_3repE0EEENS1_30default_config_static_selectorELNS0_4arch9wavefront6targetE0EEEvT1_.private_seg_size, 0
	.set _ZN7rocprim17ROCPRIM_400000_NS6detail17trampoline_kernelINS0_14default_configENS1_25partition_config_selectorILNS1_17partition_subalgoE5ElNS0_10empty_typeEbEEZZNS1_14partition_implILS5_5ELb0ES3_mN6hipcub16HIPCUB_304000_NS21CountingInputIteratorIllEEPS6_NSA_22TransformInputIteratorIbN2at6native12_GLOBAL__N_19NonZeroOpIN3c108BFloat16EEEPKSK_lEENS0_5tupleIJPlS6_EEENSP_IJSD_SD_EEES6_PiJS6_EEE10hipError_tPvRmT3_T4_T5_T6_T7_T9_mT8_P12ihipStream_tbDpT10_ENKUlT_T0_E_clISt17integral_constantIbLb0EES1D_EEDaS18_S19_EUlS18_E_NS1_11comp_targetILNS1_3genE2ELNS1_11target_archE906ELNS1_3gpuE6ELNS1_3repE0EEENS1_30default_config_static_selectorELNS0_4arch9wavefront6targetE0EEEvT1_.uses_vcc, 0
	.set _ZN7rocprim17ROCPRIM_400000_NS6detail17trampoline_kernelINS0_14default_configENS1_25partition_config_selectorILNS1_17partition_subalgoE5ElNS0_10empty_typeEbEEZZNS1_14partition_implILS5_5ELb0ES3_mN6hipcub16HIPCUB_304000_NS21CountingInputIteratorIllEEPS6_NSA_22TransformInputIteratorIbN2at6native12_GLOBAL__N_19NonZeroOpIN3c108BFloat16EEEPKSK_lEENS0_5tupleIJPlS6_EEENSP_IJSD_SD_EEES6_PiJS6_EEE10hipError_tPvRmT3_T4_T5_T6_T7_T9_mT8_P12ihipStream_tbDpT10_ENKUlT_T0_E_clISt17integral_constantIbLb0EES1D_EEDaS18_S19_EUlS18_E_NS1_11comp_targetILNS1_3genE2ELNS1_11target_archE906ELNS1_3gpuE6ELNS1_3repE0EEENS1_30default_config_static_selectorELNS0_4arch9wavefront6targetE0EEEvT1_.uses_flat_scratch, 0
	.set _ZN7rocprim17ROCPRIM_400000_NS6detail17trampoline_kernelINS0_14default_configENS1_25partition_config_selectorILNS1_17partition_subalgoE5ElNS0_10empty_typeEbEEZZNS1_14partition_implILS5_5ELb0ES3_mN6hipcub16HIPCUB_304000_NS21CountingInputIteratorIllEEPS6_NSA_22TransformInputIteratorIbN2at6native12_GLOBAL__N_19NonZeroOpIN3c108BFloat16EEEPKSK_lEENS0_5tupleIJPlS6_EEENSP_IJSD_SD_EEES6_PiJS6_EEE10hipError_tPvRmT3_T4_T5_T6_T7_T9_mT8_P12ihipStream_tbDpT10_ENKUlT_T0_E_clISt17integral_constantIbLb0EES1D_EEDaS18_S19_EUlS18_E_NS1_11comp_targetILNS1_3genE2ELNS1_11target_archE906ELNS1_3gpuE6ELNS1_3repE0EEENS1_30default_config_static_selectorELNS0_4arch9wavefront6targetE0EEEvT1_.has_dyn_sized_stack, 0
	.set _ZN7rocprim17ROCPRIM_400000_NS6detail17trampoline_kernelINS0_14default_configENS1_25partition_config_selectorILNS1_17partition_subalgoE5ElNS0_10empty_typeEbEEZZNS1_14partition_implILS5_5ELb0ES3_mN6hipcub16HIPCUB_304000_NS21CountingInputIteratorIllEEPS6_NSA_22TransformInputIteratorIbN2at6native12_GLOBAL__N_19NonZeroOpIN3c108BFloat16EEEPKSK_lEENS0_5tupleIJPlS6_EEENSP_IJSD_SD_EEES6_PiJS6_EEE10hipError_tPvRmT3_T4_T5_T6_T7_T9_mT8_P12ihipStream_tbDpT10_ENKUlT_T0_E_clISt17integral_constantIbLb0EES1D_EEDaS18_S19_EUlS18_E_NS1_11comp_targetILNS1_3genE2ELNS1_11target_archE906ELNS1_3gpuE6ELNS1_3repE0EEENS1_30default_config_static_selectorELNS0_4arch9wavefront6targetE0EEEvT1_.has_recursion, 0
	.set _ZN7rocprim17ROCPRIM_400000_NS6detail17trampoline_kernelINS0_14default_configENS1_25partition_config_selectorILNS1_17partition_subalgoE5ElNS0_10empty_typeEbEEZZNS1_14partition_implILS5_5ELb0ES3_mN6hipcub16HIPCUB_304000_NS21CountingInputIteratorIllEEPS6_NSA_22TransformInputIteratorIbN2at6native12_GLOBAL__N_19NonZeroOpIN3c108BFloat16EEEPKSK_lEENS0_5tupleIJPlS6_EEENSP_IJSD_SD_EEES6_PiJS6_EEE10hipError_tPvRmT3_T4_T5_T6_T7_T9_mT8_P12ihipStream_tbDpT10_ENKUlT_T0_E_clISt17integral_constantIbLb0EES1D_EEDaS18_S19_EUlS18_E_NS1_11comp_targetILNS1_3genE2ELNS1_11target_archE906ELNS1_3gpuE6ELNS1_3repE0EEENS1_30default_config_static_selectorELNS0_4arch9wavefront6targetE0EEEvT1_.has_indirect_call, 0
	.section	.AMDGPU.csdata,"",@progbits
; Kernel info:
; codeLenInByte = 0
; TotalNumSgprs: 0
; NumVgprs: 0
; ScratchSize: 0
; MemoryBound: 0
; FloatMode: 240
; IeeeMode: 1
; LDSByteSize: 0 bytes/workgroup (compile time only)
; SGPRBlocks: 0
; VGPRBlocks: 0
; NumSGPRsForWavesPerEU: 1
; NumVGPRsForWavesPerEU: 1
; Occupancy: 16
; WaveLimiterHint : 0
; COMPUTE_PGM_RSRC2:SCRATCH_EN: 0
; COMPUTE_PGM_RSRC2:USER_SGPR: 2
; COMPUTE_PGM_RSRC2:TRAP_HANDLER: 0
; COMPUTE_PGM_RSRC2:TGID_X_EN: 1
; COMPUTE_PGM_RSRC2:TGID_Y_EN: 0
; COMPUTE_PGM_RSRC2:TGID_Z_EN: 0
; COMPUTE_PGM_RSRC2:TIDIG_COMP_CNT: 0
	.section	.text._ZN7rocprim17ROCPRIM_400000_NS6detail17trampoline_kernelINS0_14default_configENS1_25partition_config_selectorILNS1_17partition_subalgoE5ElNS0_10empty_typeEbEEZZNS1_14partition_implILS5_5ELb0ES3_mN6hipcub16HIPCUB_304000_NS21CountingInputIteratorIllEEPS6_NSA_22TransformInputIteratorIbN2at6native12_GLOBAL__N_19NonZeroOpIN3c108BFloat16EEEPKSK_lEENS0_5tupleIJPlS6_EEENSP_IJSD_SD_EEES6_PiJS6_EEE10hipError_tPvRmT3_T4_T5_T6_T7_T9_mT8_P12ihipStream_tbDpT10_ENKUlT_T0_E_clISt17integral_constantIbLb0EES1D_EEDaS18_S19_EUlS18_E_NS1_11comp_targetILNS1_3genE10ELNS1_11target_archE1200ELNS1_3gpuE4ELNS1_3repE0EEENS1_30default_config_static_selectorELNS0_4arch9wavefront6targetE0EEEvT1_,"axG",@progbits,_ZN7rocprim17ROCPRIM_400000_NS6detail17trampoline_kernelINS0_14default_configENS1_25partition_config_selectorILNS1_17partition_subalgoE5ElNS0_10empty_typeEbEEZZNS1_14partition_implILS5_5ELb0ES3_mN6hipcub16HIPCUB_304000_NS21CountingInputIteratorIllEEPS6_NSA_22TransformInputIteratorIbN2at6native12_GLOBAL__N_19NonZeroOpIN3c108BFloat16EEEPKSK_lEENS0_5tupleIJPlS6_EEENSP_IJSD_SD_EEES6_PiJS6_EEE10hipError_tPvRmT3_T4_T5_T6_T7_T9_mT8_P12ihipStream_tbDpT10_ENKUlT_T0_E_clISt17integral_constantIbLb0EES1D_EEDaS18_S19_EUlS18_E_NS1_11comp_targetILNS1_3genE10ELNS1_11target_archE1200ELNS1_3gpuE4ELNS1_3repE0EEENS1_30default_config_static_selectorELNS0_4arch9wavefront6targetE0EEEvT1_,comdat
	.globl	_ZN7rocprim17ROCPRIM_400000_NS6detail17trampoline_kernelINS0_14default_configENS1_25partition_config_selectorILNS1_17partition_subalgoE5ElNS0_10empty_typeEbEEZZNS1_14partition_implILS5_5ELb0ES3_mN6hipcub16HIPCUB_304000_NS21CountingInputIteratorIllEEPS6_NSA_22TransformInputIteratorIbN2at6native12_GLOBAL__N_19NonZeroOpIN3c108BFloat16EEEPKSK_lEENS0_5tupleIJPlS6_EEENSP_IJSD_SD_EEES6_PiJS6_EEE10hipError_tPvRmT3_T4_T5_T6_T7_T9_mT8_P12ihipStream_tbDpT10_ENKUlT_T0_E_clISt17integral_constantIbLb0EES1D_EEDaS18_S19_EUlS18_E_NS1_11comp_targetILNS1_3genE10ELNS1_11target_archE1200ELNS1_3gpuE4ELNS1_3repE0EEENS1_30default_config_static_selectorELNS0_4arch9wavefront6targetE0EEEvT1_ ; -- Begin function _ZN7rocprim17ROCPRIM_400000_NS6detail17trampoline_kernelINS0_14default_configENS1_25partition_config_selectorILNS1_17partition_subalgoE5ElNS0_10empty_typeEbEEZZNS1_14partition_implILS5_5ELb0ES3_mN6hipcub16HIPCUB_304000_NS21CountingInputIteratorIllEEPS6_NSA_22TransformInputIteratorIbN2at6native12_GLOBAL__N_19NonZeroOpIN3c108BFloat16EEEPKSK_lEENS0_5tupleIJPlS6_EEENSP_IJSD_SD_EEES6_PiJS6_EEE10hipError_tPvRmT3_T4_T5_T6_T7_T9_mT8_P12ihipStream_tbDpT10_ENKUlT_T0_E_clISt17integral_constantIbLb0EES1D_EEDaS18_S19_EUlS18_E_NS1_11comp_targetILNS1_3genE10ELNS1_11target_archE1200ELNS1_3gpuE4ELNS1_3repE0EEENS1_30default_config_static_selectorELNS0_4arch9wavefront6targetE0EEEvT1_
	.p2align	8
	.type	_ZN7rocprim17ROCPRIM_400000_NS6detail17trampoline_kernelINS0_14default_configENS1_25partition_config_selectorILNS1_17partition_subalgoE5ElNS0_10empty_typeEbEEZZNS1_14partition_implILS5_5ELb0ES3_mN6hipcub16HIPCUB_304000_NS21CountingInputIteratorIllEEPS6_NSA_22TransformInputIteratorIbN2at6native12_GLOBAL__N_19NonZeroOpIN3c108BFloat16EEEPKSK_lEENS0_5tupleIJPlS6_EEENSP_IJSD_SD_EEES6_PiJS6_EEE10hipError_tPvRmT3_T4_T5_T6_T7_T9_mT8_P12ihipStream_tbDpT10_ENKUlT_T0_E_clISt17integral_constantIbLb0EES1D_EEDaS18_S19_EUlS18_E_NS1_11comp_targetILNS1_3genE10ELNS1_11target_archE1200ELNS1_3gpuE4ELNS1_3repE0EEENS1_30default_config_static_selectorELNS0_4arch9wavefront6targetE0EEEvT1_,@function
_ZN7rocprim17ROCPRIM_400000_NS6detail17trampoline_kernelINS0_14default_configENS1_25partition_config_selectorILNS1_17partition_subalgoE5ElNS0_10empty_typeEbEEZZNS1_14partition_implILS5_5ELb0ES3_mN6hipcub16HIPCUB_304000_NS21CountingInputIteratorIllEEPS6_NSA_22TransformInputIteratorIbN2at6native12_GLOBAL__N_19NonZeroOpIN3c108BFloat16EEEPKSK_lEENS0_5tupleIJPlS6_EEENSP_IJSD_SD_EEES6_PiJS6_EEE10hipError_tPvRmT3_T4_T5_T6_T7_T9_mT8_P12ihipStream_tbDpT10_ENKUlT_T0_E_clISt17integral_constantIbLb0EES1D_EEDaS18_S19_EUlS18_E_NS1_11comp_targetILNS1_3genE10ELNS1_11target_archE1200ELNS1_3gpuE4ELNS1_3repE0EEENS1_30default_config_static_selectorELNS0_4arch9wavefront6targetE0EEEvT1_: ; @_ZN7rocprim17ROCPRIM_400000_NS6detail17trampoline_kernelINS0_14default_configENS1_25partition_config_selectorILNS1_17partition_subalgoE5ElNS0_10empty_typeEbEEZZNS1_14partition_implILS5_5ELb0ES3_mN6hipcub16HIPCUB_304000_NS21CountingInputIteratorIllEEPS6_NSA_22TransformInputIteratorIbN2at6native12_GLOBAL__N_19NonZeroOpIN3c108BFloat16EEEPKSK_lEENS0_5tupleIJPlS6_EEENSP_IJSD_SD_EEES6_PiJS6_EEE10hipError_tPvRmT3_T4_T5_T6_T7_T9_mT8_P12ihipStream_tbDpT10_ENKUlT_T0_E_clISt17integral_constantIbLb0EES1D_EEDaS18_S19_EUlS18_E_NS1_11comp_targetILNS1_3genE10ELNS1_11target_archE1200ELNS1_3gpuE4ELNS1_3repE0EEENS1_30default_config_static_selectorELNS0_4arch9wavefront6targetE0EEEvT1_
; %bb.0:
	s_clause 0x3
	s_load_b128 s[8:11], s[0:1], 0x48
	s_load_b32 s16, s[0:1], 0x70
	s_load_b128 s[4:7], s[0:1], 0x8
	s_load_b64 s[2:3], s[0:1], 0x58
	s_mov_b32 s13, 0
	s_lshl_b32 s12, ttmp9, 10
	s_mov_b32 s15, s13
	v_lshrrev_b32_e32 v12, 2, v0
	v_or_b32_e32 v9, 0x200, v0
	v_or_b32_e32 v10, 0x300, v0
	v_and_b32_e32 v11, 0xf8, v0
	s_mov_b32 s19, -1
	s_wait_kmcnt 0x0
	s_load_b64 s[10:11], s[10:11], 0x0
	s_lshl_b32 s14, s16, 10
	s_add_co_i32 s16, s16, -1
	s_add_nc_u64 s[14:15], s[6:7], s[14:15]
	s_lshl_b32 s17, s16, 10
	v_cmp_le_u64_e64 s14, s[2:3], s[14:15]
	s_add_co_i32 s3, s6, s17
	s_cmp_eq_u32 ttmp9, s16
	s_add_nc_u64 s[4:5], s[6:7], s[4:5]
	s_cselect_b32 s16, -1, 0
	s_delay_alu instid0(SALU_CYCLE_1) | instskip(SKIP_2) | instid1(SALU_CYCLE_1)
	s_and_b32 s14, s16, s14
	s_wait_alu 0xfffe
	s_xor_b32 s17, s14, -1
	s_and_b32 vcc_lo, exec_lo, s17
	s_cbranch_vccz .LBB803_2
; %bb.1:
	v_or_b32_e32 v7, 0x100, v0
	v_or_b32_e32 v1, s12, v0
	v_lshrrev_b32_e32 v8, 2, v9
	v_lshrrev_b32_e32 v13, 2, v10
	v_and_b32_e32 v14, 56, v12
	v_lshrrev_b32_e32 v7, 2, v7
	v_add_co_u32 v1, s14, s4, v1
	s_wait_alu 0xf1ff
	v_add_co_ci_u32_e64 v2, null, s5, 0, s14
	v_lshlrev_b32_e32 v15, 3, v0
	v_and_b32_e32 v16, 0x78, v7
	v_add_co_u32 v3, vcc_lo, 0x100, v1
	v_and_b32_e32 v17, 0xb8, v8
	v_and_b32_e32 v13, 0xf8, v13
	v_add_co_ci_u32_e64 v4, null, 0, v2, vcc_lo
	v_add_co_u32 v5, vcc_lo, 0x200, v1
	v_add_nc_u32_e32 v14, v14, v15
	s_wait_alu 0xfffd
	v_add_co_ci_u32_e64 v6, null, 0, v2, vcc_lo
	v_add_co_u32 v7, vcc_lo, 0x300, v1
	v_add_nc_u32_e32 v16, v16, v15
	v_add_nc_u32_e32 v17, v17, v15
	s_wait_alu 0xfffd
	v_add_co_ci_u32_e64 v8, null, 0, v2, vcc_lo
	v_add_nc_u32_e32 v13, v13, v15
	ds_store_b64 v14, v[1:2]
	ds_store_b64 v16, v[3:4] offset:2048
	ds_store_b64 v17, v[5:6] offset:4096
	;; [unrolled: 1-line block ×3, first 2 shown]
	v_lshl_add_u32 v1, v0, 5, v11
	s_wait_dscnt 0x0
	s_barrier_signal -1
	s_barrier_wait -1
	global_inv scope:SCOPE_SE
	ds_load_2addr_b64 v[5:8], v1 offset1:1
	ds_load_2addr_b64 v[1:4], v1 offset0:2 offset1:3
	s_mov_b32 s19, s13
	s_branch .LBB803_3
.LBB803_2:
                                        ; implicit-def: $vgpr3_vgpr4
                                        ; implicit-def: $vgpr7_vgpr8
.LBB803_3:
	s_load_b64 s[14:15], s[0:1], 0x20
	s_sub_co_i32 s18, s2, s3
	s_and_not1_b32 vcc_lo, exec_lo, s19
	v_cmp_gt_u32_e64 s2, s18, v0
	s_wait_alu 0xfffe
	s_cbranch_vccnz .LBB803_5
; %bb.4:
	s_wait_dscnt 0x1
	v_or_b32_e32 v7, 0x100, v0
	s_add_nc_u64 s[4:5], s[4:5], s[12:13]
	v_lshrrev_b32_e32 v14, 2, v9
	s_wait_dscnt 0x0
	s_wait_alu 0xfffe
	v_add_co_u32 v1, s3, s4, v0
	s_wait_alu 0xf1ff
	v_add_co_ci_u32_e64 v2, null, s5, 0, s3
	v_add_co_u32 v3, s3, s4, v7
	s_wait_alu 0xf1ff
	v_add_co_ci_u32_e64 v4, null, s5, 0, s3
	v_cmp_gt_u32_e32 vcc_lo, s18, v7
	v_add_co_u32 v13, s3, s4, v10
	s_wait_alu 0xf1ff
	v_add_co_ci_u32_e64 v8, null, s5, 0, s3
	s_wait_alu 0xfffd
	v_dual_cndmask_b32 v4, 0, v4 :: v_dual_cndmask_b32 v3, 0, v3
	v_cmp_gt_u32_e32 vcc_lo, s18, v10
	v_lshrrev_b32_e32 v7, 2, v7
	v_lshrrev_b32_e32 v15, 2, v10
	v_cndmask_b32_e64 v2, 0, v2, s2
	v_cndmask_b32_e64 v1, 0, v1, s2
	v_add_co_u32 v5, s2, s4, v9
	v_and_b32_e32 v12, 56, v12
	v_lshlrev_b32_e32 v16, 3, v0
	s_wait_alu 0xfffd
	v_dual_cndmask_b32 v8, 0, v8 :: v_dual_and_b32 v17, 0x78, v7
	s_wait_alu 0xf1ff
	v_add_co_ci_u32_e64 v6, null, s5, 0, s2
	v_cmp_gt_u32_e64 s2, s18, v9
	v_and_b32_e32 v14, 0xb8, v14
	v_and_b32_e32 v15, 0xf8, v15
	v_dual_cndmask_b32 v7, 0, v13 :: v_dual_add_nc_u32 v12, v12, v16
	v_add_nc_u32_e32 v13, v17, v16
	s_wait_alu 0xf1ff
	v_cndmask_b32_e64 v6, 0, v6, s2
	v_cndmask_b32_e64 v5, 0, v5, s2
	v_add_nc_u32_e32 v14, v14, v16
	v_add_nc_u32_e32 v15, v15, v16
	ds_store_b64 v12, v[1:2]
	ds_store_b64 v13, v[3:4] offset:2048
	ds_store_b64 v14, v[5:6] offset:4096
	;; [unrolled: 1-line block ×3, first 2 shown]
	v_lshl_add_u32 v1, v0, 5, v11
	s_wait_loadcnt_dscnt 0x0
	s_barrier_signal -1
	s_barrier_wait -1
	global_inv scope:SCOPE_SE
	ds_load_2addr_b64 v[5:8], v1 offset1:1
	ds_load_2addr_b64 v[1:4], v1 offset0:2 offset1:3
.LBB803_5:
	s_lshl_b64 s[2:3], s[6:7], 1
	v_lshlrev_b32_e32 v11, 1, v0
	v_lshrrev_b32_e32 v26, 5, v0
	s_wait_kmcnt 0x0
	s_wait_alu 0xfffe
	s_add_nc_u64 s[2:3], s[14:15], s[2:3]
	s_lshl_b64 s[4:5], s[12:13], 1
	s_and_b32 vcc_lo, exec_lo, s17
	s_wait_alu 0xfffe
	s_add_nc_u64 s[2:3], s[2:3], s[4:5]
	s_mov_b32 s4, -1
	s_wait_loadcnt_dscnt 0x0
	s_barrier_signal -1
	s_barrier_wait -1
	global_inv scope:SCOPE_SE
	s_cbranch_vccz .LBB803_7
; %bb.6:
	s_clause 0x3
	global_load_u16 v12, v11, s[2:3]
	global_load_u16 v13, v11, s[2:3] offset:512
	global_load_u16 v14, v11, s[2:3] offset:1024
	;; [unrolled: 1-line block ×3, first 2 shown]
	v_or_b32_e32 v16, 0x100, v0
	v_lshrrev_b32_e32 v17, 5, v9
	v_lshrrev_b32_e32 v18, 5, v10
	v_and_b32_e32 v19, 4, v26
	s_mov_b32 s4, 0
	v_lshrrev_b32_e32 v16, 5, v16
	v_and_b32_e32 v17, 20, v17
	v_and_b32_e32 v18, 28, v18
	v_add_nc_u32_e32 v19, v19, v0
	s_delay_alu instid0(VALU_DEP_4) | instskip(NEXT) | instid1(VALU_DEP_4)
	v_and_b32_e32 v16, 12, v16
	v_add_nc_u32_e32 v17, v17, v0
	s_delay_alu instid0(VALU_DEP_4) | instskip(NEXT) | instid1(VALU_DEP_3)
	v_add_nc_u32_e32 v18, v18, v0
	v_add_nc_u32_e32 v16, v16, v0
	s_wait_loadcnt 0x3
	v_and_b32_e32 v12, 0x7fff, v12
	s_wait_loadcnt 0x2
	v_and_b32_e32 v13, 0x7fff, v13
	;; [unrolled: 2-line block ×4, first 2 shown]
	v_cmp_ne_u16_e32 vcc_lo, 0, v12
	s_wait_alu 0xfffd
	v_cndmask_b32_e64 v12, 0, 1, vcc_lo
	v_cmp_ne_u16_e32 vcc_lo, 0, v13
	s_wait_alu 0xfffd
	v_cndmask_b32_e64 v13, 0, 1, vcc_lo
	;; [unrolled: 3-line block ×4, first 2 shown]
	ds_store_b8 v19, v12
	ds_store_b8 v16, v13 offset:256
	ds_store_b8 v17, v14 offset:512
	ds_store_b8 v18, v15 offset:768
	s_wait_dscnt 0x0
	s_barrier_signal -1
	s_barrier_wait -1
.LBB803_7:
	s_wait_alu 0xfffe
	s_and_not1_b32 vcc_lo, exec_lo, s4
	s_wait_alu 0xfffe
	s_cbranch_vccnz .LBB803_15
; %bb.8:
	v_dual_mov_b32 v12, 0 :: v_dual_mov_b32 v13, 0
	s_mov_b32 s4, exec_lo
	v_cmpx_gt_u32_e64 s18, v0
	s_cbranch_execz .LBB803_10
; %bb.9:
	global_load_u16 v12, v11, s[2:3]
	s_wait_loadcnt 0x0
	v_and_b32_e32 v12, 0x7fff, v12
	s_delay_alu instid0(VALU_DEP_1)
	v_cmp_ne_u16_e32 vcc_lo, 0, v12
	s_wait_alu 0xfffd
	v_cndmask_b32_e64 v12, 0, 1, vcc_lo
	v_cndmask_b32_e64 v13, 0, 1, vcc_lo
.LBB803_10:
	s_wait_alu 0xfffe
	s_or_b32 exec_lo, exec_lo, s4
	v_or_b32_e32 v14, 0x100, v0
	s_mov_b32 s4, exec_lo
	s_delay_alu instid0(VALU_DEP_1)
	v_cmpx_gt_u32_e64 s18, v14
	s_cbranch_execnz .LBB803_129
; %bb.11:
	s_wait_alu 0xfffe
	s_or_b32 exec_lo, exec_lo, s4
	s_delay_alu instid0(SALU_CYCLE_1)
	s_mov_b32 s4, exec_lo
	v_cmpx_gt_u32_e64 s18, v9
	s_cbranch_execnz .LBB803_130
.LBB803_12:
	s_wait_alu 0xfffe
	s_or_b32 exec_lo, exec_lo, s4
	s_delay_alu instid0(SALU_CYCLE_1)
	s_mov_b32 s4, exec_lo
	v_cmpx_gt_u32_e64 s18, v10
	s_cbranch_execz .LBB803_14
.LBB803_13:
	global_load_u16 v11, v11, s[2:3] offset:1536
	v_lshrrev_b32_e32 v15, 16, v13
	s_wait_loadcnt 0x0
	v_and_b32_e32 v11, 0x7fff, v11
	s_delay_alu instid0(VALU_DEP_1) | instskip(SKIP_2) | instid1(VALU_DEP_1)
	v_cmp_ne_u16_e32 vcc_lo, 0, v11
	s_wait_alu 0xfffd
	v_cndmask_b32_e64 v11, 0, 1, vcc_lo
	v_lshlrev_b16 v11, 8, v11
	s_delay_alu instid0(VALU_DEP_1) | instskip(NEXT) | instid1(VALU_DEP_1)
	v_or_b32_e32 v11, v15, v11
	v_lshlrev_b32_e32 v11, 16, v11
	s_delay_alu instid0(VALU_DEP_1)
	v_and_or_b32 v13, 0xffff, v13, v11
.LBB803_14:
	s_wait_alu 0xfffe
	s_or_b32 exec_lo, exec_lo, s4
	v_lshrrev_b32_e32 v11, 5, v14
	v_lshrrev_b32_e32 v9, 5, v9
	;; [unrolled: 1-line block ×3, first 2 shown]
	v_and_b32_e32 v14, 4, v26
	v_lshrrev_b32_e32 v15, 8, v13
	v_and_b32_e32 v11, 12, v11
	v_and_b32_e32 v9, 28, v9
	;; [unrolled: 1-line block ×3, first 2 shown]
	v_add_nc_u32_e32 v14, v14, v0
	v_lshrrev_b32_e32 v16, 24, v13
	v_add_nc_u32_e32 v11, v11, v0
	v_add_nc_u32_e32 v9, v9, v0
	;; [unrolled: 1-line block ×3, first 2 shown]
	ds_store_b8 v14, v12
	ds_store_b8 v11, v15 offset:256
	ds_store_b8_d16_hi v9, v13 offset:512
	ds_store_b8 v10, v16 offset:768
	s_wait_loadcnt_dscnt 0x0
	s_barrier_signal -1
	s_barrier_wait -1
.LBB803_15:
	v_lshrrev_b32_e32 v9, 3, v0
	s_wait_loadcnt 0x0
	global_inv scope:SCOPE_SE
	s_load_b64 s[6:7], s[0:1], 0x68
	v_mbcnt_lo_u32_b32 v31, -1, 0
	s_cmp_lg_u32 ttmp9, 0
	v_dual_mov_b32 v10, 0 :: v_dual_and_b32 v9, 28, v9
	s_mov_b32 s3, -1
	s_delay_alu instid0(VALU_DEP_2) | instskip(NEXT) | instid1(VALU_DEP_2)
	v_and_b32_e32 v32, 15, v31
	v_lshl_add_u32 v9, v0, 2, v9
	ds_load_b32 v27, v9
	s_wait_loadcnt_dscnt 0x0
	s_barrier_signal -1
	s_barrier_wait -1
	global_inv scope:SCOPE_SE
	v_and_b32_e32 v30, 0xff, v27
	v_bfe_u32 v29, v27, 8, 8
	v_bfe_u32 v28, v27, 16, 8
	v_lshrrev_b32_e32 v25, 24, v27
	s_delay_alu instid0(VALU_DEP_2) | instskip(NEXT) | instid1(VALU_DEP_1)
	v_add3_u32 v9, v29, v30, v28
	v_add_co_u32 v17, s2, v9, v25
	s_wait_alu 0xf1ff
	v_add_co_ci_u32_e64 v18, null, 0, 0, s2
	v_cmp_ne_u32_e64 s2, 0, v32
	s_cbranch_scc0 .LBB803_72
; %bb.16:
	v_mov_b32_e32 v11, v17
	v_mov_b32_dpp v9, v17 row_shr:1 row_mask:0xf bank_mask:0xf
	v_mov_b32_dpp v14, v10 row_shr:1 row_mask:0xf bank_mask:0xf
	v_dual_mov_b32 v13, v17 :: v_dual_mov_b32 v12, v18
	s_and_saveexec_b32 s3, s2
; %bb.17:
	s_delay_alu instid0(VALU_DEP_3) | instskip(SKIP_2) | instid1(VALU_DEP_2)
	v_add_co_u32 v13, vcc_lo, v17, v9
	s_wait_alu 0xfffd
	v_add_co_ci_u32_e64 v10, null, 0, v18, vcc_lo
	v_add_co_u32 v9, vcc_lo, 0, v13
	s_wait_alu 0xfffd
	s_delay_alu instid0(VALU_DEP_2) | instskip(NEXT) | instid1(VALU_DEP_1)
	v_add_co_ci_u32_e64 v10, null, v14, v10, vcc_lo
	v_dual_mov_b32 v12, v10 :: v_dual_mov_b32 v11, v9
; %bb.18:
	s_wait_alu 0xfffe
	s_or_b32 exec_lo, exec_lo, s3
	v_mov_b32_dpp v9, v13 row_shr:2 row_mask:0xf bank_mask:0xf
	v_mov_b32_dpp v14, v10 row_shr:2 row_mask:0xf bank_mask:0xf
	s_mov_b32 s3, exec_lo
	v_cmpx_lt_u32_e32 1, v32
; %bb.19:
	s_delay_alu instid0(VALU_DEP_3) | instskip(SKIP_2) | instid1(VALU_DEP_2)
	v_add_co_u32 v13, vcc_lo, v11, v9
	s_wait_alu 0xfffd
	v_add_co_ci_u32_e64 v10, null, 0, v12, vcc_lo
	v_add_co_u32 v9, vcc_lo, 0, v13
	s_wait_alu 0xfffd
	s_delay_alu instid0(VALU_DEP_2) | instskip(NEXT) | instid1(VALU_DEP_1)
	v_add_co_ci_u32_e64 v10, null, v14, v10, vcc_lo
	v_dual_mov_b32 v12, v10 :: v_dual_mov_b32 v11, v9
; %bb.20:
	s_wait_alu 0xfffe
	s_or_b32 exec_lo, exec_lo, s3
	v_mov_b32_dpp v9, v13 row_shr:4 row_mask:0xf bank_mask:0xf
	v_mov_b32_dpp v14, v10 row_shr:4 row_mask:0xf bank_mask:0xf
	s_mov_b32 s3, exec_lo
	v_cmpx_lt_u32_e32 3, v32
	;; [unrolled: 17-line block ×3, first 2 shown]
; %bb.23:
	s_delay_alu instid0(VALU_DEP_3) | instskip(SKIP_2) | instid1(VALU_DEP_2)
	v_add_co_u32 v13, vcc_lo, v11, v14
	s_wait_alu 0xfffd
	v_add_co_ci_u32_e64 v10, null, 0, v12, vcc_lo
	v_add_co_u32 v11, vcc_lo, 0, v13
	s_wait_alu 0xfffd
	s_delay_alu instid0(VALU_DEP_2) | instskip(NEXT) | instid1(VALU_DEP_1)
	v_add_co_ci_u32_e64 v12, null, v9, v10, vcc_lo
	v_mov_b32_e32 v10, v12
; %bb.24:
	s_wait_alu 0xfffe
	s_or_b32 exec_lo, exec_lo, s3
	ds_swizzle_b32 v9, v13 offset:swizzle(BROADCAST,32,15)
	ds_swizzle_b32 v14, v10 offset:swizzle(BROADCAST,32,15)
	v_and_b32_e32 v15, 16, v31
	s_mov_b32 s3, exec_lo
	s_delay_alu instid0(VALU_DEP_1)
	v_cmpx_ne_u32_e32 0, v15
	s_cbranch_execz .LBB803_26
; %bb.25:
	s_wait_dscnt 0x1
	v_add_co_u32 v13, vcc_lo, v11, v9
	s_wait_alu 0xfffd
	v_add_co_ci_u32_e64 v10, null, 0, v12, vcc_lo
	s_delay_alu instid0(VALU_DEP_2) | instskip(SKIP_2) | instid1(VALU_DEP_2)
	v_add_co_u32 v9, vcc_lo, 0, v13
	s_wait_dscnt 0x0
	s_wait_alu 0xfffd
	v_add_co_ci_u32_e64 v10, null, v14, v10, vcc_lo
	s_delay_alu instid0(VALU_DEP_1)
	v_dual_mov_b32 v12, v10 :: v_dual_mov_b32 v11, v9
.LBB803_26:
	s_wait_alu 0xfffe
	s_or_b32 exec_lo, exec_lo, s3
	s_wait_dscnt 0x1
	v_or_b32_e32 v9, 31, v0
	s_mov_b32 s3, exec_lo
	s_delay_alu instid0(VALU_DEP_1)
	v_cmpx_eq_u32_e64 v0, v9
; %bb.27:
	v_lshlrev_b32_e32 v9, 3, v26
	ds_store_b64 v9, v[11:12]
; %bb.28:
	s_wait_alu 0xfffe
	s_or_b32 exec_lo, exec_lo, s3
	s_delay_alu instid0(SALU_CYCLE_1)
	s_mov_b32 s3, exec_lo
	s_wait_loadcnt_dscnt 0x0
	s_barrier_signal -1
	s_barrier_wait -1
	global_inv scope:SCOPE_SE
	v_cmpx_gt_u32_e32 8, v0
	s_cbranch_execz .LBB803_36
; %bb.29:
	v_lshlrev_b32_e32 v9, 3, v0
	s_mov_b32 s4, exec_lo
	ds_load_b64 v[11:12], v9
	s_wait_dscnt 0x0
	v_dual_mov_b32 v15, v11 :: v_dual_and_b32 v14, 7, v31
	v_mov_b32_dpp v19, v11 row_shr:1 row_mask:0xf bank_mask:0xf
	v_mov_b32_dpp v16, v12 row_shr:1 row_mask:0xf bank_mask:0xf
	s_delay_alu instid0(VALU_DEP_3)
	v_cmpx_ne_u32_e32 0, v14
; %bb.30:
	s_delay_alu instid0(VALU_DEP_3) | instskip(SKIP_2) | instid1(VALU_DEP_2)
	v_add_co_u32 v15, vcc_lo, v11, v19
	s_wait_alu 0xfffd
	v_add_co_ci_u32_e64 v12, null, 0, v12, vcc_lo
	v_add_co_u32 v11, vcc_lo, 0, v15
	s_wait_alu 0xfffd
	s_delay_alu instid0(VALU_DEP_2)
	v_add_co_ci_u32_e64 v12, null, v16, v12, vcc_lo
; %bb.31:
	s_wait_alu 0xfffe
	s_or_b32 exec_lo, exec_lo, s4
	v_mov_b32_dpp v19, v15 row_shr:2 row_mask:0xf bank_mask:0xf
	s_delay_alu instid0(VALU_DEP_2)
	v_mov_b32_dpp v16, v12 row_shr:2 row_mask:0xf bank_mask:0xf
	s_mov_b32 s4, exec_lo
	v_cmpx_lt_u32_e32 1, v14
; %bb.32:
	s_delay_alu instid0(VALU_DEP_3) | instskip(SKIP_2) | instid1(VALU_DEP_2)
	v_add_co_u32 v15, vcc_lo, v11, v19
	s_wait_alu 0xfffd
	v_add_co_ci_u32_e64 v12, null, 0, v12, vcc_lo
	v_add_co_u32 v11, vcc_lo, 0, v15
	s_wait_alu 0xfffd
	s_delay_alu instid0(VALU_DEP_2)
	v_add_co_ci_u32_e64 v12, null, v16, v12, vcc_lo
; %bb.33:
	s_wait_alu 0xfffe
	s_or_b32 exec_lo, exec_lo, s4
	v_mov_b32_dpp v16, v15 row_shr:4 row_mask:0xf bank_mask:0xf
	s_delay_alu instid0(VALU_DEP_2)
	v_mov_b32_dpp v15, v12 row_shr:4 row_mask:0xf bank_mask:0xf
	s_mov_b32 s4, exec_lo
	v_cmpx_lt_u32_e32 3, v14
; %bb.34:
	s_delay_alu instid0(VALU_DEP_3) | instskip(SKIP_2) | instid1(VALU_DEP_2)
	v_add_co_u32 v11, vcc_lo, v11, v16
	s_wait_alu 0xfffd
	v_add_co_ci_u32_e64 v12, null, 0, v12, vcc_lo
	v_add_co_u32 v11, vcc_lo, v11, 0
	s_wait_alu 0xfffd
	s_delay_alu instid0(VALU_DEP_2)
	v_add_co_ci_u32_e64 v12, null, v12, v15, vcc_lo
; %bb.35:
	s_wait_alu 0xfffe
	s_or_b32 exec_lo, exec_lo, s4
	ds_store_b64 v9, v[11:12]
.LBB803_36:
	s_wait_alu 0xfffe
	s_or_b32 exec_lo, exec_lo, s3
	s_delay_alu instid0(SALU_CYCLE_1)
	s_mov_b32 s4, exec_lo
	v_cmp_gt_u32_e32 vcc_lo, 32, v0
	s_wait_loadcnt_dscnt 0x0
	s_barrier_signal -1
	s_barrier_wait -1
	global_inv scope:SCOPE_SE
                                        ; implicit-def: $vgpr19_vgpr20
	v_cmpx_lt_u32_e32 31, v0
	s_cbranch_execz .LBB803_38
; %bb.37:
	v_lshl_add_u32 v9, v26, 3, -8
	ds_load_b64 v[19:20], v9
	s_wait_dscnt 0x0
	v_add_co_u32 v13, s3, v13, v19
	s_wait_alu 0xf1ff
	v_add_co_ci_u32_e64 v10, null, v10, v20, s3
.LBB803_38:
	s_wait_alu 0xfffe
	s_or_b32 exec_lo, exec_lo, s4
	v_sub_co_u32 v9, s3, v31, 1
	s_delay_alu instid0(VALU_DEP_1) | instskip(SKIP_1) | instid1(VALU_DEP_1)
	v_cmp_gt_i32_e64 s4, 0, v9
	s_wait_alu 0xf1ff
	v_cndmask_b32_e64 v9, v9, v31, s4
	s_delay_alu instid0(VALU_DEP_1)
	v_lshlrev_b32_e32 v9, 2, v9
	ds_bpermute_b32 v33, v9, v13
	ds_bpermute_b32 v34, v9, v10
	s_and_saveexec_b32 s4, vcc_lo
	s_cbranch_execz .LBB803_77
; %bb.39:
	v_mov_b32_e32 v12, 0
	ds_load_b64 v[9:10], v12 offset:56
	s_and_saveexec_b32 s5, s3
	s_cbranch_execz .LBB803_41
; %bb.40:
	s_add_co_i32 s12, ttmp9, 32
	s_wait_alu 0xfffe
	s_lshl_b64 s[12:13], s[12:13], 4
	s_wait_kmcnt 0x0
	s_wait_alu 0xfffe
	s_add_nc_u64 s[12:13], s[6:7], s[12:13]
	s_wait_alu 0xfffe
	v_dual_mov_b32 v11, 1 :: v_dual_mov_b32 v14, s13
	v_mov_b32_e32 v13, s12
	s_wait_dscnt 0x0
	;;#ASMSTART
	global_store_b128 v[13:14], v[9:12] off scope:SCOPE_DEV	
s_wait_storecnt 0x0
	;;#ASMEND
.LBB803_41:
	s_wait_alu 0xfffe
	s_or_b32 exec_lo, exec_lo, s5
	v_xad_u32 v21, v31, -1, ttmp9
	s_mov_b32 s12, 0
	s_mov_b32 s5, exec_lo
	s_delay_alu instid0(VALU_DEP_1) | instskip(NEXT) | instid1(VALU_DEP_1)
	v_add_nc_u32_e32 v11, 32, v21
	v_lshlrev_b64_e32 v[11:12], 4, v[11:12]
	s_wait_kmcnt 0x0
	s_delay_alu instid0(VALU_DEP_1) | instskip(SKIP_1) | instid1(VALU_DEP_2)
	v_add_co_u32 v11, vcc_lo, s6, v11
	s_wait_alu 0xfffd
	v_add_co_ci_u32_e64 v12, null, s7, v12, vcc_lo
	;;#ASMSTART
	global_load_b128 v[13:16], v[11:12] off scope:SCOPE_DEV	
s_wait_loadcnt 0x0
	;;#ASMEND
	v_and_b32_e32 v16, 0xff, v15
	s_delay_alu instid0(VALU_DEP_1)
	v_cmpx_eq_u16_e32 0, v16
	s_cbranch_execz .LBB803_44
.LBB803_42:                             ; =>This Inner Loop Header: Depth=1
	;;#ASMSTART
	global_load_b128 v[13:16], v[11:12] off scope:SCOPE_DEV	
s_wait_loadcnt 0x0
	;;#ASMEND
	v_and_b32_e32 v16, 0xff, v15
	s_delay_alu instid0(VALU_DEP_1)
	v_cmp_ne_u16_e32 vcc_lo, 0, v16
	s_wait_alu 0xfffe
	s_or_b32 s12, vcc_lo, s12
	s_wait_alu 0xfffe
	s_and_not1_b32 exec_lo, exec_lo, s12
	s_cbranch_execnz .LBB803_42
; %bb.43:
	s_or_b32 exec_lo, exec_lo, s12
.LBB803_44:
	s_wait_alu 0xfffe
	s_or_b32 exec_lo, exec_lo, s5
	v_cmp_ne_u32_e32 vcc_lo, 31, v31
	v_and_b32_e32 v12, 0xff, v15
	v_lshlrev_b32_e64 v36, v31, -1
	s_mov_b32 s5, exec_lo
	s_wait_alu 0xfffd
	v_add_co_ci_u32_e64 v11, null, 0, v31, vcc_lo
	v_cmp_eq_u16_e32 vcc_lo, 2, v12
	s_delay_alu instid0(VALU_DEP_2)
	v_dual_mov_b32 v12, v13 :: v_dual_lshlrev_b32 v35, 2, v11
	s_wait_alu 0xfffd
	v_and_or_b32 v11, vcc_lo, v36, 0x80000000
	ds_bpermute_b32 v22, v35, v13
	ds_bpermute_b32 v16, v35, v14
	v_ctz_i32_b32_e32 v11, v11
	s_delay_alu instid0(VALU_DEP_1)
	v_cmpx_lt_u32_e64 v31, v11
	s_cbranch_execz .LBB803_46
; %bb.45:
	s_wait_dscnt 0x1
	v_add_co_u32 v12, vcc_lo, v13, v22
	s_wait_alu 0xfffd
	v_add_co_ci_u32_e64 v14, null, 0, v14, vcc_lo
	s_delay_alu instid0(VALU_DEP_2) | instskip(SKIP_2) | instid1(VALU_DEP_2)
	v_add_co_u32 v13, vcc_lo, 0, v12
	s_wait_dscnt 0x0
	s_wait_alu 0xfffd
	v_add_co_ci_u32_e64 v14, null, v16, v14, vcc_lo
.LBB803_46:
	s_wait_alu 0xfffe
	s_or_b32 exec_lo, exec_lo, s5
	v_cmp_gt_u32_e32 vcc_lo, 30, v31
	v_add_nc_u32_e32 v38, 2, v31
	s_mov_b32 s5, exec_lo
	s_wait_dscnt 0x0
	s_wait_alu 0xfffd
	v_cndmask_b32_e64 v16, 0, 2, vcc_lo
	s_delay_alu instid0(VALU_DEP_1)
	v_add_lshl_u32 v37, v16, v31, 2
	ds_bpermute_b32 v22, v37, v12
	ds_bpermute_b32 v16, v37, v14
	v_cmpx_le_u32_e64 v38, v11
	s_cbranch_execz .LBB803_48
; %bb.47:
	s_wait_dscnt 0x1
	v_add_co_u32 v12, vcc_lo, v13, v22
	s_wait_alu 0xfffd
	v_add_co_ci_u32_e64 v14, null, 0, v14, vcc_lo
	s_delay_alu instid0(VALU_DEP_2) | instskip(SKIP_2) | instid1(VALU_DEP_2)
	v_add_co_u32 v13, vcc_lo, 0, v12
	s_wait_dscnt 0x0
	s_wait_alu 0xfffd
	v_add_co_ci_u32_e64 v14, null, v16, v14, vcc_lo
.LBB803_48:
	s_wait_alu 0xfffe
	s_or_b32 exec_lo, exec_lo, s5
	v_cmp_gt_u32_e32 vcc_lo, 28, v31
	v_add_nc_u32_e32 v40, 4, v31
	s_mov_b32 s5, exec_lo
	s_wait_dscnt 0x0
	s_wait_alu 0xfffd
	v_cndmask_b32_e64 v16, 0, 4, vcc_lo
	s_delay_alu instid0(VALU_DEP_1)
	v_add_lshl_u32 v39, v16, v31, 2
	ds_bpermute_b32 v22, v39, v12
	ds_bpermute_b32 v16, v39, v14
	v_cmpx_le_u32_e64 v40, v11
	;; [unrolled: 25-line block ×3, first 2 shown]
	s_cbranch_execz .LBB803_52
; %bb.51:
	s_wait_dscnt 0x1
	v_add_co_u32 v12, vcc_lo, v13, v22
	s_wait_alu 0xfffd
	v_add_co_ci_u32_e64 v14, null, 0, v14, vcc_lo
	s_delay_alu instid0(VALU_DEP_2) | instskip(SKIP_2) | instid1(VALU_DEP_2)
	v_add_co_u32 v13, vcc_lo, 0, v12
	s_wait_dscnt 0x0
	s_wait_alu 0xfffd
	v_add_co_ci_u32_e64 v14, null, v16, v14, vcc_lo
.LBB803_52:
	s_wait_alu 0xfffe
	s_or_b32 exec_lo, exec_lo, s5
	v_lshl_or_b32 v43, v31, 2, 64
	v_add_nc_u32_e32 v44, 16, v31
	s_mov_b32 s5, exec_lo
	s_wait_dscnt 0x0
	ds_bpermute_b32 v16, v43, v12
	ds_bpermute_b32 v12, v43, v14
	v_cmpx_le_u32_e64 v44, v11
	s_cbranch_execz .LBB803_54
; %bb.53:
	s_wait_dscnt 0x1
	v_add_co_u32 v11, vcc_lo, v13, v16
	s_wait_alu 0xfffd
	v_add_co_ci_u32_e64 v14, null, 0, v14, vcc_lo
	s_delay_alu instid0(VALU_DEP_2) | instskip(SKIP_2) | instid1(VALU_DEP_2)
	v_add_co_u32 v13, vcc_lo, v11, 0
	s_wait_dscnt 0x0
	s_wait_alu 0xfffd
	v_add_co_ci_u32_e64 v14, null, v14, v12, vcc_lo
.LBB803_54:
	s_wait_alu 0xfffe
	s_or_b32 exec_lo, exec_lo, s5
	v_mov_b32_e32 v22, 0
	s_branch .LBB803_57
.LBB803_55:                             ;   in Loop: Header=BB803_57 Depth=1
	s_wait_alu 0xfffe
	s_or_b32 exec_lo, exec_lo, s5
	v_add_co_u32 v13, vcc_lo, v13, v11
	v_subrev_nc_u32_e32 v21, 32, v21
	s_wait_alu 0xfffd
	v_add_co_ci_u32_e64 v14, null, v14, v12, vcc_lo
	s_mov_b32 s5, 0
.LBB803_56:                             ;   in Loop: Header=BB803_57 Depth=1
	s_wait_alu 0xfffe
	s_and_b32 vcc_lo, exec_lo, s5
	s_wait_alu 0xfffe
	s_cbranch_vccnz .LBB803_73
.LBB803_57:                             ; =>This Loop Header: Depth=1
                                        ;     Child Loop BB803_60 Depth 2
	v_and_b32_e32 v11, 0xff, v15
	s_mov_b32 s5, -1
	s_delay_alu instid0(VALU_DEP_1)
	v_cmp_ne_u16_e32 vcc_lo, 2, v11
	s_wait_dscnt 0x0
	v_dual_mov_b32 v11, v13 :: v_dual_mov_b32 v12, v14
                                        ; implicit-def: $vgpr13_vgpr14
	s_cmp_lg_u32 vcc_lo, exec_lo
	s_cbranch_scc1 .LBB803_56
; %bb.58:                               ;   in Loop: Header=BB803_57 Depth=1
	v_lshlrev_b64_e32 v[13:14], 4, v[21:22]
	s_mov_b32 s5, exec_lo
	s_delay_alu instid0(VALU_DEP_1) | instskip(SKIP_1) | instid1(VALU_DEP_2)
	v_add_co_u32 v23, vcc_lo, s6, v13
	s_wait_alu 0xfffd
	v_add_co_ci_u32_e64 v24, null, s7, v14, vcc_lo
	;;#ASMSTART
	global_load_b128 v[13:16], v[23:24] off scope:SCOPE_DEV	
s_wait_loadcnt 0x0
	;;#ASMEND
	v_and_b32_e32 v16, 0xff, v15
	s_delay_alu instid0(VALU_DEP_1)
	v_cmpx_eq_u16_e32 0, v16
	s_cbranch_execz .LBB803_62
; %bb.59:                               ;   in Loop: Header=BB803_57 Depth=1
	s_mov_b32 s12, 0
.LBB803_60:                             ;   Parent Loop BB803_57 Depth=1
                                        ; =>  This Inner Loop Header: Depth=2
	;;#ASMSTART
	global_load_b128 v[13:16], v[23:24] off scope:SCOPE_DEV	
s_wait_loadcnt 0x0
	;;#ASMEND
	v_and_b32_e32 v16, 0xff, v15
	s_delay_alu instid0(VALU_DEP_1)
	v_cmp_ne_u16_e32 vcc_lo, 0, v16
	s_wait_alu 0xfffe
	s_or_b32 s12, vcc_lo, s12
	s_wait_alu 0xfffe
	s_and_not1_b32 exec_lo, exec_lo, s12
	s_cbranch_execnz .LBB803_60
; %bb.61:                               ;   in Loop: Header=BB803_57 Depth=1
	s_or_b32 exec_lo, exec_lo, s12
.LBB803_62:                             ;   in Loop: Header=BB803_57 Depth=1
	s_wait_alu 0xfffe
	s_or_b32 exec_lo, exec_lo, s5
	v_dual_mov_b32 v23, v13 :: v_dual_and_b32 v16, 0xff, v15
	ds_bpermute_b32 v45, v35, v13
	ds_bpermute_b32 v24, v35, v14
	s_mov_b32 s5, exec_lo
	v_cmp_eq_u16_e32 vcc_lo, 2, v16
	s_wait_alu 0xfffd
	v_and_or_b32 v16, vcc_lo, v36, 0x80000000
	s_delay_alu instid0(VALU_DEP_1) | instskip(NEXT) | instid1(VALU_DEP_1)
	v_ctz_i32_b32_e32 v16, v16
	v_cmpx_lt_u32_e64 v31, v16
	s_cbranch_execz .LBB803_64
; %bb.63:                               ;   in Loop: Header=BB803_57 Depth=1
	s_wait_dscnt 0x1
	v_add_co_u32 v23, vcc_lo, v13, v45
	s_wait_alu 0xfffd
	v_add_co_ci_u32_e64 v14, null, 0, v14, vcc_lo
	s_delay_alu instid0(VALU_DEP_2) | instskip(SKIP_2) | instid1(VALU_DEP_2)
	v_add_co_u32 v13, vcc_lo, 0, v23
	s_wait_dscnt 0x0
	s_wait_alu 0xfffd
	v_add_co_ci_u32_e64 v14, null, v24, v14, vcc_lo
.LBB803_64:                             ;   in Loop: Header=BB803_57 Depth=1
	s_wait_alu 0xfffe
	s_or_b32 exec_lo, exec_lo, s5
	s_wait_dscnt 0x1
	ds_bpermute_b32 v45, v37, v23
	s_wait_dscnt 0x1
	ds_bpermute_b32 v24, v37, v14
	s_mov_b32 s5, exec_lo
	v_cmpx_le_u32_e64 v38, v16
	s_cbranch_execz .LBB803_66
; %bb.65:                               ;   in Loop: Header=BB803_57 Depth=1
	s_wait_dscnt 0x1
	v_add_co_u32 v23, vcc_lo, v13, v45
	s_wait_alu 0xfffd
	v_add_co_ci_u32_e64 v14, null, 0, v14, vcc_lo
	s_delay_alu instid0(VALU_DEP_2) | instskip(SKIP_2) | instid1(VALU_DEP_2)
	v_add_co_u32 v13, vcc_lo, 0, v23
	s_wait_dscnt 0x0
	s_wait_alu 0xfffd
	v_add_co_ci_u32_e64 v14, null, v24, v14, vcc_lo
.LBB803_66:                             ;   in Loop: Header=BB803_57 Depth=1
	s_wait_alu 0xfffe
	s_or_b32 exec_lo, exec_lo, s5
	s_wait_dscnt 0x1
	ds_bpermute_b32 v45, v39, v23
	s_wait_dscnt 0x1
	ds_bpermute_b32 v24, v39, v14
	s_mov_b32 s5, exec_lo
	v_cmpx_le_u32_e64 v40, v16
	;; [unrolled: 20-line block ×3, first 2 shown]
	s_cbranch_execz .LBB803_70
; %bb.69:                               ;   in Loop: Header=BB803_57 Depth=1
	s_wait_dscnt 0x1
	v_add_co_u32 v23, vcc_lo, v13, v45
	s_wait_alu 0xfffd
	v_add_co_ci_u32_e64 v14, null, 0, v14, vcc_lo
	s_delay_alu instid0(VALU_DEP_2) | instskip(SKIP_2) | instid1(VALU_DEP_2)
	v_add_co_u32 v13, vcc_lo, 0, v23
	s_wait_dscnt 0x0
	s_wait_alu 0xfffd
	v_add_co_ci_u32_e64 v14, null, v24, v14, vcc_lo
.LBB803_70:                             ;   in Loop: Header=BB803_57 Depth=1
	s_wait_alu 0xfffe
	s_or_b32 exec_lo, exec_lo, s5
	s_wait_dscnt 0x0
	ds_bpermute_b32 v24, v43, v23
	ds_bpermute_b32 v23, v43, v14
	s_mov_b32 s5, exec_lo
	v_cmpx_le_u32_e64 v44, v16
	s_cbranch_execz .LBB803_55
; %bb.71:                               ;   in Loop: Header=BB803_57 Depth=1
	s_wait_dscnt 0x1
	v_add_co_u32 v13, vcc_lo, v13, v24
	s_wait_alu 0xfffd
	v_add_co_ci_u32_e64 v14, null, 0, v14, vcc_lo
	s_delay_alu instid0(VALU_DEP_2) | instskip(SKIP_2) | instid1(VALU_DEP_2)
	v_add_co_u32 v13, vcc_lo, v13, 0
	s_wait_dscnt 0x0
	s_wait_alu 0xfffd
	v_add_co_ci_u32_e64 v14, null, v14, v23, vcc_lo
	s_branch .LBB803_55
.LBB803_72:
                                        ; implicit-def: $vgpr15_vgpr16
                                        ; implicit-def: $vgpr13_vgpr14
                                        ; implicit-def: $vgpr19_vgpr20
                                        ; implicit-def: $vgpr21_vgpr22
                                        ; implicit-def: $vgpr11_vgpr12
	s_load_b64 s[4:5], s[0:1], 0x30
	s_and_b32 vcc_lo, exec_lo, s3
	s_wait_alu 0xfffe
	s_cbranch_vccnz .LBB803_78
	s_branch .LBB803_103
.LBB803_73:
	s_and_saveexec_b32 s5, s3
	s_cbranch_execz .LBB803_75
; %bb.74:
	s_add_co_i32 s12, ttmp9, 32
	s_mov_b32 s13, 0
	v_add_co_u32 v13, vcc_lo, v11, v9
	s_wait_alu 0xfffe
	s_lshl_b64 s[12:13], s[12:13], 4
	v_dual_mov_b32 v15, 2 :: v_dual_mov_b32 v16, 0
	s_wait_alu 0xfffe
	s_add_nc_u64 s[12:13], s[6:7], s[12:13]
	s_wait_alu 0xfffd
	v_add_co_ci_u32_e64 v14, null, v12, v10, vcc_lo
	s_wait_alu 0xfffe
	v_dual_mov_b32 v22, s13 :: v_dual_mov_b32 v21, s12
	;;#ASMSTART
	global_store_b128 v[21:22], v[13:16] off scope:SCOPE_DEV	
s_wait_storecnt 0x0
	;;#ASMEND
	ds_store_b128 v16, v[9:12] offset:8448
.LBB803_75:
	s_wait_alu 0xfffe
	s_or_b32 exec_lo, exec_lo, s5
	v_cmp_eq_u32_e32 vcc_lo, 0, v0
	s_and_b32 exec_lo, exec_lo, vcc_lo
; %bb.76:
	v_mov_b32_e32 v9, 0
	ds_store_b64 v9, v[11:12] offset:56
.LBB803_77:
	s_wait_alu 0xfffe
	s_or_b32 exec_lo, exec_lo, s4
	s_wait_dscnt 0x1
	v_cndmask_b32_e64 v10, v33, v19, s3
	v_cmp_ne_u32_e32 vcc_lo, 0, v0
	v_mov_b32_e32 v9, 0
	s_wait_loadcnt_dscnt 0x0
	s_barrier_signal -1
	s_barrier_wait -1
	global_inv scope:SCOPE_SE
	s_wait_alu 0xfffd
	v_cndmask_b32_e32 v16, 0, v10, vcc_lo
	ds_load_b64 v[13:14], v9 offset:56
	v_cndmask_b32_e64 v11, v34, v20, s3
	s_wait_loadcnt_dscnt 0x0
	s_barrier_signal -1
	s_barrier_wait -1
	global_inv scope:SCOPE_SE
	v_cndmask_b32_e32 v15, 0, v11, vcc_lo
	ds_load_b128 v[9:12], v9 offset:8448
	v_add_co_u32 v21, vcc_lo, v13, v16
	s_wait_alu 0xfffd
	v_add_co_ci_u32_e64 v22, null, v14, v15, vcc_lo
	s_delay_alu instid0(VALU_DEP_2) | instskip(SKIP_1) | instid1(VALU_DEP_2)
	v_add_co_u32 v19, vcc_lo, v21, v30
	s_wait_alu 0xfffd
	v_add_co_ci_u32_e64 v20, null, 0, v22, vcc_lo
	s_delay_alu instid0(VALU_DEP_2) | instskip(SKIP_1) | instid1(VALU_DEP_2)
	;; [unrolled: 4-line block ×3, first 2 shown]
	v_add_co_u32 v15, vcc_lo, v13, v28
	s_wait_alu 0xfffd
	v_add_co_ci_u32_e64 v16, null, 0, v14, vcc_lo
	s_load_b64 s[4:5], s[0:1], 0x30
	s_branch .LBB803_103
.LBB803_78:
	s_wait_dscnt 0x0
	v_dual_mov_b32 v10, 0 :: v_dual_mov_b32 v11, v17
	v_mov_b32_dpp v12, v17 row_shr:1 row_mask:0xf bank_mask:0xf
	s_delay_alu instid0(VALU_DEP_2)
	v_mov_b32_dpp v9, v10 row_shr:1 row_mask:0xf bank_mask:0xf
	s_and_saveexec_b32 s0, s2
; %bb.79:
	s_delay_alu instid0(VALU_DEP_2) | instskip(SKIP_2) | instid1(VALU_DEP_2)
	v_add_co_u32 v11, vcc_lo, v17, v12
	s_wait_alu 0xfffd
	v_add_co_ci_u32_e64 v10, null, 0, v18, vcc_lo
	v_add_co_u32 v17, vcc_lo, 0, v11
	s_wait_alu 0xfffd
	s_delay_alu instid0(VALU_DEP_2) | instskip(NEXT) | instid1(VALU_DEP_1)
	v_add_co_ci_u32_e64 v18, null, v9, v10, vcc_lo
	v_mov_b32_e32 v10, v18
; %bb.80:
	s_or_b32 exec_lo, exec_lo, s0
	v_mov_b32_dpp v9, v11 row_shr:2 row_mask:0xf bank_mask:0xf
	s_delay_alu instid0(VALU_DEP_2)
	v_mov_b32_dpp v12, v10 row_shr:2 row_mask:0xf bank_mask:0xf
	s_mov_b32 s0, exec_lo
	v_cmpx_lt_u32_e32 1, v32
; %bb.81:
	s_delay_alu instid0(VALU_DEP_3) | instskip(SKIP_2) | instid1(VALU_DEP_2)
	v_add_co_u32 v11, vcc_lo, v17, v9
	s_wait_alu 0xfffd
	v_add_co_ci_u32_e64 v10, null, 0, v18, vcc_lo
	v_add_co_u32 v9, vcc_lo, 0, v11
	s_wait_alu 0xfffd
	s_delay_alu instid0(VALU_DEP_2) | instskip(NEXT) | instid1(VALU_DEP_1)
	v_add_co_ci_u32_e64 v10, null, v12, v10, vcc_lo
	v_dual_mov_b32 v18, v10 :: v_dual_mov_b32 v17, v9
; %bb.82:
	s_or_b32 exec_lo, exec_lo, s0
	v_mov_b32_dpp v9, v11 row_shr:4 row_mask:0xf bank_mask:0xf
	v_mov_b32_dpp v12, v10 row_shr:4 row_mask:0xf bank_mask:0xf
	s_mov_b32 s0, exec_lo
	v_cmpx_lt_u32_e32 3, v32
; %bb.83:
	s_delay_alu instid0(VALU_DEP_3) | instskip(SKIP_2) | instid1(VALU_DEP_2)
	v_add_co_u32 v11, vcc_lo, v17, v9
	s_wait_alu 0xfffd
	v_add_co_ci_u32_e64 v10, null, 0, v18, vcc_lo
	v_add_co_u32 v9, vcc_lo, 0, v11
	s_wait_alu 0xfffd
	s_delay_alu instid0(VALU_DEP_2) | instskip(NEXT) | instid1(VALU_DEP_1)
	v_add_co_ci_u32_e64 v10, null, v12, v10, vcc_lo
	v_dual_mov_b32 v18, v10 :: v_dual_mov_b32 v17, v9
; %bb.84:
	s_or_b32 exec_lo, exec_lo, s0
	v_mov_b32_dpp v12, v11 row_shr:8 row_mask:0xf bank_mask:0xf
	v_mov_b32_dpp v9, v10 row_shr:8 row_mask:0xf bank_mask:0xf
	s_mov_b32 s0, exec_lo
	v_cmpx_lt_u32_e32 7, v32
; %bb.85:
	s_delay_alu instid0(VALU_DEP_3) | instskip(SKIP_2) | instid1(VALU_DEP_2)
	v_add_co_u32 v11, vcc_lo, v17, v12
	s_wait_alu 0xfffd
	v_add_co_ci_u32_e64 v10, null, 0, v18, vcc_lo
	v_add_co_u32 v17, vcc_lo, 0, v11
	s_wait_alu 0xfffd
	s_delay_alu instid0(VALU_DEP_2) | instskip(NEXT) | instid1(VALU_DEP_1)
	v_add_co_ci_u32_e64 v18, null, v9, v10, vcc_lo
	v_mov_b32_e32 v10, v18
; %bb.86:
	s_or_b32 exec_lo, exec_lo, s0
	ds_swizzle_b32 v11, v11 offset:swizzle(BROADCAST,32,15)
	ds_swizzle_b32 v9, v10 offset:swizzle(BROADCAST,32,15)
	v_and_b32_e32 v10, 16, v31
	s_mov_b32 s0, exec_lo
	s_delay_alu instid0(VALU_DEP_1)
	v_cmpx_ne_u32_e32 0, v10
	s_cbranch_execz .LBB803_88
; %bb.87:
	s_wait_dscnt 0x1
	v_add_co_u32 v10, vcc_lo, v17, v11
	s_wait_alu 0xfffd
	v_add_co_ci_u32_e64 v11, null, 0, v18, vcc_lo
	s_delay_alu instid0(VALU_DEP_2) | instskip(SKIP_2) | instid1(VALU_DEP_2)
	v_add_co_u32 v17, vcc_lo, v10, 0
	s_wait_dscnt 0x0
	s_wait_alu 0xfffd
	v_add_co_ci_u32_e64 v18, null, v11, v9, vcc_lo
.LBB803_88:
	s_or_b32 exec_lo, exec_lo, s0
	s_wait_dscnt 0x0
	v_or_b32_e32 v9, 31, v0
	s_mov_b32 s0, exec_lo
	s_delay_alu instid0(VALU_DEP_1)
	v_cmpx_eq_u32_e64 v0, v9
; %bb.89:
	v_lshlrev_b32_e32 v9, 3, v26
	ds_store_b64 v9, v[17:18]
; %bb.90:
	s_or_b32 exec_lo, exec_lo, s0
	s_delay_alu instid0(SALU_CYCLE_1)
	s_mov_b32 s0, exec_lo
	s_wait_loadcnt_dscnt 0x0
	s_barrier_signal -1
	s_barrier_wait -1
	global_inv scope:SCOPE_SE
	v_cmpx_gt_u32_e32 8, v0
	s_cbranch_execz .LBB803_98
; %bb.91:
	v_lshlrev_b32_e32 v11, 3, v0
	s_mov_b32 s1, exec_lo
	ds_load_b64 v[9:10], v11
	s_wait_dscnt 0x0
	v_dual_mov_b32 v13, v9 :: v_dual_and_b32 v12, 7, v31
	v_mov_b32_dpp v15, v9 row_shr:1 row_mask:0xf bank_mask:0xf
	v_mov_b32_dpp v14, v10 row_shr:1 row_mask:0xf bank_mask:0xf
	s_delay_alu instid0(VALU_DEP_3)
	v_cmpx_ne_u32_e32 0, v12
; %bb.92:
	s_delay_alu instid0(VALU_DEP_3) | instskip(SKIP_2) | instid1(VALU_DEP_2)
	v_add_co_u32 v13, vcc_lo, v9, v15
	s_wait_alu 0xfffd
	v_add_co_ci_u32_e64 v10, null, 0, v10, vcc_lo
	v_add_co_u32 v9, vcc_lo, 0, v13
	s_wait_alu 0xfffd
	s_delay_alu instid0(VALU_DEP_2)
	v_add_co_ci_u32_e64 v10, null, v14, v10, vcc_lo
; %bb.93:
	s_or_b32 exec_lo, exec_lo, s1
	v_mov_b32_dpp v15, v13 row_shr:2 row_mask:0xf bank_mask:0xf
	s_delay_alu instid0(VALU_DEP_2)
	v_mov_b32_dpp v14, v10 row_shr:2 row_mask:0xf bank_mask:0xf
	s_mov_b32 s1, exec_lo
	v_cmpx_lt_u32_e32 1, v12
; %bb.94:
	s_delay_alu instid0(VALU_DEP_3) | instskip(SKIP_2) | instid1(VALU_DEP_2)
	v_add_co_u32 v13, vcc_lo, v9, v15
	s_wait_alu 0xfffd
	v_add_co_ci_u32_e64 v10, null, 0, v10, vcc_lo
	v_add_co_u32 v9, vcc_lo, 0, v13
	s_wait_alu 0xfffd
	s_delay_alu instid0(VALU_DEP_2)
	v_add_co_ci_u32_e64 v10, null, v14, v10, vcc_lo
; %bb.95:
	s_or_b32 exec_lo, exec_lo, s1
	v_mov_b32_dpp v14, v13 row_shr:4 row_mask:0xf bank_mask:0xf
	s_delay_alu instid0(VALU_DEP_2)
	v_mov_b32_dpp v13, v10 row_shr:4 row_mask:0xf bank_mask:0xf
	s_mov_b32 s1, exec_lo
	v_cmpx_lt_u32_e32 3, v12
; %bb.96:
	s_delay_alu instid0(VALU_DEP_3) | instskip(SKIP_2) | instid1(VALU_DEP_2)
	v_add_co_u32 v9, vcc_lo, v9, v14
	s_wait_alu 0xfffd
	v_add_co_ci_u32_e64 v10, null, 0, v10, vcc_lo
	v_add_co_u32 v9, vcc_lo, v9, 0
	s_wait_alu 0xfffd
	s_delay_alu instid0(VALU_DEP_2)
	v_add_co_ci_u32_e64 v10, null, v10, v13, vcc_lo
; %bb.97:
	s_or_b32 exec_lo, exec_lo, s1
	ds_store_b64 v11, v[9:10]
.LBB803_98:
	s_or_b32 exec_lo, exec_lo, s0
	v_mov_b32_e32 v13, 0
	v_mov_b32_e32 v14, 0
	s_mov_b32 s0, exec_lo
	s_wait_loadcnt_dscnt 0x0
	s_barrier_signal -1
	s_barrier_wait -1
	global_inv scope:SCOPE_SE
	v_cmpx_lt_u32_e32 31, v0
; %bb.99:
	v_lshl_add_u32 v9, v26, 3, -8
	ds_load_b64 v[13:14], v9
; %bb.100:
	s_or_b32 exec_lo, exec_lo, s0
	v_sub_co_u32 v9, vcc_lo, v31, 1
	v_mov_b32_e32 v12, 0
	s_delay_alu instid0(VALU_DEP_2) | instskip(NEXT) | instid1(VALU_DEP_1)
	v_cmp_gt_i32_e64 s0, 0, v9
	v_cndmask_b32_e64 v9, v9, v31, s0
	s_wait_dscnt 0x0
	v_add_co_u32 v10, s0, v13, v17
	s_wait_alu 0xf1ff
	v_add_co_ci_u32_e64 v11, null, v14, v18, s0
	v_lshlrev_b32_e32 v9, 2, v9
	v_cmp_eq_u32_e64 s0, 0, v0
	ds_bpermute_b32 v15, v9, v10
	ds_bpermute_b32 v16, v9, v11
	ds_load_b64 v[9:10], v12 offset:56
	s_and_saveexec_b32 s1, s0
	s_cbranch_execz .LBB803_102
; %bb.101:
	s_wait_kmcnt 0x0
	s_add_nc_u64 s[2:3], s[6:7], 0x200
	s_wait_alu 0xfffe
	v_dual_mov_b32 v11, 2 :: v_dual_mov_b32 v18, s3
	v_mov_b32_e32 v17, s2
	s_wait_dscnt 0x0
	;;#ASMSTART
	global_store_b128 v[17:18], v[9:12] off scope:SCOPE_DEV	
s_wait_storecnt 0x0
	;;#ASMEND
.LBB803_102:
	s_wait_alu 0xfffe
	s_or_b32 exec_lo, exec_lo, s1
	s_wait_dscnt 0x1
	s_wait_alu 0xfffd
	v_dual_cndmask_b32 v11, v15, v13 :: v_dual_cndmask_b32 v12, v16, v14
	s_wait_loadcnt_dscnt 0x0
	s_barrier_signal -1
	s_barrier_wait -1
	s_delay_alu instid0(VALU_DEP_1)
	v_cndmask_b32_e64 v21, v11, 0, s0
	v_cndmask_b32_e64 v22, v12, 0, s0
	v_mov_b32_e32 v11, 0
	v_mov_b32_e32 v12, 0
	global_inv scope:SCOPE_SE
	v_add_co_u32 v19, vcc_lo, v21, v30
	s_wait_alu 0xfffd
	v_add_co_ci_u32_e64 v20, null, 0, v22, vcc_lo
	s_delay_alu instid0(VALU_DEP_2) | instskip(SKIP_1) | instid1(VALU_DEP_2)
	v_add_co_u32 v13, vcc_lo, v19, v29
	s_wait_alu 0xfffd
	v_add_co_ci_u32_e64 v14, null, 0, v20, vcc_lo
	s_delay_alu instid0(VALU_DEP_2) | instskip(SKIP_1) | instid1(VALU_DEP_2)
	v_add_co_u32 v15, vcc_lo, v13, v28
	s_wait_alu 0xfffd
	v_add_co_ci_u32_e64 v16, null, 0, v14, vcc_lo
.LBB803_103:
	v_and_b32_e32 v26, 1, v27
	s_wait_dscnt 0x0
	v_cmp_gt_u64_e32 vcc_lo, 0x101, v[9:10]
	v_lshrrev_b32_e32 v23, 16, v27
	v_lshrrev_b32_e32 v24, 8, v27
	s_mov_b32 s1, -1
	v_cmp_eq_u32_e64 s0, 1, v26
	s_cbranch_vccnz .LBB803_107
; %bb.104:
	s_wait_alu 0xfffe
	s_and_b32 vcc_lo, exec_lo, s1
	s_wait_alu 0xfffe
	s_cbranch_vccnz .LBB803_116
.LBB803_105:
	v_cmp_eq_u32_e32 vcc_lo, 0, v0
	s_and_b32 s0, vcc_lo, s16
	s_wait_alu 0xfffe
	s_and_saveexec_b32 s1, s0
	s_cbranch_execnz .LBB803_128
.LBB803_106:
	s_endpgm
.LBB803_107:
	v_add_co_u32 v17, vcc_lo, v11, v9
	s_wait_alu 0xfffd
	v_add_co_ci_u32_e64 v18, null, v12, v10, vcc_lo
	s_delay_alu instid0(VALU_DEP_1)
	v_cmp_lt_u64_e32 vcc_lo, v[21:22], v[17:18]
	s_or_b32 s1, s17, vcc_lo
	s_wait_alu 0xfffe
	s_and_b32 s1, s1, s0
	s_wait_alu 0xfffe
	s_and_saveexec_b32 s0, s1
	s_cbranch_execz .LBB803_109
; %bb.108:
	v_lshlrev_b64_e32 v[27:28], 3, v[21:22]
	s_lshl_b64 s[2:3], s[10:11], 3
	s_wait_kmcnt 0x0
	s_wait_alu 0xfffe
	s_add_nc_u64 s[2:3], s[4:5], s[2:3]
	s_wait_alu 0xfffe
	v_add_co_u32 v27, vcc_lo, s2, v27
	s_wait_alu 0xfffd
	v_add_co_ci_u32_e64 v28, null, s3, v28, vcc_lo
	global_store_b64 v[27:28], v[5:6], off
.LBB803_109:
	s_wait_alu 0xfffe
	s_or_b32 exec_lo, exec_lo, s0
	v_and_b32_e32 v22, 1, v24
	v_cmp_lt_u64_e32 vcc_lo, v[19:20], v[17:18]
	s_delay_alu instid0(VALU_DEP_2)
	v_cmp_eq_u32_e64 s0, 1, v22
	s_or_b32 s1, s17, vcc_lo
	s_wait_alu 0xfffe
	s_and_b32 s1, s1, s0
	s_wait_alu 0xfffe
	s_and_saveexec_b32 s0, s1
	s_cbranch_execz .LBB803_111
; %bb.110:
	v_lshlrev_b64_e32 v[27:28], 3, v[19:20]
	s_lshl_b64 s[2:3], s[10:11], 3
	s_wait_kmcnt 0x0
	s_wait_alu 0xfffe
	s_add_nc_u64 s[2:3], s[4:5], s[2:3]
	s_wait_alu 0xfffe
	v_add_co_u32 v27, vcc_lo, s2, v27
	s_wait_alu 0xfffd
	v_add_co_ci_u32_e64 v28, null, s3, v28, vcc_lo
	global_store_b64 v[27:28], v[7:8], off
.LBB803_111:
	s_wait_alu 0xfffe
	s_or_b32 exec_lo, exec_lo, s0
	v_and_b32_e32 v20, 1, v23
	v_cmp_lt_u64_e32 vcc_lo, v[13:14], v[17:18]
	s_delay_alu instid0(VALU_DEP_2)
	v_cmp_eq_u32_e64 s0, 1, v20
	;; [unrolled: 24-line block ×3, first 2 shown]
	s_or_b32 s1, s17, vcc_lo
	s_wait_alu 0xfffe
	s_and_b32 s1, s1, s0
	s_wait_alu 0xfffe
	s_and_saveexec_b32 s0, s1
	s_cbranch_execz .LBB803_115
; %bb.114:
	v_lshlrev_b64_e32 v[16:17], 3, v[15:16]
	s_lshl_b64 s[2:3], s[10:11], 3
	s_wait_kmcnt 0x0
	s_wait_alu 0xfffe
	s_add_nc_u64 s[2:3], s[4:5], s[2:3]
	s_wait_alu 0xfffe
	v_add_co_u32 v16, vcc_lo, s2, v16
	s_wait_alu 0xfffd
	v_add_co_ci_u32_e64 v17, null, s3, v17, vcc_lo
	global_store_b64 v[16:17], v[3:4], off
.LBB803_115:
	s_wait_alu 0xfffe
	s_or_b32 exec_lo, exec_lo, s0
	s_branch .LBB803_105
.LBB803_116:
	s_mov_b32 s0, exec_lo
	v_cmpx_eq_u32_e32 1, v26
; %bb.117:
	v_sub_nc_u32_e32 v14, v21, v11
	s_delay_alu instid0(VALU_DEP_1)
	v_lshlrev_b32_e32 v14, 3, v14
	ds_store_b64 v14, v[5:6]
; %bb.118:
	s_wait_alu 0xfffe
	s_or_b32 exec_lo, exec_lo, s0
	v_and_b32_e32 v5, 1, v24
	s_mov_b32 s0, exec_lo
	s_delay_alu instid0(VALU_DEP_1)
	v_cmpx_eq_u32_e32 1, v5
; %bb.119:
	v_sub_nc_u32_e32 v5, v19, v11
	s_delay_alu instid0(VALU_DEP_1)
	v_lshlrev_b32_e32 v5, 3, v5
	ds_store_b64 v5, v[7:8]
; %bb.120:
	s_wait_alu 0xfffe
	s_or_b32 exec_lo, exec_lo, s0
	v_and_b32_e32 v5, 1, v23
	s_mov_b32 s0, exec_lo
	s_delay_alu instid0(VALU_DEP_1)
	;; [unrolled: 12-line block ×3, first 2 shown]
	v_cmpx_eq_u32_e32 1, v1
; %bb.123:
	v_sub_nc_u32_e32 v1, v15, v11
	s_delay_alu instid0(VALU_DEP_1)
	v_lshlrev_b32_e32 v1, 3, v1
	ds_store_b64 v1, v[3:4]
; %bb.124:
	s_wait_alu 0xfffe
	s_or_b32 exec_lo, exec_lo, s0
	v_mov_b32_e32 v3, 0
	s_mov_b32 s1, exec_lo
	s_wait_storecnt 0x0
	s_wait_loadcnt_dscnt 0x0
	s_barrier_signal -1
	s_barrier_wait -1
	v_mov_b32_e32 v1, v3
	global_inv scope:SCOPE_SE
	v_cmpx_gt_u64_e64 v[9:10], v[0:1]
	s_cbranch_execz .LBB803_127
; %bb.125:
	v_lshlrev_b64_e32 v[4:5], 3, v[11:12]
	s_lshl_b64 s[2:3], s[10:11], 3
	v_or_b32_e32 v2, 0x100, v0
	s_wait_kmcnt 0x0
	s_delay_alu instid0(VALU_DEP_2) | instskip(SKIP_3) | instid1(VALU_DEP_2)
	v_add_co_u32 v4, vcc_lo, s4, v4
	s_wait_alu 0xfffd
	v_add_co_ci_u32_e64 v5, null, s5, v5, vcc_lo
	s_wait_alu 0xfffe
	v_add_co_u32 v6, vcc_lo, v4, s2
	s_wait_alu 0xfffd
	s_delay_alu instid0(VALU_DEP_2)
	v_add_co_ci_u32_e64 v7, null, s3, v5, vcc_lo
	v_dual_mov_b32 v5, v1 :: v_dual_mov_b32 v4, v0
	s_mov_b32 s2, 0
.LBB803_126:                            ; =>This Inner Loop Header: Depth=1
	s_delay_alu instid0(VALU_DEP_1) | instskip(NEXT) | instid1(VALU_DEP_2)
	v_lshlrev_b32_e32 v1, 3, v4
	v_lshlrev_b64_e32 v[15:16], 3, v[4:5]
	v_dual_mov_b32 v5, v3 :: v_dual_mov_b32 v4, v2
	v_cmp_le_u64_e32 vcc_lo, v[9:10], v[2:3]
	ds_load_b64 v[13:14], v1
	v_add_nc_u32_e32 v2, 0x100, v2
	v_add_co_u32 v15, s0, v6, v15
	s_wait_alu 0xf1ff
	v_add_co_ci_u32_e64 v16, null, v7, v16, s0
	s_wait_alu 0xfffe
	s_or_b32 s2, vcc_lo, s2
	s_wait_dscnt 0x0
	global_store_b64 v[15:16], v[13:14], off
	s_wait_alu 0xfffe
	s_and_not1_b32 exec_lo, exec_lo, s2
	s_cbranch_execnz .LBB803_126
.LBB803_127:
	s_wait_alu 0xfffe
	s_or_b32 exec_lo, exec_lo, s1
	v_cmp_eq_u32_e32 vcc_lo, 0, v0
	s_and_b32 s0, vcc_lo, s16
	s_wait_alu 0xfffe
	s_and_saveexec_b32 s1, s0
	s_cbranch_execz .LBB803_106
.LBB803_128:
	v_add_co_u32 v0, vcc_lo, v11, v9
	s_wait_alu 0xfffd
	v_add_co_ci_u32_e64 v1, null, v12, v10, vcc_lo
	v_mov_b32_e32 v2, 0
	s_delay_alu instid0(VALU_DEP_3) | instskip(SKIP_1) | instid1(VALU_DEP_3)
	v_add_co_u32 v0, vcc_lo, v0, s10
	s_wait_alu 0xfffd
	v_add_co_ci_u32_e64 v1, null, s11, v1, vcc_lo
	global_store_b64 v2, v[0:1], s[8:9]
	s_endpgm
.LBB803_129:
	global_load_u16 v15, v11, s[2:3] offset:512
	s_wait_loadcnt 0x0
	v_and_b32_e32 v15, 0x7fff, v15
	s_delay_alu instid0(VALU_DEP_1) | instskip(SKIP_2) | instid1(VALU_DEP_1)
	v_cmp_ne_u16_e32 vcc_lo, 0, v15
	s_wait_alu 0xfffd
	v_cndmask_b32_e64 v15, 0, 1, vcc_lo
	v_lshlrev_b16 v15, 8, v15
	s_delay_alu instid0(VALU_DEP_1) | instskip(NEXT) | instid1(VALU_DEP_1)
	v_or_b32_e32 v13, v13, v15
	v_and_b32_e32 v13, 0xffff, v13
	s_wait_alu 0xfffe
	s_or_b32 exec_lo, exec_lo, s4
	s_delay_alu instid0(SALU_CYCLE_1)
	s_mov_b32 s4, exec_lo
	v_cmpx_gt_u32_e64 s18, v9
	s_cbranch_execz .LBB803_12
.LBB803_130:
	global_load_u16 v15, v11, s[2:3] offset:1024
	s_wait_loadcnt 0x0
	v_and_b32_e32 v15, 0x7fff, v15
	s_delay_alu instid0(VALU_DEP_1) | instskip(SKIP_2) | instid1(VALU_DEP_1)
	v_cmp_ne_u16_e32 vcc_lo, 0, v15
	s_wait_alu 0xfffd
	v_cndmask_b32_e64 v15, 0, 1, vcc_lo
	v_lshl_or_b32 v13, v15, 16, v13
	s_wait_alu 0xfffe
	s_or_b32 exec_lo, exec_lo, s4
	s_delay_alu instid0(SALU_CYCLE_1)
	s_mov_b32 s4, exec_lo
	v_cmpx_gt_u32_e64 s18, v10
	s_cbranch_execnz .LBB803_13
	s_branch .LBB803_14
	.section	.rodata,"a",@progbits
	.p2align	6, 0x0
	.amdhsa_kernel _ZN7rocprim17ROCPRIM_400000_NS6detail17trampoline_kernelINS0_14default_configENS1_25partition_config_selectorILNS1_17partition_subalgoE5ElNS0_10empty_typeEbEEZZNS1_14partition_implILS5_5ELb0ES3_mN6hipcub16HIPCUB_304000_NS21CountingInputIteratorIllEEPS6_NSA_22TransformInputIteratorIbN2at6native12_GLOBAL__N_19NonZeroOpIN3c108BFloat16EEEPKSK_lEENS0_5tupleIJPlS6_EEENSP_IJSD_SD_EEES6_PiJS6_EEE10hipError_tPvRmT3_T4_T5_T6_T7_T9_mT8_P12ihipStream_tbDpT10_ENKUlT_T0_E_clISt17integral_constantIbLb0EES1D_EEDaS18_S19_EUlS18_E_NS1_11comp_targetILNS1_3genE10ELNS1_11target_archE1200ELNS1_3gpuE4ELNS1_3repE0EEENS1_30default_config_static_selectorELNS0_4arch9wavefront6targetE0EEEvT1_
		.amdhsa_group_segment_fixed_size 8464
		.amdhsa_private_segment_fixed_size 0
		.amdhsa_kernarg_size 120
		.amdhsa_user_sgpr_count 2
		.amdhsa_user_sgpr_dispatch_ptr 0
		.amdhsa_user_sgpr_queue_ptr 0
		.amdhsa_user_sgpr_kernarg_segment_ptr 1
		.amdhsa_user_sgpr_dispatch_id 0
		.amdhsa_user_sgpr_private_segment_size 0
		.amdhsa_wavefront_size32 1
		.amdhsa_uses_dynamic_stack 0
		.amdhsa_enable_private_segment 0
		.amdhsa_system_sgpr_workgroup_id_x 1
		.amdhsa_system_sgpr_workgroup_id_y 0
		.amdhsa_system_sgpr_workgroup_id_z 0
		.amdhsa_system_sgpr_workgroup_info 0
		.amdhsa_system_vgpr_workitem_id 0
		.amdhsa_next_free_vgpr 46
		.amdhsa_next_free_sgpr 20
		.amdhsa_reserve_vcc 1
		.amdhsa_float_round_mode_32 0
		.amdhsa_float_round_mode_16_64 0
		.amdhsa_float_denorm_mode_32 3
		.amdhsa_float_denorm_mode_16_64 3
		.amdhsa_fp16_overflow 0
		.amdhsa_workgroup_processor_mode 1
		.amdhsa_memory_ordered 1
		.amdhsa_forward_progress 1
		.amdhsa_inst_pref_size 54
		.amdhsa_round_robin_scheduling 0
		.amdhsa_exception_fp_ieee_invalid_op 0
		.amdhsa_exception_fp_denorm_src 0
		.amdhsa_exception_fp_ieee_div_zero 0
		.amdhsa_exception_fp_ieee_overflow 0
		.amdhsa_exception_fp_ieee_underflow 0
		.amdhsa_exception_fp_ieee_inexact 0
		.amdhsa_exception_int_div_zero 0
	.end_amdhsa_kernel
	.section	.text._ZN7rocprim17ROCPRIM_400000_NS6detail17trampoline_kernelINS0_14default_configENS1_25partition_config_selectorILNS1_17partition_subalgoE5ElNS0_10empty_typeEbEEZZNS1_14partition_implILS5_5ELb0ES3_mN6hipcub16HIPCUB_304000_NS21CountingInputIteratorIllEEPS6_NSA_22TransformInputIteratorIbN2at6native12_GLOBAL__N_19NonZeroOpIN3c108BFloat16EEEPKSK_lEENS0_5tupleIJPlS6_EEENSP_IJSD_SD_EEES6_PiJS6_EEE10hipError_tPvRmT3_T4_T5_T6_T7_T9_mT8_P12ihipStream_tbDpT10_ENKUlT_T0_E_clISt17integral_constantIbLb0EES1D_EEDaS18_S19_EUlS18_E_NS1_11comp_targetILNS1_3genE10ELNS1_11target_archE1200ELNS1_3gpuE4ELNS1_3repE0EEENS1_30default_config_static_selectorELNS0_4arch9wavefront6targetE0EEEvT1_,"axG",@progbits,_ZN7rocprim17ROCPRIM_400000_NS6detail17trampoline_kernelINS0_14default_configENS1_25partition_config_selectorILNS1_17partition_subalgoE5ElNS0_10empty_typeEbEEZZNS1_14partition_implILS5_5ELb0ES3_mN6hipcub16HIPCUB_304000_NS21CountingInputIteratorIllEEPS6_NSA_22TransformInputIteratorIbN2at6native12_GLOBAL__N_19NonZeroOpIN3c108BFloat16EEEPKSK_lEENS0_5tupleIJPlS6_EEENSP_IJSD_SD_EEES6_PiJS6_EEE10hipError_tPvRmT3_T4_T5_T6_T7_T9_mT8_P12ihipStream_tbDpT10_ENKUlT_T0_E_clISt17integral_constantIbLb0EES1D_EEDaS18_S19_EUlS18_E_NS1_11comp_targetILNS1_3genE10ELNS1_11target_archE1200ELNS1_3gpuE4ELNS1_3repE0EEENS1_30default_config_static_selectorELNS0_4arch9wavefront6targetE0EEEvT1_,comdat
.Lfunc_end803:
	.size	_ZN7rocprim17ROCPRIM_400000_NS6detail17trampoline_kernelINS0_14default_configENS1_25partition_config_selectorILNS1_17partition_subalgoE5ElNS0_10empty_typeEbEEZZNS1_14partition_implILS5_5ELb0ES3_mN6hipcub16HIPCUB_304000_NS21CountingInputIteratorIllEEPS6_NSA_22TransformInputIteratorIbN2at6native12_GLOBAL__N_19NonZeroOpIN3c108BFloat16EEEPKSK_lEENS0_5tupleIJPlS6_EEENSP_IJSD_SD_EEES6_PiJS6_EEE10hipError_tPvRmT3_T4_T5_T6_T7_T9_mT8_P12ihipStream_tbDpT10_ENKUlT_T0_E_clISt17integral_constantIbLb0EES1D_EEDaS18_S19_EUlS18_E_NS1_11comp_targetILNS1_3genE10ELNS1_11target_archE1200ELNS1_3gpuE4ELNS1_3repE0EEENS1_30default_config_static_selectorELNS0_4arch9wavefront6targetE0EEEvT1_, .Lfunc_end803-_ZN7rocprim17ROCPRIM_400000_NS6detail17trampoline_kernelINS0_14default_configENS1_25partition_config_selectorILNS1_17partition_subalgoE5ElNS0_10empty_typeEbEEZZNS1_14partition_implILS5_5ELb0ES3_mN6hipcub16HIPCUB_304000_NS21CountingInputIteratorIllEEPS6_NSA_22TransformInputIteratorIbN2at6native12_GLOBAL__N_19NonZeroOpIN3c108BFloat16EEEPKSK_lEENS0_5tupleIJPlS6_EEENSP_IJSD_SD_EEES6_PiJS6_EEE10hipError_tPvRmT3_T4_T5_T6_T7_T9_mT8_P12ihipStream_tbDpT10_ENKUlT_T0_E_clISt17integral_constantIbLb0EES1D_EEDaS18_S19_EUlS18_E_NS1_11comp_targetILNS1_3genE10ELNS1_11target_archE1200ELNS1_3gpuE4ELNS1_3repE0EEENS1_30default_config_static_selectorELNS0_4arch9wavefront6targetE0EEEvT1_
                                        ; -- End function
	.set _ZN7rocprim17ROCPRIM_400000_NS6detail17trampoline_kernelINS0_14default_configENS1_25partition_config_selectorILNS1_17partition_subalgoE5ElNS0_10empty_typeEbEEZZNS1_14partition_implILS5_5ELb0ES3_mN6hipcub16HIPCUB_304000_NS21CountingInputIteratorIllEEPS6_NSA_22TransformInputIteratorIbN2at6native12_GLOBAL__N_19NonZeroOpIN3c108BFloat16EEEPKSK_lEENS0_5tupleIJPlS6_EEENSP_IJSD_SD_EEES6_PiJS6_EEE10hipError_tPvRmT3_T4_T5_T6_T7_T9_mT8_P12ihipStream_tbDpT10_ENKUlT_T0_E_clISt17integral_constantIbLb0EES1D_EEDaS18_S19_EUlS18_E_NS1_11comp_targetILNS1_3genE10ELNS1_11target_archE1200ELNS1_3gpuE4ELNS1_3repE0EEENS1_30default_config_static_selectorELNS0_4arch9wavefront6targetE0EEEvT1_.num_vgpr, 46
	.set _ZN7rocprim17ROCPRIM_400000_NS6detail17trampoline_kernelINS0_14default_configENS1_25partition_config_selectorILNS1_17partition_subalgoE5ElNS0_10empty_typeEbEEZZNS1_14partition_implILS5_5ELb0ES3_mN6hipcub16HIPCUB_304000_NS21CountingInputIteratorIllEEPS6_NSA_22TransformInputIteratorIbN2at6native12_GLOBAL__N_19NonZeroOpIN3c108BFloat16EEEPKSK_lEENS0_5tupleIJPlS6_EEENSP_IJSD_SD_EEES6_PiJS6_EEE10hipError_tPvRmT3_T4_T5_T6_T7_T9_mT8_P12ihipStream_tbDpT10_ENKUlT_T0_E_clISt17integral_constantIbLb0EES1D_EEDaS18_S19_EUlS18_E_NS1_11comp_targetILNS1_3genE10ELNS1_11target_archE1200ELNS1_3gpuE4ELNS1_3repE0EEENS1_30default_config_static_selectorELNS0_4arch9wavefront6targetE0EEEvT1_.num_agpr, 0
	.set _ZN7rocprim17ROCPRIM_400000_NS6detail17trampoline_kernelINS0_14default_configENS1_25partition_config_selectorILNS1_17partition_subalgoE5ElNS0_10empty_typeEbEEZZNS1_14partition_implILS5_5ELb0ES3_mN6hipcub16HIPCUB_304000_NS21CountingInputIteratorIllEEPS6_NSA_22TransformInputIteratorIbN2at6native12_GLOBAL__N_19NonZeroOpIN3c108BFloat16EEEPKSK_lEENS0_5tupleIJPlS6_EEENSP_IJSD_SD_EEES6_PiJS6_EEE10hipError_tPvRmT3_T4_T5_T6_T7_T9_mT8_P12ihipStream_tbDpT10_ENKUlT_T0_E_clISt17integral_constantIbLb0EES1D_EEDaS18_S19_EUlS18_E_NS1_11comp_targetILNS1_3genE10ELNS1_11target_archE1200ELNS1_3gpuE4ELNS1_3repE0EEENS1_30default_config_static_selectorELNS0_4arch9wavefront6targetE0EEEvT1_.numbered_sgpr, 20
	.set _ZN7rocprim17ROCPRIM_400000_NS6detail17trampoline_kernelINS0_14default_configENS1_25partition_config_selectorILNS1_17partition_subalgoE5ElNS0_10empty_typeEbEEZZNS1_14partition_implILS5_5ELb0ES3_mN6hipcub16HIPCUB_304000_NS21CountingInputIteratorIllEEPS6_NSA_22TransformInputIteratorIbN2at6native12_GLOBAL__N_19NonZeroOpIN3c108BFloat16EEEPKSK_lEENS0_5tupleIJPlS6_EEENSP_IJSD_SD_EEES6_PiJS6_EEE10hipError_tPvRmT3_T4_T5_T6_T7_T9_mT8_P12ihipStream_tbDpT10_ENKUlT_T0_E_clISt17integral_constantIbLb0EES1D_EEDaS18_S19_EUlS18_E_NS1_11comp_targetILNS1_3genE10ELNS1_11target_archE1200ELNS1_3gpuE4ELNS1_3repE0EEENS1_30default_config_static_selectorELNS0_4arch9wavefront6targetE0EEEvT1_.num_named_barrier, 0
	.set _ZN7rocprim17ROCPRIM_400000_NS6detail17trampoline_kernelINS0_14default_configENS1_25partition_config_selectorILNS1_17partition_subalgoE5ElNS0_10empty_typeEbEEZZNS1_14partition_implILS5_5ELb0ES3_mN6hipcub16HIPCUB_304000_NS21CountingInputIteratorIllEEPS6_NSA_22TransformInputIteratorIbN2at6native12_GLOBAL__N_19NonZeroOpIN3c108BFloat16EEEPKSK_lEENS0_5tupleIJPlS6_EEENSP_IJSD_SD_EEES6_PiJS6_EEE10hipError_tPvRmT3_T4_T5_T6_T7_T9_mT8_P12ihipStream_tbDpT10_ENKUlT_T0_E_clISt17integral_constantIbLb0EES1D_EEDaS18_S19_EUlS18_E_NS1_11comp_targetILNS1_3genE10ELNS1_11target_archE1200ELNS1_3gpuE4ELNS1_3repE0EEENS1_30default_config_static_selectorELNS0_4arch9wavefront6targetE0EEEvT1_.private_seg_size, 0
	.set _ZN7rocprim17ROCPRIM_400000_NS6detail17trampoline_kernelINS0_14default_configENS1_25partition_config_selectorILNS1_17partition_subalgoE5ElNS0_10empty_typeEbEEZZNS1_14partition_implILS5_5ELb0ES3_mN6hipcub16HIPCUB_304000_NS21CountingInputIteratorIllEEPS6_NSA_22TransformInputIteratorIbN2at6native12_GLOBAL__N_19NonZeroOpIN3c108BFloat16EEEPKSK_lEENS0_5tupleIJPlS6_EEENSP_IJSD_SD_EEES6_PiJS6_EEE10hipError_tPvRmT3_T4_T5_T6_T7_T9_mT8_P12ihipStream_tbDpT10_ENKUlT_T0_E_clISt17integral_constantIbLb0EES1D_EEDaS18_S19_EUlS18_E_NS1_11comp_targetILNS1_3genE10ELNS1_11target_archE1200ELNS1_3gpuE4ELNS1_3repE0EEENS1_30default_config_static_selectorELNS0_4arch9wavefront6targetE0EEEvT1_.uses_vcc, 1
	.set _ZN7rocprim17ROCPRIM_400000_NS6detail17trampoline_kernelINS0_14default_configENS1_25partition_config_selectorILNS1_17partition_subalgoE5ElNS0_10empty_typeEbEEZZNS1_14partition_implILS5_5ELb0ES3_mN6hipcub16HIPCUB_304000_NS21CountingInputIteratorIllEEPS6_NSA_22TransformInputIteratorIbN2at6native12_GLOBAL__N_19NonZeroOpIN3c108BFloat16EEEPKSK_lEENS0_5tupleIJPlS6_EEENSP_IJSD_SD_EEES6_PiJS6_EEE10hipError_tPvRmT3_T4_T5_T6_T7_T9_mT8_P12ihipStream_tbDpT10_ENKUlT_T0_E_clISt17integral_constantIbLb0EES1D_EEDaS18_S19_EUlS18_E_NS1_11comp_targetILNS1_3genE10ELNS1_11target_archE1200ELNS1_3gpuE4ELNS1_3repE0EEENS1_30default_config_static_selectorELNS0_4arch9wavefront6targetE0EEEvT1_.uses_flat_scratch, 0
	.set _ZN7rocprim17ROCPRIM_400000_NS6detail17trampoline_kernelINS0_14default_configENS1_25partition_config_selectorILNS1_17partition_subalgoE5ElNS0_10empty_typeEbEEZZNS1_14partition_implILS5_5ELb0ES3_mN6hipcub16HIPCUB_304000_NS21CountingInputIteratorIllEEPS6_NSA_22TransformInputIteratorIbN2at6native12_GLOBAL__N_19NonZeroOpIN3c108BFloat16EEEPKSK_lEENS0_5tupleIJPlS6_EEENSP_IJSD_SD_EEES6_PiJS6_EEE10hipError_tPvRmT3_T4_T5_T6_T7_T9_mT8_P12ihipStream_tbDpT10_ENKUlT_T0_E_clISt17integral_constantIbLb0EES1D_EEDaS18_S19_EUlS18_E_NS1_11comp_targetILNS1_3genE10ELNS1_11target_archE1200ELNS1_3gpuE4ELNS1_3repE0EEENS1_30default_config_static_selectorELNS0_4arch9wavefront6targetE0EEEvT1_.has_dyn_sized_stack, 0
	.set _ZN7rocprim17ROCPRIM_400000_NS6detail17trampoline_kernelINS0_14default_configENS1_25partition_config_selectorILNS1_17partition_subalgoE5ElNS0_10empty_typeEbEEZZNS1_14partition_implILS5_5ELb0ES3_mN6hipcub16HIPCUB_304000_NS21CountingInputIteratorIllEEPS6_NSA_22TransformInputIteratorIbN2at6native12_GLOBAL__N_19NonZeroOpIN3c108BFloat16EEEPKSK_lEENS0_5tupleIJPlS6_EEENSP_IJSD_SD_EEES6_PiJS6_EEE10hipError_tPvRmT3_T4_T5_T6_T7_T9_mT8_P12ihipStream_tbDpT10_ENKUlT_T0_E_clISt17integral_constantIbLb0EES1D_EEDaS18_S19_EUlS18_E_NS1_11comp_targetILNS1_3genE10ELNS1_11target_archE1200ELNS1_3gpuE4ELNS1_3repE0EEENS1_30default_config_static_selectorELNS0_4arch9wavefront6targetE0EEEvT1_.has_recursion, 0
	.set _ZN7rocprim17ROCPRIM_400000_NS6detail17trampoline_kernelINS0_14default_configENS1_25partition_config_selectorILNS1_17partition_subalgoE5ElNS0_10empty_typeEbEEZZNS1_14partition_implILS5_5ELb0ES3_mN6hipcub16HIPCUB_304000_NS21CountingInputIteratorIllEEPS6_NSA_22TransformInputIteratorIbN2at6native12_GLOBAL__N_19NonZeroOpIN3c108BFloat16EEEPKSK_lEENS0_5tupleIJPlS6_EEENSP_IJSD_SD_EEES6_PiJS6_EEE10hipError_tPvRmT3_T4_T5_T6_T7_T9_mT8_P12ihipStream_tbDpT10_ENKUlT_T0_E_clISt17integral_constantIbLb0EES1D_EEDaS18_S19_EUlS18_E_NS1_11comp_targetILNS1_3genE10ELNS1_11target_archE1200ELNS1_3gpuE4ELNS1_3repE0EEENS1_30default_config_static_selectorELNS0_4arch9wavefront6targetE0EEEvT1_.has_indirect_call, 0
	.section	.AMDGPU.csdata,"",@progbits
; Kernel info:
; codeLenInByte = 6892
; TotalNumSgprs: 22
; NumVgprs: 46
; ScratchSize: 0
; MemoryBound: 0
; FloatMode: 240
; IeeeMode: 1
; LDSByteSize: 8464 bytes/workgroup (compile time only)
; SGPRBlocks: 0
; VGPRBlocks: 5
; NumSGPRsForWavesPerEU: 22
; NumVGPRsForWavesPerEU: 46
; Occupancy: 16
; WaveLimiterHint : 1
; COMPUTE_PGM_RSRC2:SCRATCH_EN: 0
; COMPUTE_PGM_RSRC2:USER_SGPR: 2
; COMPUTE_PGM_RSRC2:TRAP_HANDLER: 0
; COMPUTE_PGM_RSRC2:TGID_X_EN: 1
; COMPUTE_PGM_RSRC2:TGID_Y_EN: 0
; COMPUTE_PGM_RSRC2:TGID_Z_EN: 0
; COMPUTE_PGM_RSRC2:TIDIG_COMP_CNT: 0
	.section	.text._ZN7rocprim17ROCPRIM_400000_NS6detail17trampoline_kernelINS0_14default_configENS1_25partition_config_selectorILNS1_17partition_subalgoE5ElNS0_10empty_typeEbEEZZNS1_14partition_implILS5_5ELb0ES3_mN6hipcub16HIPCUB_304000_NS21CountingInputIteratorIllEEPS6_NSA_22TransformInputIteratorIbN2at6native12_GLOBAL__N_19NonZeroOpIN3c108BFloat16EEEPKSK_lEENS0_5tupleIJPlS6_EEENSP_IJSD_SD_EEES6_PiJS6_EEE10hipError_tPvRmT3_T4_T5_T6_T7_T9_mT8_P12ihipStream_tbDpT10_ENKUlT_T0_E_clISt17integral_constantIbLb0EES1D_EEDaS18_S19_EUlS18_E_NS1_11comp_targetILNS1_3genE9ELNS1_11target_archE1100ELNS1_3gpuE3ELNS1_3repE0EEENS1_30default_config_static_selectorELNS0_4arch9wavefront6targetE0EEEvT1_,"axG",@progbits,_ZN7rocprim17ROCPRIM_400000_NS6detail17trampoline_kernelINS0_14default_configENS1_25partition_config_selectorILNS1_17partition_subalgoE5ElNS0_10empty_typeEbEEZZNS1_14partition_implILS5_5ELb0ES3_mN6hipcub16HIPCUB_304000_NS21CountingInputIteratorIllEEPS6_NSA_22TransformInputIteratorIbN2at6native12_GLOBAL__N_19NonZeroOpIN3c108BFloat16EEEPKSK_lEENS0_5tupleIJPlS6_EEENSP_IJSD_SD_EEES6_PiJS6_EEE10hipError_tPvRmT3_T4_T5_T6_T7_T9_mT8_P12ihipStream_tbDpT10_ENKUlT_T0_E_clISt17integral_constantIbLb0EES1D_EEDaS18_S19_EUlS18_E_NS1_11comp_targetILNS1_3genE9ELNS1_11target_archE1100ELNS1_3gpuE3ELNS1_3repE0EEENS1_30default_config_static_selectorELNS0_4arch9wavefront6targetE0EEEvT1_,comdat
	.globl	_ZN7rocprim17ROCPRIM_400000_NS6detail17trampoline_kernelINS0_14default_configENS1_25partition_config_selectorILNS1_17partition_subalgoE5ElNS0_10empty_typeEbEEZZNS1_14partition_implILS5_5ELb0ES3_mN6hipcub16HIPCUB_304000_NS21CountingInputIteratorIllEEPS6_NSA_22TransformInputIteratorIbN2at6native12_GLOBAL__N_19NonZeroOpIN3c108BFloat16EEEPKSK_lEENS0_5tupleIJPlS6_EEENSP_IJSD_SD_EEES6_PiJS6_EEE10hipError_tPvRmT3_T4_T5_T6_T7_T9_mT8_P12ihipStream_tbDpT10_ENKUlT_T0_E_clISt17integral_constantIbLb0EES1D_EEDaS18_S19_EUlS18_E_NS1_11comp_targetILNS1_3genE9ELNS1_11target_archE1100ELNS1_3gpuE3ELNS1_3repE0EEENS1_30default_config_static_selectorELNS0_4arch9wavefront6targetE0EEEvT1_ ; -- Begin function _ZN7rocprim17ROCPRIM_400000_NS6detail17trampoline_kernelINS0_14default_configENS1_25partition_config_selectorILNS1_17partition_subalgoE5ElNS0_10empty_typeEbEEZZNS1_14partition_implILS5_5ELb0ES3_mN6hipcub16HIPCUB_304000_NS21CountingInputIteratorIllEEPS6_NSA_22TransformInputIteratorIbN2at6native12_GLOBAL__N_19NonZeroOpIN3c108BFloat16EEEPKSK_lEENS0_5tupleIJPlS6_EEENSP_IJSD_SD_EEES6_PiJS6_EEE10hipError_tPvRmT3_T4_T5_T6_T7_T9_mT8_P12ihipStream_tbDpT10_ENKUlT_T0_E_clISt17integral_constantIbLb0EES1D_EEDaS18_S19_EUlS18_E_NS1_11comp_targetILNS1_3genE9ELNS1_11target_archE1100ELNS1_3gpuE3ELNS1_3repE0EEENS1_30default_config_static_selectorELNS0_4arch9wavefront6targetE0EEEvT1_
	.p2align	8
	.type	_ZN7rocprim17ROCPRIM_400000_NS6detail17trampoline_kernelINS0_14default_configENS1_25partition_config_selectorILNS1_17partition_subalgoE5ElNS0_10empty_typeEbEEZZNS1_14partition_implILS5_5ELb0ES3_mN6hipcub16HIPCUB_304000_NS21CountingInputIteratorIllEEPS6_NSA_22TransformInputIteratorIbN2at6native12_GLOBAL__N_19NonZeroOpIN3c108BFloat16EEEPKSK_lEENS0_5tupleIJPlS6_EEENSP_IJSD_SD_EEES6_PiJS6_EEE10hipError_tPvRmT3_T4_T5_T6_T7_T9_mT8_P12ihipStream_tbDpT10_ENKUlT_T0_E_clISt17integral_constantIbLb0EES1D_EEDaS18_S19_EUlS18_E_NS1_11comp_targetILNS1_3genE9ELNS1_11target_archE1100ELNS1_3gpuE3ELNS1_3repE0EEENS1_30default_config_static_selectorELNS0_4arch9wavefront6targetE0EEEvT1_,@function
_ZN7rocprim17ROCPRIM_400000_NS6detail17trampoline_kernelINS0_14default_configENS1_25partition_config_selectorILNS1_17partition_subalgoE5ElNS0_10empty_typeEbEEZZNS1_14partition_implILS5_5ELb0ES3_mN6hipcub16HIPCUB_304000_NS21CountingInputIteratorIllEEPS6_NSA_22TransformInputIteratorIbN2at6native12_GLOBAL__N_19NonZeroOpIN3c108BFloat16EEEPKSK_lEENS0_5tupleIJPlS6_EEENSP_IJSD_SD_EEES6_PiJS6_EEE10hipError_tPvRmT3_T4_T5_T6_T7_T9_mT8_P12ihipStream_tbDpT10_ENKUlT_T0_E_clISt17integral_constantIbLb0EES1D_EEDaS18_S19_EUlS18_E_NS1_11comp_targetILNS1_3genE9ELNS1_11target_archE1100ELNS1_3gpuE3ELNS1_3repE0EEENS1_30default_config_static_selectorELNS0_4arch9wavefront6targetE0EEEvT1_: ; @_ZN7rocprim17ROCPRIM_400000_NS6detail17trampoline_kernelINS0_14default_configENS1_25partition_config_selectorILNS1_17partition_subalgoE5ElNS0_10empty_typeEbEEZZNS1_14partition_implILS5_5ELb0ES3_mN6hipcub16HIPCUB_304000_NS21CountingInputIteratorIllEEPS6_NSA_22TransformInputIteratorIbN2at6native12_GLOBAL__N_19NonZeroOpIN3c108BFloat16EEEPKSK_lEENS0_5tupleIJPlS6_EEENSP_IJSD_SD_EEES6_PiJS6_EEE10hipError_tPvRmT3_T4_T5_T6_T7_T9_mT8_P12ihipStream_tbDpT10_ENKUlT_T0_E_clISt17integral_constantIbLb0EES1D_EEDaS18_S19_EUlS18_E_NS1_11comp_targetILNS1_3genE9ELNS1_11target_archE1100ELNS1_3gpuE3ELNS1_3repE0EEENS1_30default_config_static_selectorELNS0_4arch9wavefront6targetE0EEEvT1_
; %bb.0:
	.section	.rodata,"a",@progbits
	.p2align	6, 0x0
	.amdhsa_kernel _ZN7rocprim17ROCPRIM_400000_NS6detail17trampoline_kernelINS0_14default_configENS1_25partition_config_selectorILNS1_17partition_subalgoE5ElNS0_10empty_typeEbEEZZNS1_14partition_implILS5_5ELb0ES3_mN6hipcub16HIPCUB_304000_NS21CountingInputIteratorIllEEPS6_NSA_22TransformInputIteratorIbN2at6native12_GLOBAL__N_19NonZeroOpIN3c108BFloat16EEEPKSK_lEENS0_5tupleIJPlS6_EEENSP_IJSD_SD_EEES6_PiJS6_EEE10hipError_tPvRmT3_T4_T5_T6_T7_T9_mT8_P12ihipStream_tbDpT10_ENKUlT_T0_E_clISt17integral_constantIbLb0EES1D_EEDaS18_S19_EUlS18_E_NS1_11comp_targetILNS1_3genE9ELNS1_11target_archE1100ELNS1_3gpuE3ELNS1_3repE0EEENS1_30default_config_static_selectorELNS0_4arch9wavefront6targetE0EEEvT1_
		.amdhsa_group_segment_fixed_size 0
		.amdhsa_private_segment_fixed_size 0
		.amdhsa_kernarg_size 120
		.amdhsa_user_sgpr_count 2
		.amdhsa_user_sgpr_dispatch_ptr 0
		.amdhsa_user_sgpr_queue_ptr 0
		.amdhsa_user_sgpr_kernarg_segment_ptr 1
		.amdhsa_user_sgpr_dispatch_id 0
		.amdhsa_user_sgpr_private_segment_size 0
		.amdhsa_wavefront_size32 1
		.amdhsa_uses_dynamic_stack 0
		.amdhsa_enable_private_segment 0
		.amdhsa_system_sgpr_workgroup_id_x 1
		.amdhsa_system_sgpr_workgroup_id_y 0
		.amdhsa_system_sgpr_workgroup_id_z 0
		.amdhsa_system_sgpr_workgroup_info 0
		.amdhsa_system_vgpr_workitem_id 0
		.amdhsa_next_free_vgpr 1
		.amdhsa_next_free_sgpr 1
		.amdhsa_reserve_vcc 0
		.amdhsa_float_round_mode_32 0
		.amdhsa_float_round_mode_16_64 0
		.amdhsa_float_denorm_mode_32 3
		.amdhsa_float_denorm_mode_16_64 3
		.amdhsa_fp16_overflow 0
		.amdhsa_workgroup_processor_mode 1
		.amdhsa_memory_ordered 1
		.amdhsa_forward_progress 1
		.amdhsa_inst_pref_size 0
		.amdhsa_round_robin_scheduling 0
		.amdhsa_exception_fp_ieee_invalid_op 0
		.amdhsa_exception_fp_denorm_src 0
		.amdhsa_exception_fp_ieee_div_zero 0
		.amdhsa_exception_fp_ieee_overflow 0
		.amdhsa_exception_fp_ieee_underflow 0
		.amdhsa_exception_fp_ieee_inexact 0
		.amdhsa_exception_int_div_zero 0
	.end_amdhsa_kernel
	.section	.text._ZN7rocprim17ROCPRIM_400000_NS6detail17trampoline_kernelINS0_14default_configENS1_25partition_config_selectorILNS1_17partition_subalgoE5ElNS0_10empty_typeEbEEZZNS1_14partition_implILS5_5ELb0ES3_mN6hipcub16HIPCUB_304000_NS21CountingInputIteratorIllEEPS6_NSA_22TransformInputIteratorIbN2at6native12_GLOBAL__N_19NonZeroOpIN3c108BFloat16EEEPKSK_lEENS0_5tupleIJPlS6_EEENSP_IJSD_SD_EEES6_PiJS6_EEE10hipError_tPvRmT3_T4_T5_T6_T7_T9_mT8_P12ihipStream_tbDpT10_ENKUlT_T0_E_clISt17integral_constantIbLb0EES1D_EEDaS18_S19_EUlS18_E_NS1_11comp_targetILNS1_3genE9ELNS1_11target_archE1100ELNS1_3gpuE3ELNS1_3repE0EEENS1_30default_config_static_selectorELNS0_4arch9wavefront6targetE0EEEvT1_,"axG",@progbits,_ZN7rocprim17ROCPRIM_400000_NS6detail17trampoline_kernelINS0_14default_configENS1_25partition_config_selectorILNS1_17partition_subalgoE5ElNS0_10empty_typeEbEEZZNS1_14partition_implILS5_5ELb0ES3_mN6hipcub16HIPCUB_304000_NS21CountingInputIteratorIllEEPS6_NSA_22TransformInputIteratorIbN2at6native12_GLOBAL__N_19NonZeroOpIN3c108BFloat16EEEPKSK_lEENS0_5tupleIJPlS6_EEENSP_IJSD_SD_EEES6_PiJS6_EEE10hipError_tPvRmT3_T4_T5_T6_T7_T9_mT8_P12ihipStream_tbDpT10_ENKUlT_T0_E_clISt17integral_constantIbLb0EES1D_EEDaS18_S19_EUlS18_E_NS1_11comp_targetILNS1_3genE9ELNS1_11target_archE1100ELNS1_3gpuE3ELNS1_3repE0EEENS1_30default_config_static_selectorELNS0_4arch9wavefront6targetE0EEEvT1_,comdat
.Lfunc_end804:
	.size	_ZN7rocprim17ROCPRIM_400000_NS6detail17trampoline_kernelINS0_14default_configENS1_25partition_config_selectorILNS1_17partition_subalgoE5ElNS0_10empty_typeEbEEZZNS1_14partition_implILS5_5ELb0ES3_mN6hipcub16HIPCUB_304000_NS21CountingInputIteratorIllEEPS6_NSA_22TransformInputIteratorIbN2at6native12_GLOBAL__N_19NonZeroOpIN3c108BFloat16EEEPKSK_lEENS0_5tupleIJPlS6_EEENSP_IJSD_SD_EEES6_PiJS6_EEE10hipError_tPvRmT3_T4_T5_T6_T7_T9_mT8_P12ihipStream_tbDpT10_ENKUlT_T0_E_clISt17integral_constantIbLb0EES1D_EEDaS18_S19_EUlS18_E_NS1_11comp_targetILNS1_3genE9ELNS1_11target_archE1100ELNS1_3gpuE3ELNS1_3repE0EEENS1_30default_config_static_selectorELNS0_4arch9wavefront6targetE0EEEvT1_, .Lfunc_end804-_ZN7rocprim17ROCPRIM_400000_NS6detail17trampoline_kernelINS0_14default_configENS1_25partition_config_selectorILNS1_17partition_subalgoE5ElNS0_10empty_typeEbEEZZNS1_14partition_implILS5_5ELb0ES3_mN6hipcub16HIPCUB_304000_NS21CountingInputIteratorIllEEPS6_NSA_22TransformInputIteratorIbN2at6native12_GLOBAL__N_19NonZeroOpIN3c108BFloat16EEEPKSK_lEENS0_5tupleIJPlS6_EEENSP_IJSD_SD_EEES6_PiJS6_EEE10hipError_tPvRmT3_T4_T5_T6_T7_T9_mT8_P12ihipStream_tbDpT10_ENKUlT_T0_E_clISt17integral_constantIbLb0EES1D_EEDaS18_S19_EUlS18_E_NS1_11comp_targetILNS1_3genE9ELNS1_11target_archE1100ELNS1_3gpuE3ELNS1_3repE0EEENS1_30default_config_static_selectorELNS0_4arch9wavefront6targetE0EEEvT1_
                                        ; -- End function
	.set _ZN7rocprim17ROCPRIM_400000_NS6detail17trampoline_kernelINS0_14default_configENS1_25partition_config_selectorILNS1_17partition_subalgoE5ElNS0_10empty_typeEbEEZZNS1_14partition_implILS5_5ELb0ES3_mN6hipcub16HIPCUB_304000_NS21CountingInputIteratorIllEEPS6_NSA_22TransformInputIteratorIbN2at6native12_GLOBAL__N_19NonZeroOpIN3c108BFloat16EEEPKSK_lEENS0_5tupleIJPlS6_EEENSP_IJSD_SD_EEES6_PiJS6_EEE10hipError_tPvRmT3_T4_T5_T6_T7_T9_mT8_P12ihipStream_tbDpT10_ENKUlT_T0_E_clISt17integral_constantIbLb0EES1D_EEDaS18_S19_EUlS18_E_NS1_11comp_targetILNS1_3genE9ELNS1_11target_archE1100ELNS1_3gpuE3ELNS1_3repE0EEENS1_30default_config_static_selectorELNS0_4arch9wavefront6targetE0EEEvT1_.num_vgpr, 0
	.set _ZN7rocprim17ROCPRIM_400000_NS6detail17trampoline_kernelINS0_14default_configENS1_25partition_config_selectorILNS1_17partition_subalgoE5ElNS0_10empty_typeEbEEZZNS1_14partition_implILS5_5ELb0ES3_mN6hipcub16HIPCUB_304000_NS21CountingInputIteratorIllEEPS6_NSA_22TransformInputIteratorIbN2at6native12_GLOBAL__N_19NonZeroOpIN3c108BFloat16EEEPKSK_lEENS0_5tupleIJPlS6_EEENSP_IJSD_SD_EEES6_PiJS6_EEE10hipError_tPvRmT3_T4_T5_T6_T7_T9_mT8_P12ihipStream_tbDpT10_ENKUlT_T0_E_clISt17integral_constantIbLb0EES1D_EEDaS18_S19_EUlS18_E_NS1_11comp_targetILNS1_3genE9ELNS1_11target_archE1100ELNS1_3gpuE3ELNS1_3repE0EEENS1_30default_config_static_selectorELNS0_4arch9wavefront6targetE0EEEvT1_.num_agpr, 0
	.set _ZN7rocprim17ROCPRIM_400000_NS6detail17trampoline_kernelINS0_14default_configENS1_25partition_config_selectorILNS1_17partition_subalgoE5ElNS0_10empty_typeEbEEZZNS1_14partition_implILS5_5ELb0ES3_mN6hipcub16HIPCUB_304000_NS21CountingInputIteratorIllEEPS6_NSA_22TransformInputIteratorIbN2at6native12_GLOBAL__N_19NonZeroOpIN3c108BFloat16EEEPKSK_lEENS0_5tupleIJPlS6_EEENSP_IJSD_SD_EEES6_PiJS6_EEE10hipError_tPvRmT3_T4_T5_T6_T7_T9_mT8_P12ihipStream_tbDpT10_ENKUlT_T0_E_clISt17integral_constantIbLb0EES1D_EEDaS18_S19_EUlS18_E_NS1_11comp_targetILNS1_3genE9ELNS1_11target_archE1100ELNS1_3gpuE3ELNS1_3repE0EEENS1_30default_config_static_selectorELNS0_4arch9wavefront6targetE0EEEvT1_.numbered_sgpr, 0
	.set _ZN7rocprim17ROCPRIM_400000_NS6detail17trampoline_kernelINS0_14default_configENS1_25partition_config_selectorILNS1_17partition_subalgoE5ElNS0_10empty_typeEbEEZZNS1_14partition_implILS5_5ELb0ES3_mN6hipcub16HIPCUB_304000_NS21CountingInputIteratorIllEEPS6_NSA_22TransformInputIteratorIbN2at6native12_GLOBAL__N_19NonZeroOpIN3c108BFloat16EEEPKSK_lEENS0_5tupleIJPlS6_EEENSP_IJSD_SD_EEES6_PiJS6_EEE10hipError_tPvRmT3_T4_T5_T6_T7_T9_mT8_P12ihipStream_tbDpT10_ENKUlT_T0_E_clISt17integral_constantIbLb0EES1D_EEDaS18_S19_EUlS18_E_NS1_11comp_targetILNS1_3genE9ELNS1_11target_archE1100ELNS1_3gpuE3ELNS1_3repE0EEENS1_30default_config_static_selectorELNS0_4arch9wavefront6targetE0EEEvT1_.num_named_barrier, 0
	.set _ZN7rocprim17ROCPRIM_400000_NS6detail17trampoline_kernelINS0_14default_configENS1_25partition_config_selectorILNS1_17partition_subalgoE5ElNS0_10empty_typeEbEEZZNS1_14partition_implILS5_5ELb0ES3_mN6hipcub16HIPCUB_304000_NS21CountingInputIteratorIllEEPS6_NSA_22TransformInputIteratorIbN2at6native12_GLOBAL__N_19NonZeroOpIN3c108BFloat16EEEPKSK_lEENS0_5tupleIJPlS6_EEENSP_IJSD_SD_EEES6_PiJS6_EEE10hipError_tPvRmT3_T4_T5_T6_T7_T9_mT8_P12ihipStream_tbDpT10_ENKUlT_T0_E_clISt17integral_constantIbLb0EES1D_EEDaS18_S19_EUlS18_E_NS1_11comp_targetILNS1_3genE9ELNS1_11target_archE1100ELNS1_3gpuE3ELNS1_3repE0EEENS1_30default_config_static_selectorELNS0_4arch9wavefront6targetE0EEEvT1_.private_seg_size, 0
	.set _ZN7rocprim17ROCPRIM_400000_NS6detail17trampoline_kernelINS0_14default_configENS1_25partition_config_selectorILNS1_17partition_subalgoE5ElNS0_10empty_typeEbEEZZNS1_14partition_implILS5_5ELb0ES3_mN6hipcub16HIPCUB_304000_NS21CountingInputIteratorIllEEPS6_NSA_22TransformInputIteratorIbN2at6native12_GLOBAL__N_19NonZeroOpIN3c108BFloat16EEEPKSK_lEENS0_5tupleIJPlS6_EEENSP_IJSD_SD_EEES6_PiJS6_EEE10hipError_tPvRmT3_T4_T5_T6_T7_T9_mT8_P12ihipStream_tbDpT10_ENKUlT_T0_E_clISt17integral_constantIbLb0EES1D_EEDaS18_S19_EUlS18_E_NS1_11comp_targetILNS1_3genE9ELNS1_11target_archE1100ELNS1_3gpuE3ELNS1_3repE0EEENS1_30default_config_static_selectorELNS0_4arch9wavefront6targetE0EEEvT1_.uses_vcc, 0
	.set _ZN7rocprim17ROCPRIM_400000_NS6detail17trampoline_kernelINS0_14default_configENS1_25partition_config_selectorILNS1_17partition_subalgoE5ElNS0_10empty_typeEbEEZZNS1_14partition_implILS5_5ELb0ES3_mN6hipcub16HIPCUB_304000_NS21CountingInputIteratorIllEEPS6_NSA_22TransformInputIteratorIbN2at6native12_GLOBAL__N_19NonZeroOpIN3c108BFloat16EEEPKSK_lEENS0_5tupleIJPlS6_EEENSP_IJSD_SD_EEES6_PiJS6_EEE10hipError_tPvRmT3_T4_T5_T6_T7_T9_mT8_P12ihipStream_tbDpT10_ENKUlT_T0_E_clISt17integral_constantIbLb0EES1D_EEDaS18_S19_EUlS18_E_NS1_11comp_targetILNS1_3genE9ELNS1_11target_archE1100ELNS1_3gpuE3ELNS1_3repE0EEENS1_30default_config_static_selectorELNS0_4arch9wavefront6targetE0EEEvT1_.uses_flat_scratch, 0
	.set _ZN7rocprim17ROCPRIM_400000_NS6detail17trampoline_kernelINS0_14default_configENS1_25partition_config_selectorILNS1_17partition_subalgoE5ElNS0_10empty_typeEbEEZZNS1_14partition_implILS5_5ELb0ES3_mN6hipcub16HIPCUB_304000_NS21CountingInputIteratorIllEEPS6_NSA_22TransformInputIteratorIbN2at6native12_GLOBAL__N_19NonZeroOpIN3c108BFloat16EEEPKSK_lEENS0_5tupleIJPlS6_EEENSP_IJSD_SD_EEES6_PiJS6_EEE10hipError_tPvRmT3_T4_T5_T6_T7_T9_mT8_P12ihipStream_tbDpT10_ENKUlT_T0_E_clISt17integral_constantIbLb0EES1D_EEDaS18_S19_EUlS18_E_NS1_11comp_targetILNS1_3genE9ELNS1_11target_archE1100ELNS1_3gpuE3ELNS1_3repE0EEENS1_30default_config_static_selectorELNS0_4arch9wavefront6targetE0EEEvT1_.has_dyn_sized_stack, 0
	.set _ZN7rocprim17ROCPRIM_400000_NS6detail17trampoline_kernelINS0_14default_configENS1_25partition_config_selectorILNS1_17partition_subalgoE5ElNS0_10empty_typeEbEEZZNS1_14partition_implILS5_5ELb0ES3_mN6hipcub16HIPCUB_304000_NS21CountingInputIteratorIllEEPS6_NSA_22TransformInputIteratorIbN2at6native12_GLOBAL__N_19NonZeroOpIN3c108BFloat16EEEPKSK_lEENS0_5tupleIJPlS6_EEENSP_IJSD_SD_EEES6_PiJS6_EEE10hipError_tPvRmT3_T4_T5_T6_T7_T9_mT8_P12ihipStream_tbDpT10_ENKUlT_T0_E_clISt17integral_constantIbLb0EES1D_EEDaS18_S19_EUlS18_E_NS1_11comp_targetILNS1_3genE9ELNS1_11target_archE1100ELNS1_3gpuE3ELNS1_3repE0EEENS1_30default_config_static_selectorELNS0_4arch9wavefront6targetE0EEEvT1_.has_recursion, 0
	.set _ZN7rocprim17ROCPRIM_400000_NS6detail17trampoline_kernelINS0_14default_configENS1_25partition_config_selectorILNS1_17partition_subalgoE5ElNS0_10empty_typeEbEEZZNS1_14partition_implILS5_5ELb0ES3_mN6hipcub16HIPCUB_304000_NS21CountingInputIteratorIllEEPS6_NSA_22TransformInputIteratorIbN2at6native12_GLOBAL__N_19NonZeroOpIN3c108BFloat16EEEPKSK_lEENS0_5tupleIJPlS6_EEENSP_IJSD_SD_EEES6_PiJS6_EEE10hipError_tPvRmT3_T4_T5_T6_T7_T9_mT8_P12ihipStream_tbDpT10_ENKUlT_T0_E_clISt17integral_constantIbLb0EES1D_EEDaS18_S19_EUlS18_E_NS1_11comp_targetILNS1_3genE9ELNS1_11target_archE1100ELNS1_3gpuE3ELNS1_3repE0EEENS1_30default_config_static_selectorELNS0_4arch9wavefront6targetE0EEEvT1_.has_indirect_call, 0
	.section	.AMDGPU.csdata,"",@progbits
; Kernel info:
; codeLenInByte = 0
; TotalNumSgprs: 0
; NumVgprs: 0
; ScratchSize: 0
; MemoryBound: 0
; FloatMode: 240
; IeeeMode: 1
; LDSByteSize: 0 bytes/workgroup (compile time only)
; SGPRBlocks: 0
; VGPRBlocks: 0
; NumSGPRsForWavesPerEU: 1
; NumVGPRsForWavesPerEU: 1
; Occupancy: 16
; WaveLimiterHint : 0
; COMPUTE_PGM_RSRC2:SCRATCH_EN: 0
; COMPUTE_PGM_RSRC2:USER_SGPR: 2
; COMPUTE_PGM_RSRC2:TRAP_HANDLER: 0
; COMPUTE_PGM_RSRC2:TGID_X_EN: 1
; COMPUTE_PGM_RSRC2:TGID_Y_EN: 0
; COMPUTE_PGM_RSRC2:TGID_Z_EN: 0
; COMPUTE_PGM_RSRC2:TIDIG_COMP_CNT: 0
	.section	.text._ZN7rocprim17ROCPRIM_400000_NS6detail17trampoline_kernelINS0_14default_configENS1_25partition_config_selectorILNS1_17partition_subalgoE5ElNS0_10empty_typeEbEEZZNS1_14partition_implILS5_5ELb0ES3_mN6hipcub16HIPCUB_304000_NS21CountingInputIteratorIllEEPS6_NSA_22TransformInputIteratorIbN2at6native12_GLOBAL__N_19NonZeroOpIN3c108BFloat16EEEPKSK_lEENS0_5tupleIJPlS6_EEENSP_IJSD_SD_EEES6_PiJS6_EEE10hipError_tPvRmT3_T4_T5_T6_T7_T9_mT8_P12ihipStream_tbDpT10_ENKUlT_T0_E_clISt17integral_constantIbLb0EES1D_EEDaS18_S19_EUlS18_E_NS1_11comp_targetILNS1_3genE8ELNS1_11target_archE1030ELNS1_3gpuE2ELNS1_3repE0EEENS1_30default_config_static_selectorELNS0_4arch9wavefront6targetE0EEEvT1_,"axG",@progbits,_ZN7rocprim17ROCPRIM_400000_NS6detail17trampoline_kernelINS0_14default_configENS1_25partition_config_selectorILNS1_17partition_subalgoE5ElNS0_10empty_typeEbEEZZNS1_14partition_implILS5_5ELb0ES3_mN6hipcub16HIPCUB_304000_NS21CountingInputIteratorIllEEPS6_NSA_22TransformInputIteratorIbN2at6native12_GLOBAL__N_19NonZeroOpIN3c108BFloat16EEEPKSK_lEENS0_5tupleIJPlS6_EEENSP_IJSD_SD_EEES6_PiJS6_EEE10hipError_tPvRmT3_T4_T5_T6_T7_T9_mT8_P12ihipStream_tbDpT10_ENKUlT_T0_E_clISt17integral_constantIbLb0EES1D_EEDaS18_S19_EUlS18_E_NS1_11comp_targetILNS1_3genE8ELNS1_11target_archE1030ELNS1_3gpuE2ELNS1_3repE0EEENS1_30default_config_static_selectorELNS0_4arch9wavefront6targetE0EEEvT1_,comdat
	.globl	_ZN7rocprim17ROCPRIM_400000_NS6detail17trampoline_kernelINS0_14default_configENS1_25partition_config_selectorILNS1_17partition_subalgoE5ElNS0_10empty_typeEbEEZZNS1_14partition_implILS5_5ELb0ES3_mN6hipcub16HIPCUB_304000_NS21CountingInputIteratorIllEEPS6_NSA_22TransformInputIteratorIbN2at6native12_GLOBAL__N_19NonZeroOpIN3c108BFloat16EEEPKSK_lEENS0_5tupleIJPlS6_EEENSP_IJSD_SD_EEES6_PiJS6_EEE10hipError_tPvRmT3_T4_T5_T6_T7_T9_mT8_P12ihipStream_tbDpT10_ENKUlT_T0_E_clISt17integral_constantIbLb0EES1D_EEDaS18_S19_EUlS18_E_NS1_11comp_targetILNS1_3genE8ELNS1_11target_archE1030ELNS1_3gpuE2ELNS1_3repE0EEENS1_30default_config_static_selectorELNS0_4arch9wavefront6targetE0EEEvT1_ ; -- Begin function _ZN7rocprim17ROCPRIM_400000_NS6detail17trampoline_kernelINS0_14default_configENS1_25partition_config_selectorILNS1_17partition_subalgoE5ElNS0_10empty_typeEbEEZZNS1_14partition_implILS5_5ELb0ES3_mN6hipcub16HIPCUB_304000_NS21CountingInputIteratorIllEEPS6_NSA_22TransformInputIteratorIbN2at6native12_GLOBAL__N_19NonZeroOpIN3c108BFloat16EEEPKSK_lEENS0_5tupleIJPlS6_EEENSP_IJSD_SD_EEES6_PiJS6_EEE10hipError_tPvRmT3_T4_T5_T6_T7_T9_mT8_P12ihipStream_tbDpT10_ENKUlT_T0_E_clISt17integral_constantIbLb0EES1D_EEDaS18_S19_EUlS18_E_NS1_11comp_targetILNS1_3genE8ELNS1_11target_archE1030ELNS1_3gpuE2ELNS1_3repE0EEENS1_30default_config_static_selectorELNS0_4arch9wavefront6targetE0EEEvT1_
	.p2align	8
	.type	_ZN7rocprim17ROCPRIM_400000_NS6detail17trampoline_kernelINS0_14default_configENS1_25partition_config_selectorILNS1_17partition_subalgoE5ElNS0_10empty_typeEbEEZZNS1_14partition_implILS5_5ELb0ES3_mN6hipcub16HIPCUB_304000_NS21CountingInputIteratorIllEEPS6_NSA_22TransformInputIteratorIbN2at6native12_GLOBAL__N_19NonZeroOpIN3c108BFloat16EEEPKSK_lEENS0_5tupleIJPlS6_EEENSP_IJSD_SD_EEES6_PiJS6_EEE10hipError_tPvRmT3_T4_T5_T6_T7_T9_mT8_P12ihipStream_tbDpT10_ENKUlT_T0_E_clISt17integral_constantIbLb0EES1D_EEDaS18_S19_EUlS18_E_NS1_11comp_targetILNS1_3genE8ELNS1_11target_archE1030ELNS1_3gpuE2ELNS1_3repE0EEENS1_30default_config_static_selectorELNS0_4arch9wavefront6targetE0EEEvT1_,@function
_ZN7rocprim17ROCPRIM_400000_NS6detail17trampoline_kernelINS0_14default_configENS1_25partition_config_selectorILNS1_17partition_subalgoE5ElNS0_10empty_typeEbEEZZNS1_14partition_implILS5_5ELb0ES3_mN6hipcub16HIPCUB_304000_NS21CountingInputIteratorIllEEPS6_NSA_22TransformInputIteratorIbN2at6native12_GLOBAL__N_19NonZeroOpIN3c108BFloat16EEEPKSK_lEENS0_5tupleIJPlS6_EEENSP_IJSD_SD_EEES6_PiJS6_EEE10hipError_tPvRmT3_T4_T5_T6_T7_T9_mT8_P12ihipStream_tbDpT10_ENKUlT_T0_E_clISt17integral_constantIbLb0EES1D_EEDaS18_S19_EUlS18_E_NS1_11comp_targetILNS1_3genE8ELNS1_11target_archE1030ELNS1_3gpuE2ELNS1_3repE0EEENS1_30default_config_static_selectorELNS0_4arch9wavefront6targetE0EEEvT1_: ; @_ZN7rocprim17ROCPRIM_400000_NS6detail17trampoline_kernelINS0_14default_configENS1_25partition_config_selectorILNS1_17partition_subalgoE5ElNS0_10empty_typeEbEEZZNS1_14partition_implILS5_5ELb0ES3_mN6hipcub16HIPCUB_304000_NS21CountingInputIteratorIllEEPS6_NSA_22TransformInputIteratorIbN2at6native12_GLOBAL__N_19NonZeroOpIN3c108BFloat16EEEPKSK_lEENS0_5tupleIJPlS6_EEENSP_IJSD_SD_EEES6_PiJS6_EEE10hipError_tPvRmT3_T4_T5_T6_T7_T9_mT8_P12ihipStream_tbDpT10_ENKUlT_T0_E_clISt17integral_constantIbLb0EES1D_EEDaS18_S19_EUlS18_E_NS1_11comp_targetILNS1_3genE8ELNS1_11target_archE1030ELNS1_3gpuE2ELNS1_3repE0EEENS1_30default_config_static_selectorELNS0_4arch9wavefront6targetE0EEEvT1_
; %bb.0:
	.section	.rodata,"a",@progbits
	.p2align	6, 0x0
	.amdhsa_kernel _ZN7rocprim17ROCPRIM_400000_NS6detail17trampoline_kernelINS0_14default_configENS1_25partition_config_selectorILNS1_17partition_subalgoE5ElNS0_10empty_typeEbEEZZNS1_14partition_implILS5_5ELb0ES3_mN6hipcub16HIPCUB_304000_NS21CountingInputIteratorIllEEPS6_NSA_22TransformInputIteratorIbN2at6native12_GLOBAL__N_19NonZeroOpIN3c108BFloat16EEEPKSK_lEENS0_5tupleIJPlS6_EEENSP_IJSD_SD_EEES6_PiJS6_EEE10hipError_tPvRmT3_T4_T5_T6_T7_T9_mT8_P12ihipStream_tbDpT10_ENKUlT_T0_E_clISt17integral_constantIbLb0EES1D_EEDaS18_S19_EUlS18_E_NS1_11comp_targetILNS1_3genE8ELNS1_11target_archE1030ELNS1_3gpuE2ELNS1_3repE0EEENS1_30default_config_static_selectorELNS0_4arch9wavefront6targetE0EEEvT1_
		.amdhsa_group_segment_fixed_size 0
		.amdhsa_private_segment_fixed_size 0
		.amdhsa_kernarg_size 120
		.amdhsa_user_sgpr_count 2
		.amdhsa_user_sgpr_dispatch_ptr 0
		.amdhsa_user_sgpr_queue_ptr 0
		.amdhsa_user_sgpr_kernarg_segment_ptr 1
		.amdhsa_user_sgpr_dispatch_id 0
		.amdhsa_user_sgpr_private_segment_size 0
		.amdhsa_wavefront_size32 1
		.amdhsa_uses_dynamic_stack 0
		.amdhsa_enable_private_segment 0
		.amdhsa_system_sgpr_workgroup_id_x 1
		.amdhsa_system_sgpr_workgroup_id_y 0
		.amdhsa_system_sgpr_workgroup_id_z 0
		.amdhsa_system_sgpr_workgroup_info 0
		.amdhsa_system_vgpr_workitem_id 0
		.amdhsa_next_free_vgpr 1
		.amdhsa_next_free_sgpr 1
		.amdhsa_reserve_vcc 0
		.amdhsa_float_round_mode_32 0
		.amdhsa_float_round_mode_16_64 0
		.amdhsa_float_denorm_mode_32 3
		.amdhsa_float_denorm_mode_16_64 3
		.amdhsa_fp16_overflow 0
		.amdhsa_workgroup_processor_mode 1
		.amdhsa_memory_ordered 1
		.amdhsa_forward_progress 1
		.amdhsa_inst_pref_size 0
		.amdhsa_round_robin_scheduling 0
		.amdhsa_exception_fp_ieee_invalid_op 0
		.amdhsa_exception_fp_denorm_src 0
		.amdhsa_exception_fp_ieee_div_zero 0
		.amdhsa_exception_fp_ieee_overflow 0
		.amdhsa_exception_fp_ieee_underflow 0
		.amdhsa_exception_fp_ieee_inexact 0
		.amdhsa_exception_int_div_zero 0
	.end_amdhsa_kernel
	.section	.text._ZN7rocprim17ROCPRIM_400000_NS6detail17trampoline_kernelINS0_14default_configENS1_25partition_config_selectorILNS1_17partition_subalgoE5ElNS0_10empty_typeEbEEZZNS1_14partition_implILS5_5ELb0ES3_mN6hipcub16HIPCUB_304000_NS21CountingInputIteratorIllEEPS6_NSA_22TransformInputIteratorIbN2at6native12_GLOBAL__N_19NonZeroOpIN3c108BFloat16EEEPKSK_lEENS0_5tupleIJPlS6_EEENSP_IJSD_SD_EEES6_PiJS6_EEE10hipError_tPvRmT3_T4_T5_T6_T7_T9_mT8_P12ihipStream_tbDpT10_ENKUlT_T0_E_clISt17integral_constantIbLb0EES1D_EEDaS18_S19_EUlS18_E_NS1_11comp_targetILNS1_3genE8ELNS1_11target_archE1030ELNS1_3gpuE2ELNS1_3repE0EEENS1_30default_config_static_selectorELNS0_4arch9wavefront6targetE0EEEvT1_,"axG",@progbits,_ZN7rocprim17ROCPRIM_400000_NS6detail17trampoline_kernelINS0_14default_configENS1_25partition_config_selectorILNS1_17partition_subalgoE5ElNS0_10empty_typeEbEEZZNS1_14partition_implILS5_5ELb0ES3_mN6hipcub16HIPCUB_304000_NS21CountingInputIteratorIllEEPS6_NSA_22TransformInputIteratorIbN2at6native12_GLOBAL__N_19NonZeroOpIN3c108BFloat16EEEPKSK_lEENS0_5tupleIJPlS6_EEENSP_IJSD_SD_EEES6_PiJS6_EEE10hipError_tPvRmT3_T4_T5_T6_T7_T9_mT8_P12ihipStream_tbDpT10_ENKUlT_T0_E_clISt17integral_constantIbLb0EES1D_EEDaS18_S19_EUlS18_E_NS1_11comp_targetILNS1_3genE8ELNS1_11target_archE1030ELNS1_3gpuE2ELNS1_3repE0EEENS1_30default_config_static_selectorELNS0_4arch9wavefront6targetE0EEEvT1_,comdat
.Lfunc_end805:
	.size	_ZN7rocprim17ROCPRIM_400000_NS6detail17trampoline_kernelINS0_14default_configENS1_25partition_config_selectorILNS1_17partition_subalgoE5ElNS0_10empty_typeEbEEZZNS1_14partition_implILS5_5ELb0ES3_mN6hipcub16HIPCUB_304000_NS21CountingInputIteratorIllEEPS6_NSA_22TransformInputIteratorIbN2at6native12_GLOBAL__N_19NonZeroOpIN3c108BFloat16EEEPKSK_lEENS0_5tupleIJPlS6_EEENSP_IJSD_SD_EEES6_PiJS6_EEE10hipError_tPvRmT3_T4_T5_T6_T7_T9_mT8_P12ihipStream_tbDpT10_ENKUlT_T0_E_clISt17integral_constantIbLb0EES1D_EEDaS18_S19_EUlS18_E_NS1_11comp_targetILNS1_3genE8ELNS1_11target_archE1030ELNS1_3gpuE2ELNS1_3repE0EEENS1_30default_config_static_selectorELNS0_4arch9wavefront6targetE0EEEvT1_, .Lfunc_end805-_ZN7rocprim17ROCPRIM_400000_NS6detail17trampoline_kernelINS0_14default_configENS1_25partition_config_selectorILNS1_17partition_subalgoE5ElNS0_10empty_typeEbEEZZNS1_14partition_implILS5_5ELb0ES3_mN6hipcub16HIPCUB_304000_NS21CountingInputIteratorIllEEPS6_NSA_22TransformInputIteratorIbN2at6native12_GLOBAL__N_19NonZeroOpIN3c108BFloat16EEEPKSK_lEENS0_5tupleIJPlS6_EEENSP_IJSD_SD_EEES6_PiJS6_EEE10hipError_tPvRmT3_T4_T5_T6_T7_T9_mT8_P12ihipStream_tbDpT10_ENKUlT_T0_E_clISt17integral_constantIbLb0EES1D_EEDaS18_S19_EUlS18_E_NS1_11comp_targetILNS1_3genE8ELNS1_11target_archE1030ELNS1_3gpuE2ELNS1_3repE0EEENS1_30default_config_static_selectorELNS0_4arch9wavefront6targetE0EEEvT1_
                                        ; -- End function
	.set _ZN7rocprim17ROCPRIM_400000_NS6detail17trampoline_kernelINS0_14default_configENS1_25partition_config_selectorILNS1_17partition_subalgoE5ElNS0_10empty_typeEbEEZZNS1_14partition_implILS5_5ELb0ES3_mN6hipcub16HIPCUB_304000_NS21CountingInputIteratorIllEEPS6_NSA_22TransformInputIteratorIbN2at6native12_GLOBAL__N_19NonZeroOpIN3c108BFloat16EEEPKSK_lEENS0_5tupleIJPlS6_EEENSP_IJSD_SD_EEES6_PiJS6_EEE10hipError_tPvRmT3_T4_T5_T6_T7_T9_mT8_P12ihipStream_tbDpT10_ENKUlT_T0_E_clISt17integral_constantIbLb0EES1D_EEDaS18_S19_EUlS18_E_NS1_11comp_targetILNS1_3genE8ELNS1_11target_archE1030ELNS1_3gpuE2ELNS1_3repE0EEENS1_30default_config_static_selectorELNS0_4arch9wavefront6targetE0EEEvT1_.num_vgpr, 0
	.set _ZN7rocprim17ROCPRIM_400000_NS6detail17trampoline_kernelINS0_14default_configENS1_25partition_config_selectorILNS1_17partition_subalgoE5ElNS0_10empty_typeEbEEZZNS1_14partition_implILS5_5ELb0ES3_mN6hipcub16HIPCUB_304000_NS21CountingInputIteratorIllEEPS6_NSA_22TransformInputIteratorIbN2at6native12_GLOBAL__N_19NonZeroOpIN3c108BFloat16EEEPKSK_lEENS0_5tupleIJPlS6_EEENSP_IJSD_SD_EEES6_PiJS6_EEE10hipError_tPvRmT3_T4_T5_T6_T7_T9_mT8_P12ihipStream_tbDpT10_ENKUlT_T0_E_clISt17integral_constantIbLb0EES1D_EEDaS18_S19_EUlS18_E_NS1_11comp_targetILNS1_3genE8ELNS1_11target_archE1030ELNS1_3gpuE2ELNS1_3repE0EEENS1_30default_config_static_selectorELNS0_4arch9wavefront6targetE0EEEvT1_.num_agpr, 0
	.set _ZN7rocprim17ROCPRIM_400000_NS6detail17trampoline_kernelINS0_14default_configENS1_25partition_config_selectorILNS1_17partition_subalgoE5ElNS0_10empty_typeEbEEZZNS1_14partition_implILS5_5ELb0ES3_mN6hipcub16HIPCUB_304000_NS21CountingInputIteratorIllEEPS6_NSA_22TransformInputIteratorIbN2at6native12_GLOBAL__N_19NonZeroOpIN3c108BFloat16EEEPKSK_lEENS0_5tupleIJPlS6_EEENSP_IJSD_SD_EEES6_PiJS6_EEE10hipError_tPvRmT3_T4_T5_T6_T7_T9_mT8_P12ihipStream_tbDpT10_ENKUlT_T0_E_clISt17integral_constantIbLb0EES1D_EEDaS18_S19_EUlS18_E_NS1_11comp_targetILNS1_3genE8ELNS1_11target_archE1030ELNS1_3gpuE2ELNS1_3repE0EEENS1_30default_config_static_selectorELNS0_4arch9wavefront6targetE0EEEvT1_.numbered_sgpr, 0
	.set _ZN7rocprim17ROCPRIM_400000_NS6detail17trampoline_kernelINS0_14default_configENS1_25partition_config_selectorILNS1_17partition_subalgoE5ElNS0_10empty_typeEbEEZZNS1_14partition_implILS5_5ELb0ES3_mN6hipcub16HIPCUB_304000_NS21CountingInputIteratorIllEEPS6_NSA_22TransformInputIteratorIbN2at6native12_GLOBAL__N_19NonZeroOpIN3c108BFloat16EEEPKSK_lEENS0_5tupleIJPlS6_EEENSP_IJSD_SD_EEES6_PiJS6_EEE10hipError_tPvRmT3_T4_T5_T6_T7_T9_mT8_P12ihipStream_tbDpT10_ENKUlT_T0_E_clISt17integral_constantIbLb0EES1D_EEDaS18_S19_EUlS18_E_NS1_11comp_targetILNS1_3genE8ELNS1_11target_archE1030ELNS1_3gpuE2ELNS1_3repE0EEENS1_30default_config_static_selectorELNS0_4arch9wavefront6targetE0EEEvT1_.num_named_barrier, 0
	.set _ZN7rocprim17ROCPRIM_400000_NS6detail17trampoline_kernelINS0_14default_configENS1_25partition_config_selectorILNS1_17partition_subalgoE5ElNS0_10empty_typeEbEEZZNS1_14partition_implILS5_5ELb0ES3_mN6hipcub16HIPCUB_304000_NS21CountingInputIteratorIllEEPS6_NSA_22TransformInputIteratorIbN2at6native12_GLOBAL__N_19NonZeroOpIN3c108BFloat16EEEPKSK_lEENS0_5tupleIJPlS6_EEENSP_IJSD_SD_EEES6_PiJS6_EEE10hipError_tPvRmT3_T4_T5_T6_T7_T9_mT8_P12ihipStream_tbDpT10_ENKUlT_T0_E_clISt17integral_constantIbLb0EES1D_EEDaS18_S19_EUlS18_E_NS1_11comp_targetILNS1_3genE8ELNS1_11target_archE1030ELNS1_3gpuE2ELNS1_3repE0EEENS1_30default_config_static_selectorELNS0_4arch9wavefront6targetE0EEEvT1_.private_seg_size, 0
	.set _ZN7rocprim17ROCPRIM_400000_NS6detail17trampoline_kernelINS0_14default_configENS1_25partition_config_selectorILNS1_17partition_subalgoE5ElNS0_10empty_typeEbEEZZNS1_14partition_implILS5_5ELb0ES3_mN6hipcub16HIPCUB_304000_NS21CountingInputIteratorIllEEPS6_NSA_22TransformInputIteratorIbN2at6native12_GLOBAL__N_19NonZeroOpIN3c108BFloat16EEEPKSK_lEENS0_5tupleIJPlS6_EEENSP_IJSD_SD_EEES6_PiJS6_EEE10hipError_tPvRmT3_T4_T5_T6_T7_T9_mT8_P12ihipStream_tbDpT10_ENKUlT_T0_E_clISt17integral_constantIbLb0EES1D_EEDaS18_S19_EUlS18_E_NS1_11comp_targetILNS1_3genE8ELNS1_11target_archE1030ELNS1_3gpuE2ELNS1_3repE0EEENS1_30default_config_static_selectorELNS0_4arch9wavefront6targetE0EEEvT1_.uses_vcc, 0
	.set _ZN7rocprim17ROCPRIM_400000_NS6detail17trampoline_kernelINS0_14default_configENS1_25partition_config_selectorILNS1_17partition_subalgoE5ElNS0_10empty_typeEbEEZZNS1_14partition_implILS5_5ELb0ES3_mN6hipcub16HIPCUB_304000_NS21CountingInputIteratorIllEEPS6_NSA_22TransformInputIteratorIbN2at6native12_GLOBAL__N_19NonZeroOpIN3c108BFloat16EEEPKSK_lEENS0_5tupleIJPlS6_EEENSP_IJSD_SD_EEES6_PiJS6_EEE10hipError_tPvRmT3_T4_T5_T6_T7_T9_mT8_P12ihipStream_tbDpT10_ENKUlT_T0_E_clISt17integral_constantIbLb0EES1D_EEDaS18_S19_EUlS18_E_NS1_11comp_targetILNS1_3genE8ELNS1_11target_archE1030ELNS1_3gpuE2ELNS1_3repE0EEENS1_30default_config_static_selectorELNS0_4arch9wavefront6targetE0EEEvT1_.uses_flat_scratch, 0
	.set _ZN7rocprim17ROCPRIM_400000_NS6detail17trampoline_kernelINS0_14default_configENS1_25partition_config_selectorILNS1_17partition_subalgoE5ElNS0_10empty_typeEbEEZZNS1_14partition_implILS5_5ELb0ES3_mN6hipcub16HIPCUB_304000_NS21CountingInputIteratorIllEEPS6_NSA_22TransformInputIteratorIbN2at6native12_GLOBAL__N_19NonZeroOpIN3c108BFloat16EEEPKSK_lEENS0_5tupleIJPlS6_EEENSP_IJSD_SD_EEES6_PiJS6_EEE10hipError_tPvRmT3_T4_T5_T6_T7_T9_mT8_P12ihipStream_tbDpT10_ENKUlT_T0_E_clISt17integral_constantIbLb0EES1D_EEDaS18_S19_EUlS18_E_NS1_11comp_targetILNS1_3genE8ELNS1_11target_archE1030ELNS1_3gpuE2ELNS1_3repE0EEENS1_30default_config_static_selectorELNS0_4arch9wavefront6targetE0EEEvT1_.has_dyn_sized_stack, 0
	.set _ZN7rocprim17ROCPRIM_400000_NS6detail17trampoline_kernelINS0_14default_configENS1_25partition_config_selectorILNS1_17partition_subalgoE5ElNS0_10empty_typeEbEEZZNS1_14partition_implILS5_5ELb0ES3_mN6hipcub16HIPCUB_304000_NS21CountingInputIteratorIllEEPS6_NSA_22TransformInputIteratorIbN2at6native12_GLOBAL__N_19NonZeroOpIN3c108BFloat16EEEPKSK_lEENS0_5tupleIJPlS6_EEENSP_IJSD_SD_EEES6_PiJS6_EEE10hipError_tPvRmT3_T4_T5_T6_T7_T9_mT8_P12ihipStream_tbDpT10_ENKUlT_T0_E_clISt17integral_constantIbLb0EES1D_EEDaS18_S19_EUlS18_E_NS1_11comp_targetILNS1_3genE8ELNS1_11target_archE1030ELNS1_3gpuE2ELNS1_3repE0EEENS1_30default_config_static_selectorELNS0_4arch9wavefront6targetE0EEEvT1_.has_recursion, 0
	.set _ZN7rocprim17ROCPRIM_400000_NS6detail17trampoline_kernelINS0_14default_configENS1_25partition_config_selectorILNS1_17partition_subalgoE5ElNS0_10empty_typeEbEEZZNS1_14partition_implILS5_5ELb0ES3_mN6hipcub16HIPCUB_304000_NS21CountingInputIteratorIllEEPS6_NSA_22TransformInputIteratorIbN2at6native12_GLOBAL__N_19NonZeroOpIN3c108BFloat16EEEPKSK_lEENS0_5tupleIJPlS6_EEENSP_IJSD_SD_EEES6_PiJS6_EEE10hipError_tPvRmT3_T4_T5_T6_T7_T9_mT8_P12ihipStream_tbDpT10_ENKUlT_T0_E_clISt17integral_constantIbLb0EES1D_EEDaS18_S19_EUlS18_E_NS1_11comp_targetILNS1_3genE8ELNS1_11target_archE1030ELNS1_3gpuE2ELNS1_3repE0EEENS1_30default_config_static_selectorELNS0_4arch9wavefront6targetE0EEEvT1_.has_indirect_call, 0
	.section	.AMDGPU.csdata,"",@progbits
; Kernel info:
; codeLenInByte = 0
; TotalNumSgprs: 0
; NumVgprs: 0
; ScratchSize: 0
; MemoryBound: 0
; FloatMode: 240
; IeeeMode: 1
; LDSByteSize: 0 bytes/workgroup (compile time only)
; SGPRBlocks: 0
; VGPRBlocks: 0
; NumSGPRsForWavesPerEU: 1
; NumVGPRsForWavesPerEU: 1
; Occupancy: 16
; WaveLimiterHint : 0
; COMPUTE_PGM_RSRC2:SCRATCH_EN: 0
; COMPUTE_PGM_RSRC2:USER_SGPR: 2
; COMPUTE_PGM_RSRC2:TRAP_HANDLER: 0
; COMPUTE_PGM_RSRC2:TGID_X_EN: 1
; COMPUTE_PGM_RSRC2:TGID_Y_EN: 0
; COMPUTE_PGM_RSRC2:TGID_Z_EN: 0
; COMPUTE_PGM_RSRC2:TIDIG_COMP_CNT: 0
	.section	.text._ZN7rocprim17ROCPRIM_400000_NS6detail17trampoline_kernelINS0_14default_configENS1_25partition_config_selectorILNS1_17partition_subalgoE5ElNS0_10empty_typeEbEEZZNS1_14partition_implILS5_5ELb0ES3_mN6hipcub16HIPCUB_304000_NS21CountingInputIteratorIllEEPS6_NSA_22TransformInputIteratorIbN2at6native12_GLOBAL__N_19NonZeroOpIN3c108BFloat16EEEPKSK_lEENS0_5tupleIJPlS6_EEENSP_IJSD_SD_EEES6_PiJS6_EEE10hipError_tPvRmT3_T4_T5_T6_T7_T9_mT8_P12ihipStream_tbDpT10_ENKUlT_T0_E_clISt17integral_constantIbLb1EES1D_EEDaS18_S19_EUlS18_E_NS1_11comp_targetILNS1_3genE0ELNS1_11target_archE4294967295ELNS1_3gpuE0ELNS1_3repE0EEENS1_30default_config_static_selectorELNS0_4arch9wavefront6targetE0EEEvT1_,"axG",@progbits,_ZN7rocprim17ROCPRIM_400000_NS6detail17trampoline_kernelINS0_14default_configENS1_25partition_config_selectorILNS1_17partition_subalgoE5ElNS0_10empty_typeEbEEZZNS1_14partition_implILS5_5ELb0ES3_mN6hipcub16HIPCUB_304000_NS21CountingInputIteratorIllEEPS6_NSA_22TransformInputIteratorIbN2at6native12_GLOBAL__N_19NonZeroOpIN3c108BFloat16EEEPKSK_lEENS0_5tupleIJPlS6_EEENSP_IJSD_SD_EEES6_PiJS6_EEE10hipError_tPvRmT3_T4_T5_T6_T7_T9_mT8_P12ihipStream_tbDpT10_ENKUlT_T0_E_clISt17integral_constantIbLb1EES1D_EEDaS18_S19_EUlS18_E_NS1_11comp_targetILNS1_3genE0ELNS1_11target_archE4294967295ELNS1_3gpuE0ELNS1_3repE0EEENS1_30default_config_static_selectorELNS0_4arch9wavefront6targetE0EEEvT1_,comdat
	.globl	_ZN7rocprim17ROCPRIM_400000_NS6detail17trampoline_kernelINS0_14default_configENS1_25partition_config_selectorILNS1_17partition_subalgoE5ElNS0_10empty_typeEbEEZZNS1_14partition_implILS5_5ELb0ES3_mN6hipcub16HIPCUB_304000_NS21CountingInputIteratorIllEEPS6_NSA_22TransformInputIteratorIbN2at6native12_GLOBAL__N_19NonZeroOpIN3c108BFloat16EEEPKSK_lEENS0_5tupleIJPlS6_EEENSP_IJSD_SD_EEES6_PiJS6_EEE10hipError_tPvRmT3_T4_T5_T6_T7_T9_mT8_P12ihipStream_tbDpT10_ENKUlT_T0_E_clISt17integral_constantIbLb1EES1D_EEDaS18_S19_EUlS18_E_NS1_11comp_targetILNS1_3genE0ELNS1_11target_archE4294967295ELNS1_3gpuE0ELNS1_3repE0EEENS1_30default_config_static_selectorELNS0_4arch9wavefront6targetE0EEEvT1_ ; -- Begin function _ZN7rocprim17ROCPRIM_400000_NS6detail17trampoline_kernelINS0_14default_configENS1_25partition_config_selectorILNS1_17partition_subalgoE5ElNS0_10empty_typeEbEEZZNS1_14partition_implILS5_5ELb0ES3_mN6hipcub16HIPCUB_304000_NS21CountingInputIteratorIllEEPS6_NSA_22TransformInputIteratorIbN2at6native12_GLOBAL__N_19NonZeroOpIN3c108BFloat16EEEPKSK_lEENS0_5tupleIJPlS6_EEENSP_IJSD_SD_EEES6_PiJS6_EEE10hipError_tPvRmT3_T4_T5_T6_T7_T9_mT8_P12ihipStream_tbDpT10_ENKUlT_T0_E_clISt17integral_constantIbLb1EES1D_EEDaS18_S19_EUlS18_E_NS1_11comp_targetILNS1_3genE0ELNS1_11target_archE4294967295ELNS1_3gpuE0ELNS1_3repE0EEENS1_30default_config_static_selectorELNS0_4arch9wavefront6targetE0EEEvT1_
	.p2align	8
	.type	_ZN7rocprim17ROCPRIM_400000_NS6detail17trampoline_kernelINS0_14default_configENS1_25partition_config_selectorILNS1_17partition_subalgoE5ElNS0_10empty_typeEbEEZZNS1_14partition_implILS5_5ELb0ES3_mN6hipcub16HIPCUB_304000_NS21CountingInputIteratorIllEEPS6_NSA_22TransformInputIteratorIbN2at6native12_GLOBAL__N_19NonZeroOpIN3c108BFloat16EEEPKSK_lEENS0_5tupleIJPlS6_EEENSP_IJSD_SD_EEES6_PiJS6_EEE10hipError_tPvRmT3_T4_T5_T6_T7_T9_mT8_P12ihipStream_tbDpT10_ENKUlT_T0_E_clISt17integral_constantIbLb1EES1D_EEDaS18_S19_EUlS18_E_NS1_11comp_targetILNS1_3genE0ELNS1_11target_archE4294967295ELNS1_3gpuE0ELNS1_3repE0EEENS1_30default_config_static_selectorELNS0_4arch9wavefront6targetE0EEEvT1_,@function
_ZN7rocprim17ROCPRIM_400000_NS6detail17trampoline_kernelINS0_14default_configENS1_25partition_config_selectorILNS1_17partition_subalgoE5ElNS0_10empty_typeEbEEZZNS1_14partition_implILS5_5ELb0ES3_mN6hipcub16HIPCUB_304000_NS21CountingInputIteratorIllEEPS6_NSA_22TransformInputIteratorIbN2at6native12_GLOBAL__N_19NonZeroOpIN3c108BFloat16EEEPKSK_lEENS0_5tupleIJPlS6_EEENSP_IJSD_SD_EEES6_PiJS6_EEE10hipError_tPvRmT3_T4_T5_T6_T7_T9_mT8_P12ihipStream_tbDpT10_ENKUlT_T0_E_clISt17integral_constantIbLb1EES1D_EEDaS18_S19_EUlS18_E_NS1_11comp_targetILNS1_3genE0ELNS1_11target_archE4294967295ELNS1_3gpuE0ELNS1_3repE0EEENS1_30default_config_static_selectorELNS0_4arch9wavefront6targetE0EEEvT1_: ; @_ZN7rocprim17ROCPRIM_400000_NS6detail17trampoline_kernelINS0_14default_configENS1_25partition_config_selectorILNS1_17partition_subalgoE5ElNS0_10empty_typeEbEEZZNS1_14partition_implILS5_5ELb0ES3_mN6hipcub16HIPCUB_304000_NS21CountingInputIteratorIllEEPS6_NSA_22TransformInputIteratorIbN2at6native12_GLOBAL__N_19NonZeroOpIN3c108BFloat16EEEPKSK_lEENS0_5tupleIJPlS6_EEENSP_IJSD_SD_EEES6_PiJS6_EEE10hipError_tPvRmT3_T4_T5_T6_T7_T9_mT8_P12ihipStream_tbDpT10_ENKUlT_T0_E_clISt17integral_constantIbLb1EES1D_EEDaS18_S19_EUlS18_E_NS1_11comp_targetILNS1_3genE0ELNS1_11target_archE4294967295ELNS1_3gpuE0ELNS1_3repE0EEENS1_30default_config_static_selectorELNS0_4arch9wavefront6targetE0EEEvT1_
; %bb.0:
	.section	.rodata,"a",@progbits
	.p2align	6, 0x0
	.amdhsa_kernel _ZN7rocprim17ROCPRIM_400000_NS6detail17trampoline_kernelINS0_14default_configENS1_25partition_config_selectorILNS1_17partition_subalgoE5ElNS0_10empty_typeEbEEZZNS1_14partition_implILS5_5ELb0ES3_mN6hipcub16HIPCUB_304000_NS21CountingInputIteratorIllEEPS6_NSA_22TransformInputIteratorIbN2at6native12_GLOBAL__N_19NonZeroOpIN3c108BFloat16EEEPKSK_lEENS0_5tupleIJPlS6_EEENSP_IJSD_SD_EEES6_PiJS6_EEE10hipError_tPvRmT3_T4_T5_T6_T7_T9_mT8_P12ihipStream_tbDpT10_ENKUlT_T0_E_clISt17integral_constantIbLb1EES1D_EEDaS18_S19_EUlS18_E_NS1_11comp_targetILNS1_3genE0ELNS1_11target_archE4294967295ELNS1_3gpuE0ELNS1_3repE0EEENS1_30default_config_static_selectorELNS0_4arch9wavefront6targetE0EEEvT1_
		.amdhsa_group_segment_fixed_size 0
		.amdhsa_private_segment_fixed_size 0
		.amdhsa_kernarg_size 136
		.amdhsa_user_sgpr_count 2
		.amdhsa_user_sgpr_dispatch_ptr 0
		.amdhsa_user_sgpr_queue_ptr 0
		.amdhsa_user_sgpr_kernarg_segment_ptr 1
		.amdhsa_user_sgpr_dispatch_id 0
		.amdhsa_user_sgpr_private_segment_size 0
		.amdhsa_wavefront_size32 1
		.amdhsa_uses_dynamic_stack 0
		.amdhsa_enable_private_segment 0
		.amdhsa_system_sgpr_workgroup_id_x 1
		.amdhsa_system_sgpr_workgroup_id_y 0
		.amdhsa_system_sgpr_workgroup_id_z 0
		.amdhsa_system_sgpr_workgroup_info 0
		.amdhsa_system_vgpr_workitem_id 0
		.amdhsa_next_free_vgpr 1
		.amdhsa_next_free_sgpr 1
		.amdhsa_reserve_vcc 0
		.amdhsa_float_round_mode_32 0
		.amdhsa_float_round_mode_16_64 0
		.amdhsa_float_denorm_mode_32 3
		.amdhsa_float_denorm_mode_16_64 3
		.amdhsa_fp16_overflow 0
		.amdhsa_workgroup_processor_mode 1
		.amdhsa_memory_ordered 1
		.amdhsa_forward_progress 1
		.amdhsa_inst_pref_size 0
		.amdhsa_round_robin_scheduling 0
		.amdhsa_exception_fp_ieee_invalid_op 0
		.amdhsa_exception_fp_denorm_src 0
		.amdhsa_exception_fp_ieee_div_zero 0
		.amdhsa_exception_fp_ieee_overflow 0
		.amdhsa_exception_fp_ieee_underflow 0
		.amdhsa_exception_fp_ieee_inexact 0
		.amdhsa_exception_int_div_zero 0
	.end_amdhsa_kernel
	.section	.text._ZN7rocprim17ROCPRIM_400000_NS6detail17trampoline_kernelINS0_14default_configENS1_25partition_config_selectorILNS1_17partition_subalgoE5ElNS0_10empty_typeEbEEZZNS1_14partition_implILS5_5ELb0ES3_mN6hipcub16HIPCUB_304000_NS21CountingInputIteratorIllEEPS6_NSA_22TransformInputIteratorIbN2at6native12_GLOBAL__N_19NonZeroOpIN3c108BFloat16EEEPKSK_lEENS0_5tupleIJPlS6_EEENSP_IJSD_SD_EEES6_PiJS6_EEE10hipError_tPvRmT3_T4_T5_T6_T7_T9_mT8_P12ihipStream_tbDpT10_ENKUlT_T0_E_clISt17integral_constantIbLb1EES1D_EEDaS18_S19_EUlS18_E_NS1_11comp_targetILNS1_3genE0ELNS1_11target_archE4294967295ELNS1_3gpuE0ELNS1_3repE0EEENS1_30default_config_static_selectorELNS0_4arch9wavefront6targetE0EEEvT1_,"axG",@progbits,_ZN7rocprim17ROCPRIM_400000_NS6detail17trampoline_kernelINS0_14default_configENS1_25partition_config_selectorILNS1_17partition_subalgoE5ElNS0_10empty_typeEbEEZZNS1_14partition_implILS5_5ELb0ES3_mN6hipcub16HIPCUB_304000_NS21CountingInputIteratorIllEEPS6_NSA_22TransformInputIteratorIbN2at6native12_GLOBAL__N_19NonZeroOpIN3c108BFloat16EEEPKSK_lEENS0_5tupleIJPlS6_EEENSP_IJSD_SD_EEES6_PiJS6_EEE10hipError_tPvRmT3_T4_T5_T6_T7_T9_mT8_P12ihipStream_tbDpT10_ENKUlT_T0_E_clISt17integral_constantIbLb1EES1D_EEDaS18_S19_EUlS18_E_NS1_11comp_targetILNS1_3genE0ELNS1_11target_archE4294967295ELNS1_3gpuE0ELNS1_3repE0EEENS1_30default_config_static_selectorELNS0_4arch9wavefront6targetE0EEEvT1_,comdat
.Lfunc_end806:
	.size	_ZN7rocprim17ROCPRIM_400000_NS6detail17trampoline_kernelINS0_14default_configENS1_25partition_config_selectorILNS1_17partition_subalgoE5ElNS0_10empty_typeEbEEZZNS1_14partition_implILS5_5ELb0ES3_mN6hipcub16HIPCUB_304000_NS21CountingInputIteratorIllEEPS6_NSA_22TransformInputIteratorIbN2at6native12_GLOBAL__N_19NonZeroOpIN3c108BFloat16EEEPKSK_lEENS0_5tupleIJPlS6_EEENSP_IJSD_SD_EEES6_PiJS6_EEE10hipError_tPvRmT3_T4_T5_T6_T7_T9_mT8_P12ihipStream_tbDpT10_ENKUlT_T0_E_clISt17integral_constantIbLb1EES1D_EEDaS18_S19_EUlS18_E_NS1_11comp_targetILNS1_3genE0ELNS1_11target_archE4294967295ELNS1_3gpuE0ELNS1_3repE0EEENS1_30default_config_static_selectorELNS0_4arch9wavefront6targetE0EEEvT1_, .Lfunc_end806-_ZN7rocprim17ROCPRIM_400000_NS6detail17trampoline_kernelINS0_14default_configENS1_25partition_config_selectorILNS1_17partition_subalgoE5ElNS0_10empty_typeEbEEZZNS1_14partition_implILS5_5ELb0ES3_mN6hipcub16HIPCUB_304000_NS21CountingInputIteratorIllEEPS6_NSA_22TransformInputIteratorIbN2at6native12_GLOBAL__N_19NonZeroOpIN3c108BFloat16EEEPKSK_lEENS0_5tupleIJPlS6_EEENSP_IJSD_SD_EEES6_PiJS6_EEE10hipError_tPvRmT3_T4_T5_T6_T7_T9_mT8_P12ihipStream_tbDpT10_ENKUlT_T0_E_clISt17integral_constantIbLb1EES1D_EEDaS18_S19_EUlS18_E_NS1_11comp_targetILNS1_3genE0ELNS1_11target_archE4294967295ELNS1_3gpuE0ELNS1_3repE0EEENS1_30default_config_static_selectorELNS0_4arch9wavefront6targetE0EEEvT1_
                                        ; -- End function
	.set _ZN7rocprim17ROCPRIM_400000_NS6detail17trampoline_kernelINS0_14default_configENS1_25partition_config_selectorILNS1_17partition_subalgoE5ElNS0_10empty_typeEbEEZZNS1_14partition_implILS5_5ELb0ES3_mN6hipcub16HIPCUB_304000_NS21CountingInputIteratorIllEEPS6_NSA_22TransformInputIteratorIbN2at6native12_GLOBAL__N_19NonZeroOpIN3c108BFloat16EEEPKSK_lEENS0_5tupleIJPlS6_EEENSP_IJSD_SD_EEES6_PiJS6_EEE10hipError_tPvRmT3_T4_T5_T6_T7_T9_mT8_P12ihipStream_tbDpT10_ENKUlT_T0_E_clISt17integral_constantIbLb1EES1D_EEDaS18_S19_EUlS18_E_NS1_11comp_targetILNS1_3genE0ELNS1_11target_archE4294967295ELNS1_3gpuE0ELNS1_3repE0EEENS1_30default_config_static_selectorELNS0_4arch9wavefront6targetE0EEEvT1_.num_vgpr, 0
	.set _ZN7rocprim17ROCPRIM_400000_NS6detail17trampoline_kernelINS0_14default_configENS1_25partition_config_selectorILNS1_17partition_subalgoE5ElNS0_10empty_typeEbEEZZNS1_14partition_implILS5_5ELb0ES3_mN6hipcub16HIPCUB_304000_NS21CountingInputIteratorIllEEPS6_NSA_22TransformInputIteratorIbN2at6native12_GLOBAL__N_19NonZeroOpIN3c108BFloat16EEEPKSK_lEENS0_5tupleIJPlS6_EEENSP_IJSD_SD_EEES6_PiJS6_EEE10hipError_tPvRmT3_T4_T5_T6_T7_T9_mT8_P12ihipStream_tbDpT10_ENKUlT_T0_E_clISt17integral_constantIbLb1EES1D_EEDaS18_S19_EUlS18_E_NS1_11comp_targetILNS1_3genE0ELNS1_11target_archE4294967295ELNS1_3gpuE0ELNS1_3repE0EEENS1_30default_config_static_selectorELNS0_4arch9wavefront6targetE0EEEvT1_.num_agpr, 0
	.set _ZN7rocprim17ROCPRIM_400000_NS6detail17trampoline_kernelINS0_14default_configENS1_25partition_config_selectorILNS1_17partition_subalgoE5ElNS0_10empty_typeEbEEZZNS1_14partition_implILS5_5ELb0ES3_mN6hipcub16HIPCUB_304000_NS21CountingInputIteratorIllEEPS6_NSA_22TransformInputIteratorIbN2at6native12_GLOBAL__N_19NonZeroOpIN3c108BFloat16EEEPKSK_lEENS0_5tupleIJPlS6_EEENSP_IJSD_SD_EEES6_PiJS6_EEE10hipError_tPvRmT3_T4_T5_T6_T7_T9_mT8_P12ihipStream_tbDpT10_ENKUlT_T0_E_clISt17integral_constantIbLb1EES1D_EEDaS18_S19_EUlS18_E_NS1_11comp_targetILNS1_3genE0ELNS1_11target_archE4294967295ELNS1_3gpuE0ELNS1_3repE0EEENS1_30default_config_static_selectorELNS0_4arch9wavefront6targetE0EEEvT1_.numbered_sgpr, 0
	.set _ZN7rocprim17ROCPRIM_400000_NS6detail17trampoline_kernelINS0_14default_configENS1_25partition_config_selectorILNS1_17partition_subalgoE5ElNS0_10empty_typeEbEEZZNS1_14partition_implILS5_5ELb0ES3_mN6hipcub16HIPCUB_304000_NS21CountingInputIteratorIllEEPS6_NSA_22TransformInputIteratorIbN2at6native12_GLOBAL__N_19NonZeroOpIN3c108BFloat16EEEPKSK_lEENS0_5tupleIJPlS6_EEENSP_IJSD_SD_EEES6_PiJS6_EEE10hipError_tPvRmT3_T4_T5_T6_T7_T9_mT8_P12ihipStream_tbDpT10_ENKUlT_T0_E_clISt17integral_constantIbLb1EES1D_EEDaS18_S19_EUlS18_E_NS1_11comp_targetILNS1_3genE0ELNS1_11target_archE4294967295ELNS1_3gpuE0ELNS1_3repE0EEENS1_30default_config_static_selectorELNS0_4arch9wavefront6targetE0EEEvT1_.num_named_barrier, 0
	.set _ZN7rocprim17ROCPRIM_400000_NS6detail17trampoline_kernelINS0_14default_configENS1_25partition_config_selectorILNS1_17partition_subalgoE5ElNS0_10empty_typeEbEEZZNS1_14partition_implILS5_5ELb0ES3_mN6hipcub16HIPCUB_304000_NS21CountingInputIteratorIllEEPS6_NSA_22TransformInputIteratorIbN2at6native12_GLOBAL__N_19NonZeroOpIN3c108BFloat16EEEPKSK_lEENS0_5tupleIJPlS6_EEENSP_IJSD_SD_EEES6_PiJS6_EEE10hipError_tPvRmT3_T4_T5_T6_T7_T9_mT8_P12ihipStream_tbDpT10_ENKUlT_T0_E_clISt17integral_constantIbLb1EES1D_EEDaS18_S19_EUlS18_E_NS1_11comp_targetILNS1_3genE0ELNS1_11target_archE4294967295ELNS1_3gpuE0ELNS1_3repE0EEENS1_30default_config_static_selectorELNS0_4arch9wavefront6targetE0EEEvT1_.private_seg_size, 0
	.set _ZN7rocprim17ROCPRIM_400000_NS6detail17trampoline_kernelINS0_14default_configENS1_25partition_config_selectorILNS1_17partition_subalgoE5ElNS0_10empty_typeEbEEZZNS1_14partition_implILS5_5ELb0ES3_mN6hipcub16HIPCUB_304000_NS21CountingInputIteratorIllEEPS6_NSA_22TransformInputIteratorIbN2at6native12_GLOBAL__N_19NonZeroOpIN3c108BFloat16EEEPKSK_lEENS0_5tupleIJPlS6_EEENSP_IJSD_SD_EEES6_PiJS6_EEE10hipError_tPvRmT3_T4_T5_T6_T7_T9_mT8_P12ihipStream_tbDpT10_ENKUlT_T0_E_clISt17integral_constantIbLb1EES1D_EEDaS18_S19_EUlS18_E_NS1_11comp_targetILNS1_3genE0ELNS1_11target_archE4294967295ELNS1_3gpuE0ELNS1_3repE0EEENS1_30default_config_static_selectorELNS0_4arch9wavefront6targetE0EEEvT1_.uses_vcc, 0
	.set _ZN7rocprim17ROCPRIM_400000_NS6detail17trampoline_kernelINS0_14default_configENS1_25partition_config_selectorILNS1_17partition_subalgoE5ElNS0_10empty_typeEbEEZZNS1_14partition_implILS5_5ELb0ES3_mN6hipcub16HIPCUB_304000_NS21CountingInputIteratorIllEEPS6_NSA_22TransformInputIteratorIbN2at6native12_GLOBAL__N_19NonZeroOpIN3c108BFloat16EEEPKSK_lEENS0_5tupleIJPlS6_EEENSP_IJSD_SD_EEES6_PiJS6_EEE10hipError_tPvRmT3_T4_T5_T6_T7_T9_mT8_P12ihipStream_tbDpT10_ENKUlT_T0_E_clISt17integral_constantIbLb1EES1D_EEDaS18_S19_EUlS18_E_NS1_11comp_targetILNS1_3genE0ELNS1_11target_archE4294967295ELNS1_3gpuE0ELNS1_3repE0EEENS1_30default_config_static_selectorELNS0_4arch9wavefront6targetE0EEEvT1_.uses_flat_scratch, 0
	.set _ZN7rocprim17ROCPRIM_400000_NS6detail17trampoline_kernelINS0_14default_configENS1_25partition_config_selectorILNS1_17partition_subalgoE5ElNS0_10empty_typeEbEEZZNS1_14partition_implILS5_5ELb0ES3_mN6hipcub16HIPCUB_304000_NS21CountingInputIteratorIllEEPS6_NSA_22TransformInputIteratorIbN2at6native12_GLOBAL__N_19NonZeroOpIN3c108BFloat16EEEPKSK_lEENS0_5tupleIJPlS6_EEENSP_IJSD_SD_EEES6_PiJS6_EEE10hipError_tPvRmT3_T4_T5_T6_T7_T9_mT8_P12ihipStream_tbDpT10_ENKUlT_T0_E_clISt17integral_constantIbLb1EES1D_EEDaS18_S19_EUlS18_E_NS1_11comp_targetILNS1_3genE0ELNS1_11target_archE4294967295ELNS1_3gpuE0ELNS1_3repE0EEENS1_30default_config_static_selectorELNS0_4arch9wavefront6targetE0EEEvT1_.has_dyn_sized_stack, 0
	.set _ZN7rocprim17ROCPRIM_400000_NS6detail17trampoline_kernelINS0_14default_configENS1_25partition_config_selectorILNS1_17partition_subalgoE5ElNS0_10empty_typeEbEEZZNS1_14partition_implILS5_5ELb0ES3_mN6hipcub16HIPCUB_304000_NS21CountingInputIteratorIllEEPS6_NSA_22TransformInputIteratorIbN2at6native12_GLOBAL__N_19NonZeroOpIN3c108BFloat16EEEPKSK_lEENS0_5tupleIJPlS6_EEENSP_IJSD_SD_EEES6_PiJS6_EEE10hipError_tPvRmT3_T4_T5_T6_T7_T9_mT8_P12ihipStream_tbDpT10_ENKUlT_T0_E_clISt17integral_constantIbLb1EES1D_EEDaS18_S19_EUlS18_E_NS1_11comp_targetILNS1_3genE0ELNS1_11target_archE4294967295ELNS1_3gpuE0ELNS1_3repE0EEENS1_30default_config_static_selectorELNS0_4arch9wavefront6targetE0EEEvT1_.has_recursion, 0
	.set _ZN7rocprim17ROCPRIM_400000_NS6detail17trampoline_kernelINS0_14default_configENS1_25partition_config_selectorILNS1_17partition_subalgoE5ElNS0_10empty_typeEbEEZZNS1_14partition_implILS5_5ELb0ES3_mN6hipcub16HIPCUB_304000_NS21CountingInputIteratorIllEEPS6_NSA_22TransformInputIteratorIbN2at6native12_GLOBAL__N_19NonZeroOpIN3c108BFloat16EEEPKSK_lEENS0_5tupleIJPlS6_EEENSP_IJSD_SD_EEES6_PiJS6_EEE10hipError_tPvRmT3_T4_T5_T6_T7_T9_mT8_P12ihipStream_tbDpT10_ENKUlT_T0_E_clISt17integral_constantIbLb1EES1D_EEDaS18_S19_EUlS18_E_NS1_11comp_targetILNS1_3genE0ELNS1_11target_archE4294967295ELNS1_3gpuE0ELNS1_3repE0EEENS1_30default_config_static_selectorELNS0_4arch9wavefront6targetE0EEEvT1_.has_indirect_call, 0
	.section	.AMDGPU.csdata,"",@progbits
; Kernel info:
; codeLenInByte = 0
; TotalNumSgprs: 0
; NumVgprs: 0
; ScratchSize: 0
; MemoryBound: 0
; FloatMode: 240
; IeeeMode: 1
; LDSByteSize: 0 bytes/workgroup (compile time only)
; SGPRBlocks: 0
; VGPRBlocks: 0
; NumSGPRsForWavesPerEU: 1
; NumVGPRsForWavesPerEU: 1
; Occupancy: 16
; WaveLimiterHint : 0
; COMPUTE_PGM_RSRC2:SCRATCH_EN: 0
; COMPUTE_PGM_RSRC2:USER_SGPR: 2
; COMPUTE_PGM_RSRC2:TRAP_HANDLER: 0
; COMPUTE_PGM_RSRC2:TGID_X_EN: 1
; COMPUTE_PGM_RSRC2:TGID_Y_EN: 0
; COMPUTE_PGM_RSRC2:TGID_Z_EN: 0
; COMPUTE_PGM_RSRC2:TIDIG_COMP_CNT: 0
	.section	.text._ZN7rocprim17ROCPRIM_400000_NS6detail17trampoline_kernelINS0_14default_configENS1_25partition_config_selectorILNS1_17partition_subalgoE5ElNS0_10empty_typeEbEEZZNS1_14partition_implILS5_5ELb0ES3_mN6hipcub16HIPCUB_304000_NS21CountingInputIteratorIllEEPS6_NSA_22TransformInputIteratorIbN2at6native12_GLOBAL__N_19NonZeroOpIN3c108BFloat16EEEPKSK_lEENS0_5tupleIJPlS6_EEENSP_IJSD_SD_EEES6_PiJS6_EEE10hipError_tPvRmT3_T4_T5_T6_T7_T9_mT8_P12ihipStream_tbDpT10_ENKUlT_T0_E_clISt17integral_constantIbLb1EES1D_EEDaS18_S19_EUlS18_E_NS1_11comp_targetILNS1_3genE5ELNS1_11target_archE942ELNS1_3gpuE9ELNS1_3repE0EEENS1_30default_config_static_selectorELNS0_4arch9wavefront6targetE0EEEvT1_,"axG",@progbits,_ZN7rocprim17ROCPRIM_400000_NS6detail17trampoline_kernelINS0_14default_configENS1_25partition_config_selectorILNS1_17partition_subalgoE5ElNS0_10empty_typeEbEEZZNS1_14partition_implILS5_5ELb0ES3_mN6hipcub16HIPCUB_304000_NS21CountingInputIteratorIllEEPS6_NSA_22TransformInputIteratorIbN2at6native12_GLOBAL__N_19NonZeroOpIN3c108BFloat16EEEPKSK_lEENS0_5tupleIJPlS6_EEENSP_IJSD_SD_EEES6_PiJS6_EEE10hipError_tPvRmT3_T4_T5_T6_T7_T9_mT8_P12ihipStream_tbDpT10_ENKUlT_T0_E_clISt17integral_constantIbLb1EES1D_EEDaS18_S19_EUlS18_E_NS1_11comp_targetILNS1_3genE5ELNS1_11target_archE942ELNS1_3gpuE9ELNS1_3repE0EEENS1_30default_config_static_selectorELNS0_4arch9wavefront6targetE0EEEvT1_,comdat
	.globl	_ZN7rocprim17ROCPRIM_400000_NS6detail17trampoline_kernelINS0_14default_configENS1_25partition_config_selectorILNS1_17partition_subalgoE5ElNS0_10empty_typeEbEEZZNS1_14partition_implILS5_5ELb0ES3_mN6hipcub16HIPCUB_304000_NS21CountingInputIteratorIllEEPS6_NSA_22TransformInputIteratorIbN2at6native12_GLOBAL__N_19NonZeroOpIN3c108BFloat16EEEPKSK_lEENS0_5tupleIJPlS6_EEENSP_IJSD_SD_EEES6_PiJS6_EEE10hipError_tPvRmT3_T4_T5_T6_T7_T9_mT8_P12ihipStream_tbDpT10_ENKUlT_T0_E_clISt17integral_constantIbLb1EES1D_EEDaS18_S19_EUlS18_E_NS1_11comp_targetILNS1_3genE5ELNS1_11target_archE942ELNS1_3gpuE9ELNS1_3repE0EEENS1_30default_config_static_selectorELNS0_4arch9wavefront6targetE0EEEvT1_ ; -- Begin function _ZN7rocprim17ROCPRIM_400000_NS6detail17trampoline_kernelINS0_14default_configENS1_25partition_config_selectorILNS1_17partition_subalgoE5ElNS0_10empty_typeEbEEZZNS1_14partition_implILS5_5ELb0ES3_mN6hipcub16HIPCUB_304000_NS21CountingInputIteratorIllEEPS6_NSA_22TransformInputIteratorIbN2at6native12_GLOBAL__N_19NonZeroOpIN3c108BFloat16EEEPKSK_lEENS0_5tupleIJPlS6_EEENSP_IJSD_SD_EEES6_PiJS6_EEE10hipError_tPvRmT3_T4_T5_T6_T7_T9_mT8_P12ihipStream_tbDpT10_ENKUlT_T0_E_clISt17integral_constantIbLb1EES1D_EEDaS18_S19_EUlS18_E_NS1_11comp_targetILNS1_3genE5ELNS1_11target_archE942ELNS1_3gpuE9ELNS1_3repE0EEENS1_30default_config_static_selectorELNS0_4arch9wavefront6targetE0EEEvT1_
	.p2align	8
	.type	_ZN7rocprim17ROCPRIM_400000_NS6detail17trampoline_kernelINS0_14default_configENS1_25partition_config_selectorILNS1_17partition_subalgoE5ElNS0_10empty_typeEbEEZZNS1_14partition_implILS5_5ELb0ES3_mN6hipcub16HIPCUB_304000_NS21CountingInputIteratorIllEEPS6_NSA_22TransformInputIteratorIbN2at6native12_GLOBAL__N_19NonZeroOpIN3c108BFloat16EEEPKSK_lEENS0_5tupleIJPlS6_EEENSP_IJSD_SD_EEES6_PiJS6_EEE10hipError_tPvRmT3_T4_T5_T6_T7_T9_mT8_P12ihipStream_tbDpT10_ENKUlT_T0_E_clISt17integral_constantIbLb1EES1D_EEDaS18_S19_EUlS18_E_NS1_11comp_targetILNS1_3genE5ELNS1_11target_archE942ELNS1_3gpuE9ELNS1_3repE0EEENS1_30default_config_static_selectorELNS0_4arch9wavefront6targetE0EEEvT1_,@function
_ZN7rocprim17ROCPRIM_400000_NS6detail17trampoline_kernelINS0_14default_configENS1_25partition_config_selectorILNS1_17partition_subalgoE5ElNS0_10empty_typeEbEEZZNS1_14partition_implILS5_5ELb0ES3_mN6hipcub16HIPCUB_304000_NS21CountingInputIteratorIllEEPS6_NSA_22TransformInputIteratorIbN2at6native12_GLOBAL__N_19NonZeroOpIN3c108BFloat16EEEPKSK_lEENS0_5tupleIJPlS6_EEENSP_IJSD_SD_EEES6_PiJS6_EEE10hipError_tPvRmT3_T4_T5_T6_T7_T9_mT8_P12ihipStream_tbDpT10_ENKUlT_T0_E_clISt17integral_constantIbLb1EES1D_EEDaS18_S19_EUlS18_E_NS1_11comp_targetILNS1_3genE5ELNS1_11target_archE942ELNS1_3gpuE9ELNS1_3repE0EEENS1_30default_config_static_selectorELNS0_4arch9wavefront6targetE0EEEvT1_: ; @_ZN7rocprim17ROCPRIM_400000_NS6detail17trampoline_kernelINS0_14default_configENS1_25partition_config_selectorILNS1_17partition_subalgoE5ElNS0_10empty_typeEbEEZZNS1_14partition_implILS5_5ELb0ES3_mN6hipcub16HIPCUB_304000_NS21CountingInputIteratorIllEEPS6_NSA_22TransformInputIteratorIbN2at6native12_GLOBAL__N_19NonZeroOpIN3c108BFloat16EEEPKSK_lEENS0_5tupleIJPlS6_EEENSP_IJSD_SD_EEES6_PiJS6_EEE10hipError_tPvRmT3_T4_T5_T6_T7_T9_mT8_P12ihipStream_tbDpT10_ENKUlT_T0_E_clISt17integral_constantIbLb1EES1D_EEDaS18_S19_EUlS18_E_NS1_11comp_targetILNS1_3genE5ELNS1_11target_archE942ELNS1_3gpuE9ELNS1_3repE0EEENS1_30default_config_static_selectorELNS0_4arch9wavefront6targetE0EEEvT1_
; %bb.0:
	.section	.rodata,"a",@progbits
	.p2align	6, 0x0
	.amdhsa_kernel _ZN7rocprim17ROCPRIM_400000_NS6detail17trampoline_kernelINS0_14default_configENS1_25partition_config_selectorILNS1_17partition_subalgoE5ElNS0_10empty_typeEbEEZZNS1_14partition_implILS5_5ELb0ES3_mN6hipcub16HIPCUB_304000_NS21CountingInputIteratorIllEEPS6_NSA_22TransformInputIteratorIbN2at6native12_GLOBAL__N_19NonZeroOpIN3c108BFloat16EEEPKSK_lEENS0_5tupleIJPlS6_EEENSP_IJSD_SD_EEES6_PiJS6_EEE10hipError_tPvRmT3_T4_T5_T6_T7_T9_mT8_P12ihipStream_tbDpT10_ENKUlT_T0_E_clISt17integral_constantIbLb1EES1D_EEDaS18_S19_EUlS18_E_NS1_11comp_targetILNS1_3genE5ELNS1_11target_archE942ELNS1_3gpuE9ELNS1_3repE0EEENS1_30default_config_static_selectorELNS0_4arch9wavefront6targetE0EEEvT1_
		.amdhsa_group_segment_fixed_size 0
		.amdhsa_private_segment_fixed_size 0
		.amdhsa_kernarg_size 136
		.amdhsa_user_sgpr_count 2
		.amdhsa_user_sgpr_dispatch_ptr 0
		.amdhsa_user_sgpr_queue_ptr 0
		.amdhsa_user_sgpr_kernarg_segment_ptr 1
		.amdhsa_user_sgpr_dispatch_id 0
		.amdhsa_user_sgpr_private_segment_size 0
		.amdhsa_wavefront_size32 1
		.amdhsa_uses_dynamic_stack 0
		.amdhsa_enable_private_segment 0
		.amdhsa_system_sgpr_workgroup_id_x 1
		.amdhsa_system_sgpr_workgroup_id_y 0
		.amdhsa_system_sgpr_workgroup_id_z 0
		.amdhsa_system_sgpr_workgroup_info 0
		.amdhsa_system_vgpr_workitem_id 0
		.amdhsa_next_free_vgpr 1
		.amdhsa_next_free_sgpr 1
		.amdhsa_reserve_vcc 0
		.amdhsa_float_round_mode_32 0
		.amdhsa_float_round_mode_16_64 0
		.amdhsa_float_denorm_mode_32 3
		.amdhsa_float_denorm_mode_16_64 3
		.amdhsa_fp16_overflow 0
		.amdhsa_workgroup_processor_mode 1
		.amdhsa_memory_ordered 1
		.amdhsa_forward_progress 1
		.amdhsa_inst_pref_size 0
		.amdhsa_round_robin_scheduling 0
		.amdhsa_exception_fp_ieee_invalid_op 0
		.amdhsa_exception_fp_denorm_src 0
		.amdhsa_exception_fp_ieee_div_zero 0
		.amdhsa_exception_fp_ieee_overflow 0
		.amdhsa_exception_fp_ieee_underflow 0
		.amdhsa_exception_fp_ieee_inexact 0
		.amdhsa_exception_int_div_zero 0
	.end_amdhsa_kernel
	.section	.text._ZN7rocprim17ROCPRIM_400000_NS6detail17trampoline_kernelINS0_14default_configENS1_25partition_config_selectorILNS1_17partition_subalgoE5ElNS0_10empty_typeEbEEZZNS1_14partition_implILS5_5ELb0ES3_mN6hipcub16HIPCUB_304000_NS21CountingInputIteratorIllEEPS6_NSA_22TransformInputIteratorIbN2at6native12_GLOBAL__N_19NonZeroOpIN3c108BFloat16EEEPKSK_lEENS0_5tupleIJPlS6_EEENSP_IJSD_SD_EEES6_PiJS6_EEE10hipError_tPvRmT3_T4_T5_T6_T7_T9_mT8_P12ihipStream_tbDpT10_ENKUlT_T0_E_clISt17integral_constantIbLb1EES1D_EEDaS18_S19_EUlS18_E_NS1_11comp_targetILNS1_3genE5ELNS1_11target_archE942ELNS1_3gpuE9ELNS1_3repE0EEENS1_30default_config_static_selectorELNS0_4arch9wavefront6targetE0EEEvT1_,"axG",@progbits,_ZN7rocprim17ROCPRIM_400000_NS6detail17trampoline_kernelINS0_14default_configENS1_25partition_config_selectorILNS1_17partition_subalgoE5ElNS0_10empty_typeEbEEZZNS1_14partition_implILS5_5ELb0ES3_mN6hipcub16HIPCUB_304000_NS21CountingInputIteratorIllEEPS6_NSA_22TransformInputIteratorIbN2at6native12_GLOBAL__N_19NonZeroOpIN3c108BFloat16EEEPKSK_lEENS0_5tupleIJPlS6_EEENSP_IJSD_SD_EEES6_PiJS6_EEE10hipError_tPvRmT3_T4_T5_T6_T7_T9_mT8_P12ihipStream_tbDpT10_ENKUlT_T0_E_clISt17integral_constantIbLb1EES1D_EEDaS18_S19_EUlS18_E_NS1_11comp_targetILNS1_3genE5ELNS1_11target_archE942ELNS1_3gpuE9ELNS1_3repE0EEENS1_30default_config_static_selectorELNS0_4arch9wavefront6targetE0EEEvT1_,comdat
.Lfunc_end807:
	.size	_ZN7rocprim17ROCPRIM_400000_NS6detail17trampoline_kernelINS0_14default_configENS1_25partition_config_selectorILNS1_17partition_subalgoE5ElNS0_10empty_typeEbEEZZNS1_14partition_implILS5_5ELb0ES3_mN6hipcub16HIPCUB_304000_NS21CountingInputIteratorIllEEPS6_NSA_22TransformInputIteratorIbN2at6native12_GLOBAL__N_19NonZeroOpIN3c108BFloat16EEEPKSK_lEENS0_5tupleIJPlS6_EEENSP_IJSD_SD_EEES6_PiJS6_EEE10hipError_tPvRmT3_T4_T5_T6_T7_T9_mT8_P12ihipStream_tbDpT10_ENKUlT_T0_E_clISt17integral_constantIbLb1EES1D_EEDaS18_S19_EUlS18_E_NS1_11comp_targetILNS1_3genE5ELNS1_11target_archE942ELNS1_3gpuE9ELNS1_3repE0EEENS1_30default_config_static_selectorELNS0_4arch9wavefront6targetE0EEEvT1_, .Lfunc_end807-_ZN7rocprim17ROCPRIM_400000_NS6detail17trampoline_kernelINS0_14default_configENS1_25partition_config_selectorILNS1_17partition_subalgoE5ElNS0_10empty_typeEbEEZZNS1_14partition_implILS5_5ELb0ES3_mN6hipcub16HIPCUB_304000_NS21CountingInputIteratorIllEEPS6_NSA_22TransformInputIteratorIbN2at6native12_GLOBAL__N_19NonZeroOpIN3c108BFloat16EEEPKSK_lEENS0_5tupleIJPlS6_EEENSP_IJSD_SD_EEES6_PiJS6_EEE10hipError_tPvRmT3_T4_T5_T6_T7_T9_mT8_P12ihipStream_tbDpT10_ENKUlT_T0_E_clISt17integral_constantIbLb1EES1D_EEDaS18_S19_EUlS18_E_NS1_11comp_targetILNS1_3genE5ELNS1_11target_archE942ELNS1_3gpuE9ELNS1_3repE0EEENS1_30default_config_static_selectorELNS0_4arch9wavefront6targetE0EEEvT1_
                                        ; -- End function
	.set _ZN7rocprim17ROCPRIM_400000_NS6detail17trampoline_kernelINS0_14default_configENS1_25partition_config_selectorILNS1_17partition_subalgoE5ElNS0_10empty_typeEbEEZZNS1_14partition_implILS5_5ELb0ES3_mN6hipcub16HIPCUB_304000_NS21CountingInputIteratorIllEEPS6_NSA_22TransformInputIteratorIbN2at6native12_GLOBAL__N_19NonZeroOpIN3c108BFloat16EEEPKSK_lEENS0_5tupleIJPlS6_EEENSP_IJSD_SD_EEES6_PiJS6_EEE10hipError_tPvRmT3_T4_T5_T6_T7_T9_mT8_P12ihipStream_tbDpT10_ENKUlT_T0_E_clISt17integral_constantIbLb1EES1D_EEDaS18_S19_EUlS18_E_NS1_11comp_targetILNS1_3genE5ELNS1_11target_archE942ELNS1_3gpuE9ELNS1_3repE0EEENS1_30default_config_static_selectorELNS0_4arch9wavefront6targetE0EEEvT1_.num_vgpr, 0
	.set _ZN7rocprim17ROCPRIM_400000_NS6detail17trampoline_kernelINS0_14default_configENS1_25partition_config_selectorILNS1_17partition_subalgoE5ElNS0_10empty_typeEbEEZZNS1_14partition_implILS5_5ELb0ES3_mN6hipcub16HIPCUB_304000_NS21CountingInputIteratorIllEEPS6_NSA_22TransformInputIteratorIbN2at6native12_GLOBAL__N_19NonZeroOpIN3c108BFloat16EEEPKSK_lEENS0_5tupleIJPlS6_EEENSP_IJSD_SD_EEES6_PiJS6_EEE10hipError_tPvRmT3_T4_T5_T6_T7_T9_mT8_P12ihipStream_tbDpT10_ENKUlT_T0_E_clISt17integral_constantIbLb1EES1D_EEDaS18_S19_EUlS18_E_NS1_11comp_targetILNS1_3genE5ELNS1_11target_archE942ELNS1_3gpuE9ELNS1_3repE0EEENS1_30default_config_static_selectorELNS0_4arch9wavefront6targetE0EEEvT1_.num_agpr, 0
	.set _ZN7rocprim17ROCPRIM_400000_NS6detail17trampoline_kernelINS0_14default_configENS1_25partition_config_selectorILNS1_17partition_subalgoE5ElNS0_10empty_typeEbEEZZNS1_14partition_implILS5_5ELb0ES3_mN6hipcub16HIPCUB_304000_NS21CountingInputIteratorIllEEPS6_NSA_22TransformInputIteratorIbN2at6native12_GLOBAL__N_19NonZeroOpIN3c108BFloat16EEEPKSK_lEENS0_5tupleIJPlS6_EEENSP_IJSD_SD_EEES6_PiJS6_EEE10hipError_tPvRmT3_T4_T5_T6_T7_T9_mT8_P12ihipStream_tbDpT10_ENKUlT_T0_E_clISt17integral_constantIbLb1EES1D_EEDaS18_S19_EUlS18_E_NS1_11comp_targetILNS1_3genE5ELNS1_11target_archE942ELNS1_3gpuE9ELNS1_3repE0EEENS1_30default_config_static_selectorELNS0_4arch9wavefront6targetE0EEEvT1_.numbered_sgpr, 0
	.set _ZN7rocprim17ROCPRIM_400000_NS6detail17trampoline_kernelINS0_14default_configENS1_25partition_config_selectorILNS1_17partition_subalgoE5ElNS0_10empty_typeEbEEZZNS1_14partition_implILS5_5ELb0ES3_mN6hipcub16HIPCUB_304000_NS21CountingInputIteratorIllEEPS6_NSA_22TransformInputIteratorIbN2at6native12_GLOBAL__N_19NonZeroOpIN3c108BFloat16EEEPKSK_lEENS0_5tupleIJPlS6_EEENSP_IJSD_SD_EEES6_PiJS6_EEE10hipError_tPvRmT3_T4_T5_T6_T7_T9_mT8_P12ihipStream_tbDpT10_ENKUlT_T0_E_clISt17integral_constantIbLb1EES1D_EEDaS18_S19_EUlS18_E_NS1_11comp_targetILNS1_3genE5ELNS1_11target_archE942ELNS1_3gpuE9ELNS1_3repE0EEENS1_30default_config_static_selectorELNS0_4arch9wavefront6targetE0EEEvT1_.num_named_barrier, 0
	.set _ZN7rocprim17ROCPRIM_400000_NS6detail17trampoline_kernelINS0_14default_configENS1_25partition_config_selectorILNS1_17partition_subalgoE5ElNS0_10empty_typeEbEEZZNS1_14partition_implILS5_5ELb0ES3_mN6hipcub16HIPCUB_304000_NS21CountingInputIteratorIllEEPS6_NSA_22TransformInputIteratorIbN2at6native12_GLOBAL__N_19NonZeroOpIN3c108BFloat16EEEPKSK_lEENS0_5tupleIJPlS6_EEENSP_IJSD_SD_EEES6_PiJS6_EEE10hipError_tPvRmT3_T4_T5_T6_T7_T9_mT8_P12ihipStream_tbDpT10_ENKUlT_T0_E_clISt17integral_constantIbLb1EES1D_EEDaS18_S19_EUlS18_E_NS1_11comp_targetILNS1_3genE5ELNS1_11target_archE942ELNS1_3gpuE9ELNS1_3repE0EEENS1_30default_config_static_selectorELNS0_4arch9wavefront6targetE0EEEvT1_.private_seg_size, 0
	.set _ZN7rocprim17ROCPRIM_400000_NS6detail17trampoline_kernelINS0_14default_configENS1_25partition_config_selectorILNS1_17partition_subalgoE5ElNS0_10empty_typeEbEEZZNS1_14partition_implILS5_5ELb0ES3_mN6hipcub16HIPCUB_304000_NS21CountingInputIteratorIllEEPS6_NSA_22TransformInputIteratorIbN2at6native12_GLOBAL__N_19NonZeroOpIN3c108BFloat16EEEPKSK_lEENS0_5tupleIJPlS6_EEENSP_IJSD_SD_EEES6_PiJS6_EEE10hipError_tPvRmT3_T4_T5_T6_T7_T9_mT8_P12ihipStream_tbDpT10_ENKUlT_T0_E_clISt17integral_constantIbLb1EES1D_EEDaS18_S19_EUlS18_E_NS1_11comp_targetILNS1_3genE5ELNS1_11target_archE942ELNS1_3gpuE9ELNS1_3repE0EEENS1_30default_config_static_selectorELNS0_4arch9wavefront6targetE0EEEvT1_.uses_vcc, 0
	.set _ZN7rocprim17ROCPRIM_400000_NS6detail17trampoline_kernelINS0_14default_configENS1_25partition_config_selectorILNS1_17partition_subalgoE5ElNS0_10empty_typeEbEEZZNS1_14partition_implILS5_5ELb0ES3_mN6hipcub16HIPCUB_304000_NS21CountingInputIteratorIllEEPS6_NSA_22TransformInputIteratorIbN2at6native12_GLOBAL__N_19NonZeroOpIN3c108BFloat16EEEPKSK_lEENS0_5tupleIJPlS6_EEENSP_IJSD_SD_EEES6_PiJS6_EEE10hipError_tPvRmT3_T4_T5_T6_T7_T9_mT8_P12ihipStream_tbDpT10_ENKUlT_T0_E_clISt17integral_constantIbLb1EES1D_EEDaS18_S19_EUlS18_E_NS1_11comp_targetILNS1_3genE5ELNS1_11target_archE942ELNS1_3gpuE9ELNS1_3repE0EEENS1_30default_config_static_selectorELNS0_4arch9wavefront6targetE0EEEvT1_.uses_flat_scratch, 0
	.set _ZN7rocprim17ROCPRIM_400000_NS6detail17trampoline_kernelINS0_14default_configENS1_25partition_config_selectorILNS1_17partition_subalgoE5ElNS0_10empty_typeEbEEZZNS1_14partition_implILS5_5ELb0ES3_mN6hipcub16HIPCUB_304000_NS21CountingInputIteratorIllEEPS6_NSA_22TransformInputIteratorIbN2at6native12_GLOBAL__N_19NonZeroOpIN3c108BFloat16EEEPKSK_lEENS0_5tupleIJPlS6_EEENSP_IJSD_SD_EEES6_PiJS6_EEE10hipError_tPvRmT3_T4_T5_T6_T7_T9_mT8_P12ihipStream_tbDpT10_ENKUlT_T0_E_clISt17integral_constantIbLb1EES1D_EEDaS18_S19_EUlS18_E_NS1_11comp_targetILNS1_3genE5ELNS1_11target_archE942ELNS1_3gpuE9ELNS1_3repE0EEENS1_30default_config_static_selectorELNS0_4arch9wavefront6targetE0EEEvT1_.has_dyn_sized_stack, 0
	.set _ZN7rocprim17ROCPRIM_400000_NS6detail17trampoline_kernelINS0_14default_configENS1_25partition_config_selectorILNS1_17partition_subalgoE5ElNS0_10empty_typeEbEEZZNS1_14partition_implILS5_5ELb0ES3_mN6hipcub16HIPCUB_304000_NS21CountingInputIteratorIllEEPS6_NSA_22TransformInputIteratorIbN2at6native12_GLOBAL__N_19NonZeroOpIN3c108BFloat16EEEPKSK_lEENS0_5tupleIJPlS6_EEENSP_IJSD_SD_EEES6_PiJS6_EEE10hipError_tPvRmT3_T4_T5_T6_T7_T9_mT8_P12ihipStream_tbDpT10_ENKUlT_T0_E_clISt17integral_constantIbLb1EES1D_EEDaS18_S19_EUlS18_E_NS1_11comp_targetILNS1_3genE5ELNS1_11target_archE942ELNS1_3gpuE9ELNS1_3repE0EEENS1_30default_config_static_selectorELNS0_4arch9wavefront6targetE0EEEvT1_.has_recursion, 0
	.set _ZN7rocprim17ROCPRIM_400000_NS6detail17trampoline_kernelINS0_14default_configENS1_25partition_config_selectorILNS1_17partition_subalgoE5ElNS0_10empty_typeEbEEZZNS1_14partition_implILS5_5ELb0ES3_mN6hipcub16HIPCUB_304000_NS21CountingInputIteratorIllEEPS6_NSA_22TransformInputIteratorIbN2at6native12_GLOBAL__N_19NonZeroOpIN3c108BFloat16EEEPKSK_lEENS0_5tupleIJPlS6_EEENSP_IJSD_SD_EEES6_PiJS6_EEE10hipError_tPvRmT3_T4_T5_T6_T7_T9_mT8_P12ihipStream_tbDpT10_ENKUlT_T0_E_clISt17integral_constantIbLb1EES1D_EEDaS18_S19_EUlS18_E_NS1_11comp_targetILNS1_3genE5ELNS1_11target_archE942ELNS1_3gpuE9ELNS1_3repE0EEENS1_30default_config_static_selectorELNS0_4arch9wavefront6targetE0EEEvT1_.has_indirect_call, 0
	.section	.AMDGPU.csdata,"",@progbits
; Kernel info:
; codeLenInByte = 0
; TotalNumSgprs: 0
; NumVgprs: 0
; ScratchSize: 0
; MemoryBound: 0
; FloatMode: 240
; IeeeMode: 1
; LDSByteSize: 0 bytes/workgroup (compile time only)
; SGPRBlocks: 0
; VGPRBlocks: 0
; NumSGPRsForWavesPerEU: 1
; NumVGPRsForWavesPerEU: 1
; Occupancy: 16
; WaveLimiterHint : 0
; COMPUTE_PGM_RSRC2:SCRATCH_EN: 0
; COMPUTE_PGM_RSRC2:USER_SGPR: 2
; COMPUTE_PGM_RSRC2:TRAP_HANDLER: 0
; COMPUTE_PGM_RSRC2:TGID_X_EN: 1
; COMPUTE_PGM_RSRC2:TGID_Y_EN: 0
; COMPUTE_PGM_RSRC2:TGID_Z_EN: 0
; COMPUTE_PGM_RSRC2:TIDIG_COMP_CNT: 0
	.section	.text._ZN7rocprim17ROCPRIM_400000_NS6detail17trampoline_kernelINS0_14default_configENS1_25partition_config_selectorILNS1_17partition_subalgoE5ElNS0_10empty_typeEbEEZZNS1_14partition_implILS5_5ELb0ES3_mN6hipcub16HIPCUB_304000_NS21CountingInputIteratorIllEEPS6_NSA_22TransformInputIteratorIbN2at6native12_GLOBAL__N_19NonZeroOpIN3c108BFloat16EEEPKSK_lEENS0_5tupleIJPlS6_EEENSP_IJSD_SD_EEES6_PiJS6_EEE10hipError_tPvRmT3_T4_T5_T6_T7_T9_mT8_P12ihipStream_tbDpT10_ENKUlT_T0_E_clISt17integral_constantIbLb1EES1D_EEDaS18_S19_EUlS18_E_NS1_11comp_targetILNS1_3genE4ELNS1_11target_archE910ELNS1_3gpuE8ELNS1_3repE0EEENS1_30default_config_static_selectorELNS0_4arch9wavefront6targetE0EEEvT1_,"axG",@progbits,_ZN7rocprim17ROCPRIM_400000_NS6detail17trampoline_kernelINS0_14default_configENS1_25partition_config_selectorILNS1_17partition_subalgoE5ElNS0_10empty_typeEbEEZZNS1_14partition_implILS5_5ELb0ES3_mN6hipcub16HIPCUB_304000_NS21CountingInputIteratorIllEEPS6_NSA_22TransformInputIteratorIbN2at6native12_GLOBAL__N_19NonZeroOpIN3c108BFloat16EEEPKSK_lEENS0_5tupleIJPlS6_EEENSP_IJSD_SD_EEES6_PiJS6_EEE10hipError_tPvRmT3_T4_T5_T6_T7_T9_mT8_P12ihipStream_tbDpT10_ENKUlT_T0_E_clISt17integral_constantIbLb1EES1D_EEDaS18_S19_EUlS18_E_NS1_11comp_targetILNS1_3genE4ELNS1_11target_archE910ELNS1_3gpuE8ELNS1_3repE0EEENS1_30default_config_static_selectorELNS0_4arch9wavefront6targetE0EEEvT1_,comdat
	.globl	_ZN7rocprim17ROCPRIM_400000_NS6detail17trampoline_kernelINS0_14default_configENS1_25partition_config_selectorILNS1_17partition_subalgoE5ElNS0_10empty_typeEbEEZZNS1_14partition_implILS5_5ELb0ES3_mN6hipcub16HIPCUB_304000_NS21CountingInputIteratorIllEEPS6_NSA_22TransformInputIteratorIbN2at6native12_GLOBAL__N_19NonZeroOpIN3c108BFloat16EEEPKSK_lEENS0_5tupleIJPlS6_EEENSP_IJSD_SD_EEES6_PiJS6_EEE10hipError_tPvRmT3_T4_T5_T6_T7_T9_mT8_P12ihipStream_tbDpT10_ENKUlT_T0_E_clISt17integral_constantIbLb1EES1D_EEDaS18_S19_EUlS18_E_NS1_11comp_targetILNS1_3genE4ELNS1_11target_archE910ELNS1_3gpuE8ELNS1_3repE0EEENS1_30default_config_static_selectorELNS0_4arch9wavefront6targetE0EEEvT1_ ; -- Begin function _ZN7rocprim17ROCPRIM_400000_NS6detail17trampoline_kernelINS0_14default_configENS1_25partition_config_selectorILNS1_17partition_subalgoE5ElNS0_10empty_typeEbEEZZNS1_14partition_implILS5_5ELb0ES3_mN6hipcub16HIPCUB_304000_NS21CountingInputIteratorIllEEPS6_NSA_22TransformInputIteratorIbN2at6native12_GLOBAL__N_19NonZeroOpIN3c108BFloat16EEEPKSK_lEENS0_5tupleIJPlS6_EEENSP_IJSD_SD_EEES6_PiJS6_EEE10hipError_tPvRmT3_T4_T5_T6_T7_T9_mT8_P12ihipStream_tbDpT10_ENKUlT_T0_E_clISt17integral_constantIbLb1EES1D_EEDaS18_S19_EUlS18_E_NS1_11comp_targetILNS1_3genE4ELNS1_11target_archE910ELNS1_3gpuE8ELNS1_3repE0EEENS1_30default_config_static_selectorELNS0_4arch9wavefront6targetE0EEEvT1_
	.p2align	8
	.type	_ZN7rocprim17ROCPRIM_400000_NS6detail17trampoline_kernelINS0_14default_configENS1_25partition_config_selectorILNS1_17partition_subalgoE5ElNS0_10empty_typeEbEEZZNS1_14partition_implILS5_5ELb0ES3_mN6hipcub16HIPCUB_304000_NS21CountingInputIteratorIllEEPS6_NSA_22TransformInputIteratorIbN2at6native12_GLOBAL__N_19NonZeroOpIN3c108BFloat16EEEPKSK_lEENS0_5tupleIJPlS6_EEENSP_IJSD_SD_EEES6_PiJS6_EEE10hipError_tPvRmT3_T4_T5_T6_T7_T9_mT8_P12ihipStream_tbDpT10_ENKUlT_T0_E_clISt17integral_constantIbLb1EES1D_EEDaS18_S19_EUlS18_E_NS1_11comp_targetILNS1_3genE4ELNS1_11target_archE910ELNS1_3gpuE8ELNS1_3repE0EEENS1_30default_config_static_selectorELNS0_4arch9wavefront6targetE0EEEvT1_,@function
_ZN7rocprim17ROCPRIM_400000_NS6detail17trampoline_kernelINS0_14default_configENS1_25partition_config_selectorILNS1_17partition_subalgoE5ElNS0_10empty_typeEbEEZZNS1_14partition_implILS5_5ELb0ES3_mN6hipcub16HIPCUB_304000_NS21CountingInputIteratorIllEEPS6_NSA_22TransformInputIteratorIbN2at6native12_GLOBAL__N_19NonZeroOpIN3c108BFloat16EEEPKSK_lEENS0_5tupleIJPlS6_EEENSP_IJSD_SD_EEES6_PiJS6_EEE10hipError_tPvRmT3_T4_T5_T6_T7_T9_mT8_P12ihipStream_tbDpT10_ENKUlT_T0_E_clISt17integral_constantIbLb1EES1D_EEDaS18_S19_EUlS18_E_NS1_11comp_targetILNS1_3genE4ELNS1_11target_archE910ELNS1_3gpuE8ELNS1_3repE0EEENS1_30default_config_static_selectorELNS0_4arch9wavefront6targetE0EEEvT1_: ; @_ZN7rocprim17ROCPRIM_400000_NS6detail17trampoline_kernelINS0_14default_configENS1_25partition_config_selectorILNS1_17partition_subalgoE5ElNS0_10empty_typeEbEEZZNS1_14partition_implILS5_5ELb0ES3_mN6hipcub16HIPCUB_304000_NS21CountingInputIteratorIllEEPS6_NSA_22TransformInputIteratorIbN2at6native12_GLOBAL__N_19NonZeroOpIN3c108BFloat16EEEPKSK_lEENS0_5tupleIJPlS6_EEENSP_IJSD_SD_EEES6_PiJS6_EEE10hipError_tPvRmT3_T4_T5_T6_T7_T9_mT8_P12ihipStream_tbDpT10_ENKUlT_T0_E_clISt17integral_constantIbLb1EES1D_EEDaS18_S19_EUlS18_E_NS1_11comp_targetILNS1_3genE4ELNS1_11target_archE910ELNS1_3gpuE8ELNS1_3repE0EEENS1_30default_config_static_selectorELNS0_4arch9wavefront6targetE0EEEvT1_
; %bb.0:
	.section	.rodata,"a",@progbits
	.p2align	6, 0x0
	.amdhsa_kernel _ZN7rocprim17ROCPRIM_400000_NS6detail17trampoline_kernelINS0_14default_configENS1_25partition_config_selectorILNS1_17partition_subalgoE5ElNS0_10empty_typeEbEEZZNS1_14partition_implILS5_5ELb0ES3_mN6hipcub16HIPCUB_304000_NS21CountingInputIteratorIllEEPS6_NSA_22TransformInputIteratorIbN2at6native12_GLOBAL__N_19NonZeroOpIN3c108BFloat16EEEPKSK_lEENS0_5tupleIJPlS6_EEENSP_IJSD_SD_EEES6_PiJS6_EEE10hipError_tPvRmT3_T4_T5_T6_T7_T9_mT8_P12ihipStream_tbDpT10_ENKUlT_T0_E_clISt17integral_constantIbLb1EES1D_EEDaS18_S19_EUlS18_E_NS1_11comp_targetILNS1_3genE4ELNS1_11target_archE910ELNS1_3gpuE8ELNS1_3repE0EEENS1_30default_config_static_selectorELNS0_4arch9wavefront6targetE0EEEvT1_
		.amdhsa_group_segment_fixed_size 0
		.amdhsa_private_segment_fixed_size 0
		.amdhsa_kernarg_size 136
		.amdhsa_user_sgpr_count 2
		.amdhsa_user_sgpr_dispatch_ptr 0
		.amdhsa_user_sgpr_queue_ptr 0
		.amdhsa_user_sgpr_kernarg_segment_ptr 1
		.amdhsa_user_sgpr_dispatch_id 0
		.amdhsa_user_sgpr_private_segment_size 0
		.amdhsa_wavefront_size32 1
		.amdhsa_uses_dynamic_stack 0
		.amdhsa_enable_private_segment 0
		.amdhsa_system_sgpr_workgroup_id_x 1
		.amdhsa_system_sgpr_workgroup_id_y 0
		.amdhsa_system_sgpr_workgroup_id_z 0
		.amdhsa_system_sgpr_workgroup_info 0
		.amdhsa_system_vgpr_workitem_id 0
		.amdhsa_next_free_vgpr 1
		.amdhsa_next_free_sgpr 1
		.amdhsa_reserve_vcc 0
		.amdhsa_float_round_mode_32 0
		.amdhsa_float_round_mode_16_64 0
		.amdhsa_float_denorm_mode_32 3
		.amdhsa_float_denorm_mode_16_64 3
		.amdhsa_fp16_overflow 0
		.amdhsa_workgroup_processor_mode 1
		.amdhsa_memory_ordered 1
		.amdhsa_forward_progress 1
		.amdhsa_inst_pref_size 0
		.amdhsa_round_robin_scheduling 0
		.amdhsa_exception_fp_ieee_invalid_op 0
		.amdhsa_exception_fp_denorm_src 0
		.amdhsa_exception_fp_ieee_div_zero 0
		.amdhsa_exception_fp_ieee_overflow 0
		.amdhsa_exception_fp_ieee_underflow 0
		.amdhsa_exception_fp_ieee_inexact 0
		.amdhsa_exception_int_div_zero 0
	.end_amdhsa_kernel
	.section	.text._ZN7rocprim17ROCPRIM_400000_NS6detail17trampoline_kernelINS0_14default_configENS1_25partition_config_selectorILNS1_17partition_subalgoE5ElNS0_10empty_typeEbEEZZNS1_14partition_implILS5_5ELb0ES3_mN6hipcub16HIPCUB_304000_NS21CountingInputIteratorIllEEPS6_NSA_22TransformInputIteratorIbN2at6native12_GLOBAL__N_19NonZeroOpIN3c108BFloat16EEEPKSK_lEENS0_5tupleIJPlS6_EEENSP_IJSD_SD_EEES6_PiJS6_EEE10hipError_tPvRmT3_T4_T5_T6_T7_T9_mT8_P12ihipStream_tbDpT10_ENKUlT_T0_E_clISt17integral_constantIbLb1EES1D_EEDaS18_S19_EUlS18_E_NS1_11comp_targetILNS1_3genE4ELNS1_11target_archE910ELNS1_3gpuE8ELNS1_3repE0EEENS1_30default_config_static_selectorELNS0_4arch9wavefront6targetE0EEEvT1_,"axG",@progbits,_ZN7rocprim17ROCPRIM_400000_NS6detail17trampoline_kernelINS0_14default_configENS1_25partition_config_selectorILNS1_17partition_subalgoE5ElNS0_10empty_typeEbEEZZNS1_14partition_implILS5_5ELb0ES3_mN6hipcub16HIPCUB_304000_NS21CountingInputIteratorIllEEPS6_NSA_22TransformInputIteratorIbN2at6native12_GLOBAL__N_19NonZeroOpIN3c108BFloat16EEEPKSK_lEENS0_5tupleIJPlS6_EEENSP_IJSD_SD_EEES6_PiJS6_EEE10hipError_tPvRmT3_T4_T5_T6_T7_T9_mT8_P12ihipStream_tbDpT10_ENKUlT_T0_E_clISt17integral_constantIbLb1EES1D_EEDaS18_S19_EUlS18_E_NS1_11comp_targetILNS1_3genE4ELNS1_11target_archE910ELNS1_3gpuE8ELNS1_3repE0EEENS1_30default_config_static_selectorELNS0_4arch9wavefront6targetE0EEEvT1_,comdat
.Lfunc_end808:
	.size	_ZN7rocprim17ROCPRIM_400000_NS6detail17trampoline_kernelINS0_14default_configENS1_25partition_config_selectorILNS1_17partition_subalgoE5ElNS0_10empty_typeEbEEZZNS1_14partition_implILS5_5ELb0ES3_mN6hipcub16HIPCUB_304000_NS21CountingInputIteratorIllEEPS6_NSA_22TransformInputIteratorIbN2at6native12_GLOBAL__N_19NonZeroOpIN3c108BFloat16EEEPKSK_lEENS0_5tupleIJPlS6_EEENSP_IJSD_SD_EEES6_PiJS6_EEE10hipError_tPvRmT3_T4_T5_T6_T7_T9_mT8_P12ihipStream_tbDpT10_ENKUlT_T0_E_clISt17integral_constantIbLb1EES1D_EEDaS18_S19_EUlS18_E_NS1_11comp_targetILNS1_3genE4ELNS1_11target_archE910ELNS1_3gpuE8ELNS1_3repE0EEENS1_30default_config_static_selectorELNS0_4arch9wavefront6targetE0EEEvT1_, .Lfunc_end808-_ZN7rocprim17ROCPRIM_400000_NS6detail17trampoline_kernelINS0_14default_configENS1_25partition_config_selectorILNS1_17partition_subalgoE5ElNS0_10empty_typeEbEEZZNS1_14partition_implILS5_5ELb0ES3_mN6hipcub16HIPCUB_304000_NS21CountingInputIteratorIllEEPS6_NSA_22TransformInputIteratorIbN2at6native12_GLOBAL__N_19NonZeroOpIN3c108BFloat16EEEPKSK_lEENS0_5tupleIJPlS6_EEENSP_IJSD_SD_EEES6_PiJS6_EEE10hipError_tPvRmT3_T4_T5_T6_T7_T9_mT8_P12ihipStream_tbDpT10_ENKUlT_T0_E_clISt17integral_constantIbLb1EES1D_EEDaS18_S19_EUlS18_E_NS1_11comp_targetILNS1_3genE4ELNS1_11target_archE910ELNS1_3gpuE8ELNS1_3repE0EEENS1_30default_config_static_selectorELNS0_4arch9wavefront6targetE0EEEvT1_
                                        ; -- End function
	.set _ZN7rocprim17ROCPRIM_400000_NS6detail17trampoline_kernelINS0_14default_configENS1_25partition_config_selectorILNS1_17partition_subalgoE5ElNS0_10empty_typeEbEEZZNS1_14partition_implILS5_5ELb0ES3_mN6hipcub16HIPCUB_304000_NS21CountingInputIteratorIllEEPS6_NSA_22TransformInputIteratorIbN2at6native12_GLOBAL__N_19NonZeroOpIN3c108BFloat16EEEPKSK_lEENS0_5tupleIJPlS6_EEENSP_IJSD_SD_EEES6_PiJS6_EEE10hipError_tPvRmT3_T4_T5_T6_T7_T9_mT8_P12ihipStream_tbDpT10_ENKUlT_T0_E_clISt17integral_constantIbLb1EES1D_EEDaS18_S19_EUlS18_E_NS1_11comp_targetILNS1_3genE4ELNS1_11target_archE910ELNS1_3gpuE8ELNS1_3repE0EEENS1_30default_config_static_selectorELNS0_4arch9wavefront6targetE0EEEvT1_.num_vgpr, 0
	.set _ZN7rocprim17ROCPRIM_400000_NS6detail17trampoline_kernelINS0_14default_configENS1_25partition_config_selectorILNS1_17partition_subalgoE5ElNS0_10empty_typeEbEEZZNS1_14partition_implILS5_5ELb0ES3_mN6hipcub16HIPCUB_304000_NS21CountingInputIteratorIllEEPS6_NSA_22TransformInputIteratorIbN2at6native12_GLOBAL__N_19NonZeroOpIN3c108BFloat16EEEPKSK_lEENS0_5tupleIJPlS6_EEENSP_IJSD_SD_EEES6_PiJS6_EEE10hipError_tPvRmT3_T4_T5_T6_T7_T9_mT8_P12ihipStream_tbDpT10_ENKUlT_T0_E_clISt17integral_constantIbLb1EES1D_EEDaS18_S19_EUlS18_E_NS1_11comp_targetILNS1_3genE4ELNS1_11target_archE910ELNS1_3gpuE8ELNS1_3repE0EEENS1_30default_config_static_selectorELNS0_4arch9wavefront6targetE0EEEvT1_.num_agpr, 0
	.set _ZN7rocprim17ROCPRIM_400000_NS6detail17trampoline_kernelINS0_14default_configENS1_25partition_config_selectorILNS1_17partition_subalgoE5ElNS0_10empty_typeEbEEZZNS1_14partition_implILS5_5ELb0ES3_mN6hipcub16HIPCUB_304000_NS21CountingInputIteratorIllEEPS6_NSA_22TransformInputIteratorIbN2at6native12_GLOBAL__N_19NonZeroOpIN3c108BFloat16EEEPKSK_lEENS0_5tupleIJPlS6_EEENSP_IJSD_SD_EEES6_PiJS6_EEE10hipError_tPvRmT3_T4_T5_T6_T7_T9_mT8_P12ihipStream_tbDpT10_ENKUlT_T0_E_clISt17integral_constantIbLb1EES1D_EEDaS18_S19_EUlS18_E_NS1_11comp_targetILNS1_3genE4ELNS1_11target_archE910ELNS1_3gpuE8ELNS1_3repE0EEENS1_30default_config_static_selectorELNS0_4arch9wavefront6targetE0EEEvT1_.numbered_sgpr, 0
	.set _ZN7rocprim17ROCPRIM_400000_NS6detail17trampoline_kernelINS0_14default_configENS1_25partition_config_selectorILNS1_17partition_subalgoE5ElNS0_10empty_typeEbEEZZNS1_14partition_implILS5_5ELb0ES3_mN6hipcub16HIPCUB_304000_NS21CountingInputIteratorIllEEPS6_NSA_22TransformInputIteratorIbN2at6native12_GLOBAL__N_19NonZeroOpIN3c108BFloat16EEEPKSK_lEENS0_5tupleIJPlS6_EEENSP_IJSD_SD_EEES6_PiJS6_EEE10hipError_tPvRmT3_T4_T5_T6_T7_T9_mT8_P12ihipStream_tbDpT10_ENKUlT_T0_E_clISt17integral_constantIbLb1EES1D_EEDaS18_S19_EUlS18_E_NS1_11comp_targetILNS1_3genE4ELNS1_11target_archE910ELNS1_3gpuE8ELNS1_3repE0EEENS1_30default_config_static_selectorELNS0_4arch9wavefront6targetE0EEEvT1_.num_named_barrier, 0
	.set _ZN7rocprim17ROCPRIM_400000_NS6detail17trampoline_kernelINS0_14default_configENS1_25partition_config_selectorILNS1_17partition_subalgoE5ElNS0_10empty_typeEbEEZZNS1_14partition_implILS5_5ELb0ES3_mN6hipcub16HIPCUB_304000_NS21CountingInputIteratorIllEEPS6_NSA_22TransformInputIteratorIbN2at6native12_GLOBAL__N_19NonZeroOpIN3c108BFloat16EEEPKSK_lEENS0_5tupleIJPlS6_EEENSP_IJSD_SD_EEES6_PiJS6_EEE10hipError_tPvRmT3_T4_T5_T6_T7_T9_mT8_P12ihipStream_tbDpT10_ENKUlT_T0_E_clISt17integral_constantIbLb1EES1D_EEDaS18_S19_EUlS18_E_NS1_11comp_targetILNS1_3genE4ELNS1_11target_archE910ELNS1_3gpuE8ELNS1_3repE0EEENS1_30default_config_static_selectorELNS0_4arch9wavefront6targetE0EEEvT1_.private_seg_size, 0
	.set _ZN7rocprim17ROCPRIM_400000_NS6detail17trampoline_kernelINS0_14default_configENS1_25partition_config_selectorILNS1_17partition_subalgoE5ElNS0_10empty_typeEbEEZZNS1_14partition_implILS5_5ELb0ES3_mN6hipcub16HIPCUB_304000_NS21CountingInputIteratorIllEEPS6_NSA_22TransformInputIteratorIbN2at6native12_GLOBAL__N_19NonZeroOpIN3c108BFloat16EEEPKSK_lEENS0_5tupleIJPlS6_EEENSP_IJSD_SD_EEES6_PiJS6_EEE10hipError_tPvRmT3_T4_T5_T6_T7_T9_mT8_P12ihipStream_tbDpT10_ENKUlT_T0_E_clISt17integral_constantIbLb1EES1D_EEDaS18_S19_EUlS18_E_NS1_11comp_targetILNS1_3genE4ELNS1_11target_archE910ELNS1_3gpuE8ELNS1_3repE0EEENS1_30default_config_static_selectorELNS0_4arch9wavefront6targetE0EEEvT1_.uses_vcc, 0
	.set _ZN7rocprim17ROCPRIM_400000_NS6detail17trampoline_kernelINS0_14default_configENS1_25partition_config_selectorILNS1_17partition_subalgoE5ElNS0_10empty_typeEbEEZZNS1_14partition_implILS5_5ELb0ES3_mN6hipcub16HIPCUB_304000_NS21CountingInputIteratorIllEEPS6_NSA_22TransformInputIteratorIbN2at6native12_GLOBAL__N_19NonZeroOpIN3c108BFloat16EEEPKSK_lEENS0_5tupleIJPlS6_EEENSP_IJSD_SD_EEES6_PiJS6_EEE10hipError_tPvRmT3_T4_T5_T6_T7_T9_mT8_P12ihipStream_tbDpT10_ENKUlT_T0_E_clISt17integral_constantIbLb1EES1D_EEDaS18_S19_EUlS18_E_NS1_11comp_targetILNS1_3genE4ELNS1_11target_archE910ELNS1_3gpuE8ELNS1_3repE0EEENS1_30default_config_static_selectorELNS0_4arch9wavefront6targetE0EEEvT1_.uses_flat_scratch, 0
	.set _ZN7rocprim17ROCPRIM_400000_NS6detail17trampoline_kernelINS0_14default_configENS1_25partition_config_selectorILNS1_17partition_subalgoE5ElNS0_10empty_typeEbEEZZNS1_14partition_implILS5_5ELb0ES3_mN6hipcub16HIPCUB_304000_NS21CountingInputIteratorIllEEPS6_NSA_22TransformInputIteratorIbN2at6native12_GLOBAL__N_19NonZeroOpIN3c108BFloat16EEEPKSK_lEENS0_5tupleIJPlS6_EEENSP_IJSD_SD_EEES6_PiJS6_EEE10hipError_tPvRmT3_T4_T5_T6_T7_T9_mT8_P12ihipStream_tbDpT10_ENKUlT_T0_E_clISt17integral_constantIbLb1EES1D_EEDaS18_S19_EUlS18_E_NS1_11comp_targetILNS1_3genE4ELNS1_11target_archE910ELNS1_3gpuE8ELNS1_3repE0EEENS1_30default_config_static_selectorELNS0_4arch9wavefront6targetE0EEEvT1_.has_dyn_sized_stack, 0
	.set _ZN7rocprim17ROCPRIM_400000_NS6detail17trampoline_kernelINS0_14default_configENS1_25partition_config_selectorILNS1_17partition_subalgoE5ElNS0_10empty_typeEbEEZZNS1_14partition_implILS5_5ELb0ES3_mN6hipcub16HIPCUB_304000_NS21CountingInputIteratorIllEEPS6_NSA_22TransformInputIteratorIbN2at6native12_GLOBAL__N_19NonZeroOpIN3c108BFloat16EEEPKSK_lEENS0_5tupleIJPlS6_EEENSP_IJSD_SD_EEES6_PiJS6_EEE10hipError_tPvRmT3_T4_T5_T6_T7_T9_mT8_P12ihipStream_tbDpT10_ENKUlT_T0_E_clISt17integral_constantIbLb1EES1D_EEDaS18_S19_EUlS18_E_NS1_11comp_targetILNS1_3genE4ELNS1_11target_archE910ELNS1_3gpuE8ELNS1_3repE0EEENS1_30default_config_static_selectorELNS0_4arch9wavefront6targetE0EEEvT1_.has_recursion, 0
	.set _ZN7rocprim17ROCPRIM_400000_NS6detail17trampoline_kernelINS0_14default_configENS1_25partition_config_selectorILNS1_17partition_subalgoE5ElNS0_10empty_typeEbEEZZNS1_14partition_implILS5_5ELb0ES3_mN6hipcub16HIPCUB_304000_NS21CountingInputIteratorIllEEPS6_NSA_22TransformInputIteratorIbN2at6native12_GLOBAL__N_19NonZeroOpIN3c108BFloat16EEEPKSK_lEENS0_5tupleIJPlS6_EEENSP_IJSD_SD_EEES6_PiJS6_EEE10hipError_tPvRmT3_T4_T5_T6_T7_T9_mT8_P12ihipStream_tbDpT10_ENKUlT_T0_E_clISt17integral_constantIbLb1EES1D_EEDaS18_S19_EUlS18_E_NS1_11comp_targetILNS1_3genE4ELNS1_11target_archE910ELNS1_3gpuE8ELNS1_3repE0EEENS1_30default_config_static_selectorELNS0_4arch9wavefront6targetE0EEEvT1_.has_indirect_call, 0
	.section	.AMDGPU.csdata,"",@progbits
; Kernel info:
; codeLenInByte = 0
; TotalNumSgprs: 0
; NumVgprs: 0
; ScratchSize: 0
; MemoryBound: 0
; FloatMode: 240
; IeeeMode: 1
; LDSByteSize: 0 bytes/workgroup (compile time only)
; SGPRBlocks: 0
; VGPRBlocks: 0
; NumSGPRsForWavesPerEU: 1
; NumVGPRsForWavesPerEU: 1
; Occupancy: 16
; WaveLimiterHint : 0
; COMPUTE_PGM_RSRC2:SCRATCH_EN: 0
; COMPUTE_PGM_RSRC2:USER_SGPR: 2
; COMPUTE_PGM_RSRC2:TRAP_HANDLER: 0
; COMPUTE_PGM_RSRC2:TGID_X_EN: 1
; COMPUTE_PGM_RSRC2:TGID_Y_EN: 0
; COMPUTE_PGM_RSRC2:TGID_Z_EN: 0
; COMPUTE_PGM_RSRC2:TIDIG_COMP_CNT: 0
	.section	.text._ZN7rocprim17ROCPRIM_400000_NS6detail17trampoline_kernelINS0_14default_configENS1_25partition_config_selectorILNS1_17partition_subalgoE5ElNS0_10empty_typeEbEEZZNS1_14partition_implILS5_5ELb0ES3_mN6hipcub16HIPCUB_304000_NS21CountingInputIteratorIllEEPS6_NSA_22TransformInputIteratorIbN2at6native12_GLOBAL__N_19NonZeroOpIN3c108BFloat16EEEPKSK_lEENS0_5tupleIJPlS6_EEENSP_IJSD_SD_EEES6_PiJS6_EEE10hipError_tPvRmT3_T4_T5_T6_T7_T9_mT8_P12ihipStream_tbDpT10_ENKUlT_T0_E_clISt17integral_constantIbLb1EES1D_EEDaS18_S19_EUlS18_E_NS1_11comp_targetILNS1_3genE3ELNS1_11target_archE908ELNS1_3gpuE7ELNS1_3repE0EEENS1_30default_config_static_selectorELNS0_4arch9wavefront6targetE0EEEvT1_,"axG",@progbits,_ZN7rocprim17ROCPRIM_400000_NS6detail17trampoline_kernelINS0_14default_configENS1_25partition_config_selectorILNS1_17partition_subalgoE5ElNS0_10empty_typeEbEEZZNS1_14partition_implILS5_5ELb0ES3_mN6hipcub16HIPCUB_304000_NS21CountingInputIteratorIllEEPS6_NSA_22TransformInputIteratorIbN2at6native12_GLOBAL__N_19NonZeroOpIN3c108BFloat16EEEPKSK_lEENS0_5tupleIJPlS6_EEENSP_IJSD_SD_EEES6_PiJS6_EEE10hipError_tPvRmT3_T4_T5_T6_T7_T9_mT8_P12ihipStream_tbDpT10_ENKUlT_T0_E_clISt17integral_constantIbLb1EES1D_EEDaS18_S19_EUlS18_E_NS1_11comp_targetILNS1_3genE3ELNS1_11target_archE908ELNS1_3gpuE7ELNS1_3repE0EEENS1_30default_config_static_selectorELNS0_4arch9wavefront6targetE0EEEvT1_,comdat
	.globl	_ZN7rocprim17ROCPRIM_400000_NS6detail17trampoline_kernelINS0_14default_configENS1_25partition_config_selectorILNS1_17partition_subalgoE5ElNS0_10empty_typeEbEEZZNS1_14partition_implILS5_5ELb0ES3_mN6hipcub16HIPCUB_304000_NS21CountingInputIteratorIllEEPS6_NSA_22TransformInputIteratorIbN2at6native12_GLOBAL__N_19NonZeroOpIN3c108BFloat16EEEPKSK_lEENS0_5tupleIJPlS6_EEENSP_IJSD_SD_EEES6_PiJS6_EEE10hipError_tPvRmT3_T4_T5_T6_T7_T9_mT8_P12ihipStream_tbDpT10_ENKUlT_T0_E_clISt17integral_constantIbLb1EES1D_EEDaS18_S19_EUlS18_E_NS1_11comp_targetILNS1_3genE3ELNS1_11target_archE908ELNS1_3gpuE7ELNS1_3repE0EEENS1_30default_config_static_selectorELNS0_4arch9wavefront6targetE0EEEvT1_ ; -- Begin function _ZN7rocprim17ROCPRIM_400000_NS6detail17trampoline_kernelINS0_14default_configENS1_25partition_config_selectorILNS1_17partition_subalgoE5ElNS0_10empty_typeEbEEZZNS1_14partition_implILS5_5ELb0ES3_mN6hipcub16HIPCUB_304000_NS21CountingInputIteratorIllEEPS6_NSA_22TransformInputIteratorIbN2at6native12_GLOBAL__N_19NonZeroOpIN3c108BFloat16EEEPKSK_lEENS0_5tupleIJPlS6_EEENSP_IJSD_SD_EEES6_PiJS6_EEE10hipError_tPvRmT3_T4_T5_T6_T7_T9_mT8_P12ihipStream_tbDpT10_ENKUlT_T0_E_clISt17integral_constantIbLb1EES1D_EEDaS18_S19_EUlS18_E_NS1_11comp_targetILNS1_3genE3ELNS1_11target_archE908ELNS1_3gpuE7ELNS1_3repE0EEENS1_30default_config_static_selectorELNS0_4arch9wavefront6targetE0EEEvT1_
	.p2align	8
	.type	_ZN7rocprim17ROCPRIM_400000_NS6detail17trampoline_kernelINS0_14default_configENS1_25partition_config_selectorILNS1_17partition_subalgoE5ElNS0_10empty_typeEbEEZZNS1_14partition_implILS5_5ELb0ES3_mN6hipcub16HIPCUB_304000_NS21CountingInputIteratorIllEEPS6_NSA_22TransformInputIteratorIbN2at6native12_GLOBAL__N_19NonZeroOpIN3c108BFloat16EEEPKSK_lEENS0_5tupleIJPlS6_EEENSP_IJSD_SD_EEES6_PiJS6_EEE10hipError_tPvRmT3_T4_T5_T6_T7_T9_mT8_P12ihipStream_tbDpT10_ENKUlT_T0_E_clISt17integral_constantIbLb1EES1D_EEDaS18_S19_EUlS18_E_NS1_11comp_targetILNS1_3genE3ELNS1_11target_archE908ELNS1_3gpuE7ELNS1_3repE0EEENS1_30default_config_static_selectorELNS0_4arch9wavefront6targetE0EEEvT1_,@function
_ZN7rocprim17ROCPRIM_400000_NS6detail17trampoline_kernelINS0_14default_configENS1_25partition_config_selectorILNS1_17partition_subalgoE5ElNS0_10empty_typeEbEEZZNS1_14partition_implILS5_5ELb0ES3_mN6hipcub16HIPCUB_304000_NS21CountingInputIteratorIllEEPS6_NSA_22TransformInputIteratorIbN2at6native12_GLOBAL__N_19NonZeroOpIN3c108BFloat16EEEPKSK_lEENS0_5tupleIJPlS6_EEENSP_IJSD_SD_EEES6_PiJS6_EEE10hipError_tPvRmT3_T4_T5_T6_T7_T9_mT8_P12ihipStream_tbDpT10_ENKUlT_T0_E_clISt17integral_constantIbLb1EES1D_EEDaS18_S19_EUlS18_E_NS1_11comp_targetILNS1_3genE3ELNS1_11target_archE908ELNS1_3gpuE7ELNS1_3repE0EEENS1_30default_config_static_selectorELNS0_4arch9wavefront6targetE0EEEvT1_: ; @_ZN7rocprim17ROCPRIM_400000_NS6detail17trampoline_kernelINS0_14default_configENS1_25partition_config_selectorILNS1_17partition_subalgoE5ElNS0_10empty_typeEbEEZZNS1_14partition_implILS5_5ELb0ES3_mN6hipcub16HIPCUB_304000_NS21CountingInputIteratorIllEEPS6_NSA_22TransformInputIteratorIbN2at6native12_GLOBAL__N_19NonZeroOpIN3c108BFloat16EEEPKSK_lEENS0_5tupleIJPlS6_EEENSP_IJSD_SD_EEES6_PiJS6_EEE10hipError_tPvRmT3_T4_T5_T6_T7_T9_mT8_P12ihipStream_tbDpT10_ENKUlT_T0_E_clISt17integral_constantIbLb1EES1D_EEDaS18_S19_EUlS18_E_NS1_11comp_targetILNS1_3genE3ELNS1_11target_archE908ELNS1_3gpuE7ELNS1_3repE0EEENS1_30default_config_static_selectorELNS0_4arch9wavefront6targetE0EEEvT1_
; %bb.0:
	.section	.rodata,"a",@progbits
	.p2align	6, 0x0
	.amdhsa_kernel _ZN7rocprim17ROCPRIM_400000_NS6detail17trampoline_kernelINS0_14default_configENS1_25partition_config_selectorILNS1_17partition_subalgoE5ElNS0_10empty_typeEbEEZZNS1_14partition_implILS5_5ELb0ES3_mN6hipcub16HIPCUB_304000_NS21CountingInputIteratorIllEEPS6_NSA_22TransformInputIteratorIbN2at6native12_GLOBAL__N_19NonZeroOpIN3c108BFloat16EEEPKSK_lEENS0_5tupleIJPlS6_EEENSP_IJSD_SD_EEES6_PiJS6_EEE10hipError_tPvRmT3_T4_T5_T6_T7_T9_mT8_P12ihipStream_tbDpT10_ENKUlT_T0_E_clISt17integral_constantIbLb1EES1D_EEDaS18_S19_EUlS18_E_NS1_11comp_targetILNS1_3genE3ELNS1_11target_archE908ELNS1_3gpuE7ELNS1_3repE0EEENS1_30default_config_static_selectorELNS0_4arch9wavefront6targetE0EEEvT1_
		.amdhsa_group_segment_fixed_size 0
		.amdhsa_private_segment_fixed_size 0
		.amdhsa_kernarg_size 136
		.amdhsa_user_sgpr_count 2
		.amdhsa_user_sgpr_dispatch_ptr 0
		.amdhsa_user_sgpr_queue_ptr 0
		.amdhsa_user_sgpr_kernarg_segment_ptr 1
		.amdhsa_user_sgpr_dispatch_id 0
		.amdhsa_user_sgpr_private_segment_size 0
		.amdhsa_wavefront_size32 1
		.amdhsa_uses_dynamic_stack 0
		.amdhsa_enable_private_segment 0
		.amdhsa_system_sgpr_workgroup_id_x 1
		.amdhsa_system_sgpr_workgroup_id_y 0
		.amdhsa_system_sgpr_workgroup_id_z 0
		.amdhsa_system_sgpr_workgroup_info 0
		.amdhsa_system_vgpr_workitem_id 0
		.amdhsa_next_free_vgpr 1
		.amdhsa_next_free_sgpr 1
		.amdhsa_reserve_vcc 0
		.amdhsa_float_round_mode_32 0
		.amdhsa_float_round_mode_16_64 0
		.amdhsa_float_denorm_mode_32 3
		.amdhsa_float_denorm_mode_16_64 3
		.amdhsa_fp16_overflow 0
		.amdhsa_workgroup_processor_mode 1
		.amdhsa_memory_ordered 1
		.amdhsa_forward_progress 1
		.amdhsa_inst_pref_size 0
		.amdhsa_round_robin_scheduling 0
		.amdhsa_exception_fp_ieee_invalid_op 0
		.amdhsa_exception_fp_denorm_src 0
		.amdhsa_exception_fp_ieee_div_zero 0
		.amdhsa_exception_fp_ieee_overflow 0
		.amdhsa_exception_fp_ieee_underflow 0
		.amdhsa_exception_fp_ieee_inexact 0
		.amdhsa_exception_int_div_zero 0
	.end_amdhsa_kernel
	.section	.text._ZN7rocprim17ROCPRIM_400000_NS6detail17trampoline_kernelINS0_14default_configENS1_25partition_config_selectorILNS1_17partition_subalgoE5ElNS0_10empty_typeEbEEZZNS1_14partition_implILS5_5ELb0ES3_mN6hipcub16HIPCUB_304000_NS21CountingInputIteratorIllEEPS6_NSA_22TransformInputIteratorIbN2at6native12_GLOBAL__N_19NonZeroOpIN3c108BFloat16EEEPKSK_lEENS0_5tupleIJPlS6_EEENSP_IJSD_SD_EEES6_PiJS6_EEE10hipError_tPvRmT3_T4_T5_T6_T7_T9_mT8_P12ihipStream_tbDpT10_ENKUlT_T0_E_clISt17integral_constantIbLb1EES1D_EEDaS18_S19_EUlS18_E_NS1_11comp_targetILNS1_3genE3ELNS1_11target_archE908ELNS1_3gpuE7ELNS1_3repE0EEENS1_30default_config_static_selectorELNS0_4arch9wavefront6targetE0EEEvT1_,"axG",@progbits,_ZN7rocprim17ROCPRIM_400000_NS6detail17trampoline_kernelINS0_14default_configENS1_25partition_config_selectorILNS1_17partition_subalgoE5ElNS0_10empty_typeEbEEZZNS1_14partition_implILS5_5ELb0ES3_mN6hipcub16HIPCUB_304000_NS21CountingInputIteratorIllEEPS6_NSA_22TransformInputIteratorIbN2at6native12_GLOBAL__N_19NonZeroOpIN3c108BFloat16EEEPKSK_lEENS0_5tupleIJPlS6_EEENSP_IJSD_SD_EEES6_PiJS6_EEE10hipError_tPvRmT3_T4_T5_T6_T7_T9_mT8_P12ihipStream_tbDpT10_ENKUlT_T0_E_clISt17integral_constantIbLb1EES1D_EEDaS18_S19_EUlS18_E_NS1_11comp_targetILNS1_3genE3ELNS1_11target_archE908ELNS1_3gpuE7ELNS1_3repE0EEENS1_30default_config_static_selectorELNS0_4arch9wavefront6targetE0EEEvT1_,comdat
.Lfunc_end809:
	.size	_ZN7rocprim17ROCPRIM_400000_NS6detail17trampoline_kernelINS0_14default_configENS1_25partition_config_selectorILNS1_17partition_subalgoE5ElNS0_10empty_typeEbEEZZNS1_14partition_implILS5_5ELb0ES3_mN6hipcub16HIPCUB_304000_NS21CountingInputIteratorIllEEPS6_NSA_22TransformInputIteratorIbN2at6native12_GLOBAL__N_19NonZeroOpIN3c108BFloat16EEEPKSK_lEENS0_5tupleIJPlS6_EEENSP_IJSD_SD_EEES6_PiJS6_EEE10hipError_tPvRmT3_T4_T5_T6_T7_T9_mT8_P12ihipStream_tbDpT10_ENKUlT_T0_E_clISt17integral_constantIbLb1EES1D_EEDaS18_S19_EUlS18_E_NS1_11comp_targetILNS1_3genE3ELNS1_11target_archE908ELNS1_3gpuE7ELNS1_3repE0EEENS1_30default_config_static_selectorELNS0_4arch9wavefront6targetE0EEEvT1_, .Lfunc_end809-_ZN7rocprim17ROCPRIM_400000_NS6detail17trampoline_kernelINS0_14default_configENS1_25partition_config_selectorILNS1_17partition_subalgoE5ElNS0_10empty_typeEbEEZZNS1_14partition_implILS5_5ELb0ES3_mN6hipcub16HIPCUB_304000_NS21CountingInputIteratorIllEEPS6_NSA_22TransformInputIteratorIbN2at6native12_GLOBAL__N_19NonZeroOpIN3c108BFloat16EEEPKSK_lEENS0_5tupleIJPlS6_EEENSP_IJSD_SD_EEES6_PiJS6_EEE10hipError_tPvRmT3_T4_T5_T6_T7_T9_mT8_P12ihipStream_tbDpT10_ENKUlT_T0_E_clISt17integral_constantIbLb1EES1D_EEDaS18_S19_EUlS18_E_NS1_11comp_targetILNS1_3genE3ELNS1_11target_archE908ELNS1_3gpuE7ELNS1_3repE0EEENS1_30default_config_static_selectorELNS0_4arch9wavefront6targetE0EEEvT1_
                                        ; -- End function
	.set _ZN7rocprim17ROCPRIM_400000_NS6detail17trampoline_kernelINS0_14default_configENS1_25partition_config_selectorILNS1_17partition_subalgoE5ElNS0_10empty_typeEbEEZZNS1_14partition_implILS5_5ELb0ES3_mN6hipcub16HIPCUB_304000_NS21CountingInputIteratorIllEEPS6_NSA_22TransformInputIteratorIbN2at6native12_GLOBAL__N_19NonZeroOpIN3c108BFloat16EEEPKSK_lEENS0_5tupleIJPlS6_EEENSP_IJSD_SD_EEES6_PiJS6_EEE10hipError_tPvRmT3_T4_T5_T6_T7_T9_mT8_P12ihipStream_tbDpT10_ENKUlT_T0_E_clISt17integral_constantIbLb1EES1D_EEDaS18_S19_EUlS18_E_NS1_11comp_targetILNS1_3genE3ELNS1_11target_archE908ELNS1_3gpuE7ELNS1_3repE0EEENS1_30default_config_static_selectorELNS0_4arch9wavefront6targetE0EEEvT1_.num_vgpr, 0
	.set _ZN7rocprim17ROCPRIM_400000_NS6detail17trampoline_kernelINS0_14default_configENS1_25partition_config_selectorILNS1_17partition_subalgoE5ElNS0_10empty_typeEbEEZZNS1_14partition_implILS5_5ELb0ES3_mN6hipcub16HIPCUB_304000_NS21CountingInputIteratorIllEEPS6_NSA_22TransformInputIteratorIbN2at6native12_GLOBAL__N_19NonZeroOpIN3c108BFloat16EEEPKSK_lEENS0_5tupleIJPlS6_EEENSP_IJSD_SD_EEES6_PiJS6_EEE10hipError_tPvRmT3_T4_T5_T6_T7_T9_mT8_P12ihipStream_tbDpT10_ENKUlT_T0_E_clISt17integral_constantIbLb1EES1D_EEDaS18_S19_EUlS18_E_NS1_11comp_targetILNS1_3genE3ELNS1_11target_archE908ELNS1_3gpuE7ELNS1_3repE0EEENS1_30default_config_static_selectorELNS0_4arch9wavefront6targetE0EEEvT1_.num_agpr, 0
	.set _ZN7rocprim17ROCPRIM_400000_NS6detail17trampoline_kernelINS0_14default_configENS1_25partition_config_selectorILNS1_17partition_subalgoE5ElNS0_10empty_typeEbEEZZNS1_14partition_implILS5_5ELb0ES3_mN6hipcub16HIPCUB_304000_NS21CountingInputIteratorIllEEPS6_NSA_22TransformInputIteratorIbN2at6native12_GLOBAL__N_19NonZeroOpIN3c108BFloat16EEEPKSK_lEENS0_5tupleIJPlS6_EEENSP_IJSD_SD_EEES6_PiJS6_EEE10hipError_tPvRmT3_T4_T5_T6_T7_T9_mT8_P12ihipStream_tbDpT10_ENKUlT_T0_E_clISt17integral_constantIbLb1EES1D_EEDaS18_S19_EUlS18_E_NS1_11comp_targetILNS1_3genE3ELNS1_11target_archE908ELNS1_3gpuE7ELNS1_3repE0EEENS1_30default_config_static_selectorELNS0_4arch9wavefront6targetE0EEEvT1_.numbered_sgpr, 0
	.set _ZN7rocprim17ROCPRIM_400000_NS6detail17trampoline_kernelINS0_14default_configENS1_25partition_config_selectorILNS1_17partition_subalgoE5ElNS0_10empty_typeEbEEZZNS1_14partition_implILS5_5ELb0ES3_mN6hipcub16HIPCUB_304000_NS21CountingInputIteratorIllEEPS6_NSA_22TransformInputIteratorIbN2at6native12_GLOBAL__N_19NonZeroOpIN3c108BFloat16EEEPKSK_lEENS0_5tupleIJPlS6_EEENSP_IJSD_SD_EEES6_PiJS6_EEE10hipError_tPvRmT3_T4_T5_T6_T7_T9_mT8_P12ihipStream_tbDpT10_ENKUlT_T0_E_clISt17integral_constantIbLb1EES1D_EEDaS18_S19_EUlS18_E_NS1_11comp_targetILNS1_3genE3ELNS1_11target_archE908ELNS1_3gpuE7ELNS1_3repE0EEENS1_30default_config_static_selectorELNS0_4arch9wavefront6targetE0EEEvT1_.num_named_barrier, 0
	.set _ZN7rocprim17ROCPRIM_400000_NS6detail17trampoline_kernelINS0_14default_configENS1_25partition_config_selectorILNS1_17partition_subalgoE5ElNS0_10empty_typeEbEEZZNS1_14partition_implILS5_5ELb0ES3_mN6hipcub16HIPCUB_304000_NS21CountingInputIteratorIllEEPS6_NSA_22TransformInputIteratorIbN2at6native12_GLOBAL__N_19NonZeroOpIN3c108BFloat16EEEPKSK_lEENS0_5tupleIJPlS6_EEENSP_IJSD_SD_EEES6_PiJS6_EEE10hipError_tPvRmT3_T4_T5_T6_T7_T9_mT8_P12ihipStream_tbDpT10_ENKUlT_T0_E_clISt17integral_constantIbLb1EES1D_EEDaS18_S19_EUlS18_E_NS1_11comp_targetILNS1_3genE3ELNS1_11target_archE908ELNS1_3gpuE7ELNS1_3repE0EEENS1_30default_config_static_selectorELNS0_4arch9wavefront6targetE0EEEvT1_.private_seg_size, 0
	.set _ZN7rocprim17ROCPRIM_400000_NS6detail17trampoline_kernelINS0_14default_configENS1_25partition_config_selectorILNS1_17partition_subalgoE5ElNS0_10empty_typeEbEEZZNS1_14partition_implILS5_5ELb0ES3_mN6hipcub16HIPCUB_304000_NS21CountingInputIteratorIllEEPS6_NSA_22TransformInputIteratorIbN2at6native12_GLOBAL__N_19NonZeroOpIN3c108BFloat16EEEPKSK_lEENS0_5tupleIJPlS6_EEENSP_IJSD_SD_EEES6_PiJS6_EEE10hipError_tPvRmT3_T4_T5_T6_T7_T9_mT8_P12ihipStream_tbDpT10_ENKUlT_T0_E_clISt17integral_constantIbLb1EES1D_EEDaS18_S19_EUlS18_E_NS1_11comp_targetILNS1_3genE3ELNS1_11target_archE908ELNS1_3gpuE7ELNS1_3repE0EEENS1_30default_config_static_selectorELNS0_4arch9wavefront6targetE0EEEvT1_.uses_vcc, 0
	.set _ZN7rocprim17ROCPRIM_400000_NS6detail17trampoline_kernelINS0_14default_configENS1_25partition_config_selectorILNS1_17partition_subalgoE5ElNS0_10empty_typeEbEEZZNS1_14partition_implILS5_5ELb0ES3_mN6hipcub16HIPCUB_304000_NS21CountingInputIteratorIllEEPS6_NSA_22TransformInputIteratorIbN2at6native12_GLOBAL__N_19NonZeroOpIN3c108BFloat16EEEPKSK_lEENS0_5tupleIJPlS6_EEENSP_IJSD_SD_EEES6_PiJS6_EEE10hipError_tPvRmT3_T4_T5_T6_T7_T9_mT8_P12ihipStream_tbDpT10_ENKUlT_T0_E_clISt17integral_constantIbLb1EES1D_EEDaS18_S19_EUlS18_E_NS1_11comp_targetILNS1_3genE3ELNS1_11target_archE908ELNS1_3gpuE7ELNS1_3repE0EEENS1_30default_config_static_selectorELNS0_4arch9wavefront6targetE0EEEvT1_.uses_flat_scratch, 0
	.set _ZN7rocprim17ROCPRIM_400000_NS6detail17trampoline_kernelINS0_14default_configENS1_25partition_config_selectorILNS1_17partition_subalgoE5ElNS0_10empty_typeEbEEZZNS1_14partition_implILS5_5ELb0ES3_mN6hipcub16HIPCUB_304000_NS21CountingInputIteratorIllEEPS6_NSA_22TransformInputIteratorIbN2at6native12_GLOBAL__N_19NonZeroOpIN3c108BFloat16EEEPKSK_lEENS0_5tupleIJPlS6_EEENSP_IJSD_SD_EEES6_PiJS6_EEE10hipError_tPvRmT3_T4_T5_T6_T7_T9_mT8_P12ihipStream_tbDpT10_ENKUlT_T0_E_clISt17integral_constantIbLb1EES1D_EEDaS18_S19_EUlS18_E_NS1_11comp_targetILNS1_3genE3ELNS1_11target_archE908ELNS1_3gpuE7ELNS1_3repE0EEENS1_30default_config_static_selectorELNS0_4arch9wavefront6targetE0EEEvT1_.has_dyn_sized_stack, 0
	.set _ZN7rocprim17ROCPRIM_400000_NS6detail17trampoline_kernelINS0_14default_configENS1_25partition_config_selectorILNS1_17partition_subalgoE5ElNS0_10empty_typeEbEEZZNS1_14partition_implILS5_5ELb0ES3_mN6hipcub16HIPCUB_304000_NS21CountingInputIteratorIllEEPS6_NSA_22TransformInputIteratorIbN2at6native12_GLOBAL__N_19NonZeroOpIN3c108BFloat16EEEPKSK_lEENS0_5tupleIJPlS6_EEENSP_IJSD_SD_EEES6_PiJS6_EEE10hipError_tPvRmT3_T4_T5_T6_T7_T9_mT8_P12ihipStream_tbDpT10_ENKUlT_T0_E_clISt17integral_constantIbLb1EES1D_EEDaS18_S19_EUlS18_E_NS1_11comp_targetILNS1_3genE3ELNS1_11target_archE908ELNS1_3gpuE7ELNS1_3repE0EEENS1_30default_config_static_selectorELNS0_4arch9wavefront6targetE0EEEvT1_.has_recursion, 0
	.set _ZN7rocprim17ROCPRIM_400000_NS6detail17trampoline_kernelINS0_14default_configENS1_25partition_config_selectorILNS1_17partition_subalgoE5ElNS0_10empty_typeEbEEZZNS1_14partition_implILS5_5ELb0ES3_mN6hipcub16HIPCUB_304000_NS21CountingInputIteratorIllEEPS6_NSA_22TransformInputIteratorIbN2at6native12_GLOBAL__N_19NonZeroOpIN3c108BFloat16EEEPKSK_lEENS0_5tupleIJPlS6_EEENSP_IJSD_SD_EEES6_PiJS6_EEE10hipError_tPvRmT3_T4_T5_T6_T7_T9_mT8_P12ihipStream_tbDpT10_ENKUlT_T0_E_clISt17integral_constantIbLb1EES1D_EEDaS18_S19_EUlS18_E_NS1_11comp_targetILNS1_3genE3ELNS1_11target_archE908ELNS1_3gpuE7ELNS1_3repE0EEENS1_30default_config_static_selectorELNS0_4arch9wavefront6targetE0EEEvT1_.has_indirect_call, 0
	.section	.AMDGPU.csdata,"",@progbits
; Kernel info:
; codeLenInByte = 0
; TotalNumSgprs: 0
; NumVgprs: 0
; ScratchSize: 0
; MemoryBound: 0
; FloatMode: 240
; IeeeMode: 1
; LDSByteSize: 0 bytes/workgroup (compile time only)
; SGPRBlocks: 0
; VGPRBlocks: 0
; NumSGPRsForWavesPerEU: 1
; NumVGPRsForWavesPerEU: 1
; Occupancy: 16
; WaveLimiterHint : 0
; COMPUTE_PGM_RSRC2:SCRATCH_EN: 0
; COMPUTE_PGM_RSRC2:USER_SGPR: 2
; COMPUTE_PGM_RSRC2:TRAP_HANDLER: 0
; COMPUTE_PGM_RSRC2:TGID_X_EN: 1
; COMPUTE_PGM_RSRC2:TGID_Y_EN: 0
; COMPUTE_PGM_RSRC2:TGID_Z_EN: 0
; COMPUTE_PGM_RSRC2:TIDIG_COMP_CNT: 0
	.section	.text._ZN7rocprim17ROCPRIM_400000_NS6detail17trampoline_kernelINS0_14default_configENS1_25partition_config_selectorILNS1_17partition_subalgoE5ElNS0_10empty_typeEbEEZZNS1_14partition_implILS5_5ELb0ES3_mN6hipcub16HIPCUB_304000_NS21CountingInputIteratorIllEEPS6_NSA_22TransformInputIteratorIbN2at6native12_GLOBAL__N_19NonZeroOpIN3c108BFloat16EEEPKSK_lEENS0_5tupleIJPlS6_EEENSP_IJSD_SD_EEES6_PiJS6_EEE10hipError_tPvRmT3_T4_T5_T6_T7_T9_mT8_P12ihipStream_tbDpT10_ENKUlT_T0_E_clISt17integral_constantIbLb1EES1D_EEDaS18_S19_EUlS18_E_NS1_11comp_targetILNS1_3genE2ELNS1_11target_archE906ELNS1_3gpuE6ELNS1_3repE0EEENS1_30default_config_static_selectorELNS0_4arch9wavefront6targetE0EEEvT1_,"axG",@progbits,_ZN7rocprim17ROCPRIM_400000_NS6detail17trampoline_kernelINS0_14default_configENS1_25partition_config_selectorILNS1_17partition_subalgoE5ElNS0_10empty_typeEbEEZZNS1_14partition_implILS5_5ELb0ES3_mN6hipcub16HIPCUB_304000_NS21CountingInputIteratorIllEEPS6_NSA_22TransformInputIteratorIbN2at6native12_GLOBAL__N_19NonZeroOpIN3c108BFloat16EEEPKSK_lEENS0_5tupleIJPlS6_EEENSP_IJSD_SD_EEES6_PiJS6_EEE10hipError_tPvRmT3_T4_T5_T6_T7_T9_mT8_P12ihipStream_tbDpT10_ENKUlT_T0_E_clISt17integral_constantIbLb1EES1D_EEDaS18_S19_EUlS18_E_NS1_11comp_targetILNS1_3genE2ELNS1_11target_archE906ELNS1_3gpuE6ELNS1_3repE0EEENS1_30default_config_static_selectorELNS0_4arch9wavefront6targetE0EEEvT1_,comdat
	.globl	_ZN7rocprim17ROCPRIM_400000_NS6detail17trampoline_kernelINS0_14default_configENS1_25partition_config_selectorILNS1_17partition_subalgoE5ElNS0_10empty_typeEbEEZZNS1_14partition_implILS5_5ELb0ES3_mN6hipcub16HIPCUB_304000_NS21CountingInputIteratorIllEEPS6_NSA_22TransformInputIteratorIbN2at6native12_GLOBAL__N_19NonZeroOpIN3c108BFloat16EEEPKSK_lEENS0_5tupleIJPlS6_EEENSP_IJSD_SD_EEES6_PiJS6_EEE10hipError_tPvRmT3_T4_T5_T6_T7_T9_mT8_P12ihipStream_tbDpT10_ENKUlT_T0_E_clISt17integral_constantIbLb1EES1D_EEDaS18_S19_EUlS18_E_NS1_11comp_targetILNS1_3genE2ELNS1_11target_archE906ELNS1_3gpuE6ELNS1_3repE0EEENS1_30default_config_static_selectorELNS0_4arch9wavefront6targetE0EEEvT1_ ; -- Begin function _ZN7rocprim17ROCPRIM_400000_NS6detail17trampoline_kernelINS0_14default_configENS1_25partition_config_selectorILNS1_17partition_subalgoE5ElNS0_10empty_typeEbEEZZNS1_14partition_implILS5_5ELb0ES3_mN6hipcub16HIPCUB_304000_NS21CountingInputIteratorIllEEPS6_NSA_22TransformInputIteratorIbN2at6native12_GLOBAL__N_19NonZeroOpIN3c108BFloat16EEEPKSK_lEENS0_5tupleIJPlS6_EEENSP_IJSD_SD_EEES6_PiJS6_EEE10hipError_tPvRmT3_T4_T5_T6_T7_T9_mT8_P12ihipStream_tbDpT10_ENKUlT_T0_E_clISt17integral_constantIbLb1EES1D_EEDaS18_S19_EUlS18_E_NS1_11comp_targetILNS1_3genE2ELNS1_11target_archE906ELNS1_3gpuE6ELNS1_3repE0EEENS1_30default_config_static_selectorELNS0_4arch9wavefront6targetE0EEEvT1_
	.p2align	8
	.type	_ZN7rocprim17ROCPRIM_400000_NS6detail17trampoline_kernelINS0_14default_configENS1_25partition_config_selectorILNS1_17partition_subalgoE5ElNS0_10empty_typeEbEEZZNS1_14partition_implILS5_5ELb0ES3_mN6hipcub16HIPCUB_304000_NS21CountingInputIteratorIllEEPS6_NSA_22TransformInputIteratorIbN2at6native12_GLOBAL__N_19NonZeroOpIN3c108BFloat16EEEPKSK_lEENS0_5tupleIJPlS6_EEENSP_IJSD_SD_EEES6_PiJS6_EEE10hipError_tPvRmT3_T4_T5_T6_T7_T9_mT8_P12ihipStream_tbDpT10_ENKUlT_T0_E_clISt17integral_constantIbLb1EES1D_EEDaS18_S19_EUlS18_E_NS1_11comp_targetILNS1_3genE2ELNS1_11target_archE906ELNS1_3gpuE6ELNS1_3repE0EEENS1_30default_config_static_selectorELNS0_4arch9wavefront6targetE0EEEvT1_,@function
_ZN7rocprim17ROCPRIM_400000_NS6detail17trampoline_kernelINS0_14default_configENS1_25partition_config_selectorILNS1_17partition_subalgoE5ElNS0_10empty_typeEbEEZZNS1_14partition_implILS5_5ELb0ES3_mN6hipcub16HIPCUB_304000_NS21CountingInputIteratorIllEEPS6_NSA_22TransformInputIteratorIbN2at6native12_GLOBAL__N_19NonZeroOpIN3c108BFloat16EEEPKSK_lEENS0_5tupleIJPlS6_EEENSP_IJSD_SD_EEES6_PiJS6_EEE10hipError_tPvRmT3_T4_T5_T6_T7_T9_mT8_P12ihipStream_tbDpT10_ENKUlT_T0_E_clISt17integral_constantIbLb1EES1D_EEDaS18_S19_EUlS18_E_NS1_11comp_targetILNS1_3genE2ELNS1_11target_archE906ELNS1_3gpuE6ELNS1_3repE0EEENS1_30default_config_static_selectorELNS0_4arch9wavefront6targetE0EEEvT1_: ; @_ZN7rocprim17ROCPRIM_400000_NS6detail17trampoline_kernelINS0_14default_configENS1_25partition_config_selectorILNS1_17partition_subalgoE5ElNS0_10empty_typeEbEEZZNS1_14partition_implILS5_5ELb0ES3_mN6hipcub16HIPCUB_304000_NS21CountingInputIteratorIllEEPS6_NSA_22TransformInputIteratorIbN2at6native12_GLOBAL__N_19NonZeroOpIN3c108BFloat16EEEPKSK_lEENS0_5tupleIJPlS6_EEENSP_IJSD_SD_EEES6_PiJS6_EEE10hipError_tPvRmT3_T4_T5_T6_T7_T9_mT8_P12ihipStream_tbDpT10_ENKUlT_T0_E_clISt17integral_constantIbLb1EES1D_EEDaS18_S19_EUlS18_E_NS1_11comp_targetILNS1_3genE2ELNS1_11target_archE906ELNS1_3gpuE6ELNS1_3repE0EEENS1_30default_config_static_selectorELNS0_4arch9wavefront6targetE0EEEvT1_
; %bb.0:
	.section	.rodata,"a",@progbits
	.p2align	6, 0x0
	.amdhsa_kernel _ZN7rocprim17ROCPRIM_400000_NS6detail17trampoline_kernelINS0_14default_configENS1_25partition_config_selectorILNS1_17partition_subalgoE5ElNS0_10empty_typeEbEEZZNS1_14partition_implILS5_5ELb0ES3_mN6hipcub16HIPCUB_304000_NS21CountingInputIteratorIllEEPS6_NSA_22TransformInputIteratorIbN2at6native12_GLOBAL__N_19NonZeroOpIN3c108BFloat16EEEPKSK_lEENS0_5tupleIJPlS6_EEENSP_IJSD_SD_EEES6_PiJS6_EEE10hipError_tPvRmT3_T4_T5_T6_T7_T9_mT8_P12ihipStream_tbDpT10_ENKUlT_T0_E_clISt17integral_constantIbLb1EES1D_EEDaS18_S19_EUlS18_E_NS1_11comp_targetILNS1_3genE2ELNS1_11target_archE906ELNS1_3gpuE6ELNS1_3repE0EEENS1_30default_config_static_selectorELNS0_4arch9wavefront6targetE0EEEvT1_
		.amdhsa_group_segment_fixed_size 0
		.amdhsa_private_segment_fixed_size 0
		.amdhsa_kernarg_size 136
		.amdhsa_user_sgpr_count 2
		.amdhsa_user_sgpr_dispatch_ptr 0
		.amdhsa_user_sgpr_queue_ptr 0
		.amdhsa_user_sgpr_kernarg_segment_ptr 1
		.amdhsa_user_sgpr_dispatch_id 0
		.amdhsa_user_sgpr_private_segment_size 0
		.amdhsa_wavefront_size32 1
		.amdhsa_uses_dynamic_stack 0
		.amdhsa_enable_private_segment 0
		.amdhsa_system_sgpr_workgroup_id_x 1
		.amdhsa_system_sgpr_workgroup_id_y 0
		.amdhsa_system_sgpr_workgroup_id_z 0
		.amdhsa_system_sgpr_workgroup_info 0
		.amdhsa_system_vgpr_workitem_id 0
		.amdhsa_next_free_vgpr 1
		.amdhsa_next_free_sgpr 1
		.amdhsa_reserve_vcc 0
		.amdhsa_float_round_mode_32 0
		.amdhsa_float_round_mode_16_64 0
		.amdhsa_float_denorm_mode_32 3
		.amdhsa_float_denorm_mode_16_64 3
		.amdhsa_fp16_overflow 0
		.amdhsa_workgroup_processor_mode 1
		.amdhsa_memory_ordered 1
		.amdhsa_forward_progress 1
		.amdhsa_inst_pref_size 0
		.amdhsa_round_robin_scheduling 0
		.amdhsa_exception_fp_ieee_invalid_op 0
		.amdhsa_exception_fp_denorm_src 0
		.amdhsa_exception_fp_ieee_div_zero 0
		.amdhsa_exception_fp_ieee_overflow 0
		.amdhsa_exception_fp_ieee_underflow 0
		.amdhsa_exception_fp_ieee_inexact 0
		.amdhsa_exception_int_div_zero 0
	.end_amdhsa_kernel
	.section	.text._ZN7rocprim17ROCPRIM_400000_NS6detail17trampoline_kernelINS0_14default_configENS1_25partition_config_selectorILNS1_17partition_subalgoE5ElNS0_10empty_typeEbEEZZNS1_14partition_implILS5_5ELb0ES3_mN6hipcub16HIPCUB_304000_NS21CountingInputIteratorIllEEPS6_NSA_22TransformInputIteratorIbN2at6native12_GLOBAL__N_19NonZeroOpIN3c108BFloat16EEEPKSK_lEENS0_5tupleIJPlS6_EEENSP_IJSD_SD_EEES6_PiJS6_EEE10hipError_tPvRmT3_T4_T5_T6_T7_T9_mT8_P12ihipStream_tbDpT10_ENKUlT_T0_E_clISt17integral_constantIbLb1EES1D_EEDaS18_S19_EUlS18_E_NS1_11comp_targetILNS1_3genE2ELNS1_11target_archE906ELNS1_3gpuE6ELNS1_3repE0EEENS1_30default_config_static_selectorELNS0_4arch9wavefront6targetE0EEEvT1_,"axG",@progbits,_ZN7rocprim17ROCPRIM_400000_NS6detail17trampoline_kernelINS0_14default_configENS1_25partition_config_selectorILNS1_17partition_subalgoE5ElNS0_10empty_typeEbEEZZNS1_14partition_implILS5_5ELb0ES3_mN6hipcub16HIPCUB_304000_NS21CountingInputIteratorIllEEPS6_NSA_22TransformInputIteratorIbN2at6native12_GLOBAL__N_19NonZeroOpIN3c108BFloat16EEEPKSK_lEENS0_5tupleIJPlS6_EEENSP_IJSD_SD_EEES6_PiJS6_EEE10hipError_tPvRmT3_T4_T5_T6_T7_T9_mT8_P12ihipStream_tbDpT10_ENKUlT_T0_E_clISt17integral_constantIbLb1EES1D_EEDaS18_S19_EUlS18_E_NS1_11comp_targetILNS1_3genE2ELNS1_11target_archE906ELNS1_3gpuE6ELNS1_3repE0EEENS1_30default_config_static_selectorELNS0_4arch9wavefront6targetE0EEEvT1_,comdat
.Lfunc_end810:
	.size	_ZN7rocprim17ROCPRIM_400000_NS6detail17trampoline_kernelINS0_14default_configENS1_25partition_config_selectorILNS1_17partition_subalgoE5ElNS0_10empty_typeEbEEZZNS1_14partition_implILS5_5ELb0ES3_mN6hipcub16HIPCUB_304000_NS21CountingInputIteratorIllEEPS6_NSA_22TransformInputIteratorIbN2at6native12_GLOBAL__N_19NonZeroOpIN3c108BFloat16EEEPKSK_lEENS0_5tupleIJPlS6_EEENSP_IJSD_SD_EEES6_PiJS6_EEE10hipError_tPvRmT3_T4_T5_T6_T7_T9_mT8_P12ihipStream_tbDpT10_ENKUlT_T0_E_clISt17integral_constantIbLb1EES1D_EEDaS18_S19_EUlS18_E_NS1_11comp_targetILNS1_3genE2ELNS1_11target_archE906ELNS1_3gpuE6ELNS1_3repE0EEENS1_30default_config_static_selectorELNS0_4arch9wavefront6targetE0EEEvT1_, .Lfunc_end810-_ZN7rocprim17ROCPRIM_400000_NS6detail17trampoline_kernelINS0_14default_configENS1_25partition_config_selectorILNS1_17partition_subalgoE5ElNS0_10empty_typeEbEEZZNS1_14partition_implILS5_5ELb0ES3_mN6hipcub16HIPCUB_304000_NS21CountingInputIteratorIllEEPS6_NSA_22TransformInputIteratorIbN2at6native12_GLOBAL__N_19NonZeroOpIN3c108BFloat16EEEPKSK_lEENS0_5tupleIJPlS6_EEENSP_IJSD_SD_EEES6_PiJS6_EEE10hipError_tPvRmT3_T4_T5_T6_T7_T9_mT8_P12ihipStream_tbDpT10_ENKUlT_T0_E_clISt17integral_constantIbLb1EES1D_EEDaS18_S19_EUlS18_E_NS1_11comp_targetILNS1_3genE2ELNS1_11target_archE906ELNS1_3gpuE6ELNS1_3repE0EEENS1_30default_config_static_selectorELNS0_4arch9wavefront6targetE0EEEvT1_
                                        ; -- End function
	.set _ZN7rocprim17ROCPRIM_400000_NS6detail17trampoline_kernelINS0_14default_configENS1_25partition_config_selectorILNS1_17partition_subalgoE5ElNS0_10empty_typeEbEEZZNS1_14partition_implILS5_5ELb0ES3_mN6hipcub16HIPCUB_304000_NS21CountingInputIteratorIllEEPS6_NSA_22TransformInputIteratorIbN2at6native12_GLOBAL__N_19NonZeroOpIN3c108BFloat16EEEPKSK_lEENS0_5tupleIJPlS6_EEENSP_IJSD_SD_EEES6_PiJS6_EEE10hipError_tPvRmT3_T4_T5_T6_T7_T9_mT8_P12ihipStream_tbDpT10_ENKUlT_T0_E_clISt17integral_constantIbLb1EES1D_EEDaS18_S19_EUlS18_E_NS1_11comp_targetILNS1_3genE2ELNS1_11target_archE906ELNS1_3gpuE6ELNS1_3repE0EEENS1_30default_config_static_selectorELNS0_4arch9wavefront6targetE0EEEvT1_.num_vgpr, 0
	.set _ZN7rocprim17ROCPRIM_400000_NS6detail17trampoline_kernelINS0_14default_configENS1_25partition_config_selectorILNS1_17partition_subalgoE5ElNS0_10empty_typeEbEEZZNS1_14partition_implILS5_5ELb0ES3_mN6hipcub16HIPCUB_304000_NS21CountingInputIteratorIllEEPS6_NSA_22TransformInputIteratorIbN2at6native12_GLOBAL__N_19NonZeroOpIN3c108BFloat16EEEPKSK_lEENS0_5tupleIJPlS6_EEENSP_IJSD_SD_EEES6_PiJS6_EEE10hipError_tPvRmT3_T4_T5_T6_T7_T9_mT8_P12ihipStream_tbDpT10_ENKUlT_T0_E_clISt17integral_constantIbLb1EES1D_EEDaS18_S19_EUlS18_E_NS1_11comp_targetILNS1_3genE2ELNS1_11target_archE906ELNS1_3gpuE6ELNS1_3repE0EEENS1_30default_config_static_selectorELNS0_4arch9wavefront6targetE0EEEvT1_.num_agpr, 0
	.set _ZN7rocprim17ROCPRIM_400000_NS6detail17trampoline_kernelINS0_14default_configENS1_25partition_config_selectorILNS1_17partition_subalgoE5ElNS0_10empty_typeEbEEZZNS1_14partition_implILS5_5ELb0ES3_mN6hipcub16HIPCUB_304000_NS21CountingInputIteratorIllEEPS6_NSA_22TransformInputIteratorIbN2at6native12_GLOBAL__N_19NonZeroOpIN3c108BFloat16EEEPKSK_lEENS0_5tupleIJPlS6_EEENSP_IJSD_SD_EEES6_PiJS6_EEE10hipError_tPvRmT3_T4_T5_T6_T7_T9_mT8_P12ihipStream_tbDpT10_ENKUlT_T0_E_clISt17integral_constantIbLb1EES1D_EEDaS18_S19_EUlS18_E_NS1_11comp_targetILNS1_3genE2ELNS1_11target_archE906ELNS1_3gpuE6ELNS1_3repE0EEENS1_30default_config_static_selectorELNS0_4arch9wavefront6targetE0EEEvT1_.numbered_sgpr, 0
	.set _ZN7rocprim17ROCPRIM_400000_NS6detail17trampoline_kernelINS0_14default_configENS1_25partition_config_selectorILNS1_17partition_subalgoE5ElNS0_10empty_typeEbEEZZNS1_14partition_implILS5_5ELb0ES3_mN6hipcub16HIPCUB_304000_NS21CountingInputIteratorIllEEPS6_NSA_22TransformInputIteratorIbN2at6native12_GLOBAL__N_19NonZeroOpIN3c108BFloat16EEEPKSK_lEENS0_5tupleIJPlS6_EEENSP_IJSD_SD_EEES6_PiJS6_EEE10hipError_tPvRmT3_T4_T5_T6_T7_T9_mT8_P12ihipStream_tbDpT10_ENKUlT_T0_E_clISt17integral_constantIbLb1EES1D_EEDaS18_S19_EUlS18_E_NS1_11comp_targetILNS1_3genE2ELNS1_11target_archE906ELNS1_3gpuE6ELNS1_3repE0EEENS1_30default_config_static_selectorELNS0_4arch9wavefront6targetE0EEEvT1_.num_named_barrier, 0
	.set _ZN7rocprim17ROCPRIM_400000_NS6detail17trampoline_kernelINS0_14default_configENS1_25partition_config_selectorILNS1_17partition_subalgoE5ElNS0_10empty_typeEbEEZZNS1_14partition_implILS5_5ELb0ES3_mN6hipcub16HIPCUB_304000_NS21CountingInputIteratorIllEEPS6_NSA_22TransformInputIteratorIbN2at6native12_GLOBAL__N_19NonZeroOpIN3c108BFloat16EEEPKSK_lEENS0_5tupleIJPlS6_EEENSP_IJSD_SD_EEES6_PiJS6_EEE10hipError_tPvRmT3_T4_T5_T6_T7_T9_mT8_P12ihipStream_tbDpT10_ENKUlT_T0_E_clISt17integral_constantIbLb1EES1D_EEDaS18_S19_EUlS18_E_NS1_11comp_targetILNS1_3genE2ELNS1_11target_archE906ELNS1_3gpuE6ELNS1_3repE0EEENS1_30default_config_static_selectorELNS0_4arch9wavefront6targetE0EEEvT1_.private_seg_size, 0
	.set _ZN7rocprim17ROCPRIM_400000_NS6detail17trampoline_kernelINS0_14default_configENS1_25partition_config_selectorILNS1_17partition_subalgoE5ElNS0_10empty_typeEbEEZZNS1_14partition_implILS5_5ELb0ES3_mN6hipcub16HIPCUB_304000_NS21CountingInputIteratorIllEEPS6_NSA_22TransformInputIteratorIbN2at6native12_GLOBAL__N_19NonZeroOpIN3c108BFloat16EEEPKSK_lEENS0_5tupleIJPlS6_EEENSP_IJSD_SD_EEES6_PiJS6_EEE10hipError_tPvRmT3_T4_T5_T6_T7_T9_mT8_P12ihipStream_tbDpT10_ENKUlT_T0_E_clISt17integral_constantIbLb1EES1D_EEDaS18_S19_EUlS18_E_NS1_11comp_targetILNS1_3genE2ELNS1_11target_archE906ELNS1_3gpuE6ELNS1_3repE0EEENS1_30default_config_static_selectorELNS0_4arch9wavefront6targetE0EEEvT1_.uses_vcc, 0
	.set _ZN7rocprim17ROCPRIM_400000_NS6detail17trampoline_kernelINS0_14default_configENS1_25partition_config_selectorILNS1_17partition_subalgoE5ElNS0_10empty_typeEbEEZZNS1_14partition_implILS5_5ELb0ES3_mN6hipcub16HIPCUB_304000_NS21CountingInputIteratorIllEEPS6_NSA_22TransformInputIteratorIbN2at6native12_GLOBAL__N_19NonZeroOpIN3c108BFloat16EEEPKSK_lEENS0_5tupleIJPlS6_EEENSP_IJSD_SD_EEES6_PiJS6_EEE10hipError_tPvRmT3_T4_T5_T6_T7_T9_mT8_P12ihipStream_tbDpT10_ENKUlT_T0_E_clISt17integral_constantIbLb1EES1D_EEDaS18_S19_EUlS18_E_NS1_11comp_targetILNS1_3genE2ELNS1_11target_archE906ELNS1_3gpuE6ELNS1_3repE0EEENS1_30default_config_static_selectorELNS0_4arch9wavefront6targetE0EEEvT1_.uses_flat_scratch, 0
	.set _ZN7rocprim17ROCPRIM_400000_NS6detail17trampoline_kernelINS0_14default_configENS1_25partition_config_selectorILNS1_17partition_subalgoE5ElNS0_10empty_typeEbEEZZNS1_14partition_implILS5_5ELb0ES3_mN6hipcub16HIPCUB_304000_NS21CountingInputIteratorIllEEPS6_NSA_22TransformInputIteratorIbN2at6native12_GLOBAL__N_19NonZeroOpIN3c108BFloat16EEEPKSK_lEENS0_5tupleIJPlS6_EEENSP_IJSD_SD_EEES6_PiJS6_EEE10hipError_tPvRmT3_T4_T5_T6_T7_T9_mT8_P12ihipStream_tbDpT10_ENKUlT_T0_E_clISt17integral_constantIbLb1EES1D_EEDaS18_S19_EUlS18_E_NS1_11comp_targetILNS1_3genE2ELNS1_11target_archE906ELNS1_3gpuE6ELNS1_3repE0EEENS1_30default_config_static_selectorELNS0_4arch9wavefront6targetE0EEEvT1_.has_dyn_sized_stack, 0
	.set _ZN7rocprim17ROCPRIM_400000_NS6detail17trampoline_kernelINS0_14default_configENS1_25partition_config_selectorILNS1_17partition_subalgoE5ElNS0_10empty_typeEbEEZZNS1_14partition_implILS5_5ELb0ES3_mN6hipcub16HIPCUB_304000_NS21CountingInputIteratorIllEEPS6_NSA_22TransformInputIteratorIbN2at6native12_GLOBAL__N_19NonZeroOpIN3c108BFloat16EEEPKSK_lEENS0_5tupleIJPlS6_EEENSP_IJSD_SD_EEES6_PiJS6_EEE10hipError_tPvRmT3_T4_T5_T6_T7_T9_mT8_P12ihipStream_tbDpT10_ENKUlT_T0_E_clISt17integral_constantIbLb1EES1D_EEDaS18_S19_EUlS18_E_NS1_11comp_targetILNS1_3genE2ELNS1_11target_archE906ELNS1_3gpuE6ELNS1_3repE0EEENS1_30default_config_static_selectorELNS0_4arch9wavefront6targetE0EEEvT1_.has_recursion, 0
	.set _ZN7rocprim17ROCPRIM_400000_NS6detail17trampoline_kernelINS0_14default_configENS1_25partition_config_selectorILNS1_17partition_subalgoE5ElNS0_10empty_typeEbEEZZNS1_14partition_implILS5_5ELb0ES3_mN6hipcub16HIPCUB_304000_NS21CountingInputIteratorIllEEPS6_NSA_22TransformInputIteratorIbN2at6native12_GLOBAL__N_19NonZeroOpIN3c108BFloat16EEEPKSK_lEENS0_5tupleIJPlS6_EEENSP_IJSD_SD_EEES6_PiJS6_EEE10hipError_tPvRmT3_T4_T5_T6_T7_T9_mT8_P12ihipStream_tbDpT10_ENKUlT_T0_E_clISt17integral_constantIbLb1EES1D_EEDaS18_S19_EUlS18_E_NS1_11comp_targetILNS1_3genE2ELNS1_11target_archE906ELNS1_3gpuE6ELNS1_3repE0EEENS1_30default_config_static_selectorELNS0_4arch9wavefront6targetE0EEEvT1_.has_indirect_call, 0
	.section	.AMDGPU.csdata,"",@progbits
; Kernel info:
; codeLenInByte = 0
; TotalNumSgprs: 0
; NumVgprs: 0
; ScratchSize: 0
; MemoryBound: 0
; FloatMode: 240
; IeeeMode: 1
; LDSByteSize: 0 bytes/workgroup (compile time only)
; SGPRBlocks: 0
; VGPRBlocks: 0
; NumSGPRsForWavesPerEU: 1
; NumVGPRsForWavesPerEU: 1
; Occupancy: 16
; WaveLimiterHint : 0
; COMPUTE_PGM_RSRC2:SCRATCH_EN: 0
; COMPUTE_PGM_RSRC2:USER_SGPR: 2
; COMPUTE_PGM_RSRC2:TRAP_HANDLER: 0
; COMPUTE_PGM_RSRC2:TGID_X_EN: 1
; COMPUTE_PGM_RSRC2:TGID_Y_EN: 0
; COMPUTE_PGM_RSRC2:TGID_Z_EN: 0
; COMPUTE_PGM_RSRC2:TIDIG_COMP_CNT: 0
	.section	.text._ZN7rocprim17ROCPRIM_400000_NS6detail17trampoline_kernelINS0_14default_configENS1_25partition_config_selectorILNS1_17partition_subalgoE5ElNS0_10empty_typeEbEEZZNS1_14partition_implILS5_5ELb0ES3_mN6hipcub16HIPCUB_304000_NS21CountingInputIteratorIllEEPS6_NSA_22TransformInputIteratorIbN2at6native12_GLOBAL__N_19NonZeroOpIN3c108BFloat16EEEPKSK_lEENS0_5tupleIJPlS6_EEENSP_IJSD_SD_EEES6_PiJS6_EEE10hipError_tPvRmT3_T4_T5_T6_T7_T9_mT8_P12ihipStream_tbDpT10_ENKUlT_T0_E_clISt17integral_constantIbLb1EES1D_EEDaS18_S19_EUlS18_E_NS1_11comp_targetILNS1_3genE10ELNS1_11target_archE1200ELNS1_3gpuE4ELNS1_3repE0EEENS1_30default_config_static_selectorELNS0_4arch9wavefront6targetE0EEEvT1_,"axG",@progbits,_ZN7rocprim17ROCPRIM_400000_NS6detail17trampoline_kernelINS0_14default_configENS1_25partition_config_selectorILNS1_17partition_subalgoE5ElNS0_10empty_typeEbEEZZNS1_14partition_implILS5_5ELb0ES3_mN6hipcub16HIPCUB_304000_NS21CountingInputIteratorIllEEPS6_NSA_22TransformInputIteratorIbN2at6native12_GLOBAL__N_19NonZeroOpIN3c108BFloat16EEEPKSK_lEENS0_5tupleIJPlS6_EEENSP_IJSD_SD_EEES6_PiJS6_EEE10hipError_tPvRmT3_T4_T5_T6_T7_T9_mT8_P12ihipStream_tbDpT10_ENKUlT_T0_E_clISt17integral_constantIbLb1EES1D_EEDaS18_S19_EUlS18_E_NS1_11comp_targetILNS1_3genE10ELNS1_11target_archE1200ELNS1_3gpuE4ELNS1_3repE0EEENS1_30default_config_static_selectorELNS0_4arch9wavefront6targetE0EEEvT1_,comdat
	.globl	_ZN7rocprim17ROCPRIM_400000_NS6detail17trampoline_kernelINS0_14default_configENS1_25partition_config_selectorILNS1_17partition_subalgoE5ElNS0_10empty_typeEbEEZZNS1_14partition_implILS5_5ELb0ES3_mN6hipcub16HIPCUB_304000_NS21CountingInputIteratorIllEEPS6_NSA_22TransformInputIteratorIbN2at6native12_GLOBAL__N_19NonZeroOpIN3c108BFloat16EEEPKSK_lEENS0_5tupleIJPlS6_EEENSP_IJSD_SD_EEES6_PiJS6_EEE10hipError_tPvRmT3_T4_T5_T6_T7_T9_mT8_P12ihipStream_tbDpT10_ENKUlT_T0_E_clISt17integral_constantIbLb1EES1D_EEDaS18_S19_EUlS18_E_NS1_11comp_targetILNS1_3genE10ELNS1_11target_archE1200ELNS1_3gpuE4ELNS1_3repE0EEENS1_30default_config_static_selectorELNS0_4arch9wavefront6targetE0EEEvT1_ ; -- Begin function _ZN7rocprim17ROCPRIM_400000_NS6detail17trampoline_kernelINS0_14default_configENS1_25partition_config_selectorILNS1_17partition_subalgoE5ElNS0_10empty_typeEbEEZZNS1_14partition_implILS5_5ELb0ES3_mN6hipcub16HIPCUB_304000_NS21CountingInputIteratorIllEEPS6_NSA_22TransformInputIteratorIbN2at6native12_GLOBAL__N_19NonZeroOpIN3c108BFloat16EEEPKSK_lEENS0_5tupleIJPlS6_EEENSP_IJSD_SD_EEES6_PiJS6_EEE10hipError_tPvRmT3_T4_T5_T6_T7_T9_mT8_P12ihipStream_tbDpT10_ENKUlT_T0_E_clISt17integral_constantIbLb1EES1D_EEDaS18_S19_EUlS18_E_NS1_11comp_targetILNS1_3genE10ELNS1_11target_archE1200ELNS1_3gpuE4ELNS1_3repE0EEENS1_30default_config_static_selectorELNS0_4arch9wavefront6targetE0EEEvT1_
	.p2align	8
	.type	_ZN7rocprim17ROCPRIM_400000_NS6detail17trampoline_kernelINS0_14default_configENS1_25partition_config_selectorILNS1_17partition_subalgoE5ElNS0_10empty_typeEbEEZZNS1_14partition_implILS5_5ELb0ES3_mN6hipcub16HIPCUB_304000_NS21CountingInputIteratorIllEEPS6_NSA_22TransformInputIteratorIbN2at6native12_GLOBAL__N_19NonZeroOpIN3c108BFloat16EEEPKSK_lEENS0_5tupleIJPlS6_EEENSP_IJSD_SD_EEES6_PiJS6_EEE10hipError_tPvRmT3_T4_T5_T6_T7_T9_mT8_P12ihipStream_tbDpT10_ENKUlT_T0_E_clISt17integral_constantIbLb1EES1D_EEDaS18_S19_EUlS18_E_NS1_11comp_targetILNS1_3genE10ELNS1_11target_archE1200ELNS1_3gpuE4ELNS1_3repE0EEENS1_30default_config_static_selectorELNS0_4arch9wavefront6targetE0EEEvT1_,@function
_ZN7rocprim17ROCPRIM_400000_NS6detail17trampoline_kernelINS0_14default_configENS1_25partition_config_selectorILNS1_17partition_subalgoE5ElNS0_10empty_typeEbEEZZNS1_14partition_implILS5_5ELb0ES3_mN6hipcub16HIPCUB_304000_NS21CountingInputIteratorIllEEPS6_NSA_22TransformInputIteratorIbN2at6native12_GLOBAL__N_19NonZeroOpIN3c108BFloat16EEEPKSK_lEENS0_5tupleIJPlS6_EEENSP_IJSD_SD_EEES6_PiJS6_EEE10hipError_tPvRmT3_T4_T5_T6_T7_T9_mT8_P12ihipStream_tbDpT10_ENKUlT_T0_E_clISt17integral_constantIbLb1EES1D_EEDaS18_S19_EUlS18_E_NS1_11comp_targetILNS1_3genE10ELNS1_11target_archE1200ELNS1_3gpuE4ELNS1_3repE0EEENS1_30default_config_static_selectorELNS0_4arch9wavefront6targetE0EEEvT1_: ; @_ZN7rocprim17ROCPRIM_400000_NS6detail17trampoline_kernelINS0_14default_configENS1_25partition_config_selectorILNS1_17partition_subalgoE5ElNS0_10empty_typeEbEEZZNS1_14partition_implILS5_5ELb0ES3_mN6hipcub16HIPCUB_304000_NS21CountingInputIteratorIllEEPS6_NSA_22TransformInputIteratorIbN2at6native12_GLOBAL__N_19NonZeroOpIN3c108BFloat16EEEPKSK_lEENS0_5tupleIJPlS6_EEENSP_IJSD_SD_EEES6_PiJS6_EEE10hipError_tPvRmT3_T4_T5_T6_T7_T9_mT8_P12ihipStream_tbDpT10_ENKUlT_T0_E_clISt17integral_constantIbLb1EES1D_EEDaS18_S19_EUlS18_E_NS1_11comp_targetILNS1_3genE10ELNS1_11target_archE1200ELNS1_3gpuE4ELNS1_3repE0EEENS1_30default_config_static_selectorELNS0_4arch9wavefront6targetE0EEEvT1_
; %bb.0:
	s_endpgm
	.section	.rodata,"a",@progbits
	.p2align	6, 0x0
	.amdhsa_kernel _ZN7rocprim17ROCPRIM_400000_NS6detail17trampoline_kernelINS0_14default_configENS1_25partition_config_selectorILNS1_17partition_subalgoE5ElNS0_10empty_typeEbEEZZNS1_14partition_implILS5_5ELb0ES3_mN6hipcub16HIPCUB_304000_NS21CountingInputIteratorIllEEPS6_NSA_22TransformInputIteratorIbN2at6native12_GLOBAL__N_19NonZeroOpIN3c108BFloat16EEEPKSK_lEENS0_5tupleIJPlS6_EEENSP_IJSD_SD_EEES6_PiJS6_EEE10hipError_tPvRmT3_T4_T5_T6_T7_T9_mT8_P12ihipStream_tbDpT10_ENKUlT_T0_E_clISt17integral_constantIbLb1EES1D_EEDaS18_S19_EUlS18_E_NS1_11comp_targetILNS1_3genE10ELNS1_11target_archE1200ELNS1_3gpuE4ELNS1_3repE0EEENS1_30default_config_static_selectorELNS0_4arch9wavefront6targetE0EEEvT1_
		.amdhsa_group_segment_fixed_size 0
		.amdhsa_private_segment_fixed_size 0
		.amdhsa_kernarg_size 136
		.amdhsa_user_sgpr_count 2
		.amdhsa_user_sgpr_dispatch_ptr 0
		.amdhsa_user_sgpr_queue_ptr 0
		.amdhsa_user_sgpr_kernarg_segment_ptr 1
		.amdhsa_user_sgpr_dispatch_id 0
		.amdhsa_user_sgpr_private_segment_size 0
		.amdhsa_wavefront_size32 1
		.amdhsa_uses_dynamic_stack 0
		.amdhsa_enable_private_segment 0
		.amdhsa_system_sgpr_workgroup_id_x 1
		.amdhsa_system_sgpr_workgroup_id_y 0
		.amdhsa_system_sgpr_workgroup_id_z 0
		.amdhsa_system_sgpr_workgroup_info 0
		.amdhsa_system_vgpr_workitem_id 0
		.amdhsa_next_free_vgpr 1
		.amdhsa_next_free_sgpr 1
		.amdhsa_reserve_vcc 0
		.amdhsa_float_round_mode_32 0
		.amdhsa_float_round_mode_16_64 0
		.amdhsa_float_denorm_mode_32 3
		.amdhsa_float_denorm_mode_16_64 3
		.amdhsa_fp16_overflow 0
		.amdhsa_workgroup_processor_mode 1
		.amdhsa_memory_ordered 1
		.amdhsa_forward_progress 1
		.amdhsa_inst_pref_size 1
		.amdhsa_round_robin_scheduling 0
		.amdhsa_exception_fp_ieee_invalid_op 0
		.amdhsa_exception_fp_denorm_src 0
		.amdhsa_exception_fp_ieee_div_zero 0
		.amdhsa_exception_fp_ieee_overflow 0
		.amdhsa_exception_fp_ieee_underflow 0
		.amdhsa_exception_fp_ieee_inexact 0
		.amdhsa_exception_int_div_zero 0
	.end_amdhsa_kernel
	.section	.text._ZN7rocprim17ROCPRIM_400000_NS6detail17trampoline_kernelINS0_14default_configENS1_25partition_config_selectorILNS1_17partition_subalgoE5ElNS0_10empty_typeEbEEZZNS1_14partition_implILS5_5ELb0ES3_mN6hipcub16HIPCUB_304000_NS21CountingInputIteratorIllEEPS6_NSA_22TransformInputIteratorIbN2at6native12_GLOBAL__N_19NonZeroOpIN3c108BFloat16EEEPKSK_lEENS0_5tupleIJPlS6_EEENSP_IJSD_SD_EEES6_PiJS6_EEE10hipError_tPvRmT3_T4_T5_T6_T7_T9_mT8_P12ihipStream_tbDpT10_ENKUlT_T0_E_clISt17integral_constantIbLb1EES1D_EEDaS18_S19_EUlS18_E_NS1_11comp_targetILNS1_3genE10ELNS1_11target_archE1200ELNS1_3gpuE4ELNS1_3repE0EEENS1_30default_config_static_selectorELNS0_4arch9wavefront6targetE0EEEvT1_,"axG",@progbits,_ZN7rocprim17ROCPRIM_400000_NS6detail17trampoline_kernelINS0_14default_configENS1_25partition_config_selectorILNS1_17partition_subalgoE5ElNS0_10empty_typeEbEEZZNS1_14partition_implILS5_5ELb0ES3_mN6hipcub16HIPCUB_304000_NS21CountingInputIteratorIllEEPS6_NSA_22TransformInputIteratorIbN2at6native12_GLOBAL__N_19NonZeroOpIN3c108BFloat16EEEPKSK_lEENS0_5tupleIJPlS6_EEENSP_IJSD_SD_EEES6_PiJS6_EEE10hipError_tPvRmT3_T4_T5_T6_T7_T9_mT8_P12ihipStream_tbDpT10_ENKUlT_T0_E_clISt17integral_constantIbLb1EES1D_EEDaS18_S19_EUlS18_E_NS1_11comp_targetILNS1_3genE10ELNS1_11target_archE1200ELNS1_3gpuE4ELNS1_3repE0EEENS1_30default_config_static_selectorELNS0_4arch9wavefront6targetE0EEEvT1_,comdat
.Lfunc_end811:
	.size	_ZN7rocprim17ROCPRIM_400000_NS6detail17trampoline_kernelINS0_14default_configENS1_25partition_config_selectorILNS1_17partition_subalgoE5ElNS0_10empty_typeEbEEZZNS1_14partition_implILS5_5ELb0ES3_mN6hipcub16HIPCUB_304000_NS21CountingInputIteratorIllEEPS6_NSA_22TransformInputIteratorIbN2at6native12_GLOBAL__N_19NonZeroOpIN3c108BFloat16EEEPKSK_lEENS0_5tupleIJPlS6_EEENSP_IJSD_SD_EEES6_PiJS6_EEE10hipError_tPvRmT3_T4_T5_T6_T7_T9_mT8_P12ihipStream_tbDpT10_ENKUlT_T0_E_clISt17integral_constantIbLb1EES1D_EEDaS18_S19_EUlS18_E_NS1_11comp_targetILNS1_3genE10ELNS1_11target_archE1200ELNS1_3gpuE4ELNS1_3repE0EEENS1_30default_config_static_selectorELNS0_4arch9wavefront6targetE0EEEvT1_, .Lfunc_end811-_ZN7rocprim17ROCPRIM_400000_NS6detail17trampoline_kernelINS0_14default_configENS1_25partition_config_selectorILNS1_17partition_subalgoE5ElNS0_10empty_typeEbEEZZNS1_14partition_implILS5_5ELb0ES3_mN6hipcub16HIPCUB_304000_NS21CountingInputIteratorIllEEPS6_NSA_22TransformInputIteratorIbN2at6native12_GLOBAL__N_19NonZeroOpIN3c108BFloat16EEEPKSK_lEENS0_5tupleIJPlS6_EEENSP_IJSD_SD_EEES6_PiJS6_EEE10hipError_tPvRmT3_T4_T5_T6_T7_T9_mT8_P12ihipStream_tbDpT10_ENKUlT_T0_E_clISt17integral_constantIbLb1EES1D_EEDaS18_S19_EUlS18_E_NS1_11comp_targetILNS1_3genE10ELNS1_11target_archE1200ELNS1_3gpuE4ELNS1_3repE0EEENS1_30default_config_static_selectorELNS0_4arch9wavefront6targetE0EEEvT1_
                                        ; -- End function
	.set _ZN7rocprim17ROCPRIM_400000_NS6detail17trampoline_kernelINS0_14default_configENS1_25partition_config_selectorILNS1_17partition_subalgoE5ElNS0_10empty_typeEbEEZZNS1_14partition_implILS5_5ELb0ES3_mN6hipcub16HIPCUB_304000_NS21CountingInputIteratorIllEEPS6_NSA_22TransformInputIteratorIbN2at6native12_GLOBAL__N_19NonZeroOpIN3c108BFloat16EEEPKSK_lEENS0_5tupleIJPlS6_EEENSP_IJSD_SD_EEES6_PiJS6_EEE10hipError_tPvRmT3_T4_T5_T6_T7_T9_mT8_P12ihipStream_tbDpT10_ENKUlT_T0_E_clISt17integral_constantIbLb1EES1D_EEDaS18_S19_EUlS18_E_NS1_11comp_targetILNS1_3genE10ELNS1_11target_archE1200ELNS1_3gpuE4ELNS1_3repE0EEENS1_30default_config_static_selectorELNS0_4arch9wavefront6targetE0EEEvT1_.num_vgpr, 0
	.set _ZN7rocprim17ROCPRIM_400000_NS6detail17trampoline_kernelINS0_14default_configENS1_25partition_config_selectorILNS1_17partition_subalgoE5ElNS0_10empty_typeEbEEZZNS1_14partition_implILS5_5ELb0ES3_mN6hipcub16HIPCUB_304000_NS21CountingInputIteratorIllEEPS6_NSA_22TransformInputIteratorIbN2at6native12_GLOBAL__N_19NonZeroOpIN3c108BFloat16EEEPKSK_lEENS0_5tupleIJPlS6_EEENSP_IJSD_SD_EEES6_PiJS6_EEE10hipError_tPvRmT3_T4_T5_T6_T7_T9_mT8_P12ihipStream_tbDpT10_ENKUlT_T0_E_clISt17integral_constantIbLb1EES1D_EEDaS18_S19_EUlS18_E_NS1_11comp_targetILNS1_3genE10ELNS1_11target_archE1200ELNS1_3gpuE4ELNS1_3repE0EEENS1_30default_config_static_selectorELNS0_4arch9wavefront6targetE0EEEvT1_.num_agpr, 0
	.set _ZN7rocprim17ROCPRIM_400000_NS6detail17trampoline_kernelINS0_14default_configENS1_25partition_config_selectorILNS1_17partition_subalgoE5ElNS0_10empty_typeEbEEZZNS1_14partition_implILS5_5ELb0ES3_mN6hipcub16HIPCUB_304000_NS21CountingInputIteratorIllEEPS6_NSA_22TransformInputIteratorIbN2at6native12_GLOBAL__N_19NonZeroOpIN3c108BFloat16EEEPKSK_lEENS0_5tupleIJPlS6_EEENSP_IJSD_SD_EEES6_PiJS6_EEE10hipError_tPvRmT3_T4_T5_T6_T7_T9_mT8_P12ihipStream_tbDpT10_ENKUlT_T0_E_clISt17integral_constantIbLb1EES1D_EEDaS18_S19_EUlS18_E_NS1_11comp_targetILNS1_3genE10ELNS1_11target_archE1200ELNS1_3gpuE4ELNS1_3repE0EEENS1_30default_config_static_selectorELNS0_4arch9wavefront6targetE0EEEvT1_.numbered_sgpr, 0
	.set _ZN7rocprim17ROCPRIM_400000_NS6detail17trampoline_kernelINS0_14default_configENS1_25partition_config_selectorILNS1_17partition_subalgoE5ElNS0_10empty_typeEbEEZZNS1_14partition_implILS5_5ELb0ES3_mN6hipcub16HIPCUB_304000_NS21CountingInputIteratorIllEEPS6_NSA_22TransformInputIteratorIbN2at6native12_GLOBAL__N_19NonZeroOpIN3c108BFloat16EEEPKSK_lEENS0_5tupleIJPlS6_EEENSP_IJSD_SD_EEES6_PiJS6_EEE10hipError_tPvRmT3_T4_T5_T6_T7_T9_mT8_P12ihipStream_tbDpT10_ENKUlT_T0_E_clISt17integral_constantIbLb1EES1D_EEDaS18_S19_EUlS18_E_NS1_11comp_targetILNS1_3genE10ELNS1_11target_archE1200ELNS1_3gpuE4ELNS1_3repE0EEENS1_30default_config_static_selectorELNS0_4arch9wavefront6targetE0EEEvT1_.num_named_barrier, 0
	.set _ZN7rocprim17ROCPRIM_400000_NS6detail17trampoline_kernelINS0_14default_configENS1_25partition_config_selectorILNS1_17partition_subalgoE5ElNS0_10empty_typeEbEEZZNS1_14partition_implILS5_5ELb0ES3_mN6hipcub16HIPCUB_304000_NS21CountingInputIteratorIllEEPS6_NSA_22TransformInputIteratorIbN2at6native12_GLOBAL__N_19NonZeroOpIN3c108BFloat16EEEPKSK_lEENS0_5tupleIJPlS6_EEENSP_IJSD_SD_EEES6_PiJS6_EEE10hipError_tPvRmT3_T4_T5_T6_T7_T9_mT8_P12ihipStream_tbDpT10_ENKUlT_T0_E_clISt17integral_constantIbLb1EES1D_EEDaS18_S19_EUlS18_E_NS1_11comp_targetILNS1_3genE10ELNS1_11target_archE1200ELNS1_3gpuE4ELNS1_3repE0EEENS1_30default_config_static_selectorELNS0_4arch9wavefront6targetE0EEEvT1_.private_seg_size, 0
	.set _ZN7rocprim17ROCPRIM_400000_NS6detail17trampoline_kernelINS0_14default_configENS1_25partition_config_selectorILNS1_17partition_subalgoE5ElNS0_10empty_typeEbEEZZNS1_14partition_implILS5_5ELb0ES3_mN6hipcub16HIPCUB_304000_NS21CountingInputIteratorIllEEPS6_NSA_22TransformInputIteratorIbN2at6native12_GLOBAL__N_19NonZeroOpIN3c108BFloat16EEEPKSK_lEENS0_5tupleIJPlS6_EEENSP_IJSD_SD_EEES6_PiJS6_EEE10hipError_tPvRmT3_T4_T5_T6_T7_T9_mT8_P12ihipStream_tbDpT10_ENKUlT_T0_E_clISt17integral_constantIbLb1EES1D_EEDaS18_S19_EUlS18_E_NS1_11comp_targetILNS1_3genE10ELNS1_11target_archE1200ELNS1_3gpuE4ELNS1_3repE0EEENS1_30default_config_static_selectorELNS0_4arch9wavefront6targetE0EEEvT1_.uses_vcc, 0
	.set _ZN7rocprim17ROCPRIM_400000_NS6detail17trampoline_kernelINS0_14default_configENS1_25partition_config_selectorILNS1_17partition_subalgoE5ElNS0_10empty_typeEbEEZZNS1_14partition_implILS5_5ELb0ES3_mN6hipcub16HIPCUB_304000_NS21CountingInputIteratorIllEEPS6_NSA_22TransformInputIteratorIbN2at6native12_GLOBAL__N_19NonZeroOpIN3c108BFloat16EEEPKSK_lEENS0_5tupleIJPlS6_EEENSP_IJSD_SD_EEES6_PiJS6_EEE10hipError_tPvRmT3_T4_T5_T6_T7_T9_mT8_P12ihipStream_tbDpT10_ENKUlT_T0_E_clISt17integral_constantIbLb1EES1D_EEDaS18_S19_EUlS18_E_NS1_11comp_targetILNS1_3genE10ELNS1_11target_archE1200ELNS1_3gpuE4ELNS1_3repE0EEENS1_30default_config_static_selectorELNS0_4arch9wavefront6targetE0EEEvT1_.uses_flat_scratch, 0
	.set _ZN7rocprim17ROCPRIM_400000_NS6detail17trampoline_kernelINS0_14default_configENS1_25partition_config_selectorILNS1_17partition_subalgoE5ElNS0_10empty_typeEbEEZZNS1_14partition_implILS5_5ELb0ES3_mN6hipcub16HIPCUB_304000_NS21CountingInputIteratorIllEEPS6_NSA_22TransformInputIteratorIbN2at6native12_GLOBAL__N_19NonZeroOpIN3c108BFloat16EEEPKSK_lEENS0_5tupleIJPlS6_EEENSP_IJSD_SD_EEES6_PiJS6_EEE10hipError_tPvRmT3_T4_T5_T6_T7_T9_mT8_P12ihipStream_tbDpT10_ENKUlT_T0_E_clISt17integral_constantIbLb1EES1D_EEDaS18_S19_EUlS18_E_NS1_11comp_targetILNS1_3genE10ELNS1_11target_archE1200ELNS1_3gpuE4ELNS1_3repE0EEENS1_30default_config_static_selectorELNS0_4arch9wavefront6targetE0EEEvT1_.has_dyn_sized_stack, 0
	.set _ZN7rocprim17ROCPRIM_400000_NS6detail17trampoline_kernelINS0_14default_configENS1_25partition_config_selectorILNS1_17partition_subalgoE5ElNS0_10empty_typeEbEEZZNS1_14partition_implILS5_5ELb0ES3_mN6hipcub16HIPCUB_304000_NS21CountingInputIteratorIllEEPS6_NSA_22TransformInputIteratorIbN2at6native12_GLOBAL__N_19NonZeroOpIN3c108BFloat16EEEPKSK_lEENS0_5tupleIJPlS6_EEENSP_IJSD_SD_EEES6_PiJS6_EEE10hipError_tPvRmT3_T4_T5_T6_T7_T9_mT8_P12ihipStream_tbDpT10_ENKUlT_T0_E_clISt17integral_constantIbLb1EES1D_EEDaS18_S19_EUlS18_E_NS1_11comp_targetILNS1_3genE10ELNS1_11target_archE1200ELNS1_3gpuE4ELNS1_3repE0EEENS1_30default_config_static_selectorELNS0_4arch9wavefront6targetE0EEEvT1_.has_recursion, 0
	.set _ZN7rocprim17ROCPRIM_400000_NS6detail17trampoline_kernelINS0_14default_configENS1_25partition_config_selectorILNS1_17partition_subalgoE5ElNS0_10empty_typeEbEEZZNS1_14partition_implILS5_5ELb0ES3_mN6hipcub16HIPCUB_304000_NS21CountingInputIteratorIllEEPS6_NSA_22TransformInputIteratorIbN2at6native12_GLOBAL__N_19NonZeroOpIN3c108BFloat16EEEPKSK_lEENS0_5tupleIJPlS6_EEENSP_IJSD_SD_EEES6_PiJS6_EEE10hipError_tPvRmT3_T4_T5_T6_T7_T9_mT8_P12ihipStream_tbDpT10_ENKUlT_T0_E_clISt17integral_constantIbLb1EES1D_EEDaS18_S19_EUlS18_E_NS1_11comp_targetILNS1_3genE10ELNS1_11target_archE1200ELNS1_3gpuE4ELNS1_3repE0EEENS1_30default_config_static_selectorELNS0_4arch9wavefront6targetE0EEEvT1_.has_indirect_call, 0
	.section	.AMDGPU.csdata,"",@progbits
; Kernel info:
; codeLenInByte = 4
; TotalNumSgprs: 0
; NumVgprs: 0
; ScratchSize: 0
; MemoryBound: 0
; FloatMode: 240
; IeeeMode: 1
; LDSByteSize: 0 bytes/workgroup (compile time only)
; SGPRBlocks: 0
; VGPRBlocks: 0
; NumSGPRsForWavesPerEU: 1
; NumVGPRsForWavesPerEU: 1
; Occupancy: 16
; WaveLimiterHint : 0
; COMPUTE_PGM_RSRC2:SCRATCH_EN: 0
; COMPUTE_PGM_RSRC2:USER_SGPR: 2
; COMPUTE_PGM_RSRC2:TRAP_HANDLER: 0
; COMPUTE_PGM_RSRC2:TGID_X_EN: 1
; COMPUTE_PGM_RSRC2:TGID_Y_EN: 0
; COMPUTE_PGM_RSRC2:TGID_Z_EN: 0
; COMPUTE_PGM_RSRC2:TIDIG_COMP_CNT: 0
	.section	.text._ZN7rocprim17ROCPRIM_400000_NS6detail17trampoline_kernelINS0_14default_configENS1_25partition_config_selectorILNS1_17partition_subalgoE5ElNS0_10empty_typeEbEEZZNS1_14partition_implILS5_5ELb0ES3_mN6hipcub16HIPCUB_304000_NS21CountingInputIteratorIllEEPS6_NSA_22TransformInputIteratorIbN2at6native12_GLOBAL__N_19NonZeroOpIN3c108BFloat16EEEPKSK_lEENS0_5tupleIJPlS6_EEENSP_IJSD_SD_EEES6_PiJS6_EEE10hipError_tPvRmT3_T4_T5_T6_T7_T9_mT8_P12ihipStream_tbDpT10_ENKUlT_T0_E_clISt17integral_constantIbLb1EES1D_EEDaS18_S19_EUlS18_E_NS1_11comp_targetILNS1_3genE9ELNS1_11target_archE1100ELNS1_3gpuE3ELNS1_3repE0EEENS1_30default_config_static_selectorELNS0_4arch9wavefront6targetE0EEEvT1_,"axG",@progbits,_ZN7rocprim17ROCPRIM_400000_NS6detail17trampoline_kernelINS0_14default_configENS1_25partition_config_selectorILNS1_17partition_subalgoE5ElNS0_10empty_typeEbEEZZNS1_14partition_implILS5_5ELb0ES3_mN6hipcub16HIPCUB_304000_NS21CountingInputIteratorIllEEPS6_NSA_22TransformInputIteratorIbN2at6native12_GLOBAL__N_19NonZeroOpIN3c108BFloat16EEEPKSK_lEENS0_5tupleIJPlS6_EEENSP_IJSD_SD_EEES6_PiJS6_EEE10hipError_tPvRmT3_T4_T5_T6_T7_T9_mT8_P12ihipStream_tbDpT10_ENKUlT_T0_E_clISt17integral_constantIbLb1EES1D_EEDaS18_S19_EUlS18_E_NS1_11comp_targetILNS1_3genE9ELNS1_11target_archE1100ELNS1_3gpuE3ELNS1_3repE0EEENS1_30default_config_static_selectorELNS0_4arch9wavefront6targetE0EEEvT1_,comdat
	.globl	_ZN7rocprim17ROCPRIM_400000_NS6detail17trampoline_kernelINS0_14default_configENS1_25partition_config_selectorILNS1_17partition_subalgoE5ElNS0_10empty_typeEbEEZZNS1_14partition_implILS5_5ELb0ES3_mN6hipcub16HIPCUB_304000_NS21CountingInputIteratorIllEEPS6_NSA_22TransformInputIteratorIbN2at6native12_GLOBAL__N_19NonZeroOpIN3c108BFloat16EEEPKSK_lEENS0_5tupleIJPlS6_EEENSP_IJSD_SD_EEES6_PiJS6_EEE10hipError_tPvRmT3_T4_T5_T6_T7_T9_mT8_P12ihipStream_tbDpT10_ENKUlT_T0_E_clISt17integral_constantIbLb1EES1D_EEDaS18_S19_EUlS18_E_NS1_11comp_targetILNS1_3genE9ELNS1_11target_archE1100ELNS1_3gpuE3ELNS1_3repE0EEENS1_30default_config_static_selectorELNS0_4arch9wavefront6targetE0EEEvT1_ ; -- Begin function _ZN7rocprim17ROCPRIM_400000_NS6detail17trampoline_kernelINS0_14default_configENS1_25partition_config_selectorILNS1_17partition_subalgoE5ElNS0_10empty_typeEbEEZZNS1_14partition_implILS5_5ELb0ES3_mN6hipcub16HIPCUB_304000_NS21CountingInputIteratorIllEEPS6_NSA_22TransformInputIteratorIbN2at6native12_GLOBAL__N_19NonZeroOpIN3c108BFloat16EEEPKSK_lEENS0_5tupleIJPlS6_EEENSP_IJSD_SD_EEES6_PiJS6_EEE10hipError_tPvRmT3_T4_T5_T6_T7_T9_mT8_P12ihipStream_tbDpT10_ENKUlT_T0_E_clISt17integral_constantIbLb1EES1D_EEDaS18_S19_EUlS18_E_NS1_11comp_targetILNS1_3genE9ELNS1_11target_archE1100ELNS1_3gpuE3ELNS1_3repE0EEENS1_30default_config_static_selectorELNS0_4arch9wavefront6targetE0EEEvT1_
	.p2align	8
	.type	_ZN7rocprim17ROCPRIM_400000_NS6detail17trampoline_kernelINS0_14default_configENS1_25partition_config_selectorILNS1_17partition_subalgoE5ElNS0_10empty_typeEbEEZZNS1_14partition_implILS5_5ELb0ES3_mN6hipcub16HIPCUB_304000_NS21CountingInputIteratorIllEEPS6_NSA_22TransformInputIteratorIbN2at6native12_GLOBAL__N_19NonZeroOpIN3c108BFloat16EEEPKSK_lEENS0_5tupleIJPlS6_EEENSP_IJSD_SD_EEES6_PiJS6_EEE10hipError_tPvRmT3_T4_T5_T6_T7_T9_mT8_P12ihipStream_tbDpT10_ENKUlT_T0_E_clISt17integral_constantIbLb1EES1D_EEDaS18_S19_EUlS18_E_NS1_11comp_targetILNS1_3genE9ELNS1_11target_archE1100ELNS1_3gpuE3ELNS1_3repE0EEENS1_30default_config_static_selectorELNS0_4arch9wavefront6targetE0EEEvT1_,@function
_ZN7rocprim17ROCPRIM_400000_NS6detail17trampoline_kernelINS0_14default_configENS1_25partition_config_selectorILNS1_17partition_subalgoE5ElNS0_10empty_typeEbEEZZNS1_14partition_implILS5_5ELb0ES3_mN6hipcub16HIPCUB_304000_NS21CountingInputIteratorIllEEPS6_NSA_22TransformInputIteratorIbN2at6native12_GLOBAL__N_19NonZeroOpIN3c108BFloat16EEEPKSK_lEENS0_5tupleIJPlS6_EEENSP_IJSD_SD_EEES6_PiJS6_EEE10hipError_tPvRmT3_T4_T5_T6_T7_T9_mT8_P12ihipStream_tbDpT10_ENKUlT_T0_E_clISt17integral_constantIbLb1EES1D_EEDaS18_S19_EUlS18_E_NS1_11comp_targetILNS1_3genE9ELNS1_11target_archE1100ELNS1_3gpuE3ELNS1_3repE0EEENS1_30default_config_static_selectorELNS0_4arch9wavefront6targetE0EEEvT1_: ; @_ZN7rocprim17ROCPRIM_400000_NS6detail17trampoline_kernelINS0_14default_configENS1_25partition_config_selectorILNS1_17partition_subalgoE5ElNS0_10empty_typeEbEEZZNS1_14partition_implILS5_5ELb0ES3_mN6hipcub16HIPCUB_304000_NS21CountingInputIteratorIllEEPS6_NSA_22TransformInputIteratorIbN2at6native12_GLOBAL__N_19NonZeroOpIN3c108BFloat16EEEPKSK_lEENS0_5tupleIJPlS6_EEENSP_IJSD_SD_EEES6_PiJS6_EEE10hipError_tPvRmT3_T4_T5_T6_T7_T9_mT8_P12ihipStream_tbDpT10_ENKUlT_T0_E_clISt17integral_constantIbLb1EES1D_EEDaS18_S19_EUlS18_E_NS1_11comp_targetILNS1_3genE9ELNS1_11target_archE1100ELNS1_3gpuE3ELNS1_3repE0EEENS1_30default_config_static_selectorELNS0_4arch9wavefront6targetE0EEEvT1_
; %bb.0:
	.section	.rodata,"a",@progbits
	.p2align	6, 0x0
	.amdhsa_kernel _ZN7rocprim17ROCPRIM_400000_NS6detail17trampoline_kernelINS0_14default_configENS1_25partition_config_selectorILNS1_17partition_subalgoE5ElNS0_10empty_typeEbEEZZNS1_14partition_implILS5_5ELb0ES3_mN6hipcub16HIPCUB_304000_NS21CountingInputIteratorIllEEPS6_NSA_22TransformInputIteratorIbN2at6native12_GLOBAL__N_19NonZeroOpIN3c108BFloat16EEEPKSK_lEENS0_5tupleIJPlS6_EEENSP_IJSD_SD_EEES6_PiJS6_EEE10hipError_tPvRmT3_T4_T5_T6_T7_T9_mT8_P12ihipStream_tbDpT10_ENKUlT_T0_E_clISt17integral_constantIbLb1EES1D_EEDaS18_S19_EUlS18_E_NS1_11comp_targetILNS1_3genE9ELNS1_11target_archE1100ELNS1_3gpuE3ELNS1_3repE0EEENS1_30default_config_static_selectorELNS0_4arch9wavefront6targetE0EEEvT1_
		.amdhsa_group_segment_fixed_size 0
		.amdhsa_private_segment_fixed_size 0
		.amdhsa_kernarg_size 136
		.amdhsa_user_sgpr_count 2
		.amdhsa_user_sgpr_dispatch_ptr 0
		.amdhsa_user_sgpr_queue_ptr 0
		.amdhsa_user_sgpr_kernarg_segment_ptr 1
		.amdhsa_user_sgpr_dispatch_id 0
		.amdhsa_user_sgpr_private_segment_size 0
		.amdhsa_wavefront_size32 1
		.amdhsa_uses_dynamic_stack 0
		.amdhsa_enable_private_segment 0
		.amdhsa_system_sgpr_workgroup_id_x 1
		.amdhsa_system_sgpr_workgroup_id_y 0
		.amdhsa_system_sgpr_workgroup_id_z 0
		.amdhsa_system_sgpr_workgroup_info 0
		.amdhsa_system_vgpr_workitem_id 0
		.amdhsa_next_free_vgpr 1
		.amdhsa_next_free_sgpr 1
		.amdhsa_reserve_vcc 0
		.amdhsa_float_round_mode_32 0
		.amdhsa_float_round_mode_16_64 0
		.amdhsa_float_denorm_mode_32 3
		.amdhsa_float_denorm_mode_16_64 3
		.amdhsa_fp16_overflow 0
		.amdhsa_workgroup_processor_mode 1
		.amdhsa_memory_ordered 1
		.amdhsa_forward_progress 1
		.amdhsa_inst_pref_size 0
		.amdhsa_round_robin_scheduling 0
		.amdhsa_exception_fp_ieee_invalid_op 0
		.amdhsa_exception_fp_denorm_src 0
		.amdhsa_exception_fp_ieee_div_zero 0
		.amdhsa_exception_fp_ieee_overflow 0
		.amdhsa_exception_fp_ieee_underflow 0
		.amdhsa_exception_fp_ieee_inexact 0
		.amdhsa_exception_int_div_zero 0
	.end_amdhsa_kernel
	.section	.text._ZN7rocprim17ROCPRIM_400000_NS6detail17trampoline_kernelINS0_14default_configENS1_25partition_config_selectorILNS1_17partition_subalgoE5ElNS0_10empty_typeEbEEZZNS1_14partition_implILS5_5ELb0ES3_mN6hipcub16HIPCUB_304000_NS21CountingInputIteratorIllEEPS6_NSA_22TransformInputIteratorIbN2at6native12_GLOBAL__N_19NonZeroOpIN3c108BFloat16EEEPKSK_lEENS0_5tupleIJPlS6_EEENSP_IJSD_SD_EEES6_PiJS6_EEE10hipError_tPvRmT3_T4_T5_T6_T7_T9_mT8_P12ihipStream_tbDpT10_ENKUlT_T0_E_clISt17integral_constantIbLb1EES1D_EEDaS18_S19_EUlS18_E_NS1_11comp_targetILNS1_3genE9ELNS1_11target_archE1100ELNS1_3gpuE3ELNS1_3repE0EEENS1_30default_config_static_selectorELNS0_4arch9wavefront6targetE0EEEvT1_,"axG",@progbits,_ZN7rocprim17ROCPRIM_400000_NS6detail17trampoline_kernelINS0_14default_configENS1_25partition_config_selectorILNS1_17partition_subalgoE5ElNS0_10empty_typeEbEEZZNS1_14partition_implILS5_5ELb0ES3_mN6hipcub16HIPCUB_304000_NS21CountingInputIteratorIllEEPS6_NSA_22TransformInputIteratorIbN2at6native12_GLOBAL__N_19NonZeroOpIN3c108BFloat16EEEPKSK_lEENS0_5tupleIJPlS6_EEENSP_IJSD_SD_EEES6_PiJS6_EEE10hipError_tPvRmT3_T4_T5_T6_T7_T9_mT8_P12ihipStream_tbDpT10_ENKUlT_T0_E_clISt17integral_constantIbLb1EES1D_EEDaS18_S19_EUlS18_E_NS1_11comp_targetILNS1_3genE9ELNS1_11target_archE1100ELNS1_3gpuE3ELNS1_3repE0EEENS1_30default_config_static_selectorELNS0_4arch9wavefront6targetE0EEEvT1_,comdat
.Lfunc_end812:
	.size	_ZN7rocprim17ROCPRIM_400000_NS6detail17trampoline_kernelINS0_14default_configENS1_25partition_config_selectorILNS1_17partition_subalgoE5ElNS0_10empty_typeEbEEZZNS1_14partition_implILS5_5ELb0ES3_mN6hipcub16HIPCUB_304000_NS21CountingInputIteratorIllEEPS6_NSA_22TransformInputIteratorIbN2at6native12_GLOBAL__N_19NonZeroOpIN3c108BFloat16EEEPKSK_lEENS0_5tupleIJPlS6_EEENSP_IJSD_SD_EEES6_PiJS6_EEE10hipError_tPvRmT3_T4_T5_T6_T7_T9_mT8_P12ihipStream_tbDpT10_ENKUlT_T0_E_clISt17integral_constantIbLb1EES1D_EEDaS18_S19_EUlS18_E_NS1_11comp_targetILNS1_3genE9ELNS1_11target_archE1100ELNS1_3gpuE3ELNS1_3repE0EEENS1_30default_config_static_selectorELNS0_4arch9wavefront6targetE0EEEvT1_, .Lfunc_end812-_ZN7rocprim17ROCPRIM_400000_NS6detail17trampoline_kernelINS0_14default_configENS1_25partition_config_selectorILNS1_17partition_subalgoE5ElNS0_10empty_typeEbEEZZNS1_14partition_implILS5_5ELb0ES3_mN6hipcub16HIPCUB_304000_NS21CountingInputIteratorIllEEPS6_NSA_22TransformInputIteratorIbN2at6native12_GLOBAL__N_19NonZeroOpIN3c108BFloat16EEEPKSK_lEENS0_5tupleIJPlS6_EEENSP_IJSD_SD_EEES6_PiJS6_EEE10hipError_tPvRmT3_T4_T5_T6_T7_T9_mT8_P12ihipStream_tbDpT10_ENKUlT_T0_E_clISt17integral_constantIbLb1EES1D_EEDaS18_S19_EUlS18_E_NS1_11comp_targetILNS1_3genE9ELNS1_11target_archE1100ELNS1_3gpuE3ELNS1_3repE0EEENS1_30default_config_static_selectorELNS0_4arch9wavefront6targetE0EEEvT1_
                                        ; -- End function
	.set _ZN7rocprim17ROCPRIM_400000_NS6detail17trampoline_kernelINS0_14default_configENS1_25partition_config_selectorILNS1_17partition_subalgoE5ElNS0_10empty_typeEbEEZZNS1_14partition_implILS5_5ELb0ES3_mN6hipcub16HIPCUB_304000_NS21CountingInputIteratorIllEEPS6_NSA_22TransformInputIteratorIbN2at6native12_GLOBAL__N_19NonZeroOpIN3c108BFloat16EEEPKSK_lEENS0_5tupleIJPlS6_EEENSP_IJSD_SD_EEES6_PiJS6_EEE10hipError_tPvRmT3_T4_T5_T6_T7_T9_mT8_P12ihipStream_tbDpT10_ENKUlT_T0_E_clISt17integral_constantIbLb1EES1D_EEDaS18_S19_EUlS18_E_NS1_11comp_targetILNS1_3genE9ELNS1_11target_archE1100ELNS1_3gpuE3ELNS1_3repE0EEENS1_30default_config_static_selectorELNS0_4arch9wavefront6targetE0EEEvT1_.num_vgpr, 0
	.set _ZN7rocprim17ROCPRIM_400000_NS6detail17trampoline_kernelINS0_14default_configENS1_25partition_config_selectorILNS1_17partition_subalgoE5ElNS0_10empty_typeEbEEZZNS1_14partition_implILS5_5ELb0ES3_mN6hipcub16HIPCUB_304000_NS21CountingInputIteratorIllEEPS6_NSA_22TransformInputIteratorIbN2at6native12_GLOBAL__N_19NonZeroOpIN3c108BFloat16EEEPKSK_lEENS0_5tupleIJPlS6_EEENSP_IJSD_SD_EEES6_PiJS6_EEE10hipError_tPvRmT3_T4_T5_T6_T7_T9_mT8_P12ihipStream_tbDpT10_ENKUlT_T0_E_clISt17integral_constantIbLb1EES1D_EEDaS18_S19_EUlS18_E_NS1_11comp_targetILNS1_3genE9ELNS1_11target_archE1100ELNS1_3gpuE3ELNS1_3repE0EEENS1_30default_config_static_selectorELNS0_4arch9wavefront6targetE0EEEvT1_.num_agpr, 0
	.set _ZN7rocprim17ROCPRIM_400000_NS6detail17trampoline_kernelINS0_14default_configENS1_25partition_config_selectorILNS1_17partition_subalgoE5ElNS0_10empty_typeEbEEZZNS1_14partition_implILS5_5ELb0ES3_mN6hipcub16HIPCUB_304000_NS21CountingInputIteratorIllEEPS6_NSA_22TransformInputIteratorIbN2at6native12_GLOBAL__N_19NonZeroOpIN3c108BFloat16EEEPKSK_lEENS0_5tupleIJPlS6_EEENSP_IJSD_SD_EEES6_PiJS6_EEE10hipError_tPvRmT3_T4_T5_T6_T7_T9_mT8_P12ihipStream_tbDpT10_ENKUlT_T0_E_clISt17integral_constantIbLb1EES1D_EEDaS18_S19_EUlS18_E_NS1_11comp_targetILNS1_3genE9ELNS1_11target_archE1100ELNS1_3gpuE3ELNS1_3repE0EEENS1_30default_config_static_selectorELNS0_4arch9wavefront6targetE0EEEvT1_.numbered_sgpr, 0
	.set _ZN7rocprim17ROCPRIM_400000_NS6detail17trampoline_kernelINS0_14default_configENS1_25partition_config_selectorILNS1_17partition_subalgoE5ElNS0_10empty_typeEbEEZZNS1_14partition_implILS5_5ELb0ES3_mN6hipcub16HIPCUB_304000_NS21CountingInputIteratorIllEEPS6_NSA_22TransformInputIteratorIbN2at6native12_GLOBAL__N_19NonZeroOpIN3c108BFloat16EEEPKSK_lEENS0_5tupleIJPlS6_EEENSP_IJSD_SD_EEES6_PiJS6_EEE10hipError_tPvRmT3_T4_T5_T6_T7_T9_mT8_P12ihipStream_tbDpT10_ENKUlT_T0_E_clISt17integral_constantIbLb1EES1D_EEDaS18_S19_EUlS18_E_NS1_11comp_targetILNS1_3genE9ELNS1_11target_archE1100ELNS1_3gpuE3ELNS1_3repE0EEENS1_30default_config_static_selectorELNS0_4arch9wavefront6targetE0EEEvT1_.num_named_barrier, 0
	.set _ZN7rocprim17ROCPRIM_400000_NS6detail17trampoline_kernelINS0_14default_configENS1_25partition_config_selectorILNS1_17partition_subalgoE5ElNS0_10empty_typeEbEEZZNS1_14partition_implILS5_5ELb0ES3_mN6hipcub16HIPCUB_304000_NS21CountingInputIteratorIllEEPS6_NSA_22TransformInputIteratorIbN2at6native12_GLOBAL__N_19NonZeroOpIN3c108BFloat16EEEPKSK_lEENS0_5tupleIJPlS6_EEENSP_IJSD_SD_EEES6_PiJS6_EEE10hipError_tPvRmT3_T4_T5_T6_T7_T9_mT8_P12ihipStream_tbDpT10_ENKUlT_T0_E_clISt17integral_constantIbLb1EES1D_EEDaS18_S19_EUlS18_E_NS1_11comp_targetILNS1_3genE9ELNS1_11target_archE1100ELNS1_3gpuE3ELNS1_3repE0EEENS1_30default_config_static_selectorELNS0_4arch9wavefront6targetE0EEEvT1_.private_seg_size, 0
	.set _ZN7rocprim17ROCPRIM_400000_NS6detail17trampoline_kernelINS0_14default_configENS1_25partition_config_selectorILNS1_17partition_subalgoE5ElNS0_10empty_typeEbEEZZNS1_14partition_implILS5_5ELb0ES3_mN6hipcub16HIPCUB_304000_NS21CountingInputIteratorIllEEPS6_NSA_22TransformInputIteratorIbN2at6native12_GLOBAL__N_19NonZeroOpIN3c108BFloat16EEEPKSK_lEENS0_5tupleIJPlS6_EEENSP_IJSD_SD_EEES6_PiJS6_EEE10hipError_tPvRmT3_T4_T5_T6_T7_T9_mT8_P12ihipStream_tbDpT10_ENKUlT_T0_E_clISt17integral_constantIbLb1EES1D_EEDaS18_S19_EUlS18_E_NS1_11comp_targetILNS1_3genE9ELNS1_11target_archE1100ELNS1_3gpuE3ELNS1_3repE0EEENS1_30default_config_static_selectorELNS0_4arch9wavefront6targetE0EEEvT1_.uses_vcc, 0
	.set _ZN7rocprim17ROCPRIM_400000_NS6detail17trampoline_kernelINS0_14default_configENS1_25partition_config_selectorILNS1_17partition_subalgoE5ElNS0_10empty_typeEbEEZZNS1_14partition_implILS5_5ELb0ES3_mN6hipcub16HIPCUB_304000_NS21CountingInputIteratorIllEEPS6_NSA_22TransformInputIteratorIbN2at6native12_GLOBAL__N_19NonZeroOpIN3c108BFloat16EEEPKSK_lEENS0_5tupleIJPlS6_EEENSP_IJSD_SD_EEES6_PiJS6_EEE10hipError_tPvRmT3_T4_T5_T6_T7_T9_mT8_P12ihipStream_tbDpT10_ENKUlT_T0_E_clISt17integral_constantIbLb1EES1D_EEDaS18_S19_EUlS18_E_NS1_11comp_targetILNS1_3genE9ELNS1_11target_archE1100ELNS1_3gpuE3ELNS1_3repE0EEENS1_30default_config_static_selectorELNS0_4arch9wavefront6targetE0EEEvT1_.uses_flat_scratch, 0
	.set _ZN7rocprim17ROCPRIM_400000_NS6detail17trampoline_kernelINS0_14default_configENS1_25partition_config_selectorILNS1_17partition_subalgoE5ElNS0_10empty_typeEbEEZZNS1_14partition_implILS5_5ELb0ES3_mN6hipcub16HIPCUB_304000_NS21CountingInputIteratorIllEEPS6_NSA_22TransformInputIteratorIbN2at6native12_GLOBAL__N_19NonZeroOpIN3c108BFloat16EEEPKSK_lEENS0_5tupleIJPlS6_EEENSP_IJSD_SD_EEES6_PiJS6_EEE10hipError_tPvRmT3_T4_T5_T6_T7_T9_mT8_P12ihipStream_tbDpT10_ENKUlT_T0_E_clISt17integral_constantIbLb1EES1D_EEDaS18_S19_EUlS18_E_NS1_11comp_targetILNS1_3genE9ELNS1_11target_archE1100ELNS1_3gpuE3ELNS1_3repE0EEENS1_30default_config_static_selectorELNS0_4arch9wavefront6targetE0EEEvT1_.has_dyn_sized_stack, 0
	.set _ZN7rocprim17ROCPRIM_400000_NS6detail17trampoline_kernelINS0_14default_configENS1_25partition_config_selectorILNS1_17partition_subalgoE5ElNS0_10empty_typeEbEEZZNS1_14partition_implILS5_5ELb0ES3_mN6hipcub16HIPCUB_304000_NS21CountingInputIteratorIllEEPS6_NSA_22TransformInputIteratorIbN2at6native12_GLOBAL__N_19NonZeroOpIN3c108BFloat16EEEPKSK_lEENS0_5tupleIJPlS6_EEENSP_IJSD_SD_EEES6_PiJS6_EEE10hipError_tPvRmT3_T4_T5_T6_T7_T9_mT8_P12ihipStream_tbDpT10_ENKUlT_T0_E_clISt17integral_constantIbLb1EES1D_EEDaS18_S19_EUlS18_E_NS1_11comp_targetILNS1_3genE9ELNS1_11target_archE1100ELNS1_3gpuE3ELNS1_3repE0EEENS1_30default_config_static_selectorELNS0_4arch9wavefront6targetE0EEEvT1_.has_recursion, 0
	.set _ZN7rocprim17ROCPRIM_400000_NS6detail17trampoline_kernelINS0_14default_configENS1_25partition_config_selectorILNS1_17partition_subalgoE5ElNS0_10empty_typeEbEEZZNS1_14partition_implILS5_5ELb0ES3_mN6hipcub16HIPCUB_304000_NS21CountingInputIteratorIllEEPS6_NSA_22TransformInputIteratorIbN2at6native12_GLOBAL__N_19NonZeroOpIN3c108BFloat16EEEPKSK_lEENS0_5tupleIJPlS6_EEENSP_IJSD_SD_EEES6_PiJS6_EEE10hipError_tPvRmT3_T4_T5_T6_T7_T9_mT8_P12ihipStream_tbDpT10_ENKUlT_T0_E_clISt17integral_constantIbLb1EES1D_EEDaS18_S19_EUlS18_E_NS1_11comp_targetILNS1_3genE9ELNS1_11target_archE1100ELNS1_3gpuE3ELNS1_3repE0EEENS1_30default_config_static_selectorELNS0_4arch9wavefront6targetE0EEEvT1_.has_indirect_call, 0
	.section	.AMDGPU.csdata,"",@progbits
; Kernel info:
; codeLenInByte = 0
; TotalNumSgprs: 0
; NumVgprs: 0
; ScratchSize: 0
; MemoryBound: 0
; FloatMode: 240
; IeeeMode: 1
; LDSByteSize: 0 bytes/workgroup (compile time only)
; SGPRBlocks: 0
; VGPRBlocks: 0
; NumSGPRsForWavesPerEU: 1
; NumVGPRsForWavesPerEU: 1
; Occupancy: 16
; WaveLimiterHint : 0
; COMPUTE_PGM_RSRC2:SCRATCH_EN: 0
; COMPUTE_PGM_RSRC2:USER_SGPR: 2
; COMPUTE_PGM_RSRC2:TRAP_HANDLER: 0
; COMPUTE_PGM_RSRC2:TGID_X_EN: 1
; COMPUTE_PGM_RSRC2:TGID_Y_EN: 0
; COMPUTE_PGM_RSRC2:TGID_Z_EN: 0
; COMPUTE_PGM_RSRC2:TIDIG_COMP_CNT: 0
	.section	.text._ZN7rocprim17ROCPRIM_400000_NS6detail17trampoline_kernelINS0_14default_configENS1_25partition_config_selectorILNS1_17partition_subalgoE5ElNS0_10empty_typeEbEEZZNS1_14partition_implILS5_5ELb0ES3_mN6hipcub16HIPCUB_304000_NS21CountingInputIteratorIllEEPS6_NSA_22TransformInputIteratorIbN2at6native12_GLOBAL__N_19NonZeroOpIN3c108BFloat16EEEPKSK_lEENS0_5tupleIJPlS6_EEENSP_IJSD_SD_EEES6_PiJS6_EEE10hipError_tPvRmT3_T4_T5_T6_T7_T9_mT8_P12ihipStream_tbDpT10_ENKUlT_T0_E_clISt17integral_constantIbLb1EES1D_EEDaS18_S19_EUlS18_E_NS1_11comp_targetILNS1_3genE8ELNS1_11target_archE1030ELNS1_3gpuE2ELNS1_3repE0EEENS1_30default_config_static_selectorELNS0_4arch9wavefront6targetE0EEEvT1_,"axG",@progbits,_ZN7rocprim17ROCPRIM_400000_NS6detail17trampoline_kernelINS0_14default_configENS1_25partition_config_selectorILNS1_17partition_subalgoE5ElNS0_10empty_typeEbEEZZNS1_14partition_implILS5_5ELb0ES3_mN6hipcub16HIPCUB_304000_NS21CountingInputIteratorIllEEPS6_NSA_22TransformInputIteratorIbN2at6native12_GLOBAL__N_19NonZeroOpIN3c108BFloat16EEEPKSK_lEENS0_5tupleIJPlS6_EEENSP_IJSD_SD_EEES6_PiJS6_EEE10hipError_tPvRmT3_T4_T5_T6_T7_T9_mT8_P12ihipStream_tbDpT10_ENKUlT_T0_E_clISt17integral_constantIbLb1EES1D_EEDaS18_S19_EUlS18_E_NS1_11comp_targetILNS1_3genE8ELNS1_11target_archE1030ELNS1_3gpuE2ELNS1_3repE0EEENS1_30default_config_static_selectorELNS0_4arch9wavefront6targetE0EEEvT1_,comdat
	.globl	_ZN7rocprim17ROCPRIM_400000_NS6detail17trampoline_kernelINS0_14default_configENS1_25partition_config_selectorILNS1_17partition_subalgoE5ElNS0_10empty_typeEbEEZZNS1_14partition_implILS5_5ELb0ES3_mN6hipcub16HIPCUB_304000_NS21CountingInputIteratorIllEEPS6_NSA_22TransformInputIteratorIbN2at6native12_GLOBAL__N_19NonZeroOpIN3c108BFloat16EEEPKSK_lEENS0_5tupleIJPlS6_EEENSP_IJSD_SD_EEES6_PiJS6_EEE10hipError_tPvRmT3_T4_T5_T6_T7_T9_mT8_P12ihipStream_tbDpT10_ENKUlT_T0_E_clISt17integral_constantIbLb1EES1D_EEDaS18_S19_EUlS18_E_NS1_11comp_targetILNS1_3genE8ELNS1_11target_archE1030ELNS1_3gpuE2ELNS1_3repE0EEENS1_30default_config_static_selectorELNS0_4arch9wavefront6targetE0EEEvT1_ ; -- Begin function _ZN7rocprim17ROCPRIM_400000_NS6detail17trampoline_kernelINS0_14default_configENS1_25partition_config_selectorILNS1_17partition_subalgoE5ElNS0_10empty_typeEbEEZZNS1_14partition_implILS5_5ELb0ES3_mN6hipcub16HIPCUB_304000_NS21CountingInputIteratorIllEEPS6_NSA_22TransformInputIteratorIbN2at6native12_GLOBAL__N_19NonZeroOpIN3c108BFloat16EEEPKSK_lEENS0_5tupleIJPlS6_EEENSP_IJSD_SD_EEES6_PiJS6_EEE10hipError_tPvRmT3_T4_T5_T6_T7_T9_mT8_P12ihipStream_tbDpT10_ENKUlT_T0_E_clISt17integral_constantIbLb1EES1D_EEDaS18_S19_EUlS18_E_NS1_11comp_targetILNS1_3genE8ELNS1_11target_archE1030ELNS1_3gpuE2ELNS1_3repE0EEENS1_30default_config_static_selectorELNS0_4arch9wavefront6targetE0EEEvT1_
	.p2align	8
	.type	_ZN7rocprim17ROCPRIM_400000_NS6detail17trampoline_kernelINS0_14default_configENS1_25partition_config_selectorILNS1_17partition_subalgoE5ElNS0_10empty_typeEbEEZZNS1_14partition_implILS5_5ELb0ES3_mN6hipcub16HIPCUB_304000_NS21CountingInputIteratorIllEEPS6_NSA_22TransformInputIteratorIbN2at6native12_GLOBAL__N_19NonZeroOpIN3c108BFloat16EEEPKSK_lEENS0_5tupleIJPlS6_EEENSP_IJSD_SD_EEES6_PiJS6_EEE10hipError_tPvRmT3_T4_T5_T6_T7_T9_mT8_P12ihipStream_tbDpT10_ENKUlT_T0_E_clISt17integral_constantIbLb1EES1D_EEDaS18_S19_EUlS18_E_NS1_11comp_targetILNS1_3genE8ELNS1_11target_archE1030ELNS1_3gpuE2ELNS1_3repE0EEENS1_30default_config_static_selectorELNS0_4arch9wavefront6targetE0EEEvT1_,@function
_ZN7rocprim17ROCPRIM_400000_NS6detail17trampoline_kernelINS0_14default_configENS1_25partition_config_selectorILNS1_17partition_subalgoE5ElNS0_10empty_typeEbEEZZNS1_14partition_implILS5_5ELb0ES3_mN6hipcub16HIPCUB_304000_NS21CountingInputIteratorIllEEPS6_NSA_22TransformInputIteratorIbN2at6native12_GLOBAL__N_19NonZeroOpIN3c108BFloat16EEEPKSK_lEENS0_5tupleIJPlS6_EEENSP_IJSD_SD_EEES6_PiJS6_EEE10hipError_tPvRmT3_T4_T5_T6_T7_T9_mT8_P12ihipStream_tbDpT10_ENKUlT_T0_E_clISt17integral_constantIbLb1EES1D_EEDaS18_S19_EUlS18_E_NS1_11comp_targetILNS1_3genE8ELNS1_11target_archE1030ELNS1_3gpuE2ELNS1_3repE0EEENS1_30default_config_static_selectorELNS0_4arch9wavefront6targetE0EEEvT1_: ; @_ZN7rocprim17ROCPRIM_400000_NS6detail17trampoline_kernelINS0_14default_configENS1_25partition_config_selectorILNS1_17partition_subalgoE5ElNS0_10empty_typeEbEEZZNS1_14partition_implILS5_5ELb0ES3_mN6hipcub16HIPCUB_304000_NS21CountingInputIteratorIllEEPS6_NSA_22TransformInputIteratorIbN2at6native12_GLOBAL__N_19NonZeroOpIN3c108BFloat16EEEPKSK_lEENS0_5tupleIJPlS6_EEENSP_IJSD_SD_EEES6_PiJS6_EEE10hipError_tPvRmT3_T4_T5_T6_T7_T9_mT8_P12ihipStream_tbDpT10_ENKUlT_T0_E_clISt17integral_constantIbLb1EES1D_EEDaS18_S19_EUlS18_E_NS1_11comp_targetILNS1_3genE8ELNS1_11target_archE1030ELNS1_3gpuE2ELNS1_3repE0EEENS1_30default_config_static_selectorELNS0_4arch9wavefront6targetE0EEEvT1_
; %bb.0:
	.section	.rodata,"a",@progbits
	.p2align	6, 0x0
	.amdhsa_kernel _ZN7rocprim17ROCPRIM_400000_NS6detail17trampoline_kernelINS0_14default_configENS1_25partition_config_selectorILNS1_17partition_subalgoE5ElNS0_10empty_typeEbEEZZNS1_14partition_implILS5_5ELb0ES3_mN6hipcub16HIPCUB_304000_NS21CountingInputIteratorIllEEPS6_NSA_22TransformInputIteratorIbN2at6native12_GLOBAL__N_19NonZeroOpIN3c108BFloat16EEEPKSK_lEENS0_5tupleIJPlS6_EEENSP_IJSD_SD_EEES6_PiJS6_EEE10hipError_tPvRmT3_T4_T5_T6_T7_T9_mT8_P12ihipStream_tbDpT10_ENKUlT_T0_E_clISt17integral_constantIbLb1EES1D_EEDaS18_S19_EUlS18_E_NS1_11comp_targetILNS1_3genE8ELNS1_11target_archE1030ELNS1_3gpuE2ELNS1_3repE0EEENS1_30default_config_static_selectorELNS0_4arch9wavefront6targetE0EEEvT1_
		.amdhsa_group_segment_fixed_size 0
		.amdhsa_private_segment_fixed_size 0
		.amdhsa_kernarg_size 136
		.amdhsa_user_sgpr_count 2
		.amdhsa_user_sgpr_dispatch_ptr 0
		.amdhsa_user_sgpr_queue_ptr 0
		.amdhsa_user_sgpr_kernarg_segment_ptr 1
		.amdhsa_user_sgpr_dispatch_id 0
		.amdhsa_user_sgpr_private_segment_size 0
		.amdhsa_wavefront_size32 1
		.amdhsa_uses_dynamic_stack 0
		.amdhsa_enable_private_segment 0
		.amdhsa_system_sgpr_workgroup_id_x 1
		.amdhsa_system_sgpr_workgroup_id_y 0
		.amdhsa_system_sgpr_workgroup_id_z 0
		.amdhsa_system_sgpr_workgroup_info 0
		.amdhsa_system_vgpr_workitem_id 0
		.amdhsa_next_free_vgpr 1
		.amdhsa_next_free_sgpr 1
		.amdhsa_reserve_vcc 0
		.amdhsa_float_round_mode_32 0
		.amdhsa_float_round_mode_16_64 0
		.amdhsa_float_denorm_mode_32 3
		.amdhsa_float_denorm_mode_16_64 3
		.amdhsa_fp16_overflow 0
		.amdhsa_workgroup_processor_mode 1
		.amdhsa_memory_ordered 1
		.amdhsa_forward_progress 1
		.amdhsa_inst_pref_size 0
		.amdhsa_round_robin_scheduling 0
		.amdhsa_exception_fp_ieee_invalid_op 0
		.amdhsa_exception_fp_denorm_src 0
		.amdhsa_exception_fp_ieee_div_zero 0
		.amdhsa_exception_fp_ieee_overflow 0
		.amdhsa_exception_fp_ieee_underflow 0
		.amdhsa_exception_fp_ieee_inexact 0
		.amdhsa_exception_int_div_zero 0
	.end_amdhsa_kernel
	.section	.text._ZN7rocprim17ROCPRIM_400000_NS6detail17trampoline_kernelINS0_14default_configENS1_25partition_config_selectorILNS1_17partition_subalgoE5ElNS0_10empty_typeEbEEZZNS1_14partition_implILS5_5ELb0ES3_mN6hipcub16HIPCUB_304000_NS21CountingInputIteratorIllEEPS6_NSA_22TransformInputIteratorIbN2at6native12_GLOBAL__N_19NonZeroOpIN3c108BFloat16EEEPKSK_lEENS0_5tupleIJPlS6_EEENSP_IJSD_SD_EEES6_PiJS6_EEE10hipError_tPvRmT3_T4_T5_T6_T7_T9_mT8_P12ihipStream_tbDpT10_ENKUlT_T0_E_clISt17integral_constantIbLb1EES1D_EEDaS18_S19_EUlS18_E_NS1_11comp_targetILNS1_3genE8ELNS1_11target_archE1030ELNS1_3gpuE2ELNS1_3repE0EEENS1_30default_config_static_selectorELNS0_4arch9wavefront6targetE0EEEvT1_,"axG",@progbits,_ZN7rocprim17ROCPRIM_400000_NS6detail17trampoline_kernelINS0_14default_configENS1_25partition_config_selectorILNS1_17partition_subalgoE5ElNS0_10empty_typeEbEEZZNS1_14partition_implILS5_5ELb0ES3_mN6hipcub16HIPCUB_304000_NS21CountingInputIteratorIllEEPS6_NSA_22TransformInputIteratorIbN2at6native12_GLOBAL__N_19NonZeroOpIN3c108BFloat16EEEPKSK_lEENS0_5tupleIJPlS6_EEENSP_IJSD_SD_EEES6_PiJS6_EEE10hipError_tPvRmT3_T4_T5_T6_T7_T9_mT8_P12ihipStream_tbDpT10_ENKUlT_T0_E_clISt17integral_constantIbLb1EES1D_EEDaS18_S19_EUlS18_E_NS1_11comp_targetILNS1_3genE8ELNS1_11target_archE1030ELNS1_3gpuE2ELNS1_3repE0EEENS1_30default_config_static_selectorELNS0_4arch9wavefront6targetE0EEEvT1_,comdat
.Lfunc_end813:
	.size	_ZN7rocprim17ROCPRIM_400000_NS6detail17trampoline_kernelINS0_14default_configENS1_25partition_config_selectorILNS1_17partition_subalgoE5ElNS0_10empty_typeEbEEZZNS1_14partition_implILS5_5ELb0ES3_mN6hipcub16HIPCUB_304000_NS21CountingInputIteratorIllEEPS6_NSA_22TransformInputIteratorIbN2at6native12_GLOBAL__N_19NonZeroOpIN3c108BFloat16EEEPKSK_lEENS0_5tupleIJPlS6_EEENSP_IJSD_SD_EEES6_PiJS6_EEE10hipError_tPvRmT3_T4_T5_T6_T7_T9_mT8_P12ihipStream_tbDpT10_ENKUlT_T0_E_clISt17integral_constantIbLb1EES1D_EEDaS18_S19_EUlS18_E_NS1_11comp_targetILNS1_3genE8ELNS1_11target_archE1030ELNS1_3gpuE2ELNS1_3repE0EEENS1_30default_config_static_selectorELNS0_4arch9wavefront6targetE0EEEvT1_, .Lfunc_end813-_ZN7rocprim17ROCPRIM_400000_NS6detail17trampoline_kernelINS0_14default_configENS1_25partition_config_selectorILNS1_17partition_subalgoE5ElNS0_10empty_typeEbEEZZNS1_14partition_implILS5_5ELb0ES3_mN6hipcub16HIPCUB_304000_NS21CountingInputIteratorIllEEPS6_NSA_22TransformInputIteratorIbN2at6native12_GLOBAL__N_19NonZeroOpIN3c108BFloat16EEEPKSK_lEENS0_5tupleIJPlS6_EEENSP_IJSD_SD_EEES6_PiJS6_EEE10hipError_tPvRmT3_T4_T5_T6_T7_T9_mT8_P12ihipStream_tbDpT10_ENKUlT_T0_E_clISt17integral_constantIbLb1EES1D_EEDaS18_S19_EUlS18_E_NS1_11comp_targetILNS1_3genE8ELNS1_11target_archE1030ELNS1_3gpuE2ELNS1_3repE0EEENS1_30default_config_static_selectorELNS0_4arch9wavefront6targetE0EEEvT1_
                                        ; -- End function
	.set _ZN7rocprim17ROCPRIM_400000_NS6detail17trampoline_kernelINS0_14default_configENS1_25partition_config_selectorILNS1_17partition_subalgoE5ElNS0_10empty_typeEbEEZZNS1_14partition_implILS5_5ELb0ES3_mN6hipcub16HIPCUB_304000_NS21CountingInputIteratorIllEEPS6_NSA_22TransformInputIteratorIbN2at6native12_GLOBAL__N_19NonZeroOpIN3c108BFloat16EEEPKSK_lEENS0_5tupleIJPlS6_EEENSP_IJSD_SD_EEES6_PiJS6_EEE10hipError_tPvRmT3_T4_T5_T6_T7_T9_mT8_P12ihipStream_tbDpT10_ENKUlT_T0_E_clISt17integral_constantIbLb1EES1D_EEDaS18_S19_EUlS18_E_NS1_11comp_targetILNS1_3genE8ELNS1_11target_archE1030ELNS1_3gpuE2ELNS1_3repE0EEENS1_30default_config_static_selectorELNS0_4arch9wavefront6targetE0EEEvT1_.num_vgpr, 0
	.set _ZN7rocprim17ROCPRIM_400000_NS6detail17trampoline_kernelINS0_14default_configENS1_25partition_config_selectorILNS1_17partition_subalgoE5ElNS0_10empty_typeEbEEZZNS1_14partition_implILS5_5ELb0ES3_mN6hipcub16HIPCUB_304000_NS21CountingInputIteratorIllEEPS6_NSA_22TransformInputIteratorIbN2at6native12_GLOBAL__N_19NonZeroOpIN3c108BFloat16EEEPKSK_lEENS0_5tupleIJPlS6_EEENSP_IJSD_SD_EEES6_PiJS6_EEE10hipError_tPvRmT3_T4_T5_T6_T7_T9_mT8_P12ihipStream_tbDpT10_ENKUlT_T0_E_clISt17integral_constantIbLb1EES1D_EEDaS18_S19_EUlS18_E_NS1_11comp_targetILNS1_3genE8ELNS1_11target_archE1030ELNS1_3gpuE2ELNS1_3repE0EEENS1_30default_config_static_selectorELNS0_4arch9wavefront6targetE0EEEvT1_.num_agpr, 0
	.set _ZN7rocprim17ROCPRIM_400000_NS6detail17trampoline_kernelINS0_14default_configENS1_25partition_config_selectorILNS1_17partition_subalgoE5ElNS0_10empty_typeEbEEZZNS1_14partition_implILS5_5ELb0ES3_mN6hipcub16HIPCUB_304000_NS21CountingInputIteratorIllEEPS6_NSA_22TransformInputIteratorIbN2at6native12_GLOBAL__N_19NonZeroOpIN3c108BFloat16EEEPKSK_lEENS0_5tupleIJPlS6_EEENSP_IJSD_SD_EEES6_PiJS6_EEE10hipError_tPvRmT3_T4_T5_T6_T7_T9_mT8_P12ihipStream_tbDpT10_ENKUlT_T0_E_clISt17integral_constantIbLb1EES1D_EEDaS18_S19_EUlS18_E_NS1_11comp_targetILNS1_3genE8ELNS1_11target_archE1030ELNS1_3gpuE2ELNS1_3repE0EEENS1_30default_config_static_selectorELNS0_4arch9wavefront6targetE0EEEvT1_.numbered_sgpr, 0
	.set _ZN7rocprim17ROCPRIM_400000_NS6detail17trampoline_kernelINS0_14default_configENS1_25partition_config_selectorILNS1_17partition_subalgoE5ElNS0_10empty_typeEbEEZZNS1_14partition_implILS5_5ELb0ES3_mN6hipcub16HIPCUB_304000_NS21CountingInputIteratorIllEEPS6_NSA_22TransformInputIteratorIbN2at6native12_GLOBAL__N_19NonZeroOpIN3c108BFloat16EEEPKSK_lEENS0_5tupleIJPlS6_EEENSP_IJSD_SD_EEES6_PiJS6_EEE10hipError_tPvRmT3_T4_T5_T6_T7_T9_mT8_P12ihipStream_tbDpT10_ENKUlT_T0_E_clISt17integral_constantIbLb1EES1D_EEDaS18_S19_EUlS18_E_NS1_11comp_targetILNS1_3genE8ELNS1_11target_archE1030ELNS1_3gpuE2ELNS1_3repE0EEENS1_30default_config_static_selectorELNS0_4arch9wavefront6targetE0EEEvT1_.num_named_barrier, 0
	.set _ZN7rocprim17ROCPRIM_400000_NS6detail17trampoline_kernelINS0_14default_configENS1_25partition_config_selectorILNS1_17partition_subalgoE5ElNS0_10empty_typeEbEEZZNS1_14partition_implILS5_5ELb0ES3_mN6hipcub16HIPCUB_304000_NS21CountingInputIteratorIllEEPS6_NSA_22TransformInputIteratorIbN2at6native12_GLOBAL__N_19NonZeroOpIN3c108BFloat16EEEPKSK_lEENS0_5tupleIJPlS6_EEENSP_IJSD_SD_EEES6_PiJS6_EEE10hipError_tPvRmT3_T4_T5_T6_T7_T9_mT8_P12ihipStream_tbDpT10_ENKUlT_T0_E_clISt17integral_constantIbLb1EES1D_EEDaS18_S19_EUlS18_E_NS1_11comp_targetILNS1_3genE8ELNS1_11target_archE1030ELNS1_3gpuE2ELNS1_3repE0EEENS1_30default_config_static_selectorELNS0_4arch9wavefront6targetE0EEEvT1_.private_seg_size, 0
	.set _ZN7rocprim17ROCPRIM_400000_NS6detail17trampoline_kernelINS0_14default_configENS1_25partition_config_selectorILNS1_17partition_subalgoE5ElNS0_10empty_typeEbEEZZNS1_14partition_implILS5_5ELb0ES3_mN6hipcub16HIPCUB_304000_NS21CountingInputIteratorIllEEPS6_NSA_22TransformInputIteratorIbN2at6native12_GLOBAL__N_19NonZeroOpIN3c108BFloat16EEEPKSK_lEENS0_5tupleIJPlS6_EEENSP_IJSD_SD_EEES6_PiJS6_EEE10hipError_tPvRmT3_T4_T5_T6_T7_T9_mT8_P12ihipStream_tbDpT10_ENKUlT_T0_E_clISt17integral_constantIbLb1EES1D_EEDaS18_S19_EUlS18_E_NS1_11comp_targetILNS1_3genE8ELNS1_11target_archE1030ELNS1_3gpuE2ELNS1_3repE0EEENS1_30default_config_static_selectorELNS0_4arch9wavefront6targetE0EEEvT1_.uses_vcc, 0
	.set _ZN7rocprim17ROCPRIM_400000_NS6detail17trampoline_kernelINS0_14default_configENS1_25partition_config_selectorILNS1_17partition_subalgoE5ElNS0_10empty_typeEbEEZZNS1_14partition_implILS5_5ELb0ES3_mN6hipcub16HIPCUB_304000_NS21CountingInputIteratorIllEEPS6_NSA_22TransformInputIteratorIbN2at6native12_GLOBAL__N_19NonZeroOpIN3c108BFloat16EEEPKSK_lEENS0_5tupleIJPlS6_EEENSP_IJSD_SD_EEES6_PiJS6_EEE10hipError_tPvRmT3_T4_T5_T6_T7_T9_mT8_P12ihipStream_tbDpT10_ENKUlT_T0_E_clISt17integral_constantIbLb1EES1D_EEDaS18_S19_EUlS18_E_NS1_11comp_targetILNS1_3genE8ELNS1_11target_archE1030ELNS1_3gpuE2ELNS1_3repE0EEENS1_30default_config_static_selectorELNS0_4arch9wavefront6targetE0EEEvT1_.uses_flat_scratch, 0
	.set _ZN7rocprim17ROCPRIM_400000_NS6detail17trampoline_kernelINS0_14default_configENS1_25partition_config_selectorILNS1_17partition_subalgoE5ElNS0_10empty_typeEbEEZZNS1_14partition_implILS5_5ELb0ES3_mN6hipcub16HIPCUB_304000_NS21CountingInputIteratorIllEEPS6_NSA_22TransformInputIteratorIbN2at6native12_GLOBAL__N_19NonZeroOpIN3c108BFloat16EEEPKSK_lEENS0_5tupleIJPlS6_EEENSP_IJSD_SD_EEES6_PiJS6_EEE10hipError_tPvRmT3_T4_T5_T6_T7_T9_mT8_P12ihipStream_tbDpT10_ENKUlT_T0_E_clISt17integral_constantIbLb1EES1D_EEDaS18_S19_EUlS18_E_NS1_11comp_targetILNS1_3genE8ELNS1_11target_archE1030ELNS1_3gpuE2ELNS1_3repE0EEENS1_30default_config_static_selectorELNS0_4arch9wavefront6targetE0EEEvT1_.has_dyn_sized_stack, 0
	.set _ZN7rocprim17ROCPRIM_400000_NS6detail17trampoline_kernelINS0_14default_configENS1_25partition_config_selectorILNS1_17partition_subalgoE5ElNS0_10empty_typeEbEEZZNS1_14partition_implILS5_5ELb0ES3_mN6hipcub16HIPCUB_304000_NS21CountingInputIteratorIllEEPS6_NSA_22TransformInputIteratorIbN2at6native12_GLOBAL__N_19NonZeroOpIN3c108BFloat16EEEPKSK_lEENS0_5tupleIJPlS6_EEENSP_IJSD_SD_EEES6_PiJS6_EEE10hipError_tPvRmT3_T4_T5_T6_T7_T9_mT8_P12ihipStream_tbDpT10_ENKUlT_T0_E_clISt17integral_constantIbLb1EES1D_EEDaS18_S19_EUlS18_E_NS1_11comp_targetILNS1_3genE8ELNS1_11target_archE1030ELNS1_3gpuE2ELNS1_3repE0EEENS1_30default_config_static_selectorELNS0_4arch9wavefront6targetE0EEEvT1_.has_recursion, 0
	.set _ZN7rocprim17ROCPRIM_400000_NS6detail17trampoline_kernelINS0_14default_configENS1_25partition_config_selectorILNS1_17partition_subalgoE5ElNS0_10empty_typeEbEEZZNS1_14partition_implILS5_5ELb0ES3_mN6hipcub16HIPCUB_304000_NS21CountingInputIteratorIllEEPS6_NSA_22TransformInputIteratorIbN2at6native12_GLOBAL__N_19NonZeroOpIN3c108BFloat16EEEPKSK_lEENS0_5tupleIJPlS6_EEENSP_IJSD_SD_EEES6_PiJS6_EEE10hipError_tPvRmT3_T4_T5_T6_T7_T9_mT8_P12ihipStream_tbDpT10_ENKUlT_T0_E_clISt17integral_constantIbLb1EES1D_EEDaS18_S19_EUlS18_E_NS1_11comp_targetILNS1_3genE8ELNS1_11target_archE1030ELNS1_3gpuE2ELNS1_3repE0EEENS1_30default_config_static_selectorELNS0_4arch9wavefront6targetE0EEEvT1_.has_indirect_call, 0
	.section	.AMDGPU.csdata,"",@progbits
; Kernel info:
; codeLenInByte = 0
; TotalNumSgprs: 0
; NumVgprs: 0
; ScratchSize: 0
; MemoryBound: 0
; FloatMode: 240
; IeeeMode: 1
; LDSByteSize: 0 bytes/workgroup (compile time only)
; SGPRBlocks: 0
; VGPRBlocks: 0
; NumSGPRsForWavesPerEU: 1
; NumVGPRsForWavesPerEU: 1
; Occupancy: 16
; WaveLimiterHint : 0
; COMPUTE_PGM_RSRC2:SCRATCH_EN: 0
; COMPUTE_PGM_RSRC2:USER_SGPR: 2
; COMPUTE_PGM_RSRC2:TRAP_HANDLER: 0
; COMPUTE_PGM_RSRC2:TGID_X_EN: 1
; COMPUTE_PGM_RSRC2:TGID_Y_EN: 0
; COMPUTE_PGM_RSRC2:TGID_Z_EN: 0
; COMPUTE_PGM_RSRC2:TIDIG_COMP_CNT: 0
	.section	.text._ZN7rocprim17ROCPRIM_400000_NS6detail17trampoline_kernelINS0_14default_configENS1_25partition_config_selectorILNS1_17partition_subalgoE5ElNS0_10empty_typeEbEEZZNS1_14partition_implILS5_5ELb0ES3_mN6hipcub16HIPCUB_304000_NS21CountingInputIteratorIllEEPS6_NSA_22TransformInputIteratorIbN2at6native12_GLOBAL__N_19NonZeroOpIN3c108BFloat16EEEPKSK_lEENS0_5tupleIJPlS6_EEENSP_IJSD_SD_EEES6_PiJS6_EEE10hipError_tPvRmT3_T4_T5_T6_T7_T9_mT8_P12ihipStream_tbDpT10_ENKUlT_T0_E_clISt17integral_constantIbLb1EES1C_IbLb0EEEEDaS18_S19_EUlS18_E_NS1_11comp_targetILNS1_3genE0ELNS1_11target_archE4294967295ELNS1_3gpuE0ELNS1_3repE0EEENS1_30default_config_static_selectorELNS0_4arch9wavefront6targetE0EEEvT1_,"axG",@progbits,_ZN7rocprim17ROCPRIM_400000_NS6detail17trampoline_kernelINS0_14default_configENS1_25partition_config_selectorILNS1_17partition_subalgoE5ElNS0_10empty_typeEbEEZZNS1_14partition_implILS5_5ELb0ES3_mN6hipcub16HIPCUB_304000_NS21CountingInputIteratorIllEEPS6_NSA_22TransformInputIteratorIbN2at6native12_GLOBAL__N_19NonZeroOpIN3c108BFloat16EEEPKSK_lEENS0_5tupleIJPlS6_EEENSP_IJSD_SD_EEES6_PiJS6_EEE10hipError_tPvRmT3_T4_T5_T6_T7_T9_mT8_P12ihipStream_tbDpT10_ENKUlT_T0_E_clISt17integral_constantIbLb1EES1C_IbLb0EEEEDaS18_S19_EUlS18_E_NS1_11comp_targetILNS1_3genE0ELNS1_11target_archE4294967295ELNS1_3gpuE0ELNS1_3repE0EEENS1_30default_config_static_selectorELNS0_4arch9wavefront6targetE0EEEvT1_,comdat
	.globl	_ZN7rocprim17ROCPRIM_400000_NS6detail17trampoline_kernelINS0_14default_configENS1_25partition_config_selectorILNS1_17partition_subalgoE5ElNS0_10empty_typeEbEEZZNS1_14partition_implILS5_5ELb0ES3_mN6hipcub16HIPCUB_304000_NS21CountingInputIteratorIllEEPS6_NSA_22TransformInputIteratorIbN2at6native12_GLOBAL__N_19NonZeroOpIN3c108BFloat16EEEPKSK_lEENS0_5tupleIJPlS6_EEENSP_IJSD_SD_EEES6_PiJS6_EEE10hipError_tPvRmT3_T4_T5_T6_T7_T9_mT8_P12ihipStream_tbDpT10_ENKUlT_T0_E_clISt17integral_constantIbLb1EES1C_IbLb0EEEEDaS18_S19_EUlS18_E_NS1_11comp_targetILNS1_3genE0ELNS1_11target_archE4294967295ELNS1_3gpuE0ELNS1_3repE0EEENS1_30default_config_static_selectorELNS0_4arch9wavefront6targetE0EEEvT1_ ; -- Begin function _ZN7rocprim17ROCPRIM_400000_NS6detail17trampoline_kernelINS0_14default_configENS1_25partition_config_selectorILNS1_17partition_subalgoE5ElNS0_10empty_typeEbEEZZNS1_14partition_implILS5_5ELb0ES3_mN6hipcub16HIPCUB_304000_NS21CountingInputIteratorIllEEPS6_NSA_22TransformInputIteratorIbN2at6native12_GLOBAL__N_19NonZeroOpIN3c108BFloat16EEEPKSK_lEENS0_5tupleIJPlS6_EEENSP_IJSD_SD_EEES6_PiJS6_EEE10hipError_tPvRmT3_T4_T5_T6_T7_T9_mT8_P12ihipStream_tbDpT10_ENKUlT_T0_E_clISt17integral_constantIbLb1EES1C_IbLb0EEEEDaS18_S19_EUlS18_E_NS1_11comp_targetILNS1_3genE0ELNS1_11target_archE4294967295ELNS1_3gpuE0ELNS1_3repE0EEENS1_30default_config_static_selectorELNS0_4arch9wavefront6targetE0EEEvT1_
	.p2align	8
	.type	_ZN7rocprim17ROCPRIM_400000_NS6detail17trampoline_kernelINS0_14default_configENS1_25partition_config_selectorILNS1_17partition_subalgoE5ElNS0_10empty_typeEbEEZZNS1_14partition_implILS5_5ELb0ES3_mN6hipcub16HIPCUB_304000_NS21CountingInputIteratorIllEEPS6_NSA_22TransformInputIteratorIbN2at6native12_GLOBAL__N_19NonZeroOpIN3c108BFloat16EEEPKSK_lEENS0_5tupleIJPlS6_EEENSP_IJSD_SD_EEES6_PiJS6_EEE10hipError_tPvRmT3_T4_T5_T6_T7_T9_mT8_P12ihipStream_tbDpT10_ENKUlT_T0_E_clISt17integral_constantIbLb1EES1C_IbLb0EEEEDaS18_S19_EUlS18_E_NS1_11comp_targetILNS1_3genE0ELNS1_11target_archE4294967295ELNS1_3gpuE0ELNS1_3repE0EEENS1_30default_config_static_selectorELNS0_4arch9wavefront6targetE0EEEvT1_,@function
_ZN7rocprim17ROCPRIM_400000_NS6detail17trampoline_kernelINS0_14default_configENS1_25partition_config_selectorILNS1_17partition_subalgoE5ElNS0_10empty_typeEbEEZZNS1_14partition_implILS5_5ELb0ES3_mN6hipcub16HIPCUB_304000_NS21CountingInputIteratorIllEEPS6_NSA_22TransformInputIteratorIbN2at6native12_GLOBAL__N_19NonZeroOpIN3c108BFloat16EEEPKSK_lEENS0_5tupleIJPlS6_EEENSP_IJSD_SD_EEES6_PiJS6_EEE10hipError_tPvRmT3_T4_T5_T6_T7_T9_mT8_P12ihipStream_tbDpT10_ENKUlT_T0_E_clISt17integral_constantIbLb1EES1C_IbLb0EEEEDaS18_S19_EUlS18_E_NS1_11comp_targetILNS1_3genE0ELNS1_11target_archE4294967295ELNS1_3gpuE0ELNS1_3repE0EEENS1_30default_config_static_selectorELNS0_4arch9wavefront6targetE0EEEvT1_: ; @_ZN7rocprim17ROCPRIM_400000_NS6detail17trampoline_kernelINS0_14default_configENS1_25partition_config_selectorILNS1_17partition_subalgoE5ElNS0_10empty_typeEbEEZZNS1_14partition_implILS5_5ELb0ES3_mN6hipcub16HIPCUB_304000_NS21CountingInputIteratorIllEEPS6_NSA_22TransformInputIteratorIbN2at6native12_GLOBAL__N_19NonZeroOpIN3c108BFloat16EEEPKSK_lEENS0_5tupleIJPlS6_EEENSP_IJSD_SD_EEES6_PiJS6_EEE10hipError_tPvRmT3_T4_T5_T6_T7_T9_mT8_P12ihipStream_tbDpT10_ENKUlT_T0_E_clISt17integral_constantIbLb1EES1C_IbLb0EEEEDaS18_S19_EUlS18_E_NS1_11comp_targetILNS1_3genE0ELNS1_11target_archE4294967295ELNS1_3gpuE0ELNS1_3repE0EEENS1_30default_config_static_selectorELNS0_4arch9wavefront6targetE0EEEvT1_
; %bb.0:
	.section	.rodata,"a",@progbits
	.p2align	6, 0x0
	.amdhsa_kernel _ZN7rocprim17ROCPRIM_400000_NS6detail17trampoline_kernelINS0_14default_configENS1_25partition_config_selectorILNS1_17partition_subalgoE5ElNS0_10empty_typeEbEEZZNS1_14partition_implILS5_5ELb0ES3_mN6hipcub16HIPCUB_304000_NS21CountingInputIteratorIllEEPS6_NSA_22TransformInputIteratorIbN2at6native12_GLOBAL__N_19NonZeroOpIN3c108BFloat16EEEPKSK_lEENS0_5tupleIJPlS6_EEENSP_IJSD_SD_EEES6_PiJS6_EEE10hipError_tPvRmT3_T4_T5_T6_T7_T9_mT8_P12ihipStream_tbDpT10_ENKUlT_T0_E_clISt17integral_constantIbLb1EES1C_IbLb0EEEEDaS18_S19_EUlS18_E_NS1_11comp_targetILNS1_3genE0ELNS1_11target_archE4294967295ELNS1_3gpuE0ELNS1_3repE0EEENS1_30default_config_static_selectorELNS0_4arch9wavefront6targetE0EEEvT1_
		.amdhsa_group_segment_fixed_size 0
		.amdhsa_private_segment_fixed_size 0
		.amdhsa_kernarg_size 120
		.amdhsa_user_sgpr_count 2
		.amdhsa_user_sgpr_dispatch_ptr 0
		.amdhsa_user_sgpr_queue_ptr 0
		.amdhsa_user_sgpr_kernarg_segment_ptr 1
		.amdhsa_user_sgpr_dispatch_id 0
		.amdhsa_user_sgpr_private_segment_size 0
		.amdhsa_wavefront_size32 1
		.amdhsa_uses_dynamic_stack 0
		.amdhsa_enable_private_segment 0
		.amdhsa_system_sgpr_workgroup_id_x 1
		.amdhsa_system_sgpr_workgroup_id_y 0
		.amdhsa_system_sgpr_workgroup_id_z 0
		.amdhsa_system_sgpr_workgroup_info 0
		.amdhsa_system_vgpr_workitem_id 0
		.amdhsa_next_free_vgpr 1
		.amdhsa_next_free_sgpr 1
		.amdhsa_reserve_vcc 0
		.amdhsa_float_round_mode_32 0
		.amdhsa_float_round_mode_16_64 0
		.amdhsa_float_denorm_mode_32 3
		.amdhsa_float_denorm_mode_16_64 3
		.amdhsa_fp16_overflow 0
		.amdhsa_workgroup_processor_mode 1
		.amdhsa_memory_ordered 1
		.amdhsa_forward_progress 1
		.amdhsa_inst_pref_size 0
		.amdhsa_round_robin_scheduling 0
		.amdhsa_exception_fp_ieee_invalid_op 0
		.amdhsa_exception_fp_denorm_src 0
		.amdhsa_exception_fp_ieee_div_zero 0
		.amdhsa_exception_fp_ieee_overflow 0
		.amdhsa_exception_fp_ieee_underflow 0
		.amdhsa_exception_fp_ieee_inexact 0
		.amdhsa_exception_int_div_zero 0
	.end_amdhsa_kernel
	.section	.text._ZN7rocprim17ROCPRIM_400000_NS6detail17trampoline_kernelINS0_14default_configENS1_25partition_config_selectorILNS1_17partition_subalgoE5ElNS0_10empty_typeEbEEZZNS1_14partition_implILS5_5ELb0ES3_mN6hipcub16HIPCUB_304000_NS21CountingInputIteratorIllEEPS6_NSA_22TransformInputIteratorIbN2at6native12_GLOBAL__N_19NonZeroOpIN3c108BFloat16EEEPKSK_lEENS0_5tupleIJPlS6_EEENSP_IJSD_SD_EEES6_PiJS6_EEE10hipError_tPvRmT3_T4_T5_T6_T7_T9_mT8_P12ihipStream_tbDpT10_ENKUlT_T0_E_clISt17integral_constantIbLb1EES1C_IbLb0EEEEDaS18_S19_EUlS18_E_NS1_11comp_targetILNS1_3genE0ELNS1_11target_archE4294967295ELNS1_3gpuE0ELNS1_3repE0EEENS1_30default_config_static_selectorELNS0_4arch9wavefront6targetE0EEEvT1_,"axG",@progbits,_ZN7rocprim17ROCPRIM_400000_NS6detail17trampoline_kernelINS0_14default_configENS1_25partition_config_selectorILNS1_17partition_subalgoE5ElNS0_10empty_typeEbEEZZNS1_14partition_implILS5_5ELb0ES3_mN6hipcub16HIPCUB_304000_NS21CountingInputIteratorIllEEPS6_NSA_22TransformInputIteratorIbN2at6native12_GLOBAL__N_19NonZeroOpIN3c108BFloat16EEEPKSK_lEENS0_5tupleIJPlS6_EEENSP_IJSD_SD_EEES6_PiJS6_EEE10hipError_tPvRmT3_T4_T5_T6_T7_T9_mT8_P12ihipStream_tbDpT10_ENKUlT_T0_E_clISt17integral_constantIbLb1EES1C_IbLb0EEEEDaS18_S19_EUlS18_E_NS1_11comp_targetILNS1_3genE0ELNS1_11target_archE4294967295ELNS1_3gpuE0ELNS1_3repE0EEENS1_30default_config_static_selectorELNS0_4arch9wavefront6targetE0EEEvT1_,comdat
.Lfunc_end814:
	.size	_ZN7rocprim17ROCPRIM_400000_NS6detail17trampoline_kernelINS0_14default_configENS1_25partition_config_selectorILNS1_17partition_subalgoE5ElNS0_10empty_typeEbEEZZNS1_14partition_implILS5_5ELb0ES3_mN6hipcub16HIPCUB_304000_NS21CountingInputIteratorIllEEPS6_NSA_22TransformInputIteratorIbN2at6native12_GLOBAL__N_19NonZeroOpIN3c108BFloat16EEEPKSK_lEENS0_5tupleIJPlS6_EEENSP_IJSD_SD_EEES6_PiJS6_EEE10hipError_tPvRmT3_T4_T5_T6_T7_T9_mT8_P12ihipStream_tbDpT10_ENKUlT_T0_E_clISt17integral_constantIbLb1EES1C_IbLb0EEEEDaS18_S19_EUlS18_E_NS1_11comp_targetILNS1_3genE0ELNS1_11target_archE4294967295ELNS1_3gpuE0ELNS1_3repE0EEENS1_30default_config_static_selectorELNS0_4arch9wavefront6targetE0EEEvT1_, .Lfunc_end814-_ZN7rocprim17ROCPRIM_400000_NS6detail17trampoline_kernelINS0_14default_configENS1_25partition_config_selectorILNS1_17partition_subalgoE5ElNS0_10empty_typeEbEEZZNS1_14partition_implILS5_5ELb0ES3_mN6hipcub16HIPCUB_304000_NS21CountingInputIteratorIllEEPS6_NSA_22TransformInputIteratorIbN2at6native12_GLOBAL__N_19NonZeroOpIN3c108BFloat16EEEPKSK_lEENS0_5tupleIJPlS6_EEENSP_IJSD_SD_EEES6_PiJS6_EEE10hipError_tPvRmT3_T4_T5_T6_T7_T9_mT8_P12ihipStream_tbDpT10_ENKUlT_T0_E_clISt17integral_constantIbLb1EES1C_IbLb0EEEEDaS18_S19_EUlS18_E_NS1_11comp_targetILNS1_3genE0ELNS1_11target_archE4294967295ELNS1_3gpuE0ELNS1_3repE0EEENS1_30default_config_static_selectorELNS0_4arch9wavefront6targetE0EEEvT1_
                                        ; -- End function
	.set _ZN7rocprim17ROCPRIM_400000_NS6detail17trampoline_kernelINS0_14default_configENS1_25partition_config_selectorILNS1_17partition_subalgoE5ElNS0_10empty_typeEbEEZZNS1_14partition_implILS5_5ELb0ES3_mN6hipcub16HIPCUB_304000_NS21CountingInputIteratorIllEEPS6_NSA_22TransformInputIteratorIbN2at6native12_GLOBAL__N_19NonZeroOpIN3c108BFloat16EEEPKSK_lEENS0_5tupleIJPlS6_EEENSP_IJSD_SD_EEES6_PiJS6_EEE10hipError_tPvRmT3_T4_T5_T6_T7_T9_mT8_P12ihipStream_tbDpT10_ENKUlT_T0_E_clISt17integral_constantIbLb1EES1C_IbLb0EEEEDaS18_S19_EUlS18_E_NS1_11comp_targetILNS1_3genE0ELNS1_11target_archE4294967295ELNS1_3gpuE0ELNS1_3repE0EEENS1_30default_config_static_selectorELNS0_4arch9wavefront6targetE0EEEvT1_.num_vgpr, 0
	.set _ZN7rocprim17ROCPRIM_400000_NS6detail17trampoline_kernelINS0_14default_configENS1_25partition_config_selectorILNS1_17partition_subalgoE5ElNS0_10empty_typeEbEEZZNS1_14partition_implILS5_5ELb0ES3_mN6hipcub16HIPCUB_304000_NS21CountingInputIteratorIllEEPS6_NSA_22TransformInputIteratorIbN2at6native12_GLOBAL__N_19NonZeroOpIN3c108BFloat16EEEPKSK_lEENS0_5tupleIJPlS6_EEENSP_IJSD_SD_EEES6_PiJS6_EEE10hipError_tPvRmT3_T4_T5_T6_T7_T9_mT8_P12ihipStream_tbDpT10_ENKUlT_T0_E_clISt17integral_constantIbLb1EES1C_IbLb0EEEEDaS18_S19_EUlS18_E_NS1_11comp_targetILNS1_3genE0ELNS1_11target_archE4294967295ELNS1_3gpuE0ELNS1_3repE0EEENS1_30default_config_static_selectorELNS0_4arch9wavefront6targetE0EEEvT1_.num_agpr, 0
	.set _ZN7rocprim17ROCPRIM_400000_NS6detail17trampoline_kernelINS0_14default_configENS1_25partition_config_selectorILNS1_17partition_subalgoE5ElNS0_10empty_typeEbEEZZNS1_14partition_implILS5_5ELb0ES3_mN6hipcub16HIPCUB_304000_NS21CountingInputIteratorIllEEPS6_NSA_22TransformInputIteratorIbN2at6native12_GLOBAL__N_19NonZeroOpIN3c108BFloat16EEEPKSK_lEENS0_5tupleIJPlS6_EEENSP_IJSD_SD_EEES6_PiJS6_EEE10hipError_tPvRmT3_T4_T5_T6_T7_T9_mT8_P12ihipStream_tbDpT10_ENKUlT_T0_E_clISt17integral_constantIbLb1EES1C_IbLb0EEEEDaS18_S19_EUlS18_E_NS1_11comp_targetILNS1_3genE0ELNS1_11target_archE4294967295ELNS1_3gpuE0ELNS1_3repE0EEENS1_30default_config_static_selectorELNS0_4arch9wavefront6targetE0EEEvT1_.numbered_sgpr, 0
	.set _ZN7rocprim17ROCPRIM_400000_NS6detail17trampoline_kernelINS0_14default_configENS1_25partition_config_selectorILNS1_17partition_subalgoE5ElNS0_10empty_typeEbEEZZNS1_14partition_implILS5_5ELb0ES3_mN6hipcub16HIPCUB_304000_NS21CountingInputIteratorIllEEPS6_NSA_22TransformInputIteratorIbN2at6native12_GLOBAL__N_19NonZeroOpIN3c108BFloat16EEEPKSK_lEENS0_5tupleIJPlS6_EEENSP_IJSD_SD_EEES6_PiJS6_EEE10hipError_tPvRmT3_T4_T5_T6_T7_T9_mT8_P12ihipStream_tbDpT10_ENKUlT_T0_E_clISt17integral_constantIbLb1EES1C_IbLb0EEEEDaS18_S19_EUlS18_E_NS1_11comp_targetILNS1_3genE0ELNS1_11target_archE4294967295ELNS1_3gpuE0ELNS1_3repE0EEENS1_30default_config_static_selectorELNS0_4arch9wavefront6targetE0EEEvT1_.num_named_barrier, 0
	.set _ZN7rocprim17ROCPRIM_400000_NS6detail17trampoline_kernelINS0_14default_configENS1_25partition_config_selectorILNS1_17partition_subalgoE5ElNS0_10empty_typeEbEEZZNS1_14partition_implILS5_5ELb0ES3_mN6hipcub16HIPCUB_304000_NS21CountingInputIteratorIllEEPS6_NSA_22TransformInputIteratorIbN2at6native12_GLOBAL__N_19NonZeroOpIN3c108BFloat16EEEPKSK_lEENS0_5tupleIJPlS6_EEENSP_IJSD_SD_EEES6_PiJS6_EEE10hipError_tPvRmT3_T4_T5_T6_T7_T9_mT8_P12ihipStream_tbDpT10_ENKUlT_T0_E_clISt17integral_constantIbLb1EES1C_IbLb0EEEEDaS18_S19_EUlS18_E_NS1_11comp_targetILNS1_3genE0ELNS1_11target_archE4294967295ELNS1_3gpuE0ELNS1_3repE0EEENS1_30default_config_static_selectorELNS0_4arch9wavefront6targetE0EEEvT1_.private_seg_size, 0
	.set _ZN7rocprim17ROCPRIM_400000_NS6detail17trampoline_kernelINS0_14default_configENS1_25partition_config_selectorILNS1_17partition_subalgoE5ElNS0_10empty_typeEbEEZZNS1_14partition_implILS5_5ELb0ES3_mN6hipcub16HIPCUB_304000_NS21CountingInputIteratorIllEEPS6_NSA_22TransformInputIteratorIbN2at6native12_GLOBAL__N_19NonZeroOpIN3c108BFloat16EEEPKSK_lEENS0_5tupleIJPlS6_EEENSP_IJSD_SD_EEES6_PiJS6_EEE10hipError_tPvRmT3_T4_T5_T6_T7_T9_mT8_P12ihipStream_tbDpT10_ENKUlT_T0_E_clISt17integral_constantIbLb1EES1C_IbLb0EEEEDaS18_S19_EUlS18_E_NS1_11comp_targetILNS1_3genE0ELNS1_11target_archE4294967295ELNS1_3gpuE0ELNS1_3repE0EEENS1_30default_config_static_selectorELNS0_4arch9wavefront6targetE0EEEvT1_.uses_vcc, 0
	.set _ZN7rocprim17ROCPRIM_400000_NS6detail17trampoline_kernelINS0_14default_configENS1_25partition_config_selectorILNS1_17partition_subalgoE5ElNS0_10empty_typeEbEEZZNS1_14partition_implILS5_5ELb0ES3_mN6hipcub16HIPCUB_304000_NS21CountingInputIteratorIllEEPS6_NSA_22TransformInputIteratorIbN2at6native12_GLOBAL__N_19NonZeroOpIN3c108BFloat16EEEPKSK_lEENS0_5tupleIJPlS6_EEENSP_IJSD_SD_EEES6_PiJS6_EEE10hipError_tPvRmT3_T4_T5_T6_T7_T9_mT8_P12ihipStream_tbDpT10_ENKUlT_T0_E_clISt17integral_constantIbLb1EES1C_IbLb0EEEEDaS18_S19_EUlS18_E_NS1_11comp_targetILNS1_3genE0ELNS1_11target_archE4294967295ELNS1_3gpuE0ELNS1_3repE0EEENS1_30default_config_static_selectorELNS0_4arch9wavefront6targetE0EEEvT1_.uses_flat_scratch, 0
	.set _ZN7rocprim17ROCPRIM_400000_NS6detail17trampoline_kernelINS0_14default_configENS1_25partition_config_selectorILNS1_17partition_subalgoE5ElNS0_10empty_typeEbEEZZNS1_14partition_implILS5_5ELb0ES3_mN6hipcub16HIPCUB_304000_NS21CountingInputIteratorIllEEPS6_NSA_22TransformInputIteratorIbN2at6native12_GLOBAL__N_19NonZeroOpIN3c108BFloat16EEEPKSK_lEENS0_5tupleIJPlS6_EEENSP_IJSD_SD_EEES6_PiJS6_EEE10hipError_tPvRmT3_T4_T5_T6_T7_T9_mT8_P12ihipStream_tbDpT10_ENKUlT_T0_E_clISt17integral_constantIbLb1EES1C_IbLb0EEEEDaS18_S19_EUlS18_E_NS1_11comp_targetILNS1_3genE0ELNS1_11target_archE4294967295ELNS1_3gpuE0ELNS1_3repE0EEENS1_30default_config_static_selectorELNS0_4arch9wavefront6targetE0EEEvT1_.has_dyn_sized_stack, 0
	.set _ZN7rocprim17ROCPRIM_400000_NS6detail17trampoline_kernelINS0_14default_configENS1_25partition_config_selectorILNS1_17partition_subalgoE5ElNS0_10empty_typeEbEEZZNS1_14partition_implILS5_5ELb0ES3_mN6hipcub16HIPCUB_304000_NS21CountingInputIteratorIllEEPS6_NSA_22TransformInputIteratorIbN2at6native12_GLOBAL__N_19NonZeroOpIN3c108BFloat16EEEPKSK_lEENS0_5tupleIJPlS6_EEENSP_IJSD_SD_EEES6_PiJS6_EEE10hipError_tPvRmT3_T4_T5_T6_T7_T9_mT8_P12ihipStream_tbDpT10_ENKUlT_T0_E_clISt17integral_constantIbLb1EES1C_IbLb0EEEEDaS18_S19_EUlS18_E_NS1_11comp_targetILNS1_3genE0ELNS1_11target_archE4294967295ELNS1_3gpuE0ELNS1_3repE0EEENS1_30default_config_static_selectorELNS0_4arch9wavefront6targetE0EEEvT1_.has_recursion, 0
	.set _ZN7rocprim17ROCPRIM_400000_NS6detail17trampoline_kernelINS0_14default_configENS1_25partition_config_selectorILNS1_17partition_subalgoE5ElNS0_10empty_typeEbEEZZNS1_14partition_implILS5_5ELb0ES3_mN6hipcub16HIPCUB_304000_NS21CountingInputIteratorIllEEPS6_NSA_22TransformInputIteratorIbN2at6native12_GLOBAL__N_19NonZeroOpIN3c108BFloat16EEEPKSK_lEENS0_5tupleIJPlS6_EEENSP_IJSD_SD_EEES6_PiJS6_EEE10hipError_tPvRmT3_T4_T5_T6_T7_T9_mT8_P12ihipStream_tbDpT10_ENKUlT_T0_E_clISt17integral_constantIbLb1EES1C_IbLb0EEEEDaS18_S19_EUlS18_E_NS1_11comp_targetILNS1_3genE0ELNS1_11target_archE4294967295ELNS1_3gpuE0ELNS1_3repE0EEENS1_30default_config_static_selectorELNS0_4arch9wavefront6targetE0EEEvT1_.has_indirect_call, 0
	.section	.AMDGPU.csdata,"",@progbits
; Kernel info:
; codeLenInByte = 0
; TotalNumSgprs: 0
; NumVgprs: 0
; ScratchSize: 0
; MemoryBound: 0
; FloatMode: 240
; IeeeMode: 1
; LDSByteSize: 0 bytes/workgroup (compile time only)
; SGPRBlocks: 0
; VGPRBlocks: 0
; NumSGPRsForWavesPerEU: 1
; NumVGPRsForWavesPerEU: 1
; Occupancy: 16
; WaveLimiterHint : 0
; COMPUTE_PGM_RSRC2:SCRATCH_EN: 0
; COMPUTE_PGM_RSRC2:USER_SGPR: 2
; COMPUTE_PGM_RSRC2:TRAP_HANDLER: 0
; COMPUTE_PGM_RSRC2:TGID_X_EN: 1
; COMPUTE_PGM_RSRC2:TGID_Y_EN: 0
; COMPUTE_PGM_RSRC2:TGID_Z_EN: 0
; COMPUTE_PGM_RSRC2:TIDIG_COMP_CNT: 0
	.section	.text._ZN7rocprim17ROCPRIM_400000_NS6detail17trampoline_kernelINS0_14default_configENS1_25partition_config_selectorILNS1_17partition_subalgoE5ElNS0_10empty_typeEbEEZZNS1_14partition_implILS5_5ELb0ES3_mN6hipcub16HIPCUB_304000_NS21CountingInputIteratorIllEEPS6_NSA_22TransformInputIteratorIbN2at6native12_GLOBAL__N_19NonZeroOpIN3c108BFloat16EEEPKSK_lEENS0_5tupleIJPlS6_EEENSP_IJSD_SD_EEES6_PiJS6_EEE10hipError_tPvRmT3_T4_T5_T6_T7_T9_mT8_P12ihipStream_tbDpT10_ENKUlT_T0_E_clISt17integral_constantIbLb1EES1C_IbLb0EEEEDaS18_S19_EUlS18_E_NS1_11comp_targetILNS1_3genE5ELNS1_11target_archE942ELNS1_3gpuE9ELNS1_3repE0EEENS1_30default_config_static_selectorELNS0_4arch9wavefront6targetE0EEEvT1_,"axG",@progbits,_ZN7rocprim17ROCPRIM_400000_NS6detail17trampoline_kernelINS0_14default_configENS1_25partition_config_selectorILNS1_17partition_subalgoE5ElNS0_10empty_typeEbEEZZNS1_14partition_implILS5_5ELb0ES3_mN6hipcub16HIPCUB_304000_NS21CountingInputIteratorIllEEPS6_NSA_22TransformInputIteratorIbN2at6native12_GLOBAL__N_19NonZeroOpIN3c108BFloat16EEEPKSK_lEENS0_5tupleIJPlS6_EEENSP_IJSD_SD_EEES6_PiJS6_EEE10hipError_tPvRmT3_T4_T5_T6_T7_T9_mT8_P12ihipStream_tbDpT10_ENKUlT_T0_E_clISt17integral_constantIbLb1EES1C_IbLb0EEEEDaS18_S19_EUlS18_E_NS1_11comp_targetILNS1_3genE5ELNS1_11target_archE942ELNS1_3gpuE9ELNS1_3repE0EEENS1_30default_config_static_selectorELNS0_4arch9wavefront6targetE0EEEvT1_,comdat
	.globl	_ZN7rocprim17ROCPRIM_400000_NS6detail17trampoline_kernelINS0_14default_configENS1_25partition_config_selectorILNS1_17partition_subalgoE5ElNS0_10empty_typeEbEEZZNS1_14partition_implILS5_5ELb0ES3_mN6hipcub16HIPCUB_304000_NS21CountingInputIteratorIllEEPS6_NSA_22TransformInputIteratorIbN2at6native12_GLOBAL__N_19NonZeroOpIN3c108BFloat16EEEPKSK_lEENS0_5tupleIJPlS6_EEENSP_IJSD_SD_EEES6_PiJS6_EEE10hipError_tPvRmT3_T4_T5_T6_T7_T9_mT8_P12ihipStream_tbDpT10_ENKUlT_T0_E_clISt17integral_constantIbLb1EES1C_IbLb0EEEEDaS18_S19_EUlS18_E_NS1_11comp_targetILNS1_3genE5ELNS1_11target_archE942ELNS1_3gpuE9ELNS1_3repE0EEENS1_30default_config_static_selectorELNS0_4arch9wavefront6targetE0EEEvT1_ ; -- Begin function _ZN7rocprim17ROCPRIM_400000_NS6detail17trampoline_kernelINS0_14default_configENS1_25partition_config_selectorILNS1_17partition_subalgoE5ElNS0_10empty_typeEbEEZZNS1_14partition_implILS5_5ELb0ES3_mN6hipcub16HIPCUB_304000_NS21CountingInputIteratorIllEEPS6_NSA_22TransformInputIteratorIbN2at6native12_GLOBAL__N_19NonZeroOpIN3c108BFloat16EEEPKSK_lEENS0_5tupleIJPlS6_EEENSP_IJSD_SD_EEES6_PiJS6_EEE10hipError_tPvRmT3_T4_T5_T6_T7_T9_mT8_P12ihipStream_tbDpT10_ENKUlT_T0_E_clISt17integral_constantIbLb1EES1C_IbLb0EEEEDaS18_S19_EUlS18_E_NS1_11comp_targetILNS1_3genE5ELNS1_11target_archE942ELNS1_3gpuE9ELNS1_3repE0EEENS1_30default_config_static_selectorELNS0_4arch9wavefront6targetE0EEEvT1_
	.p2align	8
	.type	_ZN7rocprim17ROCPRIM_400000_NS6detail17trampoline_kernelINS0_14default_configENS1_25partition_config_selectorILNS1_17partition_subalgoE5ElNS0_10empty_typeEbEEZZNS1_14partition_implILS5_5ELb0ES3_mN6hipcub16HIPCUB_304000_NS21CountingInputIteratorIllEEPS6_NSA_22TransformInputIteratorIbN2at6native12_GLOBAL__N_19NonZeroOpIN3c108BFloat16EEEPKSK_lEENS0_5tupleIJPlS6_EEENSP_IJSD_SD_EEES6_PiJS6_EEE10hipError_tPvRmT3_T4_T5_T6_T7_T9_mT8_P12ihipStream_tbDpT10_ENKUlT_T0_E_clISt17integral_constantIbLb1EES1C_IbLb0EEEEDaS18_S19_EUlS18_E_NS1_11comp_targetILNS1_3genE5ELNS1_11target_archE942ELNS1_3gpuE9ELNS1_3repE0EEENS1_30default_config_static_selectorELNS0_4arch9wavefront6targetE0EEEvT1_,@function
_ZN7rocprim17ROCPRIM_400000_NS6detail17trampoline_kernelINS0_14default_configENS1_25partition_config_selectorILNS1_17partition_subalgoE5ElNS0_10empty_typeEbEEZZNS1_14partition_implILS5_5ELb0ES3_mN6hipcub16HIPCUB_304000_NS21CountingInputIteratorIllEEPS6_NSA_22TransformInputIteratorIbN2at6native12_GLOBAL__N_19NonZeroOpIN3c108BFloat16EEEPKSK_lEENS0_5tupleIJPlS6_EEENSP_IJSD_SD_EEES6_PiJS6_EEE10hipError_tPvRmT3_T4_T5_T6_T7_T9_mT8_P12ihipStream_tbDpT10_ENKUlT_T0_E_clISt17integral_constantIbLb1EES1C_IbLb0EEEEDaS18_S19_EUlS18_E_NS1_11comp_targetILNS1_3genE5ELNS1_11target_archE942ELNS1_3gpuE9ELNS1_3repE0EEENS1_30default_config_static_selectorELNS0_4arch9wavefront6targetE0EEEvT1_: ; @_ZN7rocprim17ROCPRIM_400000_NS6detail17trampoline_kernelINS0_14default_configENS1_25partition_config_selectorILNS1_17partition_subalgoE5ElNS0_10empty_typeEbEEZZNS1_14partition_implILS5_5ELb0ES3_mN6hipcub16HIPCUB_304000_NS21CountingInputIteratorIllEEPS6_NSA_22TransformInputIteratorIbN2at6native12_GLOBAL__N_19NonZeroOpIN3c108BFloat16EEEPKSK_lEENS0_5tupleIJPlS6_EEENSP_IJSD_SD_EEES6_PiJS6_EEE10hipError_tPvRmT3_T4_T5_T6_T7_T9_mT8_P12ihipStream_tbDpT10_ENKUlT_T0_E_clISt17integral_constantIbLb1EES1C_IbLb0EEEEDaS18_S19_EUlS18_E_NS1_11comp_targetILNS1_3genE5ELNS1_11target_archE942ELNS1_3gpuE9ELNS1_3repE0EEENS1_30default_config_static_selectorELNS0_4arch9wavefront6targetE0EEEvT1_
; %bb.0:
	.section	.rodata,"a",@progbits
	.p2align	6, 0x0
	.amdhsa_kernel _ZN7rocprim17ROCPRIM_400000_NS6detail17trampoline_kernelINS0_14default_configENS1_25partition_config_selectorILNS1_17partition_subalgoE5ElNS0_10empty_typeEbEEZZNS1_14partition_implILS5_5ELb0ES3_mN6hipcub16HIPCUB_304000_NS21CountingInputIteratorIllEEPS6_NSA_22TransformInputIteratorIbN2at6native12_GLOBAL__N_19NonZeroOpIN3c108BFloat16EEEPKSK_lEENS0_5tupleIJPlS6_EEENSP_IJSD_SD_EEES6_PiJS6_EEE10hipError_tPvRmT3_T4_T5_T6_T7_T9_mT8_P12ihipStream_tbDpT10_ENKUlT_T0_E_clISt17integral_constantIbLb1EES1C_IbLb0EEEEDaS18_S19_EUlS18_E_NS1_11comp_targetILNS1_3genE5ELNS1_11target_archE942ELNS1_3gpuE9ELNS1_3repE0EEENS1_30default_config_static_selectorELNS0_4arch9wavefront6targetE0EEEvT1_
		.amdhsa_group_segment_fixed_size 0
		.amdhsa_private_segment_fixed_size 0
		.amdhsa_kernarg_size 120
		.amdhsa_user_sgpr_count 2
		.amdhsa_user_sgpr_dispatch_ptr 0
		.amdhsa_user_sgpr_queue_ptr 0
		.amdhsa_user_sgpr_kernarg_segment_ptr 1
		.amdhsa_user_sgpr_dispatch_id 0
		.amdhsa_user_sgpr_private_segment_size 0
		.amdhsa_wavefront_size32 1
		.amdhsa_uses_dynamic_stack 0
		.amdhsa_enable_private_segment 0
		.amdhsa_system_sgpr_workgroup_id_x 1
		.amdhsa_system_sgpr_workgroup_id_y 0
		.amdhsa_system_sgpr_workgroup_id_z 0
		.amdhsa_system_sgpr_workgroup_info 0
		.amdhsa_system_vgpr_workitem_id 0
		.amdhsa_next_free_vgpr 1
		.amdhsa_next_free_sgpr 1
		.amdhsa_reserve_vcc 0
		.amdhsa_float_round_mode_32 0
		.amdhsa_float_round_mode_16_64 0
		.amdhsa_float_denorm_mode_32 3
		.amdhsa_float_denorm_mode_16_64 3
		.amdhsa_fp16_overflow 0
		.amdhsa_workgroup_processor_mode 1
		.amdhsa_memory_ordered 1
		.amdhsa_forward_progress 1
		.amdhsa_inst_pref_size 0
		.amdhsa_round_robin_scheduling 0
		.amdhsa_exception_fp_ieee_invalid_op 0
		.amdhsa_exception_fp_denorm_src 0
		.amdhsa_exception_fp_ieee_div_zero 0
		.amdhsa_exception_fp_ieee_overflow 0
		.amdhsa_exception_fp_ieee_underflow 0
		.amdhsa_exception_fp_ieee_inexact 0
		.amdhsa_exception_int_div_zero 0
	.end_amdhsa_kernel
	.section	.text._ZN7rocprim17ROCPRIM_400000_NS6detail17trampoline_kernelINS0_14default_configENS1_25partition_config_selectorILNS1_17partition_subalgoE5ElNS0_10empty_typeEbEEZZNS1_14partition_implILS5_5ELb0ES3_mN6hipcub16HIPCUB_304000_NS21CountingInputIteratorIllEEPS6_NSA_22TransformInputIteratorIbN2at6native12_GLOBAL__N_19NonZeroOpIN3c108BFloat16EEEPKSK_lEENS0_5tupleIJPlS6_EEENSP_IJSD_SD_EEES6_PiJS6_EEE10hipError_tPvRmT3_T4_T5_T6_T7_T9_mT8_P12ihipStream_tbDpT10_ENKUlT_T0_E_clISt17integral_constantIbLb1EES1C_IbLb0EEEEDaS18_S19_EUlS18_E_NS1_11comp_targetILNS1_3genE5ELNS1_11target_archE942ELNS1_3gpuE9ELNS1_3repE0EEENS1_30default_config_static_selectorELNS0_4arch9wavefront6targetE0EEEvT1_,"axG",@progbits,_ZN7rocprim17ROCPRIM_400000_NS6detail17trampoline_kernelINS0_14default_configENS1_25partition_config_selectorILNS1_17partition_subalgoE5ElNS0_10empty_typeEbEEZZNS1_14partition_implILS5_5ELb0ES3_mN6hipcub16HIPCUB_304000_NS21CountingInputIteratorIllEEPS6_NSA_22TransformInputIteratorIbN2at6native12_GLOBAL__N_19NonZeroOpIN3c108BFloat16EEEPKSK_lEENS0_5tupleIJPlS6_EEENSP_IJSD_SD_EEES6_PiJS6_EEE10hipError_tPvRmT3_T4_T5_T6_T7_T9_mT8_P12ihipStream_tbDpT10_ENKUlT_T0_E_clISt17integral_constantIbLb1EES1C_IbLb0EEEEDaS18_S19_EUlS18_E_NS1_11comp_targetILNS1_3genE5ELNS1_11target_archE942ELNS1_3gpuE9ELNS1_3repE0EEENS1_30default_config_static_selectorELNS0_4arch9wavefront6targetE0EEEvT1_,comdat
.Lfunc_end815:
	.size	_ZN7rocprim17ROCPRIM_400000_NS6detail17trampoline_kernelINS0_14default_configENS1_25partition_config_selectorILNS1_17partition_subalgoE5ElNS0_10empty_typeEbEEZZNS1_14partition_implILS5_5ELb0ES3_mN6hipcub16HIPCUB_304000_NS21CountingInputIteratorIllEEPS6_NSA_22TransformInputIteratorIbN2at6native12_GLOBAL__N_19NonZeroOpIN3c108BFloat16EEEPKSK_lEENS0_5tupleIJPlS6_EEENSP_IJSD_SD_EEES6_PiJS6_EEE10hipError_tPvRmT3_T4_T5_T6_T7_T9_mT8_P12ihipStream_tbDpT10_ENKUlT_T0_E_clISt17integral_constantIbLb1EES1C_IbLb0EEEEDaS18_S19_EUlS18_E_NS1_11comp_targetILNS1_3genE5ELNS1_11target_archE942ELNS1_3gpuE9ELNS1_3repE0EEENS1_30default_config_static_selectorELNS0_4arch9wavefront6targetE0EEEvT1_, .Lfunc_end815-_ZN7rocprim17ROCPRIM_400000_NS6detail17trampoline_kernelINS0_14default_configENS1_25partition_config_selectorILNS1_17partition_subalgoE5ElNS0_10empty_typeEbEEZZNS1_14partition_implILS5_5ELb0ES3_mN6hipcub16HIPCUB_304000_NS21CountingInputIteratorIllEEPS6_NSA_22TransformInputIteratorIbN2at6native12_GLOBAL__N_19NonZeroOpIN3c108BFloat16EEEPKSK_lEENS0_5tupleIJPlS6_EEENSP_IJSD_SD_EEES6_PiJS6_EEE10hipError_tPvRmT3_T4_T5_T6_T7_T9_mT8_P12ihipStream_tbDpT10_ENKUlT_T0_E_clISt17integral_constantIbLb1EES1C_IbLb0EEEEDaS18_S19_EUlS18_E_NS1_11comp_targetILNS1_3genE5ELNS1_11target_archE942ELNS1_3gpuE9ELNS1_3repE0EEENS1_30default_config_static_selectorELNS0_4arch9wavefront6targetE0EEEvT1_
                                        ; -- End function
	.set _ZN7rocprim17ROCPRIM_400000_NS6detail17trampoline_kernelINS0_14default_configENS1_25partition_config_selectorILNS1_17partition_subalgoE5ElNS0_10empty_typeEbEEZZNS1_14partition_implILS5_5ELb0ES3_mN6hipcub16HIPCUB_304000_NS21CountingInputIteratorIllEEPS6_NSA_22TransformInputIteratorIbN2at6native12_GLOBAL__N_19NonZeroOpIN3c108BFloat16EEEPKSK_lEENS0_5tupleIJPlS6_EEENSP_IJSD_SD_EEES6_PiJS6_EEE10hipError_tPvRmT3_T4_T5_T6_T7_T9_mT8_P12ihipStream_tbDpT10_ENKUlT_T0_E_clISt17integral_constantIbLb1EES1C_IbLb0EEEEDaS18_S19_EUlS18_E_NS1_11comp_targetILNS1_3genE5ELNS1_11target_archE942ELNS1_3gpuE9ELNS1_3repE0EEENS1_30default_config_static_selectorELNS0_4arch9wavefront6targetE0EEEvT1_.num_vgpr, 0
	.set _ZN7rocprim17ROCPRIM_400000_NS6detail17trampoline_kernelINS0_14default_configENS1_25partition_config_selectorILNS1_17partition_subalgoE5ElNS0_10empty_typeEbEEZZNS1_14partition_implILS5_5ELb0ES3_mN6hipcub16HIPCUB_304000_NS21CountingInputIteratorIllEEPS6_NSA_22TransformInputIteratorIbN2at6native12_GLOBAL__N_19NonZeroOpIN3c108BFloat16EEEPKSK_lEENS0_5tupleIJPlS6_EEENSP_IJSD_SD_EEES6_PiJS6_EEE10hipError_tPvRmT3_T4_T5_T6_T7_T9_mT8_P12ihipStream_tbDpT10_ENKUlT_T0_E_clISt17integral_constantIbLb1EES1C_IbLb0EEEEDaS18_S19_EUlS18_E_NS1_11comp_targetILNS1_3genE5ELNS1_11target_archE942ELNS1_3gpuE9ELNS1_3repE0EEENS1_30default_config_static_selectorELNS0_4arch9wavefront6targetE0EEEvT1_.num_agpr, 0
	.set _ZN7rocprim17ROCPRIM_400000_NS6detail17trampoline_kernelINS0_14default_configENS1_25partition_config_selectorILNS1_17partition_subalgoE5ElNS0_10empty_typeEbEEZZNS1_14partition_implILS5_5ELb0ES3_mN6hipcub16HIPCUB_304000_NS21CountingInputIteratorIllEEPS6_NSA_22TransformInputIteratorIbN2at6native12_GLOBAL__N_19NonZeroOpIN3c108BFloat16EEEPKSK_lEENS0_5tupleIJPlS6_EEENSP_IJSD_SD_EEES6_PiJS6_EEE10hipError_tPvRmT3_T4_T5_T6_T7_T9_mT8_P12ihipStream_tbDpT10_ENKUlT_T0_E_clISt17integral_constantIbLb1EES1C_IbLb0EEEEDaS18_S19_EUlS18_E_NS1_11comp_targetILNS1_3genE5ELNS1_11target_archE942ELNS1_3gpuE9ELNS1_3repE0EEENS1_30default_config_static_selectorELNS0_4arch9wavefront6targetE0EEEvT1_.numbered_sgpr, 0
	.set _ZN7rocprim17ROCPRIM_400000_NS6detail17trampoline_kernelINS0_14default_configENS1_25partition_config_selectorILNS1_17partition_subalgoE5ElNS0_10empty_typeEbEEZZNS1_14partition_implILS5_5ELb0ES3_mN6hipcub16HIPCUB_304000_NS21CountingInputIteratorIllEEPS6_NSA_22TransformInputIteratorIbN2at6native12_GLOBAL__N_19NonZeroOpIN3c108BFloat16EEEPKSK_lEENS0_5tupleIJPlS6_EEENSP_IJSD_SD_EEES6_PiJS6_EEE10hipError_tPvRmT3_T4_T5_T6_T7_T9_mT8_P12ihipStream_tbDpT10_ENKUlT_T0_E_clISt17integral_constantIbLb1EES1C_IbLb0EEEEDaS18_S19_EUlS18_E_NS1_11comp_targetILNS1_3genE5ELNS1_11target_archE942ELNS1_3gpuE9ELNS1_3repE0EEENS1_30default_config_static_selectorELNS0_4arch9wavefront6targetE0EEEvT1_.num_named_barrier, 0
	.set _ZN7rocprim17ROCPRIM_400000_NS6detail17trampoline_kernelINS0_14default_configENS1_25partition_config_selectorILNS1_17partition_subalgoE5ElNS0_10empty_typeEbEEZZNS1_14partition_implILS5_5ELb0ES3_mN6hipcub16HIPCUB_304000_NS21CountingInputIteratorIllEEPS6_NSA_22TransformInputIteratorIbN2at6native12_GLOBAL__N_19NonZeroOpIN3c108BFloat16EEEPKSK_lEENS0_5tupleIJPlS6_EEENSP_IJSD_SD_EEES6_PiJS6_EEE10hipError_tPvRmT3_T4_T5_T6_T7_T9_mT8_P12ihipStream_tbDpT10_ENKUlT_T0_E_clISt17integral_constantIbLb1EES1C_IbLb0EEEEDaS18_S19_EUlS18_E_NS1_11comp_targetILNS1_3genE5ELNS1_11target_archE942ELNS1_3gpuE9ELNS1_3repE0EEENS1_30default_config_static_selectorELNS0_4arch9wavefront6targetE0EEEvT1_.private_seg_size, 0
	.set _ZN7rocprim17ROCPRIM_400000_NS6detail17trampoline_kernelINS0_14default_configENS1_25partition_config_selectorILNS1_17partition_subalgoE5ElNS0_10empty_typeEbEEZZNS1_14partition_implILS5_5ELb0ES3_mN6hipcub16HIPCUB_304000_NS21CountingInputIteratorIllEEPS6_NSA_22TransformInputIteratorIbN2at6native12_GLOBAL__N_19NonZeroOpIN3c108BFloat16EEEPKSK_lEENS0_5tupleIJPlS6_EEENSP_IJSD_SD_EEES6_PiJS6_EEE10hipError_tPvRmT3_T4_T5_T6_T7_T9_mT8_P12ihipStream_tbDpT10_ENKUlT_T0_E_clISt17integral_constantIbLb1EES1C_IbLb0EEEEDaS18_S19_EUlS18_E_NS1_11comp_targetILNS1_3genE5ELNS1_11target_archE942ELNS1_3gpuE9ELNS1_3repE0EEENS1_30default_config_static_selectorELNS0_4arch9wavefront6targetE0EEEvT1_.uses_vcc, 0
	.set _ZN7rocprim17ROCPRIM_400000_NS6detail17trampoline_kernelINS0_14default_configENS1_25partition_config_selectorILNS1_17partition_subalgoE5ElNS0_10empty_typeEbEEZZNS1_14partition_implILS5_5ELb0ES3_mN6hipcub16HIPCUB_304000_NS21CountingInputIteratorIllEEPS6_NSA_22TransformInputIteratorIbN2at6native12_GLOBAL__N_19NonZeroOpIN3c108BFloat16EEEPKSK_lEENS0_5tupleIJPlS6_EEENSP_IJSD_SD_EEES6_PiJS6_EEE10hipError_tPvRmT3_T4_T5_T6_T7_T9_mT8_P12ihipStream_tbDpT10_ENKUlT_T0_E_clISt17integral_constantIbLb1EES1C_IbLb0EEEEDaS18_S19_EUlS18_E_NS1_11comp_targetILNS1_3genE5ELNS1_11target_archE942ELNS1_3gpuE9ELNS1_3repE0EEENS1_30default_config_static_selectorELNS0_4arch9wavefront6targetE0EEEvT1_.uses_flat_scratch, 0
	.set _ZN7rocprim17ROCPRIM_400000_NS6detail17trampoline_kernelINS0_14default_configENS1_25partition_config_selectorILNS1_17partition_subalgoE5ElNS0_10empty_typeEbEEZZNS1_14partition_implILS5_5ELb0ES3_mN6hipcub16HIPCUB_304000_NS21CountingInputIteratorIllEEPS6_NSA_22TransformInputIteratorIbN2at6native12_GLOBAL__N_19NonZeroOpIN3c108BFloat16EEEPKSK_lEENS0_5tupleIJPlS6_EEENSP_IJSD_SD_EEES6_PiJS6_EEE10hipError_tPvRmT3_T4_T5_T6_T7_T9_mT8_P12ihipStream_tbDpT10_ENKUlT_T0_E_clISt17integral_constantIbLb1EES1C_IbLb0EEEEDaS18_S19_EUlS18_E_NS1_11comp_targetILNS1_3genE5ELNS1_11target_archE942ELNS1_3gpuE9ELNS1_3repE0EEENS1_30default_config_static_selectorELNS0_4arch9wavefront6targetE0EEEvT1_.has_dyn_sized_stack, 0
	.set _ZN7rocprim17ROCPRIM_400000_NS6detail17trampoline_kernelINS0_14default_configENS1_25partition_config_selectorILNS1_17partition_subalgoE5ElNS0_10empty_typeEbEEZZNS1_14partition_implILS5_5ELb0ES3_mN6hipcub16HIPCUB_304000_NS21CountingInputIteratorIllEEPS6_NSA_22TransformInputIteratorIbN2at6native12_GLOBAL__N_19NonZeroOpIN3c108BFloat16EEEPKSK_lEENS0_5tupleIJPlS6_EEENSP_IJSD_SD_EEES6_PiJS6_EEE10hipError_tPvRmT3_T4_T5_T6_T7_T9_mT8_P12ihipStream_tbDpT10_ENKUlT_T0_E_clISt17integral_constantIbLb1EES1C_IbLb0EEEEDaS18_S19_EUlS18_E_NS1_11comp_targetILNS1_3genE5ELNS1_11target_archE942ELNS1_3gpuE9ELNS1_3repE0EEENS1_30default_config_static_selectorELNS0_4arch9wavefront6targetE0EEEvT1_.has_recursion, 0
	.set _ZN7rocprim17ROCPRIM_400000_NS6detail17trampoline_kernelINS0_14default_configENS1_25partition_config_selectorILNS1_17partition_subalgoE5ElNS0_10empty_typeEbEEZZNS1_14partition_implILS5_5ELb0ES3_mN6hipcub16HIPCUB_304000_NS21CountingInputIteratorIllEEPS6_NSA_22TransformInputIteratorIbN2at6native12_GLOBAL__N_19NonZeroOpIN3c108BFloat16EEEPKSK_lEENS0_5tupleIJPlS6_EEENSP_IJSD_SD_EEES6_PiJS6_EEE10hipError_tPvRmT3_T4_T5_T6_T7_T9_mT8_P12ihipStream_tbDpT10_ENKUlT_T0_E_clISt17integral_constantIbLb1EES1C_IbLb0EEEEDaS18_S19_EUlS18_E_NS1_11comp_targetILNS1_3genE5ELNS1_11target_archE942ELNS1_3gpuE9ELNS1_3repE0EEENS1_30default_config_static_selectorELNS0_4arch9wavefront6targetE0EEEvT1_.has_indirect_call, 0
	.section	.AMDGPU.csdata,"",@progbits
; Kernel info:
; codeLenInByte = 0
; TotalNumSgprs: 0
; NumVgprs: 0
; ScratchSize: 0
; MemoryBound: 0
; FloatMode: 240
; IeeeMode: 1
; LDSByteSize: 0 bytes/workgroup (compile time only)
; SGPRBlocks: 0
; VGPRBlocks: 0
; NumSGPRsForWavesPerEU: 1
; NumVGPRsForWavesPerEU: 1
; Occupancy: 16
; WaveLimiterHint : 0
; COMPUTE_PGM_RSRC2:SCRATCH_EN: 0
; COMPUTE_PGM_RSRC2:USER_SGPR: 2
; COMPUTE_PGM_RSRC2:TRAP_HANDLER: 0
; COMPUTE_PGM_RSRC2:TGID_X_EN: 1
; COMPUTE_PGM_RSRC2:TGID_Y_EN: 0
; COMPUTE_PGM_RSRC2:TGID_Z_EN: 0
; COMPUTE_PGM_RSRC2:TIDIG_COMP_CNT: 0
	.section	.text._ZN7rocprim17ROCPRIM_400000_NS6detail17trampoline_kernelINS0_14default_configENS1_25partition_config_selectorILNS1_17partition_subalgoE5ElNS0_10empty_typeEbEEZZNS1_14partition_implILS5_5ELb0ES3_mN6hipcub16HIPCUB_304000_NS21CountingInputIteratorIllEEPS6_NSA_22TransformInputIteratorIbN2at6native12_GLOBAL__N_19NonZeroOpIN3c108BFloat16EEEPKSK_lEENS0_5tupleIJPlS6_EEENSP_IJSD_SD_EEES6_PiJS6_EEE10hipError_tPvRmT3_T4_T5_T6_T7_T9_mT8_P12ihipStream_tbDpT10_ENKUlT_T0_E_clISt17integral_constantIbLb1EES1C_IbLb0EEEEDaS18_S19_EUlS18_E_NS1_11comp_targetILNS1_3genE4ELNS1_11target_archE910ELNS1_3gpuE8ELNS1_3repE0EEENS1_30default_config_static_selectorELNS0_4arch9wavefront6targetE0EEEvT1_,"axG",@progbits,_ZN7rocprim17ROCPRIM_400000_NS6detail17trampoline_kernelINS0_14default_configENS1_25partition_config_selectorILNS1_17partition_subalgoE5ElNS0_10empty_typeEbEEZZNS1_14partition_implILS5_5ELb0ES3_mN6hipcub16HIPCUB_304000_NS21CountingInputIteratorIllEEPS6_NSA_22TransformInputIteratorIbN2at6native12_GLOBAL__N_19NonZeroOpIN3c108BFloat16EEEPKSK_lEENS0_5tupleIJPlS6_EEENSP_IJSD_SD_EEES6_PiJS6_EEE10hipError_tPvRmT3_T4_T5_T6_T7_T9_mT8_P12ihipStream_tbDpT10_ENKUlT_T0_E_clISt17integral_constantIbLb1EES1C_IbLb0EEEEDaS18_S19_EUlS18_E_NS1_11comp_targetILNS1_3genE4ELNS1_11target_archE910ELNS1_3gpuE8ELNS1_3repE0EEENS1_30default_config_static_selectorELNS0_4arch9wavefront6targetE0EEEvT1_,comdat
	.globl	_ZN7rocprim17ROCPRIM_400000_NS6detail17trampoline_kernelINS0_14default_configENS1_25partition_config_selectorILNS1_17partition_subalgoE5ElNS0_10empty_typeEbEEZZNS1_14partition_implILS5_5ELb0ES3_mN6hipcub16HIPCUB_304000_NS21CountingInputIteratorIllEEPS6_NSA_22TransformInputIteratorIbN2at6native12_GLOBAL__N_19NonZeroOpIN3c108BFloat16EEEPKSK_lEENS0_5tupleIJPlS6_EEENSP_IJSD_SD_EEES6_PiJS6_EEE10hipError_tPvRmT3_T4_T5_T6_T7_T9_mT8_P12ihipStream_tbDpT10_ENKUlT_T0_E_clISt17integral_constantIbLb1EES1C_IbLb0EEEEDaS18_S19_EUlS18_E_NS1_11comp_targetILNS1_3genE4ELNS1_11target_archE910ELNS1_3gpuE8ELNS1_3repE0EEENS1_30default_config_static_selectorELNS0_4arch9wavefront6targetE0EEEvT1_ ; -- Begin function _ZN7rocprim17ROCPRIM_400000_NS6detail17trampoline_kernelINS0_14default_configENS1_25partition_config_selectorILNS1_17partition_subalgoE5ElNS0_10empty_typeEbEEZZNS1_14partition_implILS5_5ELb0ES3_mN6hipcub16HIPCUB_304000_NS21CountingInputIteratorIllEEPS6_NSA_22TransformInputIteratorIbN2at6native12_GLOBAL__N_19NonZeroOpIN3c108BFloat16EEEPKSK_lEENS0_5tupleIJPlS6_EEENSP_IJSD_SD_EEES6_PiJS6_EEE10hipError_tPvRmT3_T4_T5_T6_T7_T9_mT8_P12ihipStream_tbDpT10_ENKUlT_T0_E_clISt17integral_constantIbLb1EES1C_IbLb0EEEEDaS18_S19_EUlS18_E_NS1_11comp_targetILNS1_3genE4ELNS1_11target_archE910ELNS1_3gpuE8ELNS1_3repE0EEENS1_30default_config_static_selectorELNS0_4arch9wavefront6targetE0EEEvT1_
	.p2align	8
	.type	_ZN7rocprim17ROCPRIM_400000_NS6detail17trampoline_kernelINS0_14default_configENS1_25partition_config_selectorILNS1_17partition_subalgoE5ElNS0_10empty_typeEbEEZZNS1_14partition_implILS5_5ELb0ES3_mN6hipcub16HIPCUB_304000_NS21CountingInputIteratorIllEEPS6_NSA_22TransformInputIteratorIbN2at6native12_GLOBAL__N_19NonZeroOpIN3c108BFloat16EEEPKSK_lEENS0_5tupleIJPlS6_EEENSP_IJSD_SD_EEES6_PiJS6_EEE10hipError_tPvRmT3_T4_T5_T6_T7_T9_mT8_P12ihipStream_tbDpT10_ENKUlT_T0_E_clISt17integral_constantIbLb1EES1C_IbLb0EEEEDaS18_S19_EUlS18_E_NS1_11comp_targetILNS1_3genE4ELNS1_11target_archE910ELNS1_3gpuE8ELNS1_3repE0EEENS1_30default_config_static_selectorELNS0_4arch9wavefront6targetE0EEEvT1_,@function
_ZN7rocprim17ROCPRIM_400000_NS6detail17trampoline_kernelINS0_14default_configENS1_25partition_config_selectorILNS1_17partition_subalgoE5ElNS0_10empty_typeEbEEZZNS1_14partition_implILS5_5ELb0ES3_mN6hipcub16HIPCUB_304000_NS21CountingInputIteratorIllEEPS6_NSA_22TransformInputIteratorIbN2at6native12_GLOBAL__N_19NonZeroOpIN3c108BFloat16EEEPKSK_lEENS0_5tupleIJPlS6_EEENSP_IJSD_SD_EEES6_PiJS6_EEE10hipError_tPvRmT3_T4_T5_T6_T7_T9_mT8_P12ihipStream_tbDpT10_ENKUlT_T0_E_clISt17integral_constantIbLb1EES1C_IbLb0EEEEDaS18_S19_EUlS18_E_NS1_11comp_targetILNS1_3genE4ELNS1_11target_archE910ELNS1_3gpuE8ELNS1_3repE0EEENS1_30default_config_static_selectorELNS0_4arch9wavefront6targetE0EEEvT1_: ; @_ZN7rocprim17ROCPRIM_400000_NS6detail17trampoline_kernelINS0_14default_configENS1_25partition_config_selectorILNS1_17partition_subalgoE5ElNS0_10empty_typeEbEEZZNS1_14partition_implILS5_5ELb0ES3_mN6hipcub16HIPCUB_304000_NS21CountingInputIteratorIllEEPS6_NSA_22TransformInputIteratorIbN2at6native12_GLOBAL__N_19NonZeroOpIN3c108BFloat16EEEPKSK_lEENS0_5tupleIJPlS6_EEENSP_IJSD_SD_EEES6_PiJS6_EEE10hipError_tPvRmT3_T4_T5_T6_T7_T9_mT8_P12ihipStream_tbDpT10_ENKUlT_T0_E_clISt17integral_constantIbLb1EES1C_IbLb0EEEEDaS18_S19_EUlS18_E_NS1_11comp_targetILNS1_3genE4ELNS1_11target_archE910ELNS1_3gpuE8ELNS1_3repE0EEENS1_30default_config_static_selectorELNS0_4arch9wavefront6targetE0EEEvT1_
; %bb.0:
	.section	.rodata,"a",@progbits
	.p2align	6, 0x0
	.amdhsa_kernel _ZN7rocprim17ROCPRIM_400000_NS6detail17trampoline_kernelINS0_14default_configENS1_25partition_config_selectorILNS1_17partition_subalgoE5ElNS0_10empty_typeEbEEZZNS1_14partition_implILS5_5ELb0ES3_mN6hipcub16HIPCUB_304000_NS21CountingInputIteratorIllEEPS6_NSA_22TransformInputIteratorIbN2at6native12_GLOBAL__N_19NonZeroOpIN3c108BFloat16EEEPKSK_lEENS0_5tupleIJPlS6_EEENSP_IJSD_SD_EEES6_PiJS6_EEE10hipError_tPvRmT3_T4_T5_T6_T7_T9_mT8_P12ihipStream_tbDpT10_ENKUlT_T0_E_clISt17integral_constantIbLb1EES1C_IbLb0EEEEDaS18_S19_EUlS18_E_NS1_11comp_targetILNS1_3genE4ELNS1_11target_archE910ELNS1_3gpuE8ELNS1_3repE0EEENS1_30default_config_static_selectorELNS0_4arch9wavefront6targetE0EEEvT1_
		.amdhsa_group_segment_fixed_size 0
		.amdhsa_private_segment_fixed_size 0
		.amdhsa_kernarg_size 120
		.amdhsa_user_sgpr_count 2
		.amdhsa_user_sgpr_dispatch_ptr 0
		.amdhsa_user_sgpr_queue_ptr 0
		.amdhsa_user_sgpr_kernarg_segment_ptr 1
		.amdhsa_user_sgpr_dispatch_id 0
		.amdhsa_user_sgpr_private_segment_size 0
		.amdhsa_wavefront_size32 1
		.amdhsa_uses_dynamic_stack 0
		.amdhsa_enable_private_segment 0
		.amdhsa_system_sgpr_workgroup_id_x 1
		.amdhsa_system_sgpr_workgroup_id_y 0
		.amdhsa_system_sgpr_workgroup_id_z 0
		.amdhsa_system_sgpr_workgroup_info 0
		.amdhsa_system_vgpr_workitem_id 0
		.amdhsa_next_free_vgpr 1
		.amdhsa_next_free_sgpr 1
		.amdhsa_reserve_vcc 0
		.amdhsa_float_round_mode_32 0
		.amdhsa_float_round_mode_16_64 0
		.amdhsa_float_denorm_mode_32 3
		.amdhsa_float_denorm_mode_16_64 3
		.amdhsa_fp16_overflow 0
		.amdhsa_workgroup_processor_mode 1
		.amdhsa_memory_ordered 1
		.amdhsa_forward_progress 1
		.amdhsa_inst_pref_size 0
		.amdhsa_round_robin_scheduling 0
		.amdhsa_exception_fp_ieee_invalid_op 0
		.amdhsa_exception_fp_denorm_src 0
		.amdhsa_exception_fp_ieee_div_zero 0
		.amdhsa_exception_fp_ieee_overflow 0
		.amdhsa_exception_fp_ieee_underflow 0
		.amdhsa_exception_fp_ieee_inexact 0
		.amdhsa_exception_int_div_zero 0
	.end_amdhsa_kernel
	.section	.text._ZN7rocprim17ROCPRIM_400000_NS6detail17trampoline_kernelINS0_14default_configENS1_25partition_config_selectorILNS1_17partition_subalgoE5ElNS0_10empty_typeEbEEZZNS1_14partition_implILS5_5ELb0ES3_mN6hipcub16HIPCUB_304000_NS21CountingInputIteratorIllEEPS6_NSA_22TransformInputIteratorIbN2at6native12_GLOBAL__N_19NonZeroOpIN3c108BFloat16EEEPKSK_lEENS0_5tupleIJPlS6_EEENSP_IJSD_SD_EEES6_PiJS6_EEE10hipError_tPvRmT3_T4_T5_T6_T7_T9_mT8_P12ihipStream_tbDpT10_ENKUlT_T0_E_clISt17integral_constantIbLb1EES1C_IbLb0EEEEDaS18_S19_EUlS18_E_NS1_11comp_targetILNS1_3genE4ELNS1_11target_archE910ELNS1_3gpuE8ELNS1_3repE0EEENS1_30default_config_static_selectorELNS0_4arch9wavefront6targetE0EEEvT1_,"axG",@progbits,_ZN7rocprim17ROCPRIM_400000_NS6detail17trampoline_kernelINS0_14default_configENS1_25partition_config_selectorILNS1_17partition_subalgoE5ElNS0_10empty_typeEbEEZZNS1_14partition_implILS5_5ELb0ES3_mN6hipcub16HIPCUB_304000_NS21CountingInputIteratorIllEEPS6_NSA_22TransformInputIteratorIbN2at6native12_GLOBAL__N_19NonZeroOpIN3c108BFloat16EEEPKSK_lEENS0_5tupleIJPlS6_EEENSP_IJSD_SD_EEES6_PiJS6_EEE10hipError_tPvRmT3_T4_T5_T6_T7_T9_mT8_P12ihipStream_tbDpT10_ENKUlT_T0_E_clISt17integral_constantIbLb1EES1C_IbLb0EEEEDaS18_S19_EUlS18_E_NS1_11comp_targetILNS1_3genE4ELNS1_11target_archE910ELNS1_3gpuE8ELNS1_3repE0EEENS1_30default_config_static_selectorELNS0_4arch9wavefront6targetE0EEEvT1_,comdat
.Lfunc_end816:
	.size	_ZN7rocprim17ROCPRIM_400000_NS6detail17trampoline_kernelINS0_14default_configENS1_25partition_config_selectorILNS1_17partition_subalgoE5ElNS0_10empty_typeEbEEZZNS1_14partition_implILS5_5ELb0ES3_mN6hipcub16HIPCUB_304000_NS21CountingInputIteratorIllEEPS6_NSA_22TransformInputIteratorIbN2at6native12_GLOBAL__N_19NonZeroOpIN3c108BFloat16EEEPKSK_lEENS0_5tupleIJPlS6_EEENSP_IJSD_SD_EEES6_PiJS6_EEE10hipError_tPvRmT3_T4_T5_T6_T7_T9_mT8_P12ihipStream_tbDpT10_ENKUlT_T0_E_clISt17integral_constantIbLb1EES1C_IbLb0EEEEDaS18_S19_EUlS18_E_NS1_11comp_targetILNS1_3genE4ELNS1_11target_archE910ELNS1_3gpuE8ELNS1_3repE0EEENS1_30default_config_static_selectorELNS0_4arch9wavefront6targetE0EEEvT1_, .Lfunc_end816-_ZN7rocprim17ROCPRIM_400000_NS6detail17trampoline_kernelINS0_14default_configENS1_25partition_config_selectorILNS1_17partition_subalgoE5ElNS0_10empty_typeEbEEZZNS1_14partition_implILS5_5ELb0ES3_mN6hipcub16HIPCUB_304000_NS21CountingInputIteratorIllEEPS6_NSA_22TransformInputIteratorIbN2at6native12_GLOBAL__N_19NonZeroOpIN3c108BFloat16EEEPKSK_lEENS0_5tupleIJPlS6_EEENSP_IJSD_SD_EEES6_PiJS6_EEE10hipError_tPvRmT3_T4_T5_T6_T7_T9_mT8_P12ihipStream_tbDpT10_ENKUlT_T0_E_clISt17integral_constantIbLb1EES1C_IbLb0EEEEDaS18_S19_EUlS18_E_NS1_11comp_targetILNS1_3genE4ELNS1_11target_archE910ELNS1_3gpuE8ELNS1_3repE0EEENS1_30default_config_static_selectorELNS0_4arch9wavefront6targetE0EEEvT1_
                                        ; -- End function
	.set _ZN7rocprim17ROCPRIM_400000_NS6detail17trampoline_kernelINS0_14default_configENS1_25partition_config_selectorILNS1_17partition_subalgoE5ElNS0_10empty_typeEbEEZZNS1_14partition_implILS5_5ELb0ES3_mN6hipcub16HIPCUB_304000_NS21CountingInputIteratorIllEEPS6_NSA_22TransformInputIteratorIbN2at6native12_GLOBAL__N_19NonZeroOpIN3c108BFloat16EEEPKSK_lEENS0_5tupleIJPlS6_EEENSP_IJSD_SD_EEES6_PiJS6_EEE10hipError_tPvRmT3_T4_T5_T6_T7_T9_mT8_P12ihipStream_tbDpT10_ENKUlT_T0_E_clISt17integral_constantIbLb1EES1C_IbLb0EEEEDaS18_S19_EUlS18_E_NS1_11comp_targetILNS1_3genE4ELNS1_11target_archE910ELNS1_3gpuE8ELNS1_3repE0EEENS1_30default_config_static_selectorELNS0_4arch9wavefront6targetE0EEEvT1_.num_vgpr, 0
	.set _ZN7rocprim17ROCPRIM_400000_NS6detail17trampoline_kernelINS0_14default_configENS1_25partition_config_selectorILNS1_17partition_subalgoE5ElNS0_10empty_typeEbEEZZNS1_14partition_implILS5_5ELb0ES3_mN6hipcub16HIPCUB_304000_NS21CountingInputIteratorIllEEPS6_NSA_22TransformInputIteratorIbN2at6native12_GLOBAL__N_19NonZeroOpIN3c108BFloat16EEEPKSK_lEENS0_5tupleIJPlS6_EEENSP_IJSD_SD_EEES6_PiJS6_EEE10hipError_tPvRmT3_T4_T5_T6_T7_T9_mT8_P12ihipStream_tbDpT10_ENKUlT_T0_E_clISt17integral_constantIbLb1EES1C_IbLb0EEEEDaS18_S19_EUlS18_E_NS1_11comp_targetILNS1_3genE4ELNS1_11target_archE910ELNS1_3gpuE8ELNS1_3repE0EEENS1_30default_config_static_selectorELNS0_4arch9wavefront6targetE0EEEvT1_.num_agpr, 0
	.set _ZN7rocprim17ROCPRIM_400000_NS6detail17trampoline_kernelINS0_14default_configENS1_25partition_config_selectorILNS1_17partition_subalgoE5ElNS0_10empty_typeEbEEZZNS1_14partition_implILS5_5ELb0ES3_mN6hipcub16HIPCUB_304000_NS21CountingInputIteratorIllEEPS6_NSA_22TransformInputIteratorIbN2at6native12_GLOBAL__N_19NonZeroOpIN3c108BFloat16EEEPKSK_lEENS0_5tupleIJPlS6_EEENSP_IJSD_SD_EEES6_PiJS6_EEE10hipError_tPvRmT3_T4_T5_T6_T7_T9_mT8_P12ihipStream_tbDpT10_ENKUlT_T0_E_clISt17integral_constantIbLb1EES1C_IbLb0EEEEDaS18_S19_EUlS18_E_NS1_11comp_targetILNS1_3genE4ELNS1_11target_archE910ELNS1_3gpuE8ELNS1_3repE0EEENS1_30default_config_static_selectorELNS0_4arch9wavefront6targetE0EEEvT1_.numbered_sgpr, 0
	.set _ZN7rocprim17ROCPRIM_400000_NS6detail17trampoline_kernelINS0_14default_configENS1_25partition_config_selectorILNS1_17partition_subalgoE5ElNS0_10empty_typeEbEEZZNS1_14partition_implILS5_5ELb0ES3_mN6hipcub16HIPCUB_304000_NS21CountingInputIteratorIllEEPS6_NSA_22TransformInputIteratorIbN2at6native12_GLOBAL__N_19NonZeroOpIN3c108BFloat16EEEPKSK_lEENS0_5tupleIJPlS6_EEENSP_IJSD_SD_EEES6_PiJS6_EEE10hipError_tPvRmT3_T4_T5_T6_T7_T9_mT8_P12ihipStream_tbDpT10_ENKUlT_T0_E_clISt17integral_constantIbLb1EES1C_IbLb0EEEEDaS18_S19_EUlS18_E_NS1_11comp_targetILNS1_3genE4ELNS1_11target_archE910ELNS1_3gpuE8ELNS1_3repE0EEENS1_30default_config_static_selectorELNS0_4arch9wavefront6targetE0EEEvT1_.num_named_barrier, 0
	.set _ZN7rocprim17ROCPRIM_400000_NS6detail17trampoline_kernelINS0_14default_configENS1_25partition_config_selectorILNS1_17partition_subalgoE5ElNS0_10empty_typeEbEEZZNS1_14partition_implILS5_5ELb0ES3_mN6hipcub16HIPCUB_304000_NS21CountingInputIteratorIllEEPS6_NSA_22TransformInputIteratorIbN2at6native12_GLOBAL__N_19NonZeroOpIN3c108BFloat16EEEPKSK_lEENS0_5tupleIJPlS6_EEENSP_IJSD_SD_EEES6_PiJS6_EEE10hipError_tPvRmT3_T4_T5_T6_T7_T9_mT8_P12ihipStream_tbDpT10_ENKUlT_T0_E_clISt17integral_constantIbLb1EES1C_IbLb0EEEEDaS18_S19_EUlS18_E_NS1_11comp_targetILNS1_3genE4ELNS1_11target_archE910ELNS1_3gpuE8ELNS1_3repE0EEENS1_30default_config_static_selectorELNS0_4arch9wavefront6targetE0EEEvT1_.private_seg_size, 0
	.set _ZN7rocprim17ROCPRIM_400000_NS6detail17trampoline_kernelINS0_14default_configENS1_25partition_config_selectorILNS1_17partition_subalgoE5ElNS0_10empty_typeEbEEZZNS1_14partition_implILS5_5ELb0ES3_mN6hipcub16HIPCUB_304000_NS21CountingInputIteratorIllEEPS6_NSA_22TransformInputIteratorIbN2at6native12_GLOBAL__N_19NonZeroOpIN3c108BFloat16EEEPKSK_lEENS0_5tupleIJPlS6_EEENSP_IJSD_SD_EEES6_PiJS6_EEE10hipError_tPvRmT3_T4_T5_T6_T7_T9_mT8_P12ihipStream_tbDpT10_ENKUlT_T0_E_clISt17integral_constantIbLb1EES1C_IbLb0EEEEDaS18_S19_EUlS18_E_NS1_11comp_targetILNS1_3genE4ELNS1_11target_archE910ELNS1_3gpuE8ELNS1_3repE0EEENS1_30default_config_static_selectorELNS0_4arch9wavefront6targetE0EEEvT1_.uses_vcc, 0
	.set _ZN7rocprim17ROCPRIM_400000_NS6detail17trampoline_kernelINS0_14default_configENS1_25partition_config_selectorILNS1_17partition_subalgoE5ElNS0_10empty_typeEbEEZZNS1_14partition_implILS5_5ELb0ES3_mN6hipcub16HIPCUB_304000_NS21CountingInputIteratorIllEEPS6_NSA_22TransformInputIteratorIbN2at6native12_GLOBAL__N_19NonZeroOpIN3c108BFloat16EEEPKSK_lEENS0_5tupleIJPlS6_EEENSP_IJSD_SD_EEES6_PiJS6_EEE10hipError_tPvRmT3_T4_T5_T6_T7_T9_mT8_P12ihipStream_tbDpT10_ENKUlT_T0_E_clISt17integral_constantIbLb1EES1C_IbLb0EEEEDaS18_S19_EUlS18_E_NS1_11comp_targetILNS1_3genE4ELNS1_11target_archE910ELNS1_3gpuE8ELNS1_3repE0EEENS1_30default_config_static_selectorELNS0_4arch9wavefront6targetE0EEEvT1_.uses_flat_scratch, 0
	.set _ZN7rocprim17ROCPRIM_400000_NS6detail17trampoline_kernelINS0_14default_configENS1_25partition_config_selectorILNS1_17partition_subalgoE5ElNS0_10empty_typeEbEEZZNS1_14partition_implILS5_5ELb0ES3_mN6hipcub16HIPCUB_304000_NS21CountingInputIteratorIllEEPS6_NSA_22TransformInputIteratorIbN2at6native12_GLOBAL__N_19NonZeroOpIN3c108BFloat16EEEPKSK_lEENS0_5tupleIJPlS6_EEENSP_IJSD_SD_EEES6_PiJS6_EEE10hipError_tPvRmT3_T4_T5_T6_T7_T9_mT8_P12ihipStream_tbDpT10_ENKUlT_T0_E_clISt17integral_constantIbLb1EES1C_IbLb0EEEEDaS18_S19_EUlS18_E_NS1_11comp_targetILNS1_3genE4ELNS1_11target_archE910ELNS1_3gpuE8ELNS1_3repE0EEENS1_30default_config_static_selectorELNS0_4arch9wavefront6targetE0EEEvT1_.has_dyn_sized_stack, 0
	.set _ZN7rocprim17ROCPRIM_400000_NS6detail17trampoline_kernelINS0_14default_configENS1_25partition_config_selectorILNS1_17partition_subalgoE5ElNS0_10empty_typeEbEEZZNS1_14partition_implILS5_5ELb0ES3_mN6hipcub16HIPCUB_304000_NS21CountingInputIteratorIllEEPS6_NSA_22TransformInputIteratorIbN2at6native12_GLOBAL__N_19NonZeroOpIN3c108BFloat16EEEPKSK_lEENS0_5tupleIJPlS6_EEENSP_IJSD_SD_EEES6_PiJS6_EEE10hipError_tPvRmT3_T4_T5_T6_T7_T9_mT8_P12ihipStream_tbDpT10_ENKUlT_T0_E_clISt17integral_constantIbLb1EES1C_IbLb0EEEEDaS18_S19_EUlS18_E_NS1_11comp_targetILNS1_3genE4ELNS1_11target_archE910ELNS1_3gpuE8ELNS1_3repE0EEENS1_30default_config_static_selectorELNS0_4arch9wavefront6targetE0EEEvT1_.has_recursion, 0
	.set _ZN7rocprim17ROCPRIM_400000_NS6detail17trampoline_kernelINS0_14default_configENS1_25partition_config_selectorILNS1_17partition_subalgoE5ElNS0_10empty_typeEbEEZZNS1_14partition_implILS5_5ELb0ES3_mN6hipcub16HIPCUB_304000_NS21CountingInputIteratorIllEEPS6_NSA_22TransformInputIteratorIbN2at6native12_GLOBAL__N_19NonZeroOpIN3c108BFloat16EEEPKSK_lEENS0_5tupleIJPlS6_EEENSP_IJSD_SD_EEES6_PiJS6_EEE10hipError_tPvRmT3_T4_T5_T6_T7_T9_mT8_P12ihipStream_tbDpT10_ENKUlT_T0_E_clISt17integral_constantIbLb1EES1C_IbLb0EEEEDaS18_S19_EUlS18_E_NS1_11comp_targetILNS1_3genE4ELNS1_11target_archE910ELNS1_3gpuE8ELNS1_3repE0EEENS1_30default_config_static_selectorELNS0_4arch9wavefront6targetE0EEEvT1_.has_indirect_call, 0
	.section	.AMDGPU.csdata,"",@progbits
; Kernel info:
; codeLenInByte = 0
; TotalNumSgprs: 0
; NumVgprs: 0
; ScratchSize: 0
; MemoryBound: 0
; FloatMode: 240
; IeeeMode: 1
; LDSByteSize: 0 bytes/workgroup (compile time only)
; SGPRBlocks: 0
; VGPRBlocks: 0
; NumSGPRsForWavesPerEU: 1
; NumVGPRsForWavesPerEU: 1
; Occupancy: 16
; WaveLimiterHint : 0
; COMPUTE_PGM_RSRC2:SCRATCH_EN: 0
; COMPUTE_PGM_RSRC2:USER_SGPR: 2
; COMPUTE_PGM_RSRC2:TRAP_HANDLER: 0
; COMPUTE_PGM_RSRC2:TGID_X_EN: 1
; COMPUTE_PGM_RSRC2:TGID_Y_EN: 0
; COMPUTE_PGM_RSRC2:TGID_Z_EN: 0
; COMPUTE_PGM_RSRC2:TIDIG_COMP_CNT: 0
	.section	.text._ZN7rocprim17ROCPRIM_400000_NS6detail17trampoline_kernelINS0_14default_configENS1_25partition_config_selectorILNS1_17partition_subalgoE5ElNS0_10empty_typeEbEEZZNS1_14partition_implILS5_5ELb0ES3_mN6hipcub16HIPCUB_304000_NS21CountingInputIteratorIllEEPS6_NSA_22TransformInputIteratorIbN2at6native12_GLOBAL__N_19NonZeroOpIN3c108BFloat16EEEPKSK_lEENS0_5tupleIJPlS6_EEENSP_IJSD_SD_EEES6_PiJS6_EEE10hipError_tPvRmT3_T4_T5_T6_T7_T9_mT8_P12ihipStream_tbDpT10_ENKUlT_T0_E_clISt17integral_constantIbLb1EES1C_IbLb0EEEEDaS18_S19_EUlS18_E_NS1_11comp_targetILNS1_3genE3ELNS1_11target_archE908ELNS1_3gpuE7ELNS1_3repE0EEENS1_30default_config_static_selectorELNS0_4arch9wavefront6targetE0EEEvT1_,"axG",@progbits,_ZN7rocprim17ROCPRIM_400000_NS6detail17trampoline_kernelINS0_14default_configENS1_25partition_config_selectorILNS1_17partition_subalgoE5ElNS0_10empty_typeEbEEZZNS1_14partition_implILS5_5ELb0ES3_mN6hipcub16HIPCUB_304000_NS21CountingInputIteratorIllEEPS6_NSA_22TransformInputIteratorIbN2at6native12_GLOBAL__N_19NonZeroOpIN3c108BFloat16EEEPKSK_lEENS0_5tupleIJPlS6_EEENSP_IJSD_SD_EEES6_PiJS6_EEE10hipError_tPvRmT3_T4_T5_T6_T7_T9_mT8_P12ihipStream_tbDpT10_ENKUlT_T0_E_clISt17integral_constantIbLb1EES1C_IbLb0EEEEDaS18_S19_EUlS18_E_NS1_11comp_targetILNS1_3genE3ELNS1_11target_archE908ELNS1_3gpuE7ELNS1_3repE0EEENS1_30default_config_static_selectorELNS0_4arch9wavefront6targetE0EEEvT1_,comdat
	.globl	_ZN7rocprim17ROCPRIM_400000_NS6detail17trampoline_kernelINS0_14default_configENS1_25partition_config_selectorILNS1_17partition_subalgoE5ElNS0_10empty_typeEbEEZZNS1_14partition_implILS5_5ELb0ES3_mN6hipcub16HIPCUB_304000_NS21CountingInputIteratorIllEEPS6_NSA_22TransformInputIteratorIbN2at6native12_GLOBAL__N_19NonZeroOpIN3c108BFloat16EEEPKSK_lEENS0_5tupleIJPlS6_EEENSP_IJSD_SD_EEES6_PiJS6_EEE10hipError_tPvRmT3_T4_T5_T6_T7_T9_mT8_P12ihipStream_tbDpT10_ENKUlT_T0_E_clISt17integral_constantIbLb1EES1C_IbLb0EEEEDaS18_S19_EUlS18_E_NS1_11comp_targetILNS1_3genE3ELNS1_11target_archE908ELNS1_3gpuE7ELNS1_3repE0EEENS1_30default_config_static_selectorELNS0_4arch9wavefront6targetE0EEEvT1_ ; -- Begin function _ZN7rocprim17ROCPRIM_400000_NS6detail17trampoline_kernelINS0_14default_configENS1_25partition_config_selectorILNS1_17partition_subalgoE5ElNS0_10empty_typeEbEEZZNS1_14partition_implILS5_5ELb0ES3_mN6hipcub16HIPCUB_304000_NS21CountingInputIteratorIllEEPS6_NSA_22TransformInputIteratorIbN2at6native12_GLOBAL__N_19NonZeroOpIN3c108BFloat16EEEPKSK_lEENS0_5tupleIJPlS6_EEENSP_IJSD_SD_EEES6_PiJS6_EEE10hipError_tPvRmT3_T4_T5_T6_T7_T9_mT8_P12ihipStream_tbDpT10_ENKUlT_T0_E_clISt17integral_constantIbLb1EES1C_IbLb0EEEEDaS18_S19_EUlS18_E_NS1_11comp_targetILNS1_3genE3ELNS1_11target_archE908ELNS1_3gpuE7ELNS1_3repE0EEENS1_30default_config_static_selectorELNS0_4arch9wavefront6targetE0EEEvT1_
	.p2align	8
	.type	_ZN7rocprim17ROCPRIM_400000_NS6detail17trampoline_kernelINS0_14default_configENS1_25partition_config_selectorILNS1_17partition_subalgoE5ElNS0_10empty_typeEbEEZZNS1_14partition_implILS5_5ELb0ES3_mN6hipcub16HIPCUB_304000_NS21CountingInputIteratorIllEEPS6_NSA_22TransformInputIteratorIbN2at6native12_GLOBAL__N_19NonZeroOpIN3c108BFloat16EEEPKSK_lEENS0_5tupleIJPlS6_EEENSP_IJSD_SD_EEES6_PiJS6_EEE10hipError_tPvRmT3_T4_T5_T6_T7_T9_mT8_P12ihipStream_tbDpT10_ENKUlT_T0_E_clISt17integral_constantIbLb1EES1C_IbLb0EEEEDaS18_S19_EUlS18_E_NS1_11comp_targetILNS1_3genE3ELNS1_11target_archE908ELNS1_3gpuE7ELNS1_3repE0EEENS1_30default_config_static_selectorELNS0_4arch9wavefront6targetE0EEEvT1_,@function
_ZN7rocprim17ROCPRIM_400000_NS6detail17trampoline_kernelINS0_14default_configENS1_25partition_config_selectorILNS1_17partition_subalgoE5ElNS0_10empty_typeEbEEZZNS1_14partition_implILS5_5ELb0ES3_mN6hipcub16HIPCUB_304000_NS21CountingInputIteratorIllEEPS6_NSA_22TransformInputIteratorIbN2at6native12_GLOBAL__N_19NonZeroOpIN3c108BFloat16EEEPKSK_lEENS0_5tupleIJPlS6_EEENSP_IJSD_SD_EEES6_PiJS6_EEE10hipError_tPvRmT3_T4_T5_T6_T7_T9_mT8_P12ihipStream_tbDpT10_ENKUlT_T0_E_clISt17integral_constantIbLb1EES1C_IbLb0EEEEDaS18_S19_EUlS18_E_NS1_11comp_targetILNS1_3genE3ELNS1_11target_archE908ELNS1_3gpuE7ELNS1_3repE0EEENS1_30default_config_static_selectorELNS0_4arch9wavefront6targetE0EEEvT1_: ; @_ZN7rocprim17ROCPRIM_400000_NS6detail17trampoline_kernelINS0_14default_configENS1_25partition_config_selectorILNS1_17partition_subalgoE5ElNS0_10empty_typeEbEEZZNS1_14partition_implILS5_5ELb0ES3_mN6hipcub16HIPCUB_304000_NS21CountingInputIteratorIllEEPS6_NSA_22TransformInputIteratorIbN2at6native12_GLOBAL__N_19NonZeroOpIN3c108BFloat16EEEPKSK_lEENS0_5tupleIJPlS6_EEENSP_IJSD_SD_EEES6_PiJS6_EEE10hipError_tPvRmT3_T4_T5_T6_T7_T9_mT8_P12ihipStream_tbDpT10_ENKUlT_T0_E_clISt17integral_constantIbLb1EES1C_IbLb0EEEEDaS18_S19_EUlS18_E_NS1_11comp_targetILNS1_3genE3ELNS1_11target_archE908ELNS1_3gpuE7ELNS1_3repE0EEENS1_30default_config_static_selectorELNS0_4arch9wavefront6targetE0EEEvT1_
; %bb.0:
	.section	.rodata,"a",@progbits
	.p2align	6, 0x0
	.amdhsa_kernel _ZN7rocprim17ROCPRIM_400000_NS6detail17trampoline_kernelINS0_14default_configENS1_25partition_config_selectorILNS1_17partition_subalgoE5ElNS0_10empty_typeEbEEZZNS1_14partition_implILS5_5ELb0ES3_mN6hipcub16HIPCUB_304000_NS21CountingInputIteratorIllEEPS6_NSA_22TransformInputIteratorIbN2at6native12_GLOBAL__N_19NonZeroOpIN3c108BFloat16EEEPKSK_lEENS0_5tupleIJPlS6_EEENSP_IJSD_SD_EEES6_PiJS6_EEE10hipError_tPvRmT3_T4_T5_T6_T7_T9_mT8_P12ihipStream_tbDpT10_ENKUlT_T0_E_clISt17integral_constantIbLb1EES1C_IbLb0EEEEDaS18_S19_EUlS18_E_NS1_11comp_targetILNS1_3genE3ELNS1_11target_archE908ELNS1_3gpuE7ELNS1_3repE0EEENS1_30default_config_static_selectorELNS0_4arch9wavefront6targetE0EEEvT1_
		.amdhsa_group_segment_fixed_size 0
		.amdhsa_private_segment_fixed_size 0
		.amdhsa_kernarg_size 120
		.amdhsa_user_sgpr_count 2
		.amdhsa_user_sgpr_dispatch_ptr 0
		.amdhsa_user_sgpr_queue_ptr 0
		.amdhsa_user_sgpr_kernarg_segment_ptr 1
		.amdhsa_user_sgpr_dispatch_id 0
		.amdhsa_user_sgpr_private_segment_size 0
		.amdhsa_wavefront_size32 1
		.amdhsa_uses_dynamic_stack 0
		.amdhsa_enable_private_segment 0
		.amdhsa_system_sgpr_workgroup_id_x 1
		.amdhsa_system_sgpr_workgroup_id_y 0
		.amdhsa_system_sgpr_workgroup_id_z 0
		.amdhsa_system_sgpr_workgroup_info 0
		.amdhsa_system_vgpr_workitem_id 0
		.amdhsa_next_free_vgpr 1
		.amdhsa_next_free_sgpr 1
		.amdhsa_reserve_vcc 0
		.amdhsa_float_round_mode_32 0
		.amdhsa_float_round_mode_16_64 0
		.amdhsa_float_denorm_mode_32 3
		.amdhsa_float_denorm_mode_16_64 3
		.amdhsa_fp16_overflow 0
		.amdhsa_workgroup_processor_mode 1
		.amdhsa_memory_ordered 1
		.amdhsa_forward_progress 1
		.amdhsa_inst_pref_size 0
		.amdhsa_round_robin_scheduling 0
		.amdhsa_exception_fp_ieee_invalid_op 0
		.amdhsa_exception_fp_denorm_src 0
		.amdhsa_exception_fp_ieee_div_zero 0
		.amdhsa_exception_fp_ieee_overflow 0
		.amdhsa_exception_fp_ieee_underflow 0
		.amdhsa_exception_fp_ieee_inexact 0
		.amdhsa_exception_int_div_zero 0
	.end_amdhsa_kernel
	.section	.text._ZN7rocprim17ROCPRIM_400000_NS6detail17trampoline_kernelINS0_14default_configENS1_25partition_config_selectorILNS1_17partition_subalgoE5ElNS0_10empty_typeEbEEZZNS1_14partition_implILS5_5ELb0ES3_mN6hipcub16HIPCUB_304000_NS21CountingInputIteratorIllEEPS6_NSA_22TransformInputIteratorIbN2at6native12_GLOBAL__N_19NonZeroOpIN3c108BFloat16EEEPKSK_lEENS0_5tupleIJPlS6_EEENSP_IJSD_SD_EEES6_PiJS6_EEE10hipError_tPvRmT3_T4_T5_T6_T7_T9_mT8_P12ihipStream_tbDpT10_ENKUlT_T0_E_clISt17integral_constantIbLb1EES1C_IbLb0EEEEDaS18_S19_EUlS18_E_NS1_11comp_targetILNS1_3genE3ELNS1_11target_archE908ELNS1_3gpuE7ELNS1_3repE0EEENS1_30default_config_static_selectorELNS0_4arch9wavefront6targetE0EEEvT1_,"axG",@progbits,_ZN7rocprim17ROCPRIM_400000_NS6detail17trampoline_kernelINS0_14default_configENS1_25partition_config_selectorILNS1_17partition_subalgoE5ElNS0_10empty_typeEbEEZZNS1_14partition_implILS5_5ELb0ES3_mN6hipcub16HIPCUB_304000_NS21CountingInputIteratorIllEEPS6_NSA_22TransformInputIteratorIbN2at6native12_GLOBAL__N_19NonZeroOpIN3c108BFloat16EEEPKSK_lEENS0_5tupleIJPlS6_EEENSP_IJSD_SD_EEES6_PiJS6_EEE10hipError_tPvRmT3_T4_T5_T6_T7_T9_mT8_P12ihipStream_tbDpT10_ENKUlT_T0_E_clISt17integral_constantIbLb1EES1C_IbLb0EEEEDaS18_S19_EUlS18_E_NS1_11comp_targetILNS1_3genE3ELNS1_11target_archE908ELNS1_3gpuE7ELNS1_3repE0EEENS1_30default_config_static_selectorELNS0_4arch9wavefront6targetE0EEEvT1_,comdat
.Lfunc_end817:
	.size	_ZN7rocprim17ROCPRIM_400000_NS6detail17trampoline_kernelINS0_14default_configENS1_25partition_config_selectorILNS1_17partition_subalgoE5ElNS0_10empty_typeEbEEZZNS1_14partition_implILS5_5ELb0ES3_mN6hipcub16HIPCUB_304000_NS21CountingInputIteratorIllEEPS6_NSA_22TransformInputIteratorIbN2at6native12_GLOBAL__N_19NonZeroOpIN3c108BFloat16EEEPKSK_lEENS0_5tupleIJPlS6_EEENSP_IJSD_SD_EEES6_PiJS6_EEE10hipError_tPvRmT3_T4_T5_T6_T7_T9_mT8_P12ihipStream_tbDpT10_ENKUlT_T0_E_clISt17integral_constantIbLb1EES1C_IbLb0EEEEDaS18_S19_EUlS18_E_NS1_11comp_targetILNS1_3genE3ELNS1_11target_archE908ELNS1_3gpuE7ELNS1_3repE0EEENS1_30default_config_static_selectorELNS0_4arch9wavefront6targetE0EEEvT1_, .Lfunc_end817-_ZN7rocprim17ROCPRIM_400000_NS6detail17trampoline_kernelINS0_14default_configENS1_25partition_config_selectorILNS1_17partition_subalgoE5ElNS0_10empty_typeEbEEZZNS1_14partition_implILS5_5ELb0ES3_mN6hipcub16HIPCUB_304000_NS21CountingInputIteratorIllEEPS6_NSA_22TransformInputIteratorIbN2at6native12_GLOBAL__N_19NonZeroOpIN3c108BFloat16EEEPKSK_lEENS0_5tupleIJPlS6_EEENSP_IJSD_SD_EEES6_PiJS6_EEE10hipError_tPvRmT3_T4_T5_T6_T7_T9_mT8_P12ihipStream_tbDpT10_ENKUlT_T0_E_clISt17integral_constantIbLb1EES1C_IbLb0EEEEDaS18_S19_EUlS18_E_NS1_11comp_targetILNS1_3genE3ELNS1_11target_archE908ELNS1_3gpuE7ELNS1_3repE0EEENS1_30default_config_static_selectorELNS0_4arch9wavefront6targetE0EEEvT1_
                                        ; -- End function
	.set _ZN7rocprim17ROCPRIM_400000_NS6detail17trampoline_kernelINS0_14default_configENS1_25partition_config_selectorILNS1_17partition_subalgoE5ElNS0_10empty_typeEbEEZZNS1_14partition_implILS5_5ELb0ES3_mN6hipcub16HIPCUB_304000_NS21CountingInputIteratorIllEEPS6_NSA_22TransformInputIteratorIbN2at6native12_GLOBAL__N_19NonZeroOpIN3c108BFloat16EEEPKSK_lEENS0_5tupleIJPlS6_EEENSP_IJSD_SD_EEES6_PiJS6_EEE10hipError_tPvRmT3_T4_T5_T6_T7_T9_mT8_P12ihipStream_tbDpT10_ENKUlT_T0_E_clISt17integral_constantIbLb1EES1C_IbLb0EEEEDaS18_S19_EUlS18_E_NS1_11comp_targetILNS1_3genE3ELNS1_11target_archE908ELNS1_3gpuE7ELNS1_3repE0EEENS1_30default_config_static_selectorELNS0_4arch9wavefront6targetE0EEEvT1_.num_vgpr, 0
	.set _ZN7rocprim17ROCPRIM_400000_NS6detail17trampoline_kernelINS0_14default_configENS1_25partition_config_selectorILNS1_17partition_subalgoE5ElNS0_10empty_typeEbEEZZNS1_14partition_implILS5_5ELb0ES3_mN6hipcub16HIPCUB_304000_NS21CountingInputIteratorIllEEPS6_NSA_22TransformInputIteratorIbN2at6native12_GLOBAL__N_19NonZeroOpIN3c108BFloat16EEEPKSK_lEENS0_5tupleIJPlS6_EEENSP_IJSD_SD_EEES6_PiJS6_EEE10hipError_tPvRmT3_T4_T5_T6_T7_T9_mT8_P12ihipStream_tbDpT10_ENKUlT_T0_E_clISt17integral_constantIbLb1EES1C_IbLb0EEEEDaS18_S19_EUlS18_E_NS1_11comp_targetILNS1_3genE3ELNS1_11target_archE908ELNS1_3gpuE7ELNS1_3repE0EEENS1_30default_config_static_selectorELNS0_4arch9wavefront6targetE0EEEvT1_.num_agpr, 0
	.set _ZN7rocprim17ROCPRIM_400000_NS6detail17trampoline_kernelINS0_14default_configENS1_25partition_config_selectorILNS1_17partition_subalgoE5ElNS0_10empty_typeEbEEZZNS1_14partition_implILS5_5ELb0ES3_mN6hipcub16HIPCUB_304000_NS21CountingInputIteratorIllEEPS6_NSA_22TransformInputIteratorIbN2at6native12_GLOBAL__N_19NonZeroOpIN3c108BFloat16EEEPKSK_lEENS0_5tupleIJPlS6_EEENSP_IJSD_SD_EEES6_PiJS6_EEE10hipError_tPvRmT3_T4_T5_T6_T7_T9_mT8_P12ihipStream_tbDpT10_ENKUlT_T0_E_clISt17integral_constantIbLb1EES1C_IbLb0EEEEDaS18_S19_EUlS18_E_NS1_11comp_targetILNS1_3genE3ELNS1_11target_archE908ELNS1_3gpuE7ELNS1_3repE0EEENS1_30default_config_static_selectorELNS0_4arch9wavefront6targetE0EEEvT1_.numbered_sgpr, 0
	.set _ZN7rocprim17ROCPRIM_400000_NS6detail17trampoline_kernelINS0_14default_configENS1_25partition_config_selectorILNS1_17partition_subalgoE5ElNS0_10empty_typeEbEEZZNS1_14partition_implILS5_5ELb0ES3_mN6hipcub16HIPCUB_304000_NS21CountingInputIteratorIllEEPS6_NSA_22TransformInputIteratorIbN2at6native12_GLOBAL__N_19NonZeroOpIN3c108BFloat16EEEPKSK_lEENS0_5tupleIJPlS6_EEENSP_IJSD_SD_EEES6_PiJS6_EEE10hipError_tPvRmT3_T4_T5_T6_T7_T9_mT8_P12ihipStream_tbDpT10_ENKUlT_T0_E_clISt17integral_constantIbLb1EES1C_IbLb0EEEEDaS18_S19_EUlS18_E_NS1_11comp_targetILNS1_3genE3ELNS1_11target_archE908ELNS1_3gpuE7ELNS1_3repE0EEENS1_30default_config_static_selectorELNS0_4arch9wavefront6targetE0EEEvT1_.num_named_barrier, 0
	.set _ZN7rocprim17ROCPRIM_400000_NS6detail17trampoline_kernelINS0_14default_configENS1_25partition_config_selectorILNS1_17partition_subalgoE5ElNS0_10empty_typeEbEEZZNS1_14partition_implILS5_5ELb0ES3_mN6hipcub16HIPCUB_304000_NS21CountingInputIteratorIllEEPS6_NSA_22TransformInputIteratorIbN2at6native12_GLOBAL__N_19NonZeroOpIN3c108BFloat16EEEPKSK_lEENS0_5tupleIJPlS6_EEENSP_IJSD_SD_EEES6_PiJS6_EEE10hipError_tPvRmT3_T4_T5_T6_T7_T9_mT8_P12ihipStream_tbDpT10_ENKUlT_T0_E_clISt17integral_constantIbLb1EES1C_IbLb0EEEEDaS18_S19_EUlS18_E_NS1_11comp_targetILNS1_3genE3ELNS1_11target_archE908ELNS1_3gpuE7ELNS1_3repE0EEENS1_30default_config_static_selectorELNS0_4arch9wavefront6targetE0EEEvT1_.private_seg_size, 0
	.set _ZN7rocprim17ROCPRIM_400000_NS6detail17trampoline_kernelINS0_14default_configENS1_25partition_config_selectorILNS1_17partition_subalgoE5ElNS0_10empty_typeEbEEZZNS1_14partition_implILS5_5ELb0ES3_mN6hipcub16HIPCUB_304000_NS21CountingInputIteratorIllEEPS6_NSA_22TransformInputIteratorIbN2at6native12_GLOBAL__N_19NonZeroOpIN3c108BFloat16EEEPKSK_lEENS0_5tupleIJPlS6_EEENSP_IJSD_SD_EEES6_PiJS6_EEE10hipError_tPvRmT3_T4_T5_T6_T7_T9_mT8_P12ihipStream_tbDpT10_ENKUlT_T0_E_clISt17integral_constantIbLb1EES1C_IbLb0EEEEDaS18_S19_EUlS18_E_NS1_11comp_targetILNS1_3genE3ELNS1_11target_archE908ELNS1_3gpuE7ELNS1_3repE0EEENS1_30default_config_static_selectorELNS0_4arch9wavefront6targetE0EEEvT1_.uses_vcc, 0
	.set _ZN7rocprim17ROCPRIM_400000_NS6detail17trampoline_kernelINS0_14default_configENS1_25partition_config_selectorILNS1_17partition_subalgoE5ElNS0_10empty_typeEbEEZZNS1_14partition_implILS5_5ELb0ES3_mN6hipcub16HIPCUB_304000_NS21CountingInputIteratorIllEEPS6_NSA_22TransformInputIteratorIbN2at6native12_GLOBAL__N_19NonZeroOpIN3c108BFloat16EEEPKSK_lEENS0_5tupleIJPlS6_EEENSP_IJSD_SD_EEES6_PiJS6_EEE10hipError_tPvRmT3_T4_T5_T6_T7_T9_mT8_P12ihipStream_tbDpT10_ENKUlT_T0_E_clISt17integral_constantIbLb1EES1C_IbLb0EEEEDaS18_S19_EUlS18_E_NS1_11comp_targetILNS1_3genE3ELNS1_11target_archE908ELNS1_3gpuE7ELNS1_3repE0EEENS1_30default_config_static_selectorELNS0_4arch9wavefront6targetE0EEEvT1_.uses_flat_scratch, 0
	.set _ZN7rocprim17ROCPRIM_400000_NS6detail17trampoline_kernelINS0_14default_configENS1_25partition_config_selectorILNS1_17partition_subalgoE5ElNS0_10empty_typeEbEEZZNS1_14partition_implILS5_5ELb0ES3_mN6hipcub16HIPCUB_304000_NS21CountingInputIteratorIllEEPS6_NSA_22TransformInputIteratorIbN2at6native12_GLOBAL__N_19NonZeroOpIN3c108BFloat16EEEPKSK_lEENS0_5tupleIJPlS6_EEENSP_IJSD_SD_EEES6_PiJS6_EEE10hipError_tPvRmT3_T4_T5_T6_T7_T9_mT8_P12ihipStream_tbDpT10_ENKUlT_T0_E_clISt17integral_constantIbLb1EES1C_IbLb0EEEEDaS18_S19_EUlS18_E_NS1_11comp_targetILNS1_3genE3ELNS1_11target_archE908ELNS1_3gpuE7ELNS1_3repE0EEENS1_30default_config_static_selectorELNS0_4arch9wavefront6targetE0EEEvT1_.has_dyn_sized_stack, 0
	.set _ZN7rocprim17ROCPRIM_400000_NS6detail17trampoline_kernelINS0_14default_configENS1_25partition_config_selectorILNS1_17partition_subalgoE5ElNS0_10empty_typeEbEEZZNS1_14partition_implILS5_5ELb0ES3_mN6hipcub16HIPCUB_304000_NS21CountingInputIteratorIllEEPS6_NSA_22TransformInputIteratorIbN2at6native12_GLOBAL__N_19NonZeroOpIN3c108BFloat16EEEPKSK_lEENS0_5tupleIJPlS6_EEENSP_IJSD_SD_EEES6_PiJS6_EEE10hipError_tPvRmT3_T4_T5_T6_T7_T9_mT8_P12ihipStream_tbDpT10_ENKUlT_T0_E_clISt17integral_constantIbLb1EES1C_IbLb0EEEEDaS18_S19_EUlS18_E_NS1_11comp_targetILNS1_3genE3ELNS1_11target_archE908ELNS1_3gpuE7ELNS1_3repE0EEENS1_30default_config_static_selectorELNS0_4arch9wavefront6targetE0EEEvT1_.has_recursion, 0
	.set _ZN7rocprim17ROCPRIM_400000_NS6detail17trampoline_kernelINS0_14default_configENS1_25partition_config_selectorILNS1_17partition_subalgoE5ElNS0_10empty_typeEbEEZZNS1_14partition_implILS5_5ELb0ES3_mN6hipcub16HIPCUB_304000_NS21CountingInputIteratorIllEEPS6_NSA_22TransformInputIteratorIbN2at6native12_GLOBAL__N_19NonZeroOpIN3c108BFloat16EEEPKSK_lEENS0_5tupleIJPlS6_EEENSP_IJSD_SD_EEES6_PiJS6_EEE10hipError_tPvRmT3_T4_T5_T6_T7_T9_mT8_P12ihipStream_tbDpT10_ENKUlT_T0_E_clISt17integral_constantIbLb1EES1C_IbLb0EEEEDaS18_S19_EUlS18_E_NS1_11comp_targetILNS1_3genE3ELNS1_11target_archE908ELNS1_3gpuE7ELNS1_3repE0EEENS1_30default_config_static_selectorELNS0_4arch9wavefront6targetE0EEEvT1_.has_indirect_call, 0
	.section	.AMDGPU.csdata,"",@progbits
; Kernel info:
; codeLenInByte = 0
; TotalNumSgprs: 0
; NumVgprs: 0
; ScratchSize: 0
; MemoryBound: 0
; FloatMode: 240
; IeeeMode: 1
; LDSByteSize: 0 bytes/workgroup (compile time only)
; SGPRBlocks: 0
; VGPRBlocks: 0
; NumSGPRsForWavesPerEU: 1
; NumVGPRsForWavesPerEU: 1
; Occupancy: 16
; WaveLimiterHint : 0
; COMPUTE_PGM_RSRC2:SCRATCH_EN: 0
; COMPUTE_PGM_RSRC2:USER_SGPR: 2
; COMPUTE_PGM_RSRC2:TRAP_HANDLER: 0
; COMPUTE_PGM_RSRC2:TGID_X_EN: 1
; COMPUTE_PGM_RSRC2:TGID_Y_EN: 0
; COMPUTE_PGM_RSRC2:TGID_Z_EN: 0
; COMPUTE_PGM_RSRC2:TIDIG_COMP_CNT: 0
	.section	.text._ZN7rocprim17ROCPRIM_400000_NS6detail17trampoline_kernelINS0_14default_configENS1_25partition_config_selectorILNS1_17partition_subalgoE5ElNS0_10empty_typeEbEEZZNS1_14partition_implILS5_5ELb0ES3_mN6hipcub16HIPCUB_304000_NS21CountingInputIteratorIllEEPS6_NSA_22TransformInputIteratorIbN2at6native12_GLOBAL__N_19NonZeroOpIN3c108BFloat16EEEPKSK_lEENS0_5tupleIJPlS6_EEENSP_IJSD_SD_EEES6_PiJS6_EEE10hipError_tPvRmT3_T4_T5_T6_T7_T9_mT8_P12ihipStream_tbDpT10_ENKUlT_T0_E_clISt17integral_constantIbLb1EES1C_IbLb0EEEEDaS18_S19_EUlS18_E_NS1_11comp_targetILNS1_3genE2ELNS1_11target_archE906ELNS1_3gpuE6ELNS1_3repE0EEENS1_30default_config_static_selectorELNS0_4arch9wavefront6targetE0EEEvT1_,"axG",@progbits,_ZN7rocprim17ROCPRIM_400000_NS6detail17trampoline_kernelINS0_14default_configENS1_25partition_config_selectorILNS1_17partition_subalgoE5ElNS0_10empty_typeEbEEZZNS1_14partition_implILS5_5ELb0ES3_mN6hipcub16HIPCUB_304000_NS21CountingInputIteratorIllEEPS6_NSA_22TransformInputIteratorIbN2at6native12_GLOBAL__N_19NonZeroOpIN3c108BFloat16EEEPKSK_lEENS0_5tupleIJPlS6_EEENSP_IJSD_SD_EEES6_PiJS6_EEE10hipError_tPvRmT3_T4_T5_T6_T7_T9_mT8_P12ihipStream_tbDpT10_ENKUlT_T0_E_clISt17integral_constantIbLb1EES1C_IbLb0EEEEDaS18_S19_EUlS18_E_NS1_11comp_targetILNS1_3genE2ELNS1_11target_archE906ELNS1_3gpuE6ELNS1_3repE0EEENS1_30default_config_static_selectorELNS0_4arch9wavefront6targetE0EEEvT1_,comdat
	.globl	_ZN7rocprim17ROCPRIM_400000_NS6detail17trampoline_kernelINS0_14default_configENS1_25partition_config_selectorILNS1_17partition_subalgoE5ElNS0_10empty_typeEbEEZZNS1_14partition_implILS5_5ELb0ES3_mN6hipcub16HIPCUB_304000_NS21CountingInputIteratorIllEEPS6_NSA_22TransformInputIteratorIbN2at6native12_GLOBAL__N_19NonZeroOpIN3c108BFloat16EEEPKSK_lEENS0_5tupleIJPlS6_EEENSP_IJSD_SD_EEES6_PiJS6_EEE10hipError_tPvRmT3_T4_T5_T6_T7_T9_mT8_P12ihipStream_tbDpT10_ENKUlT_T0_E_clISt17integral_constantIbLb1EES1C_IbLb0EEEEDaS18_S19_EUlS18_E_NS1_11comp_targetILNS1_3genE2ELNS1_11target_archE906ELNS1_3gpuE6ELNS1_3repE0EEENS1_30default_config_static_selectorELNS0_4arch9wavefront6targetE0EEEvT1_ ; -- Begin function _ZN7rocprim17ROCPRIM_400000_NS6detail17trampoline_kernelINS0_14default_configENS1_25partition_config_selectorILNS1_17partition_subalgoE5ElNS0_10empty_typeEbEEZZNS1_14partition_implILS5_5ELb0ES3_mN6hipcub16HIPCUB_304000_NS21CountingInputIteratorIllEEPS6_NSA_22TransformInputIteratorIbN2at6native12_GLOBAL__N_19NonZeroOpIN3c108BFloat16EEEPKSK_lEENS0_5tupleIJPlS6_EEENSP_IJSD_SD_EEES6_PiJS6_EEE10hipError_tPvRmT3_T4_T5_T6_T7_T9_mT8_P12ihipStream_tbDpT10_ENKUlT_T0_E_clISt17integral_constantIbLb1EES1C_IbLb0EEEEDaS18_S19_EUlS18_E_NS1_11comp_targetILNS1_3genE2ELNS1_11target_archE906ELNS1_3gpuE6ELNS1_3repE0EEENS1_30default_config_static_selectorELNS0_4arch9wavefront6targetE0EEEvT1_
	.p2align	8
	.type	_ZN7rocprim17ROCPRIM_400000_NS6detail17trampoline_kernelINS0_14default_configENS1_25partition_config_selectorILNS1_17partition_subalgoE5ElNS0_10empty_typeEbEEZZNS1_14partition_implILS5_5ELb0ES3_mN6hipcub16HIPCUB_304000_NS21CountingInputIteratorIllEEPS6_NSA_22TransformInputIteratorIbN2at6native12_GLOBAL__N_19NonZeroOpIN3c108BFloat16EEEPKSK_lEENS0_5tupleIJPlS6_EEENSP_IJSD_SD_EEES6_PiJS6_EEE10hipError_tPvRmT3_T4_T5_T6_T7_T9_mT8_P12ihipStream_tbDpT10_ENKUlT_T0_E_clISt17integral_constantIbLb1EES1C_IbLb0EEEEDaS18_S19_EUlS18_E_NS1_11comp_targetILNS1_3genE2ELNS1_11target_archE906ELNS1_3gpuE6ELNS1_3repE0EEENS1_30default_config_static_selectorELNS0_4arch9wavefront6targetE0EEEvT1_,@function
_ZN7rocprim17ROCPRIM_400000_NS6detail17trampoline_kernelINS0_14default_configENS1_25partition_config_selectorILNS1_17partition_subalgoE5ElNS0_10empty_typeEbEEZZNS1_14partition_implILS5_5ELb0ES3_mN6hipcub16HIPCUB_304000_NS21CountingInputIteratorIllEEPS6_NSA_22TransformInputIteratorIbN2at6native12_GLOBAL__N_19NonZeroOpIN3c108BFloat16EEEPKSK_lEENS0_5tupleIJPlS6_EEENSP_IJSD_SD_EEES6_PiJS6_EEE10hipError_tPvRmT3_T4_T5_T6_T7_T9_mT8_P12ihipStream_tbDpT10_ENKUlT_T0_E_clISt17integral_constantIbLb1EES1C_IbLb0EEEEDaS18_S19_EUlS18_E_NS1_11comp_targetILNS1_3genE2ELNS1_11target_archE906ELNS1_3gpuE6ELNS1_3repE0EEENS1_30default_config_static_selectorELNS0_4arch9wavefront6targetE0EEEvT1_: ; @_ZN7rocprim17ROCPRIM_400000_NS6detail17trampoline_kernelINS0_14default_configENS1_25partition_config_selectorILNS1_17partition_subalgoE5ElNS0_10empty_typeEbEEZZNS1_14partition_implILS5_5ELb0ES3_mN6hipcub16HIPCUB_304000_NS21CountingInputIteratorIllEEPS6_NSA_22TransformInputIteratorIbN2at6native12_GLOBAL__N_19NonZeroOpIN3c108BFloat16EEEPKSK_lEENS0_5tupleIJPlS6_EEENSP_IJSD_SD_EEES6_PiJS6_EEE10hipError_tPvRmT3_T4_T5_T6_T7_T9_mT8_P12ihipStream_tbDpT10_ENKUlT_T0_E_clISt17integral_constantIbLb1EES1C_IbLb0EEEEDaS18_S19_EUlS18_E_NS1_11comp_targetILNS1_3genE2ELNS1_11target_archE906ELNS1_3gpuE6ELNS1_3repE0EEENS1_30default_config_static_selectorELNS0_4arch9wavefront6targetE0EEEvT1_
; %bb.0:
	.section	.rodata,"a",@progbits
	.p2align	6, 0x0
	.amdhsa_kernel _ZN7rocprim17ROCPRIM_400000_NS6detail17trampoline_kernelINS0_14default_configENS1_25partition_config_selectorILNS1_17partition_subalgoE5ElNS0_10empty_typeEbEEZZNS1_14partition_implILS5_5ELb0ES3_mN6hipcub16HIPCUB_304000_NS21CountingInputIteratorIllEEPS6_NSA_22TransformInputIteratorIbN2at6native12_GLOBAL__N_19NonZeroOpIN3c108BFloat16EEEPKSK_lEENS0_5tupleIJPlS6_EEENSP_IJSD_SD_EEES6_PiJS6_EEE10hipError_tPvRmT3_T4_T5_T6_T7_T9_mT8_P12ihipStream_tbDpT10_ENKUlT_T0_E_clISt17integral_constantIbLb1EES1C_IbLb0EEEEDaS18_S19_EUlS18_E_NS1_11comp_targetILNS1_3genE2ELNS1_11target_archE906ELNS1_3gpuE6ELNS1_3repE0EEENS1_30default_config_static_selectorELNS0_4arch9wavefront6targetE0EEEvT1_
		.amdhsa_group_segment_fixed_size 0
		.amdhsa_private_segment_fixed_size 0
		.amdhsa_kernarg_size 120
		.amdhsa_user_sgpr_count 2
		.amdhsa_user_sgpr_dispatch_ptr 0
		.amdhsa_user_sgpr_queue_ptr 0
		.amdhsa_user_sgpr_kernarg_segment_ptr 1
		.amdhsa_user_sgpr_dispatch_id 0
		.amdhsa_user_sgpr_private_segment_size 0
		.amdhsa_wavefront_size32 1
		.amdhsa_uses_dynamic_stack 0
		.amdhsa_enable_private_segment 0
		.amdhsa_system_sgpr_workgroup_id_x 1
		.amdhsa_system_sgpr_workgroup_id_y 0
		.amdhsa_system_sgpr_workgroup_id_z 0
		.amdhsa_system_sgpr_workgroup_info 0
		.amdhsa_system_vgpr_workitem_id 0
		.amdhsa_next_free_vgpr 1
		.amdhsa_next_free_sgpr 1
		.amdhsa_reserve_vcc 0
		.amdhsa_float_round_mode_32 0
		.amdhsa_float_round_mode_16_64 0
		.amdhsa_float_denorm_mode_32 3
		.amdhsa_float_denorm_mode_16_64 3
		.amdhsa_fp16_overflow 0
		.amdhsa_workgroup_processor_mode 1
		.amdhsa_memory_ordered 1
		.amdhsa_forward_progress 1
		.amdhsa_inst_pref_size 0
		.amdhsa_round_robin_scheduling 0
		.amdhsa_exception_fp_ieee_invalid_op 0
		.amdhsa_exception_fp_denorm_src 0
		.amdhsa_exception_fp_ieee_div_zero 0
		.amdhsa_exception_fp_ieee_overflow 0
		.amdhsa_exception_fp_ieee_underflow 0
		.amdhsa_exception_fp_ieee_inexact 0
		.amdhsa_exception_int_div_zero 0
	.end_amdhsa_kernel
	.section	.text._ZN7rocprim17ROCPRIM_400000_NS6detail17trampoline_kernelINS0_14default_configENS1_25partition_config_selectorILNS1_17partition_subalgoE5ElNS0_10empty_typeEbEEZZNS1_14partition_implILS5_5ELb0ES3_mN6hipcub16HIPCUB_304000_NS21CountingInputIteratorIllEEPS6_NSA_22TransformInputIteratorIbN2at6native12_GLOBAL__N_19NonZeroOpIN3c108BFloat16EEEPKSK_lEENS0_5tupleIJPlS6_EEENSP_IJSD_SD_EEES6_PiJS6_EEE10hipError_tPvRmT3_T4_T5_T6_T7_T9_mT8_P12ihipStream_tbDpT10_ENKUlT_T0_E_clISt17integral_constantIbLb1EES1C_IbLb0EEEEDaS18_S19_EUlS18_E_NS1_11comp_targetILNS1_3genE2ELNS1_11target_archE906ELNS1_3gpuE6ELNS1_3repE0EEENS1_30default_config_static_selectorELNS0_4arch9wavefront6targetE0EEEvT1_,"axG",@progbits,_ZN7rocprim17ROCPRIM_400000_NS6detail17trampoline_kernelINS0_14default_configENS1_25partition_config_selectorILNS1_17partition_subalgoE5ElNS0_10empty_typeEbEEZZNS1_14partition_implILS5_5ELb0ES3_mN6hipcub16HIPCUB_304000_NS21CountingInputIteratorIllEEPS6_NSA_22TransformInputIteratorIbN2at6native12_GLOBAL__N_19NonZeroOpIN3c108BFloat16EEEPKSK_lEENS0_5tupleIJPlS6_EEENSP_IJSD_SD_EEES6_PiJS6_EEE10hipError_tPvRmT3_T4_T5_T6_T7_T9_mT8_P12ihipStream_tbDpT10_ENKUlT_T0_E_clISt17integral_constantIbLb1EES1C_IbLb0EEEEDaS18_S19_EUlS18_E_NS1_11comp_targetILNS1_3genE2ELNS1_11target_archE906ELNS1_3gpuE6ELNS1_3repE0EEENS1_30default_config_static_selectorELNS0_4arch9wavefront6targetE0EEEvT1_,comdat
.Lfunc_end818:
	.size	_ZN7rocprim17ROCPRIM_400000_NS6detail17trampoline_kernelINS0_14default_configENS1_25partition_config_selectorILNS1_17partition_subalgoE5ElNS0_10empty_typeEbEEZZNS1_14partition_implILS5_5ELb0ES3_mN6hipcub16HIPCUB_304000_NS21CountingInputIteratorIllEEPS6_NSA_22TransformInputIteratorIbN2at6native12_GLOBAL__N_19NonZeroOpIN3c108BFloat16EEEPKSK_lEENS0_5tupleIJPlS6_EEENSP_IJSD_SD_EEES6_PiJS6_EEE10hipError_tPvRmT3_T4_T5_T6_T7_T9_mT8_P12ihipStream_tbDpT10_ENKUlT_T0_E_clISt17integral_constantIbLb1EES1C_IbLb0EEEEDaS18_S19_EUlS18_E_NS1_11comp_targetILNS1_3genE2ELNS1_11target_archE906ELNS1_3gpuE6ELNS1_3repE0EEENS1_30default_config_static_selectorELNS0_4arch9wavefront6targetE0EEEvT1_, .Lfunc_end818-_ZN7rocprim17ROCPRIM_400000_NS6detail17trampoline_kernelINS0_14default_configENS1_25partition_config_selectorILNS1_17partition_subalgoE5ElNS0_10empty_typeEbEEZZNS1_14partition_implILS5_5ELb0ES3_mN6hipcub16HIPCUB_304000_NS21CountingInputIteratorIllEEPS6_NSA_22TransformInputIteratorIbN2at6native12_GLOBAL__N_19NonZeroOpIN3c108BFloat16EEEPKSK_lEENS0_5tupleIJPlS6_EEENSP_IJSD_SD_EEES6_PiJS6_EEE10hipError_tPvRmT3_T4_T5_T6_T7_T9_mT8_P12ihipStream_tbDpT10_ENKUlT_T0_E_clISt17integral_constantIbLb1EES1C_IbLb0EEEEDaS18_S19_EUlS18_E_NS1_11comp_targetILNS1_3genE2ELNS1_11target_archE906ELNS1_3gpuE6ELNS1_3repE0EEENS1_30default_config_static_selectorELNS0_4arch9wavefront6targetE0EEEvT1_
                                        ; -- End function
	.set _ZN7rocprim17ROCPRIM_400000_NS6detail17trampoline_kernelINS0_14default_configENS1_25partition_config_selectorILNS1_17partition_subalgoE5ElNS0_10empty_typeEbEEZZNS1_14partition_implILS5_5ELb0ES3_mN6hipcub16HIPCUB_304000_NS21CountingInputIteratorIllEEPS6_NSA_22TransformInputIteratorIbN2at6native12_GLOBAL__N_19NonZeroOpIN3c108BFloat16EEEPKSK_lEENS0_5tupleIJPlS6_EEENSP_IJSD_SD_EEES6_PiJS6_EEE10hipError_tPvRmT3_T4_T5_T6_T7_T9_mT8_P12ihipStream_tbDpT10_ENKUlT_T0_E_clISt17integral_constantIbLb1EES1C_IbLb0EEEEDaS18_S19_EUlS18_E_NS1_11comp_targetILNS1_3genE2ELNS1_11target_archE906ELNS1_3gpuE6ELNS1_3repE0EEENS1_30default_config_static_selectorELNS0_4arch9wavefront6targetE0EEEvT1_.num_vgpr, 0
	.set _ZN7rocprim17ROCPRIM_400000_NS6detail17trampoline_kernelINS0_14default_configENS1_25partition_config_selectorILNS1_17partition_subalgoE5ElNS0_10empty_typeEbEEZZNS1_14partition_implILS5_5ELb0ES3_mN6hipcub16HIPCUB_304000_NS21CountingInputIteratorIllEEPS6_NSA_22TransformInputIteratorIbN2at6native12_GLOBAL__N_19NonZeroOpIN3c108BFloat16EEEPKSK_lEENS0_5tupleIJPlS6_EEENSP_IJSD_SD_EEES6_PiJS6_EEE10hipError_tPvRmT3_T4_T5_T6_T7_T9_mT8_P12ihipStream_tbDpT10_ENKUlT_T0_E_clISt17integral_constantIbLb1EES1C_IbLb0EEEEDaS18_S19_EUlS18_E_NS1_11comp_targetILNS1_3genE2ELNS1_11target_archE906ELNS1_3gpuE6ELNS1_3repE0EEENS1_30default_config_static_selectorELNS0_4arch9wavefront6targetE0EEEvT1_.num_agpr, 0
	.set _ZN7rocprim17ROCPRIM_400000_NS6detail17trampoline_kernelINS0_14default_configENS1_25partition_config_selectorILNS1_17partition_subalgoE5ElNS0_10empty_typeEbEEZZNS1_14partition_implILS5_5ELb0ES3_mN6hipcub16HIPCUB_304000_NS21CountingInputIteratorIllEEPS6_NSA_22TransformInputIteratorIbN2at6native12_GLOBAL__N_19NonZeroOpIN3c108BFloat16EEEPKSK_lEENS0_5tupleIJPlS6_EEENSP_IJSD_SD_EEES6_PiJS6_EEE10hipError_tPvRmT3_T4_T5_T6_T7_T9_mT8_P12ihipStream_tbDpT10_ENKUlT_T0_E_clISt17integral_constantIbLb1EES1C_IbLb0EEEEDaS18_S19_EUlS18_E_NS1_11comp_targetILNS1_3genE2ELNS1_11target_archE906ELNS1_3gpuE6ELNS1_3repE0EEENS1_30default_config_static_selectorELNS0_4arch9wavefront6targetE0EEEvT1_.numbered_sgpr, 0
	.set _ZN7rocprim17ROCPRIM_400000_NS6detail17trampoline_kernelINS0_14default_configENS1_25partition_config_selectorILNS1_17partition_subalgoE5ElNS0_10empty_typeEbEEZZNS1_14partition_implILS5_5ELb0ES3_mN6hipcub16HIPCUB_304000_NS21CountingInputIteratorIllEEPS6_NSA_22TransformInputIteratorIbN2at6native12_GLOBAL__N_19NonZeroOpIN3c108BFloat16EEEPKSK_lEENS0_5tupleIJPlS6_EEENSP_IJSD_SD_EEES6_PiJS6_EEE10hipError_tPvRmT3_T4_T5_T6_T7_T9_mT8_P12ihipStream_tbDpT10_ENKUlT_T0_E_clISt17integral_constantIbLb1EES1C_IbLb0EEEEDaS18_S19_EUlS18_E_NS1_11comp_targetILNS1_3genE2ELNS1_11target_archE906ELNS1_3gpuE6ELNS1_3repE0EEENS1_30default_config_static_selectorELNS0_4arch9wavefront6targetE0EEEvT1_.num_named_barrier, 0
	.set _ZN7rocprim17ROCPRIM_400000_NS6detail17trampoline_kernelINS0_14default_configENS1_25partition_config_selectorILNS1_17partition_subalgoE5ElNS0_10empty_typeEbEEZZNS1_14partition_implILS5_5ELb0ES3_mN6hipcub16HIPCUB_304000_NS21CountingInputIteratorIllEEPS6_NSA_22TransformInputIteratorIbN2at6native12_GLOBAL__N_19NonZeroOpIN3c108BFloat16EEEPKSK_lEENS0_5tupleIJPlS6_EEENSP_IJSD_SD_EEES6_PiJS6_EEE10hipError_tPvRmT3_T4_T5_T6_T7_T9_mT8_P12ihipStream_tbDpT10_ENKUlT_T0_E_clISt17integral_constantIbLb1EES1C_IbLb0EEEEDaS18_S19_EUlS18_E_NS1_11comp_targetILNS1_3genE2ELNS1_11target_archE906ELNS1_3gpuE6ELNS1_3repE0EEENS1_30default_config_static_selectorELNS0_4arch9wavefront6targetE0EEEvT1_.private_seg_size, 0
	.set _ZN7rocprim17ROCPRIM_400000_NS6detail17trampoline_kernelINS0_14default_configENS1_25partition_config_selectorILNS1_17partition_subalgoE5ElNS0_10empty_typeEbEEZZNS1_14partition_implILS5_5ELb0ES3_mN6hipcub16HIPCUB_304000_NS21CountingInputIteratorIllEEPS6_NSA_22TransformInputIteratorIbN2at6native12_GLOBAL__N_19NonZeroOpIN3c108BFloat16EEEPKSK_lEENS0_5tupleIJPlS6_EEENSP_IJSD_SD_EEES6_PiJS6_EEE10hipError_tPvRmT3_T4_T5_T6_T7_T9_mT8_P12ihipStream_tbDpT10_ENKUlT_T0_E_clISt17integral_constantIbLb1EES1C_IbLb0EEEEDaS18_S19_EUlS18_E_NS1_11comp_targetILNS1_3genE2ELNS1_11target_archE906ELNS1_3gpuE6ELNS1_3repE0EEENS1_30default_config_static_selectorELNS0_4arch9wavefront6targetE0EEEvT1_.uses_vcc, 0
	.set _ZN7rocprim17ROCPRIM_400000_NS6detail17trampoline_kernelINS0_14default_configENS1_25partition_config_selectorILNS1_17partition_subalgoE5ElNS0_10empty_typeEbEEZZNS1_14partition_implILS5_5ELb0ES3_mN6hipcub16HIPCUB_304000_NS21CountingInputIteratorIllEEPS6_NSA_22TransformInputIteratorIbN2at6native12_GLOBAL__N_19NonZeroOpIN3c108BFloat16EEEPKSK_lEENS0_5tupleIJPlS6_EEENSP_IJSD_SD_EEES6_PiJS6_EEE10hipError_tPvRmT3_T4_T5_T6_T7_T9_mT8_P12ihipStream_tbDpT10_ENKUlT_T0_E_clISt17integral_constantIbLb1EES1C_IbLb0EEEEDaS18_S19_EUlS18_E_NS1_11comp_targetILNS1_3genE2ELNS1_11target_archE906ELNS1_3gpuE6ELNS1_3repE0EEENS1_30default_config_static_selectorELNS0_4arch9wavefront6targetE0EEEvT1_.uses_flat_scratch, 0
	.set _ZN7rocprim17ROCPRIM_400000_NS6detail17trampoline_kernelINS0_14default_configENS1_25partition_config_selectorILNS1_17partition_subalgoE5ElNS0_10empty_typeEbEEZZNS1_14partition_implILS5_5ELb0ES3_mN6hipcub16HIPCUB_304000_NS21CountingInputIteratorIllEEPS6_NSA_22TransformInputIteratorIbN2at6native12_GLOBAL__N_19NonZeroOpIN3c108BFloat16EEEPKSK_lEENS0_5tupleIJPlS6_EEENSP_IJSD_SD_EEES6_PiJS6_EEE10hipError_tPvRmT3_T4_T5_T6_T7_T9_mT8_P12ihipStream_tbDpT10_ENKUlT_T0_E_clISt17integral_constantIbLb1EES1C_IbLb0EEEEDaS18_S19_EUlS18_E_NS1_11comp_targetILNS1_3genE2ELNS1_11target_archE906ELNS1_3gpuE6ELNS1_3repE0EEENS1_30default_config_static_selectorELNS0_4arch9wavefront6targetE0EEEvT1_.has_dyn_sized_stack, 0
	.set _ZN7rocprim17ROCPRIM_400000_NS6detail17trampoline_kernelINS0_14default_configENS1_25partition_config_selectorILNS1_17partition_subalgoE5ElNS0_10empty_typeEbEEZZNS1_14partition_implILS5_5ELb0ES3_mN6hipcub16HIPCUB_304000_NS21CountingInputIteratorIllEEPS6_NSA_22TransformInputIteratorIbN2at6native12_GLOBAL__N_19NonZeroOpIN3c108BFloat16EEEPKSK_lEENS0_5tupleIJPlS6_EEENSP_IJSD_SD_EEES6_PiJS6_EEE10hipError_tPvRmT3_T4_T5_T6_T7_T9_mT8_P12ihipStream_tbDpT10_ENKUlT_T0_E_clISt17integral_constantIbLb1EES1C_IbLb0EEEEDaS18_S19_EUlS18_E_NS1_11comp_targetILNS1_3genE2ELNS1_11target_archE906ELNS1_3gpuE6ELNS1_3repE0EEENS1_30default_config_static_selectorELNS0_4arch9wavefront6targetE0EEEvT1_.has_recursion, 0
	.set _ZN7rocprim17ROCPRIM_400000_NS6detail17trampoline_kernelINS0_14default_configENS1_25partition_config_selectorILNS1_17partition_subalgoE5ElNS0_10empty_typeEbEEZZNS1_14partition_implILS5_5ELb0ES3_mN6hipcub16HIPCUB_304000_NS21CountingInputIteratorIllEEPS6_NSA_22TransformInputIteratorIbN2at6native12_GLOBAL__N_19NonZeroOpIN3c108BFloat16EEEPKSK_lEENS0_5tupleIJPlS6_EEENSP_IJSD_SD_EEES6_PiJS6_EEE10hipError_tPvRmT3_T4_T5_T6_T7_T9_mT8_P12ihipStream_tbDpT10_ENKUlT_T0_E_clISt17integral_constantIbLb1EES1C_IbLb0EEEEDaS18_S19_EUlS18_E_NS1_11comp_targetILNS1_3genE2ELNS1_11target_archE906ELNS1_3gpuE6ELNS1_3repE0EEENS1_30default_config_static_selectorELNS0_4arch9wavefront6targetE0EEEvT1_.has_indirect_call, 0
	.section	.AMDGPU.csdata,"",@progbits
; Kernel info:
; codeLenInByte = 0
; TotalNumSgprs: 0
; NumVgprs: 0
; ScratchSize: 0
; MemoryBound: 0
; FloatMode: 240
; IeeeMode: 1
; LDSByteSize: 0 bytes/workgroup (compile time only)
; SGPRBlocks: 0
; VGPRBlocks: 0
; NumSGPRsForWavesPerEU: 1
; NumVGPRsForWavesPerEU: 1
; Occupancy: 16
; WaveLimiterHint : 0
; COMPUTE_PGM_RSRC2:SCRATCH_EN: 0
; COMPUTE_PGM_RSRC2:USER_SGPR: 2
; COMPUTE_PGM_RSRC2:TRAP_HANDLER: 0
; COMPUTE_PGM_RSRC2:TGID_X_EN: 1
; COMPUTE_PGM_RSRC2:TGID_Y_EN: 0
; COMPUTE_PGM_RSRC2:TGID_Z_EN: 0
; COMPUTE_PGM_RSRC2:TIDIG_COMP_CNT: 0
	.section	.text._ZN7rocprim17ROCPRIM_400000_NS6detail17trampoline_kernelINS0_14default_configENS1_25partition_config_selectorILNS1_17partition_subalgoE5ElNS0_10empty_typeEbEEZZNS1_14partition_implILS5_5ELb0ES3_mN6hipcub16HIPCUB_304000_NS21CountingInputIteratorIllEEPS6_NSA_22TransformInputIteratorIbN2at6native12_GLOBAL__N_19NonZeroOpIN3c108BFloat16EEEPKSK_lEENS0_5tupleIJPlS6_EEENSP_IJSD_SD_EEES6_PiJS6_EEE10hipError_tPvRmT3_T4_T5_T6_T7_T9_mT8_P12ihipStream_tbDpT10_ENKUlT_T0_E_clISt17integral_constantIbLb1EES1C_IbLb0EEEEDaS18_S19_EUlS18_E_NS1_11comp_targetILNS1_3genE10ELNS1_11target_archE1200ELNS1_3gpuE4ELNS1_3repE0EEENS1_30default_config_static_selectorELNS0_4arch9wavefront6targetE0EEEvT1_,"axG",@progbits,_ZN7rocprim17ROCPRIM_400000_NS6detail17trampoline_kernelINS0_14default_configENS1_25partition_config_selectorILNS1_17partition_subalgoE5ElNS0_10empty_typeEbEEZZNS1_14partition_implILS5_5ELb0ES3_mN6hipcub16HIPCUB_304000_NS21CountingInputIteratorIllEEPS6_NSA_22TransformInputIteratorIbN2at6native12_GLOBAL__N_19NonZeroOpIN3c108BFloat16EEEPKSK_lEENS0_5tupleIJPlS6_EEENSP_IJSD_SD_EEES6_PiJS6_EEE10hipError_tPvRmT3_T4_T5_T6_T7_T9_mT8_P12ihipStream_tbDpT10_ENKUlT_T0_E_clISt17integral_constantIbLb1EES1C_IbLb0EEEEDaS18_S19_EUlS18_E_NS1_11comp_targetILNS1_3genE10ELNS1_11target_archE1200ELNS1_3gpuE4ELNS1_3repE0EEENS1_30default_config_static_selectorELNS0_4arch9wavefront6targetE0EEEvT1_,comdat
	.globl	_ZN7rocprim17ROCPRIM_400000_NS6detail17trampoline_kernelINS0_14default_configENS1_25partition_config_selectorILNS1_17partition_subalgoE5ElNS0_10empty_typeEbEEZZNS1_14partition_implILS5_5ELb0ES3_mN6hipcub16HIPCUB_304000_NS21CountingInputIteratorIllEEPS6_NSA_22TransformInputIteratorIbN2at6native12_GLOBAL__N_19NonZeroOpIN3c108BFloat16EEEPKSK_lEENS0_5tupleIJPlS6_EEENSP_IJSD_SD_EEES6_PiJS6_EEE10hipError_tPvRmT3_T4_T5_T6_T7_T9_mT8_P12ihipStream_tbDpT10_ENKUlT_T0_E_clISt17integral_constantIbLb1EES1C_IbLb0EEEEDaS18_S19_EUlS18_E_NS1_11comp_targetILNS1_3genE10ELNS1_11target_archE1200ELNS1_3gpuE4ELNS1_3repE0EEENS1_30default_config_static_selectorELNS0_4arch9wavefront6targetE0EEEvT1_ ; -- Begin function _ZN7rocprim17ROCPRIM_400000_NS6detail17trampoline_kernelINS0_14default_configENS1_25partition_config_selectorILNS1_17partition_subalgoE5ElNS0_10empty_typeEbEEZZNS1_14partition_implILS5_5ELb0ES3_mN6hipcub16HIPCUB_304000_NS21CountingInputIteratorIllEEPS6_NSA_22TransformInputIteratorIbN2at6native12_GLOBAL__N_19NonZeroOpIN3c108BFloat16EEEPKSK_lEENS0_5tupleIJPlS6_EEENSP_IJSD_SD_EEES6_PiJS6_EEE10hipError_tPvRmT3_T4_T5_T6_T7_T9_mT8_P12ihipStream_tbDpT10_ENKUlT_T0_E_clISt17integral_constantIbLb1EES1C_IbLb0EEEEDaS18_S19_EUlS18_E_NS1_11comp_targetILNS1_3genE10ELNS1_11target_archE1200ELNS1_3gpuE4ELNS1_3repE0EEENS1_30default_config_static_selectorELNS0_4arch9wavefront6targetE0EEEvT1_
	.p2align	8
	.type	_ZN7rocprim17ROCPRIM_400000_NS6detail17trampoline_kernelINS0_14default_configENS1_25partition_config_selectorILNS1_17partition_subalgoE5ElNS0_10empty_typeEbEEZZNS1_14partition_implILS5_5ELb0ES3_mN6hipcub16HIPCUB_304000_NS21CountingInputIteratorIllEEPS6_NSA_22TransformInputIteratorIbN2at6native12_GLOBAL__N_19NonZeroOpIN3c108BFloat16EEEPKSK_lEENS0_5tupleIJPlS6_EEENSP_IJSD_SD_EEES6_PiJS6_EEE10hipError_tPvRmT3_T4_T5_T6_T7_T9_mT8_P12ihipStream_tbDpT10_ENKUlT_T0_E_clISt17integral_constantIbLb1EES1C_IbLb0EEEEDaS18_S19_EUlS18_E_NS1_11comp_targetILNS1_3genE10ELNS1_11target_archE1200ELNS1_3gpuE4ELNS1_3repE0EEENS1_30default_config_static_selectorELNS0_4arch9wavefront6targetE0EEEvT1_,@function
_ZN7rocprim17ROCPRIM_400000_NS6detail17trampoline_kernelINS0_14default_configENS1_25partition_config_selectorILNS1_17partition_subalgoE5ElNS0_10empty_typeEbEEZZNS1_14partition_implILS5_5ELb0ES3_mN6hipcub16HIPCUB_304000_NS21CountingInputIteratorIllEEPS6_NSA_22TransformInputIteratorIbN2at6native12_GLOBAL__N_19NonZeroOpIN3c108BFloat16EEEPKSK_lEENS0_5tupleIJPlS6_EEENSP_IJSD_SD_EEES6_PiJS6_EEE10hipError_tPvRmT3_T4_T5_T6_T7_T9_mT8_P12ihipStream_tbDpT10_ENKUlT_T0_E_clISt17integral_constantIbLb1EES1C_IbLb0EEEEDaS18_S19_EUlS18_E_NS1_11comp_targetILNS1_3genE10ELNS1_11target_archE1200ELNS1_3gpuE4ELNS1_3repE0EEENS1_30default_config_static_selectorELNS0_4arch9wavefront6targetE0EEEvT1_: ; @_ZN7rocprim17ROCPRIM_400000_NS6detail17trampoline_kernelINS0_14default_configENS1_25partition_config_selectorILNS1_17partition_subalgoE5ElNS0_10empty_typeEbEEZZNS1_14partition_implILS5_5ELb0ES3_mN6hipcub16HIPCUB_304000_NS21CountingInputIteratorIllEEPS6_NSA_22TransformInputIteratorIbN2at6native12_GLOBAL__N_19NonZeroOpIN3c108BFloat16EEEPKSK_lEENS0_5tupleIJPlS6_EEENSP_IJSD_SD_EEES6_PiJS6_EEE10hipError_tPvRmT3_T4_T5_T6_T7_T9_mT8_P12ihipStream_tbDpT10_ENKUlT_T0_E_clISt17integral_constantIbLb1EES1C_IbLb0EEEEDaS18_S19_EUlS18_E_NS1_11comp_targetILNS1_3genE10ELNS1_11target_archE1200ELNS1_3gpuE4ELNS1_3repE0EEENS1_30default_config_static_selectorELNS0_4arch9wavefront6targetE0EEEvT1_
; %bb.0:
	s_endpgm
	.section	.rodata,"a",@progbits
	.p2align	6, 0x0
	.amdhsa_kernel _ZN7rocprim17ROCPRIM_400000_NS6detail17trampoline_kernelINS0_14default_configENS1_25partition_config_selectorILNS1_17partition_subalgoE5ElNS0_10empty_typeEbEEZZNS1_14partition_implILS5_5ELb0ES3_mN6hipcub16HIPCUB_304000_NS21CountingInputIteratorIllEEPS6_NSA_22TransformInputIteratorIbN2at6native12_GLOBAL__N_19NonZeroOpIN3c108BFloat16EEEPKSK_lEENS0_5tupleIJPlS6_EEENSP_IJSD_SD_EEES6_PiJS6_EEE10hipError_tPvRmT3_T4_T5_T6_T7_T9_mT8_P12ihipStream_tbDpT10_ENKUlT_T0_E_clISt17integral_constantIbLb1EES1C_IbLb0EEEEDaS18_S19_EUlS18_E_NS1_11comp_targetILNS1_3genE10ELNS1_11target_archE1200ELNS1_3gpuE4ELNS1_3repE0EEENS1_30default_config_static_selectorELNS0_4arch9wavefront6targetE0EEEvT1_
		.amdhsa_group_segment_fixed_size 0
		.amdhsa_private_segment_fixed_size 0
		.amdhsa_kernarg_size 120
		.amdhsa_user_sgpr_count 2
		.amdhsa_user_sgpr_dispatch_ptr 0
		.amdhsa_user_sgpr_queue_ptr 0
		.amdhsa_user_sgpr_kernarg_segment_ptr 1
		.amdhsa_user_sgpr_dispatch_id 0
		.amdhsa_user_sgpr_private_segment_size 0
		.amdhsa_wavefront_size32 1
		.amdhsa_uses_dynamic_stack 0
		.amdhsa_enable_private_segment 0
		.amdhsa_system_sgpr_workgroup_id_x 1
		.amdhsa_system_sgpr_workgroup_id_y 0
		.amdhsa_system_sgpr_workgroup_id_z 0
		.amdhsa_system_sgpr_workgroup_info 0
		.amdhsa_system_vgpr_workitem_id 0
		.amdhsa_next_free_vgpr 1
		.amdhsa_next_free_sgpr 1
		.amdhsa_reserve_vcc 0
		.amdhsa_float_round_mode_32 0
		.amdhsa_float_round_mode_16_64 0
		.amdhsa_float_denorm_mode_32 3
		.amdhsa_float_denorm_mode_16_64 3
		.amdhsa_fp16_overflow 0
		.amdhsa_workgroup_processor_mode 1
		.amdhsa_memory_ordered 1
		.amdhsa_forward_progress 1
		.amdhsa_inst_pref_size 1
		.amdhsa_round_robin_scheduling 0
		.amdhsa_exception_fp_ieee_invalid_op 0
		.amdhsa_exception_fp_denorm_src 0
		.amdhsa_exception_fp_ieee_div_zero 0
		.amdhsa_exception_fp_ieee_overflow 0
		.amdhsa_exception_fp_ieee_underflow 0
		.amdhsa_exception_fp_ieee_inexact 0
		.amdhsa_exception_int_div_zero 0
	.end_amdhsa_kernel
	.section	.text._ZN7rocprim17ROCPRIM_400000_NS6detail17trampoline_kernelINS0_14default_configENS1_25partition_config_selectorILNS1_17partition_subalgoE5ElNS0_10empty_typeEbEEZZNS1_14partition_implILS5_5ELb0ES3_mN6hipcub16HIPCUB_304000_NS21CountingInputIteratorIllEEPS6_NSA_22TransformInputIteratorIbN2at6native12_GLOBAL__N_19NonZeroOpIN3c108BFloat16EEEPKSK_lEENS0_5tupleIJPlS6_EEENSP_IJSD_SD_EEES6_PiJS6_EEE10hipError_tPvRmT3_T4_T5_T6_T7_T9_mT8_P12ihipStream_tbDpT10_ENKUlT_T0_E_clISt17integral_constantIbLb1EES1C_IbLb0EEEEDaS18_S19_EUlS18_E_NS1_11comp_targetILNS1_3genE10ELNS1_11target_archE1200ELNS1_3gpuE4ELNS1_3repE0EEENS1_30default_config_static_selectorELNS0_4arch9wavefront6targetE0EEEvT1_,"axG",@progbits,_ZN7rocprim17ROCPRIM_400000_NS6detail17trampoline_kernelINS0_14default_configENS1_25partition_config_selectorILNS1_17partition_subalgoE5ElNS0_10empty_typeEbEEZZNS1_14partition_implILS5_5ELb0ES3_mN6hipcub16HIPCUB_304000_NS21CountingInputIteratorIllEEPS6_NSA_22TransformInputIteratorIbN2at6native12_GLOBAL__N_19NonZeroOpIN3c108BFloat16EEEPKSK_lEENS0_5tupleIJPlS6_EEENSP_IJSD_SD_EEES6_PiJS6_EEE10hipError_tPvRmT3_T4_T5_T6_T7_T9_mT8_P12ihipStream_tbDpT10_ENKUlT_T0_E_clISt17integral_constantIbLb1EES1C_IbLb0EEEEDaS18_S19_EUlS18_E_NS1_11comp_targetILNS1_3genE10ELNS1_11target_archE1200ELNS1_3gpuE4ELNS1_3repE0EEENS1_30default_config_static_selectorELNS0_4arch9wavefront6targetE0EEEvT1_,comdat
.Lfunc_end819:
	.size	_ZN7rocprim17ROCPRIM_400000_NS6detail17trampoline_kernelINS0_14default_configENS1_25partition_config_selectorILNS1_17partition_subalgoE5ElNS0_10empty_typeEbEEZZNS1_14partition_implILS5_5ELb0ES3_mN6hipcub16HIPCUB_304000_NS21CountingInputIteratorIllEEPS6_NSA_22TransformInputIteratorIbN2at6native12_GLOBAL__N_19NonZeroOpIN3c108BFloat16EEEPKSK_lEENS0_5tupleIJPlS6_EEENSP_IJSD_SD_EEES6_PiJS6_EEE10hipError_tPvRmT3_T4_T5_T6_T7_T9_mT8_P12ihipStream_tbDpT10_ENKUlT_T0_E_clISt17integral_constantIbLb1EES1C_IbLb0EEEEDaS18_S19_EUlS18_E_NS1_11comp_targetILNS1_3genE10ELNS1_11target_archE1200ELNS1_3gpuE4ELNS1_3repE0EEENS1_30default_config_static_selectorELNS0_4arch9wavefront6targetE0EEEvT1_, .Lfunc_end819-_ZN7rocprim17ROCPRIM_400000_NS6detail17trampoline_kernelINS0_14default_configENS1_25partition_config_selectorILNS1_17partition_subalgoE5ElNS0_10empty_typeEbEEZZNS1_14partition_implILS5_5ELb0ES3_mN6hipcub16HIPCUB_304000_NS21CountingInputIteratorIllEEPS6_NSA_22TransformInputIteratorIbN2at6native12_GLOBAL__N_19NonZeroOpIN3c108BFloat16EEEPKSK_lEENS0_5tupleIJPlS6_EEENSP_IJSD_SD_EEES6_PiJS6_EEE10hipError_tPvRmT3_T4_T5_T6_T7_T9_mT8_P12ihipStream_tbDpT10_ENKUlT_T0_E_clISt17integral_constantIbLb1EES1C_IbLb0EEEEDaS18_S19_EUlS18_E_NS1_11comp_targetILNS1_3genE10ELNS1_11target_archE1200ELNS1_3gpuE4ELNS1_3repE0EEENS1_30default_config_static_selectorELNS0_4arch9wavefront6targetE0EEEvT1_
                                        ; -- End function
	.set _ZN7rocprim17ROCPRIM_400000_NS6detail17trampoline_kernelINS0_14default_configENS1_25partition_config_selectorILNS1_17partition_subalgoE5ElNS0_10empty_typeEbEEZZNS1_14partition_implILS5_5ELb0ES3_mN6hipcub16HIPCUB_304000_NS21CountingInputIteratorIllEEPS6_NSA_22TransformInputIteratorIbN2at6native12_GLOBAL__N_19NonZeroOpIN3c108BFloat16EEEPKSK_lEENS0_5tupleIJPlS6_EEENSP_IJSD_SD_EEES6_PiJS6_EEE10hipError_tPvRmT3_T4_T5_T6_T7_T9_mT8_P12ihipStream_tbDpT10_ENKUlT_T0_E_clISt17integral_constantIbLb1EES1C_IbLb0EEEEDaS18_S19_EUlS18_E_NS1_11comp_targetILNS1_3genE10ELNS1_11target_archE1200ELNS1_3gpuE4ELNS1_3repE0EEENS1_30default_config_static_selectorELNS0_4arch9wavefront6targetE0EEEvT1_.num_vgpr, 0
	.set _ZN7rocprim17ROCPRIM_400000_NS6detail17trampoline_kernelINS0_14default_configENS1_25partition_config_selectorILNS1_17partition_subalgoE5ElNS0_10empty_typeEbEEZZNS1_14partition_implILS5_5ELb0ES3_mN6hipcub16HIPCUB_304000_NS21CountingInputIteratorIllEEPS6_NSA_22TransformInputIteratorIbN2at6native12_GLOBAL__N_19NonZeroOpIN3c108BFloat16EEEPKSK_lEENS0_5tupleIJPlS6_EEENSP_IJSD_SD_EEES6_PiJS6_EEE10hipError_tPvRmT3_T4_T5_T6_T7_T9_mT8_P12ihipStream_tbDpT10_ENKUlT_T0_E_clISt17integral_constantIbLb1EES1C_IbLb0EEEEDaS18_S19_EUlS18_E_NS1_11comp_targetILNS1_3genE10ELNS1_11target_archE1200ELNS1_3gpuE4ELNS1_3repE0EEENS1_30default_config_static_selectorELNS0_4arch9wavefront6targetE0EEEvT1_.num_agpr, 0
	.set _ZN7rocprim17ROCPRIM_400000_NS6detail17trampoline_kernelINS0_14default_configENS1_25partition_config_selectorILNS1_17partition_subalgoE5ElNS0_10empty_typeEbEEZZNS1_14partition_implILS5_5ELb0ES3_mN6hipcub16HIPCUB_304000_NS21CountingInputIteratorIllEEPS6_NSA_22TransformInputIteratorIbN2at6native12_GLOBAL__N_19NonZeroOpIN3c108BFloat16EEEPKSK_lEENS0_5tupleIJPlS6_EEENSP_IJSD_SD_EEES6_PiJS6_EEE10hipError_tPvRmT3_T4_T5_T6_T7_T9_mT8_P12ihipStream_tbDpT10_ENKUlT_T0_E_clISt17integral_constantIbLb1EES1C_IbLb0EEEEDaS18_S19_EUlS18_E_NS1_11comp_targetILNS1_3genE10ELNS1_11target_archE1200ELNS1_3gpuE4ELNS1_3repE0EEENS1_30default_config_static_selectorELNS0_4arch9wavefront6targetE0EEEvT1_.numbered_sgpr, 0
	.set _ZN7rocprim17ROCPRIM_400000_NS6detail17trampoline_kernelINS0_14default_configENS1_25partition_config_selectorILNS1_17partition_subalgoE5ElNS0_10empty_typeEbEEZZNS1_14partition_implILS5_5ELb0ES3_mN6hipcub16HIPCUB_304000_NS21CountingInputIteratorIllEEPS6_NSA_22TransformInputIteratorIbN2at6native12_GLOBAL__N_19NonZeroOpIN3c108BFloat16EEEPKSK_lEENS0_5tupleIJPlS6_EEENSP_IJSD_SD_EEES6_PiJS6_EEE10hipError_tPvRmT3_T4_T5_T6_T7_T9_mT8_P12ihipStream_tbDpT10_ENKUlT_T0_E_clISt17integral_constantIbLb1EES1C_IbLb0EEEEDaS18_S19_EUlS18_E_NS1_11comp_targetILNS1_3genE10ELNS1_11target_archE1200ELNS1_3gpuE4ELNS1_3repE0EEENS1_30default_config_static_selectorELNS0_4arch9wavefront6targetE0EEEvT1_.num_named_barrier, 0
	.set _ZN7rocprim17ROCPRIM_400000_NS6detail17trampoline_kernelINS0_14default_configENS1_25partition_config_selectorILNS1_17partition_subalgoE5ElNS0_10empty_typeEbEEZZNS1_14partition_implILS5_5ELb0ES3_mN6hipcub16HIPCUB_304000_NS21CountingInputIteratorIllEEPS6_NSA_22TransformInputIteratorIbN2at6native12_GLOBAL__N_19NonZeroOpIN3c108BFloat16EEEPKSK_lEENS0_5tupleIJPlS6_EEENSP_IJSD_SD_EEES6_PiJS6_EEE10hipError_tPvRmT3_T4_T5_T6_T7_T9_mT8_P12ihipStream_tbDpT10_ENKUlT_T0_E_clISt17integral_constantIbLb1EES1C_IbLb0EEEEDaS18_S19_EUlS18_E_NS1_11comp_targetILNS1_3genE10ELNS1_11target_archE1200ELNS1_3gpuE4ELNS1_3repE0EEENS1_30default_config_static_selectorELNS0_4arch9wavefront6targetE0EEEvT1_.private_seg_size, 0
	.set _ZN7rocprim17ROCPRIM_400000_NS6detail17trampoline_kernelINS0_14default_configENS1_25partition_config_selectorILNS1_17partition_subalgoE5ElNS0_10empty_typeEbEEZZNS1_14partition_implILS5_5ELb0ES3_mN6hipcub16HIPCUB_304000_NS21CountingInputIteratorIllEEPS6_NSA_22TransformInputIteratorIbN2at6native12_GLOBAL__N_19NonZeroOpIN3c108BFloat16EEEPKSK_lEENS0_5tupleIJPlS6_EEENSP_IJSD_SD_EEES6_PiJS6_EEE10hipError_tPvRmT3_T4_T5_T6_T7_T9_mT8_P12ihipStream_tbDpT10_ENKUlT_T0_E_clISt17integral_constantIbLb1EES1C_IbLb0EEEEDaS18_S19_EUlS18_E_NS1_11comp_targetILNS1_3genE10ELNS1_11target_archE1200ELNS1_3gpuE4ELNS1_3repE0EEENS1_30default_config_static_selectorELNS0_4arch9wavefront6targetE0EEEvT1_.uses_vcc, 0
	.set _ZN7rocprim17ROCPRIM_400000_NS6detail17trampoline_kernelINS0_14default_configENS1_25partition_config_selectorILNS1_17partition_subalgoE5ElNS0_10empty_typeEbEEZZNS1_14partition_implILS5_5ELb0ES3_mN6hipcub16HIPCUB_304000_NS21CountingInputIteratorIllEEPS6_NSA_22TransformInputIteratorIbN2at6native12_GLOBAL__N_19NonZeroOpIN3c108BFloat16EEEPKSK_lEENS0_5tupleIJPlS6_EEENSP_IJSD_SD_EEES6_PiJS6_EEE10hipError_tPvRmT3_T4_T5_T6_T7_T9_mT8_P12ihipStream_tbDpT10_ENKUlT_T0_E_clISt17integral_constantIbLb1EES1C_IbLb0EEEEDaS18_S19_EUlS18_E_NS1_11comp_targetILNS1_3genE10ELNS1_11target_archE1200ELNS1_3gpuE4ELNS1_3repE0EEENS1_30default_config_static_selectorELNS0_4arch9wavefront6targetE0EEEvT1_.uses_flat_scratch, 0
	.set _ZN7rocprim17ROCPRIM_400000_NS6detail17trampoline_kernelINS0_14default_configENS1_25partition_config_selectorILNS1_17partition_subalgoE5ElNS0_10empty_typeEbEEZZNS1_14partition_implILS5_5ELb0ES3_mN6hipcub16HIPCUB_304000_NS21CountingInputIteratorIllEEPS6_NSA_22TransformInputIteratorIbN2at6native12_GLOBAL__N_19NonZeroOpIN3c108BFloat16EEEPKSK_lEENS0_5tupleIJPlS6_EEENSP_IJSD_SD_EEES6_PiJS6_EEE10hipError_tPvRmT3_T4_T5_T6_T7_T9_mT8_P12ihipStream_tbDpT10_ENKUlT_T0_E_clISt17integral_constantIbLb1EES1C_IbLb0EEEEDaS18_S19_EUlS18_E_NS1_11comp_targetILNS1_3genE10ELNS1_11target_archE1200ELNS1_3gpuE4ELNS1_3repE0EEENS1_30default_config_static_selectorELNS0_4arch9wavefront6targetE0EEEvT1_.has_dyn_sized_stack, 0
	.set _ZN7rocprim17ROCPRIM_400000_NS6detail17trampoline_kernelINS0_14default_configENS1_25partition_config_selectorILNS1_17partition_subalgoE5ElNS0_10empty_typeEbEEZZNS1_14partition_implILS5_5ELb0ES3_mN6hipcub16HIPCUB_304000_NS21CountingInputIteratorIllEEPS6_NSA_22TransformInputIteratorIbN2at6native12_GLOBAL__N_19NonZeroOpIN3c108BFloat16EEEPKSK_lEENS0_5tupleIJPlS6_EEENSP_IJSD_SD_EEES6_PiJS6_EEE10hipError_tPvRmT3_T4_T5_T6_T7_T9_mT8_P12ihipStream_tbDpT10_ENKUlT_T0_E_clISt17integral_constantIbLb1EES1C_IbLb0EEEEDaS18_S19_EUlS18_E_NS1_11comp_targetILNS1_3genE10ELNS1_11target_archE1200ELNS1_3gpuE4ELNS1_3repE0EEENS1_30default_config_static_selectorELNS0_4arch9wavefront6targetE0EEEvT1_.has_recursion, 0
	.set _ZN7rocprim17ROCPRIM_400000_NS6detail17trampoline_kernelINS0_14default_configENS1_25partition_config_selectorILNS1_17partition_subalgoE5ElNS0_10empty_typeEbEEZZNS1_14partition_implILS5_5ELb0ES3_mN6hipcub16HIPCUB_304000_NS21CountingInputIteratorIllEEPS6_NSA_22TransformInputIteratorIbN2at6native12_GLOBAL__N_19NonZeroOpIN3c108BFloat16EEEPKSK_lEENS0_5tupleIJPlS6_EEENSP_IJSD_SD_EEES6_PiJS6_EEE10hipError_tPvRmT3_T4_T5_T6_T7_T9_mT8_P12ihipStream_tbDpT10_ENKUlT_T0_E_clISt17integral_constantIbLb1EES1C_IbLb0EEEEDaS18_S19_EUlS18_E_NS1_11comp_targetILNS1_3genE10ELNS1_11target_archE1200ELNS1_3gpuE4ELNS1_3repE0EEENS1_30default_config_static_selectorELNS0_4arch9wavefront6targetE0EEEvT1_.has_indirect_call, 0
	.section	.AMDGPU.csdata,"",@progbits
; Kernel info:
; codeLenInByte = 4
; TotalNumSgprs: 0
; NumVgprs: 0
; ScratchSize: 0
; MemoryBound: 0
; FloatMode: 240
; IeeeMode: 1
; LDSByteSize: 0 bytes/workgroup (compile time only)
; SGPRBlocks: 0
; VGPRBlocks: 0
; NumSGPRsForWavesPerEU: 1
; NumVGPRsForWavesPerEU: 1
; Occupancy: 16
; WaveLimiterHint : 0
; COMPUTE_PGM_RSRC2:SCRATCH_EN: 0
; COMPUTE_PGM_RSRC2:USER_SGPR: 2
; COMPUTE_PGM_RSRC2:TRAP_HANDLER: 0
; COMPUTE_PGM_RSRC2:TGID_X_EN: 1
; COMPUTE_PGM_RSRC2:TGID_Y_EN: 0
; COMPUTE_PGM_RSRC2:TGID_Z_EN: 0
; COMPUTE_PGM_RSRC2:TIDIG_COMP_CNT: 0
	.section	.text._ZN7rocprim17ROCPRIM_400000_NS6detail17trampoline_kernelINS0_14default_configENS1_25partition_config_selectorILNS1_17partition_subalgoE5ElNS0_10empty_typeEbEEZZNS1_14partition_implILS5_5ELb0ES3_mN6hipcub16HIPCUB_304000_NS21CountingInputIteratorIllEEPS6_NSA_22TransformInputIteratorIbN2at6native12_GLOBAL__N_19NonZeroOpIN3c108BFloat16EEEPKSK_lEENS0_5tupleIJPlS6_EEENSP_IJSD_SD_EEES6_PiJS6_EEE10hipError_tPvRmT3_T4_T5_T6_T7_T9_mT8_P12ihipStream_tbDpT10_ENKUlT_T0_E_clISt17integral_constantIbLb1EES1C_IbLb0EEEEDaS18_S19_EUlS18_E_NS1_11comp_targetILNS1_3genE9ELNS1_11target_archE1100ELNS1_3gpuE3ELNS1_3repE0EEENS1_30default_config_static_selectorELNS0_4arch9wavefront6targetE0EEEvT1_,"axG",@progbits,_ZN7rocprim17ROCPRIM_400000_NS6detail17trampoline_kernelINS0_14default_configENS1_25partition_config_selectorILNS1_17partition_subalgoE5ElNS0_10empty_typeEbEEZZNS1_14partition_implILS5_5ELb0ES3_mN6hipcub16HIPCUB_304000_NS21CountingInputIteratorIllEEPS6_NSA_22TransformInputIteratorIbN2at6native12_GLOBAL__N_19NonZeroOpIN3c108BFloat16EEEPKSK_lEENS0_5tupleIJPlS6_EEENSP_IJSD_SD_EEES6_PiJS6_EEE10hipError_tPvRmT3_T4_T5_T6_T7_T9_mT8_P12ihipStream_tbDpT10_ENKUlT_T0_E_clISt17integral_constantIbLb1EES1C_IbLb0EEEEDaS18_S19_EUlS18_E_NS1_11comp_targetILNS1_3genE9ELNS1_11target_archE1100ELNS1_3gpuE3ELNS1_3repE0EEENS1_30default_config_static_selectorELNS0_4arch9wavefront6targetE0EEEvT1_,comdat
	.globl	_ZN7rocprim17ROCPRIM_400000_NS6detail17trampoline_kernelINS0_14default_configENS1_25partition_config_selectorILNS1_17partition_subalgoE5ElNS0_10empty_typeEbEEZZNS1_14partition_implILS5_5ELb0ES3_mN6hipcub16HIPCUB_304000_NS21CountingInputIteratorIllEEPS6_NSA_22TransformInputIteratorIbN2at6native12_GLOBAL__N_19NonZeroOpIN3c108BFloat16EEEPKSK_lEENS0_5tupleIJPlS6_EEENSP_IJSD_SD_EEES6_PiJS6_EEE10hipError_tPvRmT3_T4_T5_T6_T7_T9_mT8_P12ihipStream_tbDpT10_ENKUlT_T0_E_clISt17integral_constantIbLb1EES1C_IbLb0EEEEDaS18_S19_EUlS18_E_NS1_11comp_targetILNS1_3genE9ELNS1_11target_archE1100ELNS1_3gpuE3ELNS1_3repE0EEENS1_30default_config_static_selectorELNS0_4arch9wavefront6targetE0EEEvT1_ ; -- Begin function _ZN7rocprim17ROCPRIM_400000_NS6detail17trampoline_kernelINS0_14default_configENS1_25partition_config_selectorILNS1_17partition_subalgoE5ElNS0_10empty_typeEbEEZZNS1_14partition_implILS5_5ELb0ES3_mN6hipcub16HIPCUB_304000_NS21CountingInputIteratorIllEEPS6_NSA_22TransformInputIteratorIbN2at6native12_GLOBAL__N_19NonZeroOpIN3c108BFloat16EEEPKSK_lEENS0_5tupleIJPlS6_EEENSP_IJSD_SD_EEES6_PiJS6_EEE10hipError_tPvRmT3_T4_T5_T6_T7_T9_mT8_P12ihipStream_tbDpT10_ENKUlT_T0_E_clISt17integral_constantIbLb1EES1C_IbLb0EEEEDaS18_S19_EUlS18_E_NS1_11comp_targetILNS1_3genE9ELNS1_11target_archE1100ELNS1_3gpuE3ELNS1_3repE0EEENS1_30default_config_static_selectorELNS0_4arch9wavefront6targetE0EEEvT1_
	.p2align	8
	.type	_ZN7rocprim17ROCPRIM_400000_NS6detail17trampoline_kernelINS0_14default_configENS1_25partition_config_selectorILNS1_17partition_subalgoE5ElNS0_10empty_typeEbEEZZNS1_14partition_implILS5_5ELb0ES3_mN6hipcub16HIPCUB_304000_NS21CountingInputIteratorIllEEPS6_NSA_22TransformInputIteratorIbN2at6native12_GLOBAL__N_19NonZeroOpIN3c108BFloat16EEEPKSK_lEENS0_5tupleIJPlS6_EEENSP_IJSD_SD_EEES6_PiJS6_EEE10hipError_tPvRmT3_T4_T5_T6_T7_T9_mT8_P12ihipStream_tbDpT10_ENKUlT_T0_E_clISt17integral_constantIbLb1EES1C_IbLb0EEEEDaS18_S19_EUlS18_E_NS1_11comp_targetILNS1_3genE9ELNS1_11target_archE1100ELNS1_3gpuE3ELNS1_3repE0EEENS1_30default_config_static_selectorELNS0_4arch9wavefront6targetE0EEEvT1_,@function
_ZN7rocprim17ROCPRIM_400000_NS6detail17trampoline_kernelINS0_14default_configENS1_25partition_config_selectorILNS1_17partition_subalgoE5ElNS0_10empty_typeEbEEZZNS1_14partition_implILS5_5ELb0ES3_mN6hipcub16HIPCUB_304000_NS21CountingInputIteratorIllEEPS6_NSA_22TransformInputIteratorIbN2at6native12_GLOBAL__N_19NonZeroOpIN3c108BFloat16EEEPKSK_lEENS0_5tupleIJPlS6_EEENSP_IJSD_SD_EEES6_PiJS6_EEE10hipError_tPvRmT3_T4_T5_T6_T7_T9_mT8_P12ihipStream_tbDpT10_ENKUlT_T0_E_clISt17integral_constantIbLb1EES1C_IbLb0EEEEDaS18_S19_EUlS18_E_NS1_11comp_targetILNS1_3genE9ELNS1_11target_archE1100ELNS1_3gpuE3ELNS1_3repE0EEENS1_30default_config_static_selectorELNS0_4arch9wavefront6targetE0EEEvT1_: ; @_ZN7rocprim17ROCPRIM_400000_NS6detail17trampoline_kernelINS0_14default_configENS1_25partition_config_selectorILNS1_17partition_subalgoE5ElNS0_10empty_typeEbEEZZNS1_14partition_implILS5_5ELb0ES3_mN6hipcub16HIPCUB_304000_NS21CountingInputIteratorIllEEPS6_NSA_22TransformInputIteratorIbN2at6native12_GLOBAL__N_19NonZeroOpIN3c108BFloat16EEEPKSK_lEENS0_5tupleIJPlS6_EEENSP_IJSD_SD_EEES6_PiJS6_EEE10hipError_tPvRmT3_T4_T5_T6_T7_T9_mT8_P12ihipStream_tbDpT10_ENKUlT_T0_E_clISt17integral_constantIbLb1EES1C_IbLb0EEEEDaS18_S19_EUlS18_E_NS1_11comp_targetILNS1_3genE9ELNS1_11target_archE1100ELNS1_3gpuE3ELNS1_3repE0EEENS1_30default_config_static_selectorELNS0_4arch9wavefront6targetE0EEEvT1_
; %bb.0:
	.section	.rodata,"a",@progbits
	.p2align	6, 0x0
	.amdhsa_kernel _ZN7rocprim17ROCPRIM_400000_NS6detail17trampoline_kernelINS0_14default_configENS1_25partition_config_selectorILNS1_17partition_subalgoE5ElNS0_10empty_typeEbEEZZNS1_14partition_implILS5_5ELb0ES3_mN6hipcub16HIPCUB_304000_NS21CountingInputIteratorIllEEPS6_NSA_22TransformInputIteratorIbN2at6native12_GLOBAL__N_19NonZeroOpIN3c108BFloat16EEEPKSK_lEENS0_5tupleIJPlS6_EEENSP_IJSD_SD_EEES6_PiJS6_EEE10hipError_tPvRmT3_T4_T5_T6_T7_T9_mT8_P12ihipStream_tbDpT10_ENKUlT_T0_E_clISt17integral_constantIbLb1EES1C_IbLb0EEEEDaS18_S19_EUlS18_E_NS1_11comp_targetILNS1_3genE9ELNS1_11target_archE1100ELNS1_3gpuE3ELNS1_3repE0EEENS1_30default_config_static_selectorELNS0_4arch9wavefront6targetE0EEEvT1_
		.amdhsa_group_segment_fixed_size 0
		.amdhsa_private_segment_fixed_size 0
		.amdhsa_kernarg_size 120
		.amdhsa_user_sgpr_count 2
		.amdhsa_user_sgpr_dispatch_ptr 0
		.amdhsa_user_sgpr_queue_ptr 0
		.amdhsa_user_sgpr_kernarg_segment_ptr 1
		.amdhsa_user_sgpr_dispatch_id 0
		.amdhsa_user_sgpr_private_segment_size 0
		.amdhsa_wavefront_size32 1
		.amdhsa_uses_dynamic_stack 0
		.amdhsa_enable_private_segment 0
		.amdhsa_system_sgpr_workgroup_id_x 1
		.amdhsa_system_sgpr_workgroup_id_y 0
		.amdhsa_system_sgpr_workgroup_id_z 0
		.amdhsa_system_sgpr_workgroup_info 0
		.amdhsa_system_vgpr_workitem_id 0
		.amdhsa_next_free_vgpr 1
		.amdhsa_next_free_sgpr 1
		.amdhsa_reserve_vcc 0
		.amdhsa_float_round_mode_32 0
		.amdhsa_float_round_mode_16_64 0
		.amdhsa_float_denorm_mode_32 3
		.amdhsa_float_denorm_mode_16_64 3
		.amdhsa_fp16_overflow 0
		.amdhsa_workgroup_processor_mode 1
		.amdhsa_memory_ordered 1
		.amdhsa_forward_progress 1
		.amdhsa_inst_pref_size 0
		.amdhsa_round_robin_scheduling 0
		.amdhsa_exception_fp_ieee_invalid_op 0
		.amdhsa_exception_fp_denorm_src 0
		.amdhsa_exception_fp_ieee_div_zero 0
		.amdhsa_exception_fp_ieee_overflow 0
		.amdhsa_exception_fp_ieee_underflow 0
		.amdhsa_exception_fp_ieee_inexact 0
		.amdhsa_exception_int_div_zero 0
	.end_amdhsa_kernel
	.section	.text._ZN7rocprim17ROCPRIM_400000_NS6detail17trampoline_kernelINS0_14default_configENS1_25partition_config_selectorILNS1_17partition_subalgoE5ElNS0_10empty_typeEbEEZZNS1_14partition_implILS5_5ELb0ES3_mN6hipcub16HIPCUB_304000_NS21CountingInputIteratorIllEEPS6_NSA_22TransformInputIteratorIbN2at6native12_GLOBAL__N_19NonZeroOpIN3c108BFloat16EEEPKSK_lEENS0_5tupleIJPlS6_EEENSP_IJSD_SD_EEES6_PiJS6_EEE10hipError_tPvRmT3_T4_T5_T6_T7_T9_mT8_P12ihipStream_tbDpT10_ENKUlT_T0_E_clISt17integral_constantIbLb1EES1C_IbLb0EEEEDaS18_S19_EUlS18_E_NS1_11comp_targetILNS1_3genE9ELNS1_11target_archE1100ELNS1_3gpuE3ELNS1_3repE0EEENS1_30default_config_static_selectorELNS0_4arch9wavefront6targetE0EEEvT1_,"axG",@progbits,_ZN7rocprim17ROCPRIM_400000_NS6detail17trampoline_kernelINS0_14default_configENS1_25partition_config_selectorILNS1_17partition_subalgoE5ElNS0_10empty_typeEbEEZZNS1_14partition_implILS5_5ELb0ES3_mN6hipcub16HIPCUB_304000_NS21CountingInputIteratorIllEEPS6_NSA_22TransformInputIteratorIbN2at6native12_GLOBAL__N_19NonZeroOpIN3c108BFloat16EEEPKSK_lEENS0_5tupleIJPlS6_EEENSP_IJSD_SD_EEES6_PiJS6_EEE10hipError_tPvRmT3_T4_T5_T6_T7_T9_mT8_P12ihipStream_tbDpT10_ENKUlT_T0_E_clISt17integral_constantIbLb1EES1C_IbLb0EEEEDaS18_S19_EUlS18_E_NS1_11comp_targetILNS1_3genE9ELNS1_11target_archE1100ELNS1_3gpuE3ELNS1_3repE0EEENS1_30default_config_static_selectorELNS0_4arch9wavefront6targetE0EEEvT1_,comdat
.Lfunc_end820:
	.size	_ZN7rocprim17ROCPRIM_400000_NS6detail17trampoline_kernelINS0_14default_configENS1_25partition_config_selectorILNS1_17partition_subalgoE5ElNS0_10empty_typeEbEEZZNS1_14partition_implILS5_5ELb0ES3_mN6hipcub16HIPCUB_304000_NS21CountingInputIteratorIllEEPS6_NSA_22TransformInputIteratorIbN2at6native12_GLOBAL__N_19NonZeroOpIN3c108BFloat16EEEPKSK_lEENS0_5tupleIJPlS6_EEENSP_IJSD_SD_EEES6_PiJS6_EEE10hipError_tPvRmT3_T4_T5_T6_T7_T9_mT8_P12ihipStream_tbDpT10_ENKUlT_T0_E_clISt17integral_constantIbLb1EES1C_IbLb0EEEEDaS18_S19_EUlS18_E_NS1_11comp_targetILNS1_3genE9ELNS1_11target_archE1100ELNS1_3gpuE3ELNS1_3repE0EEENS1_30default_config_static_selectorELNS0_4arch9wavefront6targetE0EEEvT1_, .Lfunc_end820-_ZN7rocprim17ROCPRIM_400000_NS6detail17trampoline_kernelINS0_14default_configENS1_25partition_config_selectorILNS1_17partition_subalgoE5ElNS0_10empty_typeEbEEZZNS1_14partition_implILS5_5ELb0ES3_mN6hipcub16HIPCUB_304000_NS21CountingInputIteratorIllEEPS6_NSA_22TransformInputIteratorIbN2at6native12_GLOBAL__N_19NonZeroOpIN3c108BFloat16EEEPKSK_lEENS0_5tupleIJPlS6_EEENSP_IJSD_SD_EEES6_PiJS6_EEE10hipError_tPvRmT3_T4_T5_T6_T7_T9_mT8_P12ihipStream_tbDpT10_ENKUlT_T0_E_clISt17integral_constantIbLb1EES1C_IbLb0EEEEDaS18_S19_EUlS18_E_NS1_11comp_targetILNS1_3genE9ELNS1_11target_archE1100ELNS1_3gpuE3ELNS1_3repE0EEENS1_30default_config_static_selectorELNS0_4arch9wavefront6targetE0EEEvT1_
                                        ; -- End function
	.set _ZN7rocprim17ROCPRIM_400000_NS6detail17trampoline_kernelINS0_14default_configENS1_25partition_config_selectorILNS1_17partition_subalgoE5ElNS0_10empty_typeEbEEZZNS1_14partition_implILS5_5ELb0ES3_mN6hipcub16HIPCUB_304000_NS21CountingInputIteratorIllEEPS6_NSA_22TransformInputIteratorIbN2at6native12_GLOBAL__N_19NonZeroOpIN3c108BFloat16EEEPKSK_lEENS0_5tupleIJPlS6_EEENSP_IJSD_SD_EEES6_PiJS6_EEE10hipError_tPvRmT3_T4_T5_T6_T7_T9_mT8_P12ihipStream_tbDpT10_ENKUlT_T0_E_clISt17integral_constantIbLb1EES1C_IbLb0EEEEDaS18_S19_EUlS18_E_NS1_11comp_targetILNS1_3genE9ELNS1_11target_archE1100ELNS1_3gpuE3ELNS1_3repE0EEENS1_30default_config_static_selectorELNS0_4arch9wavefront6targetE0EEEvT1_.num_vgpr, 0
	.set _ZN7rocprim17ROCPRIM_400000_NS6detail17trampoline_kernelINS0_14default_configENS1_25partition_config_selectorILNS1_17partition_subalgoE5ElNS0_10empty_typeEbEEZZNS1_14partition_implILS5_5ELb0ES3_mN6hipcub16HIPCUB_304000_NS21CountingInputIteratorIllEEPS6_NSA_22TransformInputIteratorIbN2at6native12_GLOBAL__N_19NonZeroOpIN3c108BFloat16EEEPKSK_lEENS0_5tupleIJPlS6_EEENSP_IJSD_SD_EEES6_PiJS6_EEE10hipError_tPvRmT3_T4_T5_T6_T7_T9_mT8_P12ihipStream_tbDpT10_ENKUlT_T0_E_clISt17integral_constantIbLb1EES1C_IbLb0EEEEDaS18_S19_EUlS18_E_NS1_11comp_targetILNS1_3genE9ELNS1_11target_archE1100ELNS1_3gpuE3ELNS1_3repE0EEENS1_30default_config_static_selectorELNS0_4arch9wavefront6targetE0EEEvT1_.num_agpr, 0
	.set _ZN7rocprim17ROCPRIM_400000_NS6detail17trampoline_kernelINS0_14default_configENS1_25partition_config_selectorILNS1_17partition_subalgoE5ElNS0_10empty_typeEbEEZZNS1_14partition_implILS5_5ELb0ES3_mN6hipcub16HIPCUB_304000_NS21CountingInputIteratorIllEEPS6_NSA_22TransformInputIteratorIbN2at6native12_GLOBAL__N_19NonZeroOpIN3c108BFloat16EEEPKSK_lEENS0_5tupleIJPlS6_EEENSP_IJSD_SD_EEES6_PiJS6_EEE10hipError_tPvRmT3_T4_T5_T6_T7_T9_mT8_P12ihipStream_tbDpT10_ENKUlT_T0_E_clISt17integral_constantIbLb1EES1C_IbLb0EEEEDaS18_S19_EUlS18_E_NS1_11comp_targetILNS1_3genE9ELNS1_11target_archE1100ELNS1_3gpuE3ELNS1_3repE0EEENS1_30default_config_static_selectorELNS0_4arch9wavefront6targetE0EEEvT1_.numbered_sgpr, 0
	.set _ZN7rocprim17ROCPRIM_400000_NS6detail17trampoline_kernelINS0_14default_configENS1_25partition_config_selectorILNS1_17partition_subalgoE5ElNS0_10empty_typeEbEEZZNS1_14partition_implILS5_5ELb0ES3_mN6hipcub16HIPCUB_304000_NS21CountingInputIteratorIllEEPS6_NSA_22TransformInputIteratorIbN2at6native12_GLOBAL__N_19NonZeroOpIN3c108BFloat16EEEPKSK_lEENS0_5tupleIJPlS6_EEENSP_IJSD_SD_EEES6_PiJS6_EEE10hipError_tPvRmT3_T4_T5_T6_T7_T9_mT8_P12ihipStream_tbDpT10_ENKUlT_T0_E_clISt17integral_constantIbLb1EES1C_IbLb0EEEEDaS18_S19_EUlS18_E_NS1_11comp_targetILNS1_3genE9ELNS1_11target_archE1100ELNS1_3gpuE3ELNS1_3repE0EEENS1_30default_config_static_selectorELNS0_4arch9wavefront6targetE0EEEvT1_.num_named_barrier, 0
	.set _ZN7rocprim17ROCPRIM_400000_NS6detail17trampoline_kernelINS0_14default_configENS1_25partition_config_selectorILNS1_17partition_subalgoE5ElNS0_10empty_typeEbEEZZNS1_14partition_implILS5_5ELb0ES3_mN6hipcub16HIPCUB_304000_NS21CountingInputIteratorIllEEPS6_NSA_22TransformInputIteratorIbN2at6native12_GLOBAL__N_19NonZeroOpIN3c108BFloat16EEEPKSK_lEENS0_5tupleIJPlS6_EEENSP_IJSD_SD_EEES6_PiJS6_EEE10hipError_tPvRmT3_T4_T5_T6_T7_T9_mT8_P12ihipStream_tbDpT10_ENKUlT_T0_E_clISt17integral_constantIbLb1EES1C_IbLb0EEEEDaS18_S19_EUlS18_E_NS1_11comp_targetILNS1_3genE9ELNS1_11target_archE1100ELNS1_3gpuE3ELNS1_3repE0EEENS1_30default_config_static_selectorELNS0_4arch9wavefront6targetE0EEEvT1_.private_seg_size, 0
	.set _ZN7rocprim17ROCPRIM_400000_NS6detail17trampoline_kernelINS0_14default_configENS1_25partition_config_selectorILNS1_17partition_subalgoE5ElNS0_10empty_typeEbEEZZNS1_14partition_implILS5_5ELb0ES3_mN6hipcub16HIPCUB_304000_NS21CountingInputIteratorIllEEPS6_NSA_22TransformInputIteratorIbN2at6native12_GLOBAL__N_19NonZeroOpIN3c108BFloat16EEEPKSK_lEENS0_5tupleIJPlS6_EEENSP_IJSD_SD_EEES6_PiJS6_EEE10hipError_tPvRmT3_T4_T5_T6_T7_T9_mT8_P12ihipStream_tbDpT10_ENKUlT_T0_E_clISt17integral_constantIbLb1EES1C_IbLb0EEEEDaS18_S19_EUlS18_E_NS1_11comp_targetILNS1_3genE9ELNS1_11target_archE1100ELNS1_3gpuE3ELNS1_3repE0EEENS1_30default_config_static_selectorELNS0_4arch9wavefront6targetE0EEEvT1_.uses_vcc, 0
	.set _ZN7rocprim17ROCPRIM_400000_NS6detail17trampoline_kernelINS0_14default_configENS1_25partition_config_selectorILNS1_17partition_subalgoE5ElNS0_10empty_typeEbEEZZNS1_14partition_implILS5_5ELb0ES3_mN6hipcub16HIPCUB_304000_NS21CountingInputIteratorIllEEPS6_NSA_22TransformInputIteratorIbN2at6native12_GLOBAL__N_19NonZeroOpIN3c108BFloat16EEEPKSK_lEENS0_5tupleIJPlS6_EEENSP_IJSD_SD_EEES6_PiJS6_EEE10hipError_tPvRmT3_T4_T5_T6_T7_T9_mT8_P12ihipStream_tbDpT10_ENKUlT_T0_E_clISt17integral_constantIbLb1EES1C_IbLb0EEEEDaS18_S19_EUlS18_E_NS1_11comp_targetILNS1_3genE9ELNS1_11target_archE1100ELNS1_3gpuE3ELNS1_3repE0EEENS1_30default_config_static_selectorELNS0_4arch9wavefront6targetE0EEEvT1_.uses_flat_scratch, 0
	.set _ZN7rocprim17ROCPRIM_400000_NS6detail17trampoline_kernelINS0_14default_configENS1_25partition_config_selectorILNS1_17partition_subalgoE5ElNS0_10empty_typeEbEEZZNS1_14partition_implILS5_5ELb0ES3_mN6hipcub16HIPCUB_304000_NS21CountingInputIteratorIllEEPS6_NSA_22TransformInputIteratorIbN2at6native12_GLOBAL__N_19NonZeroOpIN3c108BFloat16EEEPKSK_lEENS0_5tupleIJPlS6_EEENSP_IJSD_SD_EEES6_PiJS6_EEE10hipError_tPvRmT3_T4_T5_T6_T7_T9_mT8_P12ihipStream_tbDpT10_ENKUlT_T0_E_clISt17integral_constantIbLb1EES1C_IbLb0EEEEDaS18_S19_EUlS18_E_NS1_11comp_targetILNS1_3genE9ELNS1_11target_archE1100ELNS1_3gpuE3ELNS1_3repE0EEENS1_30default_config_static_selectorELNS0_4arch9wavefront6targetE0EEEvT1_.has_dyn_sized_stack, 0
	.set _ZN7rocprim17ROCPRIM_400000_NS6detail17trampoline_kernelINS0_14default_configENS1_25partition_config_selectorILNS1_17partition_subalgoE5ElNS0_10empty_typeEbEEZZNS1_14partition_implILS5_5ELb0ES3_mN6hipcub16HIPCUB_304000_NS21CountingInputIteratorIllEEPS6_NSA_22TransformInputIteratorIbN2at6native12_GLOBAL__N_19NonZeroOpIN3c108BFloat16EEEPKSK_lEENS0_5tupleIJPlS6_EEENSP_IJSD_SD_EEES6_PiJS6_EEE10hipError_tPvRmT3_T4_T5_T6_T7_T9_mT8_P12ihipStream_tbDpT10_ENKUlT_T0_E_clISt17integral_constantIbLb1EES1C_IbLb0EEEEDaS18_S19_EUlS18_E_NS1_11comp_targetILNS1_3genE9ELNS1_11target_archE1100ELNS1_3gpuE3ELNS1_3repE0EEENS1_30default_config_static_selectorELNS0_4arch9wavefront6targetE0EEEvT1_.has_recursion, 0
	.set _ZN7rocprim17ROCPRIM_400000_NS6detail17trampoline_kernelINS0_14default_configENS1_25partition_config_selectorILNS1_17partition_subalgoE5ElNS0_10empty_typeEbEEZZNS1_14partition_implILS5_5ELb0ES3_mN6hipcub16HIPCUB_304000_NS21CountingInputIteratorIllEEPS6_NSA_22TransformInputIteratorIbN2at6native12_GLOBAL__N_19NonZeroOpIN3c108BFloat16EEEPKSK_lEENS0_5tupleIJPlS6_EEENSP_IJSD_SD_EEES6_PiJS6_EEE10hipError_tPvRmT3_T4_T5_T6_T7_T9_mT8_P12ihipStream_tbDpT10_ENKUlT_T0_E_clISt17integral_constantIbLb1EES1C_IbLb0EEEEDaS18_S19_EUlS18_E_NS1_11comp_targetILNS1_3genE9ELNS1_11target_archE1100ELNS1_3gpuE3ELNS1_3repE0EEENS1_30default_config_static_selectorELNS0_4arch9wavefront6targetE0EEEvT1_.has_indirect_call, 0
	.section	.AMDGPU.csdata,"",@progbits
; Kernel info:
; codeLenInByte = 0
; TotalNumSgprs: 0
; NumVgprs: 0
; ScratchSize: 0
; MemoryBound: 0
; FloatMode: 240
; IeeeMode: 1
; LDSByteSize: 0 bytes/workgroup (compile time only)
; SGPRBlocks: 0
; VGPRBlocks: 0
; NumSGPRsForWavesPerEU: 1
; NumVGPRsForWavesPerEU: 1
; Occupancy: 16
; WaveLimiterHint : 0
; COMPUTE_PGM_RSRC2:SCRATCH_EN: 0
; COMPUTE_PGM_RSRC2:USER_SGPR: 2
; COMPUTE_PGM_RSRC2:TRAP_HANDLER: 0
; COMPUTE_PGM_RSRC2:TGID_X_EN: 1
; COMPUTE_PGM_RSRC2:TGID_Y_EN: 0
; COMPUTE_PGM_RSRC2:TGID_Z_EN: 0
; COMPUTE_PGM_RSRC2:TIDIG_COMP_CNT: 0
	.section	.text._ZN7rocprim17ROCPRIM_400000_NS6detail17trampoline_kernelINS0_14default_configENS1_25partition_config_selectorILNS1_17partition_subalgoE5ElNS0_10empty_typeEbEEZZNS1_14partition_implILS5_5ELb0ES3_mN6hipcub16HIPCUB_304000_NS21CountingInputIteratorIllEEPS6_NSA_22TransformInputIteratorIbN2at6native12_GLOBAL__N_19NonZeroOpIN3c108BFloat16EEEPKSK_lEENS0_5tupleIJPlS6_EEENSP_IJSD_SD_EEES6_PiJS6_EEE10hipError_tPvRmT3_T4_T5_T6_T7_T9_mT8_P12ihipStream_tbDpT10_ENKUlT_T0_E_clISt17integral_constantIbLb1EES1C_IbLb0EEEEDaS18_S19_EUlS18_E_NS1_11comp_targetILNS1_3genE8ELNS1_11target_archE1030ELNS1_3gpuE2ELNS1_3repE0EEENS1_30default_config_static_selectorELNS0_4arch9wavefront6targetE0EEEvT1_,"axG",@progbits,_ZN7rocprim17ROCPRIM_400000_NS6detail17trampoline_kernelINS0_14default_configENS1_25partition_config_selectorILNS1_17partition_subalgoE5ElNS0_10empty_typeEbEEZZNS1_14partition_implILS5_5ELb0ES3_mN6hipcub16HIPCUB_304000_NS21CountingInputIteratorIllEEPS6_NSA_22TransformInputIteratorIbN2at6native12_GLOBAL__N_19NonZeroOpIN3c108BFloat16EEEPKSK_lEENS0_5tupleIJPlS6_EEENSP_IJSD_SD_EEES6_PiJS6_EEE10hipError_tPvRmT3_T4_T5_T6_T7_T9_mT8_P12ihipStream_tbDpT10_ENKUlT_T0_E_clISt17integral_constantIbLb1EES1C_IbLb0EEEEDaS18_S19_EUlS18_E_NS1_11comp_targetILNS1_3genE8ELNS1_11target_archE1030ELNS1_3gpuE2ELNS1_3repE0EEENS1_30default_config_static_selectorELNS0_4arch9wavefront6targetE0EEEvT1_,comdat
	.globl	_ZN7rocprim17ROCPRIM_400000_NS6detail17trampoline_kernelINS0_14default_configENS1_25partition_config_selectorILNS1_17partition_subalgoE5ElNS0_10empty_typeEbEEZZNS1_14partition_implILS5_5ELb0ES3_mN6hipcub16HIPCUB_304000_NS21CountingInputIteratorIllEEPS6_NSA_22TransformInputIteratorIbN2at6native12_GLOBAL__N_19NonZeroOpIN3c108BFloat16EEEPKSK_lEENS0_5tupleIJPlS6_EEENSP_IJSD_SD_EEES6_PiJS6_EEE10hipError_tPvRmT3_T4_T5_T6_T7_T9_mT8_P12ihipStream_tbDpT10_ENKUlT_T0_E_clISt17integral_constantIbLb1EES1C_IbLb0EEEEDaS18_S19_EUlS18_E_NS1_11comp_targetILNS1_3genE8ELNS1_11target_archE1030ELNS1_3gpuE2ELNS1_3repE0EEENS1_30default_config_static_selectorELNS0_4arch9wavefront6targetE0EEEvT1_ ; -- Begin function _ZN7rocprim17ROCPRIM_400000_NS6detail17trampoline_kernelINS0_14default_configENS1_25partition_config_selectorILNS1_17partition_subalgoE5ElNS0_10empty_typeEbEEZZNS1_14partition_implILS5_5ELb0ES3_mN6hipcub16HIPCUB_304000_NS21CountingInputIteratorIllEEPS6_NSA_22TransformInputIteratorIbN2at6native12_GLOBAL__N_19NonZeroOpIN3c108BFloat16EEEPKSK_lEENS0_5tupleIJPlS6_EEENSP_IJSD_SD_EEES6_PiJS6_EEE10hipError_tPvRmT3_T4_T5_T6_T7_T9_mT8_P12ihipStream_tbDpT10_ENKUlT_T0_E_clISt17integral_constantIbLb1EES1C_IbLb0EEEEDaS18_S19_EUlS18_E_NS1_11comp_targetILNS1_3genE8ELNS1_11target_archE1030ELNS1_3gpuE2ELNS1_3repE0EEENS1_30default_config_static_selectorELNS0_4arch9wavefront6targetE0EEEvT1_
	.p2align	8
	.type	_ZN7rocprim17ROCPRIM_400000_NS6detail17trampoline_kernelINS0_14default_configENS1_25partition_config_selectorILNS1_17partition_subalgoE5ElNS0_10empty_typeEbEEZZNS1_14partition_implILS5_5ELb0ES3_mN6hipcub16HIPCUB_304000_NS21CountingInputIteratorIllEEPS6_NSA_22TransformInputIteratorIbN2at6native12_GLOBAL__N_19NonZeroOpIN3c108BFloat16EEEPKSK_lEENS0_5tupleIJPlS6_EEENSP_IJSD_SD_EEES6_PiJS6_EEE10hipError_tPvRmT3_T4_T5_T6_T7_T9_mT8_P12ihipStream_tbDpT10_ENKUlT_T0_E_clISt17integral_constantIbLb1EES1C_IbLb0EEEEDaS18_S19_EUlS18_E_NS1_11comp_targetILNS1_3genE8ELNS1_11target_archE1030ELNS1_3gpuE2ELNS1_3repE0EEENS1_30default_config_static_selectorELNS0_4arch9wavefront6targetE0EEEvT1_,@function
_ZN7rocprim17ROCPRIM_400000_NS6detail17trampoline_kernelINS0_14default_configENS1_25partition_config_selectorILNS1_17partition_subalgoE5ElNS0_10empty_typeEbEEZZNS1_14partition_implILS5_5ELb0ES3_mN6hipcub16HIPCUB_304000_NS21CountingInputIteratorIllEEPS6_NSA_22TransformInputIteratorIbN2at6native12_GLOBAL__N_19NonZeroOpIN3c108BFloat16EEEPKSK_lEENS0_5tupleIJPlS6_EEENSP_IJSD_SD_EEES6_PiJS6_EEE10hipError_tPvRmT3_T4_T5_T6_T7_T9_mT8_P12ihipStream_tbDpT10_ENKUlT_T0_E_clISt17integral_constantIbLb1EES1C_IbLb0EEEEDaS18_S19_EUlS18_E_NS1_11comp_targetILNS1_3genE8ELNS1_11target_archE1030ELNS1_3gpuE2ELNS1_3repE0EEENS1_30default_config_static_selectorELNS0_4arch9wavefront6targetE0EEEvT1_: ; @_ZN7rocprim17ROCPRIM_400000_NS6detail17trampoline_kernelINS0_14default_configENS1_25partition_config_selectorILNS1_17partition_subalgoE5ElNS0_10empty_typeEbEEZZNS1_14partition_implILS5_5ELb0ES3_mN6hipcub16HIPCUB_304000_NS21CountingInputIteratorIllEEPS6_NSA_22TransformInputIteratorIbN2at6native12_GLOBAL__N_19NonZeroOpIN3c108BFloat16EEEPKSK_lEENS0_5tupleIJPlS6_EEENSP_IJSD_SD_EEES6_PiJS6_EEE10hipError_tPvRmT3_T4_T5_T6_T7_T9_mT8_P12ihipStream_tbDpT10_ENKUlT_T0_E_clISt17integral_constantIbLb1EES1C_IbLb0EEEEDaS18_S19_EUlS18_E_NS1_11comp_targetILNS1_3genE8ELNS1_11target_archE1030ELNS1_3gpuE2ELNS1_3repE0EEENS1_30default_config_static_selectorELNS0_4arch9wavefront6targetE0EEEvT1_
; %bb.0:
	.section	.rodata,"a",@progbits
	.p2align	6, 0x0
	.amdhsa_kernel _ZN7rocprim17ROCPRIM_400000_NS6detail17trampoline_kernelINS0_14default_configENS1_25partition_config_selectorILNS1_17partition_subalgoE5ElNS0_10empty_typeEbEEZZNS1_14partition_implILS5_5ELb0ES3_mN6hipcub16HIPCUB_304000_NS21CountingInputIteratorIllEEPS6_NSA_22TransformInputIteratorIbN2at6native12_GLOBAL__N_19NonZeroOpIN3c108BFloat16EEEPKSK_lEENS0_5tupleIJPlS6_EEENSP_IJSD_SD_EEES6_PiJS6_EEE10hipError_tPvRmT3_T4_T5_T6_T7_T9_mT8_P12ihipStream_tbDpT10_ENKUlT_T0_E_clISt17integral_constantIbLb1EES1C_IbLb0EEEEDaS18_S19_EUlS18_E_NS1_11comp_targetILNS1_3genE8ELNS1_11target_archE1030ELNS1_3gpuE2ELNS1_3repE0EEENS1_30default_config_static_selectorELNS0_4arch9wavefront6targetE0EEEvT1_
		.amdhsa_group_segment_fixed_size 0
		.amdhsa_private_segment_fixed_size 0
		.amdhsa_kernarg_size 120
		.amdhsa_user_sgpr_count 2
		.amdhsa_user_sgpr_dispatch_ptr 0
		.amdhsa_user_sgpr_queue_ptr 0
		.amdhsa_user_sgpr_kernarg_segment_ptr 1
		.amdhsa_user_sgpr_dispatch_id 0
		.amdhsa_user_sgpr_private_segment_size 0
		.amdhsa_wavefront_size32 1
		.amdhsa_uses_dynamic_stack 0
		.amdhsa_enable_private_segment 0
		.amdhsa_system_sgpr_workgroup_id_x 1
		.amdhsa_system_sgpr_workgroup_id_y 0
		.amdhsa_system_sgpr_workgroup_id_z 0
		.amdhsa_system_sgpr_workgroup_info 0
		.amdhsa_system_vgpr_workitem_id 0
		.amdhsa_next_free_vgpr 1
		.amdhsa_next_free_sgpr 1
		.amdhsa_reserve_vcc 0
		.amdhsa_float_round_mode_32 0
		.amdhsa_float_round_mode_16_64 0
		.amdhsa_float_denorm_mode_32 3
		.amdhsa_float_denorm_mode_16_64 3
		.amdhsa_fp16_overflow 0
		.amdhsa_workgroup_processor_mode 1
		.amdhsa_memory_ordered 1
		.amdhsa_forward_progress 1
		.amdhsa_inst_pref_size 0
		.amdhsa_round_robin_scheduling 0
		.amdhsa_exception_fp_ieee_invalid_op 0
		.amdhsa_exception_fp_denorm_src 0
		.amdhsa_exception_fp_ieee_div_zero 0
		.amdhsa_exception_fp_ieee_overflow 0
		.amdhsa_exception_fp_ieee_underflow 0
		.amdhsa_exception_fp_ieee_inexact 0
		.amdhsa_exception_int_div_zero 0
	.end_amdhsa_kernel
	.section	.text._ZN7rocprim17ROCPRIM_400000_NS6detail17trampoline_kernelINS0_14default_configENS1_25partition_config_selectorILNS1_17partition_subalgoE5ElNS0_10empty_typeEbEEZZNS1_14partition_implILS5_5ELb0ES3_mN6hipcub16HIPCUB_304000_NS21CountingInputIteratorIllEEPS6_NSA_22TransformInputIteratorIbN2at6native12_GLOBAL__N_19NonZeroOpIN3c108BFloat16EEEPKSK_lEENS0_5tupleIJPlS6_EEENSP_IJSD_SD_EEES6_PiJS6_EEE10hipError_tPvRmT3_T4_T5_T6_T7_T9_mT8_P12ihipStream_tbDpT10_ENKUlT_T0_E_clISt17integral_constantIbLb1EES1C_IbLb0EEEEDaS18_S19_EUlS18_E_NS1_11comp_targetILNS1_3genE8ELNS1_11target_archE1030ELNS1_3gpuE2ELNS1_3repE0EEENS1_30default_config_static_selectorELNS0_4arch9wavefront6targetE0EEEvT1_,"axG",@progbits,_ZN7rocprim17ROCPRIM_400000_NS6detail17trampoline_kernelINS0_14default_configENS1_25partition_config_selectorILNS1_17partition_subalgoE5ElNS0_10empty_typeEbEEZZNS1_14partition_implILS5_5ELb0ES3_mN6hipcub16HIPCUB_304000_NS21CountingInputIteratorIllEEPS6_NSA_22TransformInputIteratorIbN2at6native12_GLOBAL__N_19NonZeroOpIN3c108BFloat16EEEPKSK_lEENS0_5tupleIJPlS6_EEENSP_IJSD_SD_EEES6_PiJS6_EEE10hipError_tPvRmT3_T4_T5_T6_T7_T9_mT8_P12ihipStream_tbDpT10_ENKUlT_T0_E_clISt17integral_constantIbLb1EES1C_IbLb0EEEEDaS18_S19_EUlS18_E_NS1_11comp_targetILNS1_3genE8ELNS1_11target_archE1030ELNS1_3gpuE2ELNS1_3repE0EEENS1_30default_config_static_selectorELNS0_4arch9wavefront6targetE0EEEvT1_,comdat
.Lfunc_end821:
	.size	_ZN7rocprim17ROCPRIM_400000_NS6detail17trampoline_kernelINS0_14default_configENS1_25partition_config_selectorILNS1_17partition_subalgoE5ElNS0_10empty_typeEbEEZZNS1_14partition_implILS5_5ELb0ES3_mN6hipcub16HIPCUB_304000_NS21CountingInputIteratorIllEEPS6_NSA_22TransformInputIteratorIbN2at6native12_GLOBAL__N_19NonZeroOpIN3c108BFloat16EEEPKSK_lEENS0_5tupleIJPlS6_EEENSP_IJSD_SD_EEES6_PiJS6_EEE10hipError_tPvRmT3_T4_T5_T6_T7_T9_mT8_P12ihipStream_tbDpT10_ENKUlT_T0_E_clISt17integral_constantIbLb1EES1C_IbLb0EEEEDaS18_S19_EUlS18_E_NS1_11comp_targetILNS1_3genE8ELNS1_11target_archE1030ELNS1_3gpuE2ELNS1_3repE0EEENS1_30default_config_static_selectorELNS0_4arch9wavefront6targetE0EEEvT1_, .Lfunc_end821-_ZN7rocprim17ROCPRIM_400000_NS6detail17trampoline_kernelINS0_14default_configENS1_25partition_config_selectorILNS1_17partition_subalgoE5ElNS0_10empty_typeEbEEZZNS1_14partition_implILS5_5ELb0ES3_mN6hipcub16HIPCUB_304000_NS21CountingInputIteratorIllEEPS6_NSA_22TransformInputIteratorIbN2at6native12_GLOBAL__N_19NonZeroOpIN3c108BFloat16EEEPKSK_lEENS0_5tupleIJPlS6_EEENSP_IJSD_SD_EEES6_PiJS6_EEE10hipError_tPvRmT3_T4_T5_T6_T7_T9_mT8_P12ihipStream_tbDpT10_ENKUlT_T0_E_clISt17integral_constantIbLb1EES1C_IbLb0EEEEDaS18_S19_EUlS18_E_NS1_11comp_targetILNS1_3genE8ELNS1_11target_archE1030ELNS1_3gpuE2ELNS1_3repE0EEENS1_30default_config_static_selectorELNS0_4arch9wavefront6targetE0EEEvT1_
                                        ; -- End function
	.set _ZN7rocprim17ROCPRIM_400000_NS6detail17trampoline_kernelINS0_14default_configENS1_25partition_config_selectorILNS1_17partition_subalgoE5ElNS0_10empty_typeEbEEZZNS1_14partition_implILS5_5ELb0ES3_mN6hipcub16HIPCUB_304000_NS21CountingInputIteratorIllEEPS6_NSA_22TransformInputIteratorIbN2at6native12_GLOBAL__N_19NonZeroOpIN3c108BFloat16EEEPKSK_lEENS0_5tupleIJPlS6_EEENSP_IJSD_SD_EEES6_PiJS6_EEE10hipError_tPvRmT3_T4_T5_T6_T7_T9_mT8_P12ihipStream_tbDpT10_ENKUlT_T0_E_clISt17integral_constantIbLb1EES1C_IbLb0EEEEDaS18_S19_EUlS18_E_NS1_11comp_targetILNS1_3genE8ELNS1_11target_archE1030ELNS1_3gpuE2ELNS1_3repE0EEENS1_30default_config_static_selectorELNS0_4arch9wavefront6targetE0EEEvT1_.num_vgpr, 0
	.set _ZN7rocprim17ROCPRIM_400000_NS6detail17trampoline_kernelINS0_14default_configENS1_25partition_config_selectorILNS1_17partition_subalgoE5ElNS0_10empty_typeEbEEZZNS1_14partition_implILS5_5ELb0ES3_mN6hipcub16HIPCUB_304000_NS21CountingInputIteratorIllEEPS6_NSA_22TransformInputIteratorIbN2at6native12_GLOBAL__N_19NonZeroOpIN3c108BFloat16EEEPKSK_lEENS0_5tupleIJPlS6_EEENSP_IJSD_SD_EEES6_PiJS6_EEE10hipError_tPvRmT3_T4_T5_T6_T7_T9_mT8_P12ihipStream_tbDpT10_ENKUlT_T0_E_clISt17integral_constantIbLb1EES1C_IbLb0EEEEDaS18_S19_EUlS18_E_NS1_11comp_targetILNS1_3genE8ELNS1_11target_archE1030ELNS1_3gpuE2ELNS1_3repE0EEENS1_30default_config_static_selectorELNS0_4arch9wavefront6targetE0EEEvT1_.num_agpr, 0
	.set _ZN7rocprim17ROCPRIM_400000_NS6detail17trampoline_kernelINS0_14default_configENS1_25partition_config_selectorILNS1_17partition_subalgoE5ElNS0_10empty_typeEbEEZZNS1_14partition_implILS5_5ELb0ES3_mN6hipcub16HIPCUB_304000_NS21CountingInputIteratorIllEEPS6_NSA_22TransformInputIteratorIbN2at6native12_GLOBAL__N_19NonZeroOpIN3c108BFloat16EEEPKSK_lEENS0_5tupleIJPlS6_EEENSP_IJSD_SD_EEES6_PiJS6_EEE10hipError_tPvRmT3_T4_T5_T6_T7_T9_mT8_P12ihipStream_tbDpT10_ENKUlT_T0_E_clISt17integral_constantIbLb1EES1C_IbLb0EEEEDaS18_S19_EUlS18_E_NS1_11comp_targetILNS1_3genE8ELNS1_11target_archE1030ELNS1_3gpuE2ELNS1_3repE0EEENS1_30default_config_static_selectorELNS0_4arch9wavefront6targetE0EEEvT1_.numbered_sgpr, 0
	.set _ZN7rocprim17ROCPRIM_400000_NS6detail17trampoline_kernelINS0_14default_configENS1_25partition_config_selectorILNS1_17partition_subalgoE5ElNS0_10empty_typeEbEEZZNS1_14partition_implILS5_5ELb0ES3_mN6hipcub16HIPCUB_304000_NS21CountingInputIteratorIllEEPS6_NSA_22TransformInputIteratorIbN2at6native12_GLOBAL__N_19NonZeroOpIN3c108BFloat16EEEPKSK_lEENS0_5tupleIJPlS6_EEENSP_IJSD_SD_EEES6_PiJS6_EEE10hipError_tPvRmT3_T4_T5_T6_T7_T9_mT8_P12ihipStream_tbDpT10_ENKUlT_T0_E_clISt17integral_constantIbLb1EES1C_IbLb0EEEEDaS18_S19_EUlS18_E_NS1_11comp_targetILNS1_3genE8ELNS1_11target_archE1030ELNS1_3gpuE2ELNS1_3repE0EEENS1_30default_config_static_selectorELNS0_4arch9wavefront6targetE0EEEvT1_.num_named_barrier, 0
	.set _ZN7rocprim17ROCPRIM_400000_NS6detail17trampoline_kernelINS0_14default_configENS1_25partition_config_selectorILNS1_17partition_subalgoE5ElNS0_10empty_typeEbEEZZNS1_14partition_implILS5_5ELb0ES3_mN6hipcub16HIPCUB_304000_NS21CountingInputIteratorIllEEPS6_NSA_22TransformInputIteratorIbN2at6native12_GLOBAL__N_19NonZeroOpIN3c108BFloat16EEEPKSK_lEENS0_5tupleIJPlS6_EEENSP_IJSD_SD_EEES6_PiJS6_EEE10hipError_tPvRmT3_T4_T5_T6_T7_T9_mT8_P12ihipStream_tbDpT10_ENKUlT_T0_E_clISt17integral_constantIbLb1EES1C_IbLb0EEEEDaS18_S19_EUlS18_E_NS1_11comp_targetILNS1_3genE8ELNS1_11target_archE1030ELNS1_3gpuE2ELNS1_3repE0EEENS1_30default_config_static_selectorELNS0_4arch9wavefront6targetE0EEEvT1_.private_seg_size, 0
	.set _ZN7rocprim17ROCPRIM_400000_NS6detail17trampoline_kernelINS0_14default_configENS1_25partition_config_selectorILNS1_17partition_subalgoE5ElNS0_10empty_typeEbEEZZNS1_14partition_implILS5_5ELb0ES3_mN6hipcub16HIPCUB_304000_NS21CountingInputIteratorIllEEPS6_NSA_22TransformInputIteratorIbN2at6native12_GLOBAL__N_19NonZeroOpIN3c108BFloat16EEEPKSK_lEENS0_5tupleIJPlS6_EEENSP_IJSD_SD_EEES6_PiJS6_EEE10hipError_tPvRmT3_T4_T5_T6_T7_T9_mT8_P12ihipStream_tbDpT10_ENKUlT_T0_E_clISt17integral_constantIbLb1EES1C_IbLb0EEEEDaS18_S19_EUlS18_E_NS1_11comp_targetILNS1_3genE8ELNS1_11target_archE1030ELNS1_3gpuE2ELNS1_3repE0EEENS1_30default_config_static_selectorELNS0_4arch9wavefront6targetE0EEEvT1_.uses_vcc, 0
	.set _ZN7rocprim17ROCPRIM_400000_NS6detail17trampoline_kernelINS0_14default_configENS1_25partition_config_selectorILNS1_17partition_subalgoE5ElNS0_10empty_typeEbEEZZNS1_14partition_implILS5_5ELb0ES3_mN6hipcub16HIPCUB_304000_NS21CountingInputIteratorIllEEPS6_NSA_22TransformInputIteratorIbN2at6native12_GLOBAL__N_19NonZeroOpIN3c108BFloat16EEEPKSK_lEENS0_5tupleIJPlS6_EEENSP_IJSD_SD_EEES6_PiJS6_EEE10hipError_tPvRmT3_T4_T5_T6_T7_T9_mT8_P12ihipStream_tbDpT10_ENKUlT_T0_E_clISt17integral_constantIbLb1EES1C_IbLb0EEEEDaS18_S19_EUlS18_E_NS1_11comp_targetILNS1_3genE8ELNS1_11target_archE1030ELNS1_3gpuE2ELNS1_3repE0EEENS1_30default_config_static_selectorELNS0_4arch9wavefront6targetE0EEEvT1_.uses_flat_scratch, 0
	.set _ZN7rocprim17ROCPRIM_400000_NS6detail17trampoline_kernelINS0_14default_configENS1_25partition_config_selectorILNS1_17partition_subalgoE5ElNS0_10empty_typeEbEEZZNS1_14partition_implILS5_5ELb0ES3_mN6hipcub16HIPCUB_304000_NS21CountingInputIteratorIllEEPS6_NSA_22TransformInputIteratorIbN2at6native12_GLOBAL__N_19NonZeroOpIN3c108BFloat16EEEPKSK_lEENS0_5tupleIJPlS6_EEENSP_IJSD_SD_EEES6_PiJS6_EEE10hipError_tPvRmT3_T4_T5_T6_T7_T9_mT8_P12ihipStream_tbDpT10_ENKUlT_T0_E_clISt17integral_constantIbLb1EES1C_IbLb0EEEEDaS18_S19_EUlS18_E_NS1_11comp_targetILNS1_3genE8ELNS1_11target_archE1030ELNS1_3gpuE2ELNS1_3repE0EEENS1_30default_config_static_selectorELNS0_4arch9wavefront6targetE0EEEvT1_.has_dyn_sized_stack, 0
	.set _ZN7rocprim17ROCPRIM_400000_NS6detail17trampoline_kernelINS0_14default_configENS1_25partition_config_selectorILNS1_17partition_subalgoE5ElNS0_10empty_typeEbEEZZNS1_14partition_implILS5_5ELb0ES3_mN6hipcub16HIPCUB_304000_NS21CountingInputIteratorIllEEPS6_NSA_22TransformInputIteratorIbN2at6native12_GLOBAL__N_19NonZeroOpIN3c108BFloat16EEEPKSK_lEENS0_5tupleIJPlS6_EEENSP_IJSD_SD_EEES6_PiJS6_EEE10hipError_tPvRmT3_T4_T5_T6_T7_T9_mT8_P12ihipStream_tbDpT10_ENKUlT_T0_E_clISt17integral_constantIbLb1EES1C_IbLb0EEEEDaS18_S19_EUlS18_E_NS1_11comp_targetILNS1_3genE8ELNS1_11target_archE1030ELNS1_3gpuE2ELNS1_3repE0EEENS1_30default_config_static_selectorELNS0_4arch9wavefront6targetE0EEEvT1_.has_recursion, 0
	.set _ZN7rocprim17ROCPRIM_400000_NS6detail17trampoline_kernelINS0_14default_configENS1_25partition_config_selectorILNS1_17partition_subalgoE5ElNS0_10empty_typeEbEEZZNS1_14partition_implILS5_5ELb0ES3_mN6hipcub16HIPCUB_304000_NS21CountingInputIteratorIllEEPS6_NSA_22TransformInputIteratorIbN2at6native12_GLOBAL__N_19NonZeroOpIN3c108BFloat16EEEPKSK_lEENS0_5tupleIJPlS6_EEENSP_IJSD_SD_EEES6_PiJS6_EEE10hipError_tPvRmT3_T4_T5_T6_T7_T9_mT8_P12ihipStream_tbDpT10_ENKUlT_T0_E_clISt17integral_constantIbLb1EES1C_IbLb0EEEEDaS18_S19_EUlS18_E_NS1_11comp_targetILNS1_3genE8ELNS1_11target_archE1030ELNS1_3gpuE2ELNS1_3repE0EEENS1_30default_config_static_selectorELNS0_4arch9wavefront6targetE0EEEvT1_.has_indirect_call, 0
	.section	.AMDGPU.csdata,"",@progbits
; Kernel info:
; codeLenInByte = 0
; TotalNumSgprs: 0
; NumVgprs: 0
; ScratchSize: 0
; MemoryBound: 0
; FloatMode: 240
; IeeeMode: 1
; LDSByteSize: 0 bytes/workgroup (compile time only)
; SGPRBlocks: 0
; VGPRBlocks: 0
; NumSGPRsForWavesPerEU: 1
; NumVGPRsForWavesPerEU: 1
; Occupancy: 16
; WaveLimiterHint : 0
; COMPUTE_PGM_RSRC2:SCRATCH_EN: 0
; COMPUTE_PGM_RSRC2:USER_SGPR: 2
; COMPUTE_PGM_RSRC2:TRAP_HANDLER: 0
; COMPUTE_PGM_RSRC2:TGID_X_EN: 1
; COMPUTE_PGM_RSRC2:TGID_Y_EN: 0
; COMPUTE_PGM_RSRC2:TGID_Z_EN: 0
; COMPUTE_PGM_RSRC2:TIDIG_COMP_CNT: 0
	.section	.text._ZN7rocprim17ROCPRIM_400000_NS6detail17trampoline_kernelINS0_14default_configENS1_25partition_config_selectorILNS1_17partition_subalgoE5ElNS0_10empty_typeEbEEZZNS1_14partition_implILS5_5ELb0ES3_mN6hipcub16HIPCUB_304000_NS21CountingInputIteratorIllEEPS6_NSA_22TransformInputIteratorIbN2at6native12_GLOBAL__N_19NonZeroOpIN3c108BFloat16EEEPKSK_lEENS0_5tupleIJPlS6_EEENSP_IJSD_SD_EEES6_PiJS6_EEE10hipError_tPvRmT3_T4_T5_T6_T7_T9_mT8_P12ihipStream_tbDpT10_ENKUlT_T0_E_clISt17integral_constantIbLb0EES1C_IbLb1EEEEDaS18_S19_EUlS18_E_NS1_11comp_targetILNS1_3genE0ELNS1_11target_archE4294967295ELNS1_3gpuE0ELNS1_3repE0EEENS1_30default_config_static_selectorELNS0_4arch9wavefront6targetE0EEEvT1_,"axG",@progbits,_ZN7rocprim17ROCPRIM_400000_NS6detail17trampoline_kernelINS0_14default_configENS1_25partition_config_selectorILNS1_17partition_subalgoE5ElNS0_10empty_typeEbEEZZNS1_14partition_implILS5_5ELb0ES3_mN6hipcub16HIPCUB_304000_NS21CountingInputIteratorIllEEPS6_NSA_22TransformInputIteratorIbN2at6native12_GLOBAL__N_19NonZeroOpIN3c108BFloat16EEEPKSK_lEENS0_5tupleIJPlS6_EEENSP_IJSD_SD_EEES6_PiJS6_EEE10hipError_tPvRmT3_T4_T5_T6_T7_T9_mT8_P12ihipStream_tbDpT10_ENKUlT_T0_E_clISt17integral_constantIbLb0EES1C_IbLb1EEEEDaS18_S19_EUlS18_E_NS1_11comp_targetILNS1_3genE0ELNS1_11target_archE4294967295ELNS1_3gpuE0ELNS1_3repE0EEENS1_30default_config_static_selectorELNS0_4arch9wavefront6targetE0EEEvT1_,comdat
	.globl	_ZN7rocprim17ROCPRIM_400000_NS6detail17trampoline_kernelINS0_14default_configENS1_25partition_config_selectorILNS1_17partition_subalgoE5ElNS0_10empty_typeEbEEZZNS1_14partition_implILS5_5ELb0ES3_mN6hipcub16HIPCUB_304000_NS21CountingInputIteratorIllEEPS6_NSA_22TransformInputIteratorIbN2at6native12_GLOBAL__N_19NonZeroOpIN3c108BFloat16EEEPKSK_lEENS0_5tupleIJPlS6_EEENSP_IJSD_SD_EEES6_PiJS6_EEE10hipError_tPvRmT3_T4_T5_T6_T7_T9_mT8_P12ihipStream_tbDpT10_ENKUlT_T0_E_clISt17integral_constantIbLb0EES1C_IbLb1EEEEDaS18_S19_EUlS18_E_NS1_11comp_targetILNS1_3genE0ELNS1_11target_archE4294967295ELNS1_3gpuE0ELNS1_3repE0EEENS1_30default_config_static_selectorELNS0_4arch9wavefront6targetE0EEEvT1_ ; -- Begin function _ZN7rocprim17ROCPRIM_400000_NS6detail17trampoline_kernelINS0_14default_configENS1_25partition_config_selectorILNS1_17partition_subalgoE5ElNS0_10empty_typeEbEEZZNS1_14partition_implILS5_5ELb0ES3_mN6hipcub16HIPCUB_304000_NS21CountingInputIteratorIllEEPS6_NSA_22TransformInputIteratorIbN2at6native12_GLOBAL__N_19NonZeroOpIN3c108BFloat16EEEPKSK_lEENS0_5tupleIJPlS6_EEENSP_IJSD_SD_EEES6_PiJS6_EEE10hipError_tPvRmT3_T4_T5_T6_T7_T9_mT8_P12ihipStream_tbDpT10_ENKUlT_T0_E_clISt17integral_constantIbLb0EES1C_IbLb1EEEEDaS18_S19_EUlS18_E_NS1_11comp_targetILNS1_3genE0ELNS1_11target_archE4294967295ELNS1_3gpuE0ELNS1_3repE0EEENS1_30default_config_static_selectorELNS0_4arch9wavefront6targetE0EEEvT1_
	.p2align	8
	.type	_ZN7rocprim17ROCPRIM_400000_NS6detail17trampoline_kernelINS0_14default_configENS1_25partition_config_selectorILNS1_17partition_subalgoE5ElNS0_10empty_typeEbEEZZNS1_14partition_implILS5_5ELb0ES3_mN6hipcub16HIPCUB_304000_NS21CountingInputIteratorIllEEPS6_NSA_22TransformInputIteratorIbN2at6native12_GLOBAL__N_19NonZeroOpIN3c108BFloat16EEEPKSK_lEENS0_5tupleIJPlS6_EEENSP_IJSD_SD_EEES6_PiJS6_EEE10hipError_tPvRmT3_T4_T5_T6_T7_T9_mT8_P12ihipStream_tbDpT10_ENKUlT_T0_E_clISt17integral_constantIbLb0EES1C_IbLb1EEEEDaS18_S19_EUlS18_E_NS1_11comp_targetILNS1_3genE0ELNS1_11target_archE4294967295ELNS1_3gpuE0ELNS1_3repE0EEENS1_30default_config_static_selectorELNS0_4arch9wavefront6targetE0EEEvT1_,@function
_ZN7rocprim17ROCPRIM_400000_NS6detail17trampoline_kernelINS0_14default_configENS1_25partition_config_selectorILNS1_17partition_subalgoE5ElNS0_10empty_typeEbEEZZNS1_14partition_implILS5_5ELb0ES3_mN6hipcub16HIPCUB_304000_NS21CountingInputIteratorIllEEPS6_NSA_22TransformInputIteratorIbN2at6native12_GLOBAL__N_19NonZeroOpIN3c108BFloat16EEEPKSK_lEENS0_5tupleIJPlS6_EEENSP_IJSD_SD_EEES6_PiJS6_EEE10hipError_tPvRmT3_T4_T5_T6_T7_T9_mT8_P12ihipStream_tbDpT10_ENKUlT_T0_E_clISt17integral_constantIbLb0EES1C_IbLb1EEEEDaS18_S19_EUlS18_E_NS1_11comp_targetILNS1_3genE0ELNS1_11target_archE4294967295ELNS1_3gpuE0ELNS1_3repE0EEENS1_30default_config_static_selectorELNS0_4arch9wavefront6targetE0EEEvT1_: ; @_ZN7rocprim17ROCPRIM_400000_NS6detail17trampoline_kernelINS0_14default_configENS1_25partition_config_selectorILNS1_17partition_subalgoE5ElNS0_10empty_typeEbEEZZNS1_14partition_implILS5_5ELb0ES3_mN6hipcub16HIPCUB_304000_NS21CountingInputIteratorIllEEPS6_NSA_22TransformInputIteratorIbN2at6native12_GLOBAL__N_19NonZeroOpIN3c108BFloat16EEEPKSK_lEENS0_5tupleIJPlS6_EEENSP_IJSD_SD_EEES6_PiJS6_EEE10hipError_tPvRmT3_T4_T5_T6_T7_T9_mT8_P12ihipStream_tbDpT10_ENKUlT_T0_E_clISt17integral_constantIbLb0EES1C_IbLb1EEEEDaS18_S19_EUlS18_E_NS1_11comp_targetILNS1_3genE0ELNS1_11target_archE4294967295ELNS1_3gpuE0ELNS1_3repE0EEENS1_30default_config_static_selectorELNS0_4arch9wavefront6targetE0EEEvT1_
; %bb.0:
	.section	.rodata,"a",@progbits
	.p2align	6, 0x0
	.amdhsa_kernel _ZN7rocprim17ROCPRIM_400000_NS6detail17trampoline_kernelINS0_14default_configENS1_25partition_config_selectorILNS1_17partition_subalgoE5ElNS0_10empty_typeEbEEZZNS1_14partition_implILS5_5ELb0ES3_mN6hipcub16HIPCUB_304000_NS21CountingInputIteratorIllEEPS6_NSA_22TransformInputIteratorIbN2at6native12_GLOBAL__N_19NonZeroOpIN3c108BFloat16EEEPKSK_lEENS0_5tupleIJPlS6_EEENSP_IJSD_SD_EEES6_PiJS6_EEE10hipError_tPvRmT3_T4_T5_T6_T7_T9_mT8_P12ihipStream_tbDpT10_ENKUlT_T0_E_clISt17integral_constantIbLb0EES1C_IbLb1EEEEDaS18_S19_EUlS18_E_NS1_11comp_targetILNS1_3genE0ELNS1_11target_archE4294967295ELNS1_3gpuE0ELNS1_3repE0EEENS1_30default_config_static_selectorELNS0_4arch9wavefront6targetE0EEEvT1_
		.amdhsa_group_segment_fixed_size 0
		.amdhsa_private_segment_fixed_size 0
		.amdhsa_kernarg_size 136
		.amdhsa_user_sgpr_count 2
		.amdhsa_user_sgpr_dispatch_ptr 0
		.amdhsa_user_sgpr_queue_ptr 0
		.amdhsa_user_sgpr_kernarg_segment_ptr 1
		.amdhsa_user_sgpr_dispatch_id 0
		.amdhsa_user_sgpr_private_segment_size 0
		.amdhsa_wavefront_size32 1
		.amdhsa_uses_dynamic_stack 0
		.amdhsa_enable_private_segment 0
		.amdhsa_system_sgpr_workgroup_id_x 1
		.amdhsa_system_sgpr_workgroup_id_y 0
		.amdhsa_system_sgpr_workgroup_id_z 0
		.amdhsa_system_sgpr_workgroup_info 0
		.amdhsa_system_vgpr_workitem_id 0
		.amdhsa_next_free_vgpr 1
		.amdhsa_next_free_sgpr 1
		.amdhsa_reserve_vcc 0
		.amdhsa_float_round_mode_32 0
		.amdhsa_float_round_mode_16_64 0
		.amdhsa_float_denorm_mode_32 3
		.amdhsa_float_denorm_mode_16_64 3
		.amdhsa_fp16_overflow 0
		.amdhsa_workgroup_processor_mode 1
		.amdhsa_memory_ordered 1
		.amdhsa_forward_progress 1
		.amdhsa_inst_pref_size 0
		.amdhsa_round_robin_scheduling 0
		.amdhsa_exception_fp_ieee_invalid_op 0
		.amdhsa_exception_fp_denorm_src 0
		.amdhsa_exception_fp_ieee_div_zero 0
		.amdhsa_exception_fp_ieee_overflow 0
		.amdhsa_exception_fp_ieee_underflow 0
		.amdhsa_exception_fp_ieee_inexact 0
		.amdhsa_exception_int_div_zero 0
	.end_amdhsa_kernel
	.section	.text._ZN7rocprim17ROCPRIM_400000_NS6detail17trampoline_kernelINS0_14default_configENS1_25partition_config_selectorILNS1_17partition_subalgoE5ElNS0_10empty_typeEbEEZZNS1_14partition_implILS5_5ELb0ES3_mN6hipcub16HIPCUB_304000_NS21CountingInputIteratorIllEEPS6_NSA_22TransformInputIteratorIbN2at6native12_GLOBAL__N_19NonZeroOpIN3c108BFloat16EEEPKSK_lEENS0_5tupleIJPlS6_EEENSP_IJSD_SD_EEES6_PiJS6_EEE10hipError_tPvRmT3_T4_T5_T6_T7_T9_mT8_P12ihipStream_tbDpT10_ENKUlT_T0_E_clISt17integral_constantIbLb0EES1C_IbLb1EEEEDaS18_S19_EUlS18_E_NS1_11comp_targetILNS1_3genE0ELNS1_11target_archE4294967295ELNS1_3gpuE0ELNS1_3repE0EEENS1_30default_config_static_selectorELNS0_4arch9wavefront6targetE0EEEvT1_,"axG",@progbits,_ZN7rocprim17ROCPRIM_400000_NS6detail17trampoline_kernelINS0_14default_configENS1_25partition_config_selectorILNS1_17partition_subalgoE5ElNS0_10empty_typeEbEEZZNS1_14partition_implILS5_5ELb0ES3_mN6hipcub16HIPCUB_304000_NS21CountingInputIteratorIllEEPS6_NSA_22TransformInputIteratorIbN2at6native12_GLOBAL__N_19NonZeroOpIN3c108BFloat16EEEPKSK_lEENS0_5tupleIJPlS6_EEENSP_IJSD_SD_EEES6_PiJS6_EEE10hipError_tPvRmT3_T4_T5_T6_T7_T9_mT8_P12ihipStream_tbDpT10_ENKUlT_T0_E_clISt17integral_constantIbLb0EES1C_IbLb1EEEEDaS18_S19_EUlS18_E_NS1_11comp_targetILNS1_3genE0ELNS1_11target_archE4294967295ELNS1_3gpuE0ELNS1_3repE0EEENS1_30default_config_static_selectorELNS0_4arch9wavefront6targetE0EEEvT1_,comdat
.Lfunc_end822:
	.size	_ZN7rocprim17ROCPRIM_400000_NS6detail17trampoline_kernelINS0_14default_configENS1_25partition_config_selectorILNS1_17partition_subalgoE5ElNS0_10empty_typeEbEEZZNS1_14partition_implILS5_5ELb0ES3_mN6hipcub16HIPCUB_304000_NS21CountingInputIteratorIllEEPS6_NSA_22TransformInputIteratorIbN2at6native12_GLOBAL__N_19NonZeroOpIN3c108BFloat16EEEPKSK_lEENS0_5tupleIJPlS6_EEENSP_IJSD_SD_EEES6_PiJS6_EEE10hipError_tPvRmT3_T4_T5_T6_T7_T9_mT8_P12ihipStream_tbDpT10_ENKUlT_T0_E_clISt17integral_constantIbLb0EES1C_IbLb1EEEEDaS18_S19_EUlS18_E_NS1_11comp_targetILNS1_3genE0ELNS1_11target_archE4294967295ELNS1_3gpuE0ELNS1_3repE0EEENS1_30default_config_static_selectorELNS0_4arch9wavefront6targetE0EEEvT1_, .Lfunc_end822-_ZN7rocprim17ROCPRIM_400000_NS6detail17trampoline_kernelINS0_14default_configENS1_25partition_config_selectorILNS1_17partition_subalgoE5ElNS0_10empty_typeEbEEZZNS1_14partition_implILS5_5ELb0ES3_mN6hipcub16HIPCUB_304000_NS21CountingInputIteratorIllEEPS6_NSA_22TransformInputIteratorIbN2at6native12_GLOBAL__N_19NonZeroOpIN3c108BFloat16EEEPKSK_lEENS0_5tupleIJPlS6_EEENSP_IJSD_SD_EEES6_PiJS6_EEE10hipError_tPvRmT3_T4_T5_T6_T7_T9_mT8_P12ihipStream_tbDpT10_ENKUlT_T0_E_clISt17integral_constantIbLb0EES1C_IbLb1EEEEDaS18_S19_EUlS18_E_NS1_11comp_targetILNS1_3genE0ELNS1_11target_archE4294967295ELNS1_3gpuE0ELNS1_3repE0EEENS1_30default_config_static_selectorELNS0_4arch9wavefront6targetE0EEEvT1_
                                        ; -- End function
	.set _ZN7rocprim17ROCPRIM_400000_NS6detail17trampoline_kernelINS0_14default_configENS1_25partition_config_selectorILNS1_17partition_subalgoE5ElNS0_10empty_typeEbEEZZNS1_14partition_implILS5_5ELb0ES3_mN6hipcub16HIPCUB_304000_NS21CountingInputIteratorIllEEPS6_NSA_22TransformInputIteratorIbN2at6native12_GLOBAL__N_19NonZeroOpIN3c108BFloat16EEEPKSK_lEENS0_5tupleIJPlS6_EEENSP_IJSD_SD_EEES6_PiJS6_EEE10hipError_tPvRmT3_T4_T5_T6_T7_T9_mT8_P12ihipStream_tbDpT10_ENKUlT_T0_E_clISt17integral_constantIbLb0EES1C_IbLb1EEEEDaS18_S19_EUlS18_E_NS1_11comp_targetILNS1_3genE0ELNS1_11target_archE4294967295ELNS1_3gpuE0ELNS1_3repE0EEENS1_30default_config_static_selectorELNS0_4arch9wavefront6targetE0EEEvT1_.num_vgpr, 0
	.set _ZN7rocprim17ROCPRIM_400000_NS6detail17trampoline_kernelINS0_14default_configENS1_25partition_config_selectorILNS1_17partition_subalgoE5ElNS0_10empty_typeEbEEZZNS1_14partition_implILS5_5ELb0ES3_mN6hipcub16HIPCUB_304000_NS21CountingInputIteratorIllEEPS6_NSA_22TransformInputIteratorIbN2at6native12_GLOBAL__N_19NonZeroOpIN3c108BFloat16EEEPKSK_lEENS0_5tupleIJPlS6_EEENSP_IJSD_SD_EEES6_PiJS6_EEE10hipError_tPvRmT3_T4_T5_T6_T7_T9_mT8_P12ihipStream_tbDpT10_ENKUlT_T0_E_clISt17integral_constantIbLb0EES1C_IbLb1EEEEDaS18_S19_EUlS18_E_NS1_11comp_targetILNS1_3genE0ELNS1_11target_archE4294967295ELNS1_3gpuE0ELNS1_3repE0EEENS1_30default_config_static_selectorELNS0_4arch9wavefront6targetE0EEEvT1_.num_agpr, 0
	.set _ZN7rocprim17ROCPRIM_400000_NS6detail17trampoline_kernelINS0_14default_configENS1_25partition_config_selectorILNS1_17partition_subalgoE5ElNS0_10empty_typeEbEEZZNS1_14partition_implILS5_5ELb0ES3_mN6hipcub16HIPCUB_304000_NS21CountingInputIteratorIllEEPS6_NSA_22TransformInputIteratorIbN2at6native12_GLOBAL__N_19NonZeroOpIN3c108BFloat16EEEPKSK_lEENS0_5tupleIJPlS6_EEENSP_IJSD_SD_EEES6_PiJS6_EEE10hipError_tPvRmT3_T4_T5_T6_T7_T9_mT8_P12ihipStream_tbDpT10_ENKUlT_T0_E_clISt17integral_constantIbLb0EES1C_IbLb1EEEEDaS18_S19_EUlS18_E_NS1_11comp_targetILNS1_3genE0ELNS1_11target_archE4294967295ELNS1_3gpuE0ELNS1_3repE0EEENS1_30default_config_static_selectorELNS0_4arch9wavefront6targetE0EEEvT1_.numbered_sgpr, 0
	.set _ZN7rocprim17ROCPRIM_400000_NS6detail17trampoline_kernelINS0_14default_configENS1_25partition_config_selectorILNS1_17partition_subalgoE5ElNS0_10empty_typeEbEEZZNS1_14partition_implILS5_5ELb0ES3_mN6hipcub16HIPCUB_304000_NS21CountingInputIteratorIllEEPS6_NSA_22TransformInputIteratorIbN2at6native12_GLOBAL__N_19NonZeroOpIN3c108BFloat16EEEPKSK_lEENS0_5tupleIJPlS6_EEENSP_IJSD_SD_EEES6_PiJS6_EEE10hipError_tPvRmT3_T4_T5_T6_T7_T9_mT8_P12ihipStream_tbDpT10_ENKUlT_T0_E_clISt17integral_constantIbLb0EES1C_IbLb1EEEEDaS18_S19_EUlS18_E_NS1_11comp_targetILNS1_3genE0ELNS1_11target_archE4294967295ELNS1_3gpuE0ELNS1_3repE0EEENS1_30default_config_static_selectorELNS0_4arch9wavefront6targetE0EEEvT1_.num_named_barrier, 0
	.set _ZN7rocprim17ROCPRIM_400000_NS6detail17trampoline_kernelINS0_14default_configENS1_25partition_config_selectorILNS1_17partition_subalgoE5ElNS0_10empty_typeEbEEZZNS1_14partition_implILS5_5ELb0ES3_mN6hipcub16HIPCUB_304000_NS21CountingInputIteratorIllEEPS6_NSA_22TransformInputIteratorIbN2at6native12_GLOBAL__N_19NonZeroOpIN3c108BFloat16EEEPKSK_lEENS0_5tupleIJPlS6_EEENSP_IJSD_SD_EEES6_PiJS6_EEE10hipError_tPvRmT3_T4_T5_T6_T7_T9_mT8_P12ihipStream_tbDpT10_ENKUlT_T0_E_clISt17integral_constantIbLb0EES1C_IbLb1EEEEDaS18_S19_EUlS18_E_NS1_11comp_targetILNS1_3genE0ELNS1_11target_archE4294967295ELNS1_3gpuE0ELNS1_3repE0EEENS1_30default_config_static_selectorELNS0_4arch9wavefront6targetE0EEEvT1_.private_seg_size, 0
	.set _ZN7rocprim17ROCPRIM_400000_NS6detail17trampoline_kernelINS0_14default_configENS1_25partition_config_selectorILNS1_17partition_subalgoE5ElNS0_10empty_typeEbEEZZNS1_14partition_implILS5_5ELb0ES3_mN6hipcub16HIPCUB_304000_NS21CountingInputIteratorIllEEPS6_NSA_22TransformInputIteratorIbN2at6native12_GLOBAL__N_19NonZeroOpIN3c108BFloat16EEEPKSK_lEENS0_5tupleIJPlS6_EEENSP_IJSD_SD_EEES6_PiJS6_EEE10hipError_tPvRmT3_T4_T5_T6_T7_T9_mT8_P12ihipStream_tbDpT10_ENKUlT_T0_E_clISt17integral_constantIbLb0EES1C_IbLb1EEEEDaS18_S19_EUlS18_E_NS1_11comp_targetILNS1_3genE0ELNS1_11target_archE4294967295ELNS1_3gpuE0ELNS1_3repE0EEENS1_30default_config_static_selectorELNS0_4arch9wavefront6targetE0EEEvT1_.uses_vcc, 0
	.set _ZN7rocprim17ROCPRIM_400000_NS6detail17trampoline_kernelINS0_14default_configENS1_25partition_config_selectorILNS1_17partition_subalgoE5ElNS0_10empty_typeEbEEZZNS1_14partition_implILS5_5ELb0ES3_mN6hipcub16HIPCUB_304000_NS21CountingInputIteratorIllEEPS6_NSA_22TransformInputIteratorIbN2at6native12_GLOBAL__N_19NonZeroOpIN3c108BFloat16EEEPKSK_lEENS0_5tupleIJPlS6_EEENSP_IJSD_SD_EEES6_PiJS6_EEE10hipError_tPvRmT3_T4_T5_T6_T7_T9_mT8_P12ihipStream_tbDpT10_ENKUlT_T0_E_clISt17integral_constantIbLb0EES1C_IbLb1EEEEDaS18_S19_EUlS18_E_NS1_11comp_targetILNS1_3genE0ELNS1_11target_archE4294967295ELNS1_3gpuE0ELNS1_3repE0EEENS1_30default_config_static_selectorELNS0_4arch9wavefront6targetE0EEEvT1_.uses_flat_scratch, 0
	.set _ZN7rocprim17ROCPRIM_400000_NS6detail17trampoline_kernelINS0_14default_configENS1_25partition_config_selectorILNS1_17partition_subalgoE5ElNS0_10empty_typeEbEEZZNS1_14partition_implILS5_5ELb0ES3_mN6hipcub16HIPCUB_304000_NS21CountingInputIteratorIllEEPS6_NSA_22TransformInputIteratorIbN2at6native12_GLOBAL__N_19NonZeroOpIN3c108BFloat16EEEPKSK_lEENS0_5tupleIJPlS6_EEENSP_IJSD_SD_EEES6_PiJS6_EEE10hipError_tPvRmT3_T4_T5_T6_T7_T9_mT8_P12ihipStream_tbDpT10_ENKUlT_T0_E_clISt17integral_constantIbLb0EES1C_IbLb1EEEEDaS18_S19_EUlS18_E_NS1_11comp_targetILNS1_3genE0ELNS1_11target_archE4294967295ELNS1_3gpuE0ELNS1_3repE0EEENS1_30default_config_static_selectorELNS0_4arch9wavefront6targetE0EEEvT1_.has_dyn_sized_stack, 0
	.set _ZN7rocprim17ROCPRIM_400000_NS6detail17trampoline_kernelINS0_14default_configENS1_25partition_config_selectorILNS1_17partition_subalgoE5ElNS0_10empty_typeEbEEZZNS1_14partition_implILS5_5ELb0ES3_mN6hipcub16HIPCUB_304000_NS21CountingInputIteratorIllEEPS6_NSA_22TransformInputIteratorIbN2at6native12_GLOBAL__N_19NonZeroOpIN3c108BFloat16EEEPKSK_lEENS0_5tupleIJPlS6_EEENSP_IJSD_SD_EEES6_PiJS6_EEE10hipError_tPvRmT3_T4_T5_T6_T7_T9_mT8_P12ihipStream_tbDpT10_ENKUlT_T0_E_clISt17integral_constantIbLb0EES1C_IbLb1EEEEDaS18_S19_EUlS18_E_NS1_11comp_targetILNS1_3genE0ELNS1_11target_archE4294967295ELNS1_3gpuE0ELNS1_3repE0EEENS1_30default_config_static_selectorELNS0_4arch9wavefront6targetE0EEEvT1_.has_recursion, 0
	.set _ZN7rocprim17ROCPRIM_400000_NS6detail17trampoline_kernelINS0_14default_configENS1_25partition_config_selectorILNS1_17partition_subalgoE5ElNS0_10empty_typeEbEEZZNS1_14partition_implILS5_5ELb0ES3_mN6hipcub16HIPCUB_304000_NS21CountingInputIteratorIllEEPS6_NSA_22TransformInputIteratorIbN2at6native12_GLOBAL__N_19NonZeroOpIN3c108BFloat16EEEPKSK_lEENS0_5tupleIJPlS6_EEENSP_IJSD_SD_EEES6_PiJS6_EEE10hipError_tPvRmT3_T4_T5_T6_T7_T9_mT8_P12ihipStream_tbDpT10_ENKUlT_T0_E_clISt17integral_constantIbLb0EES1C_IbLb1EEEEDaS18_S19_EUlS18_E_NS1_11comp_targetILNS1_3genE0ELNS1_11target_archE4294967295ELNS1_3gpuE0ELNS1_3repE0EEENS1_30default_config_static_selectorELNS0_4arch9wavefront6targetE0EEEvT1_.has_indirect_call, 0
	.section	.AMDGPU.csdata,"",@progbits
; Kernel info:
; codeLenInByte = 0
; TotalNumSgprs: 0
; NumVgprs: 0
; ScratchSize: 0
; MemoryBound: 0
; FloatMode: 240
; IeeeMode: 1
; LDSByteSize: 0 bytes/workgroup (compile time only)
; SGPRBlocks: 0
; VGPRBlocks: 0
; NumSGPRsForWavesPerEU: 1
; NumVGPRsForWavesPerEU: 1
; Occupancy: 16
; WaveLimiterHint : 0
; COMPUTE_PGM_RSRC2:SCRATCH_EN: 0
; COMPUTE_PGM_RSRC2:USER_SGPR: 2
; COMPUTE_PGM_RSRC2:TRAP_HANDLER: 0
; COMPUTE_PGM_RSRC2:TGID_X_EN: 1
; COMPUTE_PGM_RSRC2:TGID_Y_EN: 0
; COMPUTE_PGM_RSRC2:TGID_Z_EN: 0
; COMPUTE_PGM_RSRC2:TIDIG_COMP_CNT: 0
	.section	.text._ZN7rocprim17ROCPRIM_400000_NS6detail17trampoline_kernelINS0_14default_configENS1_25partition_config_selectorILNS1_17partition_subalgoE5ElNS0_10empty_typeEbEEZZNS1_14partition_implILS5_5ELb0ES3_mN6hipcub16HIPCUB_304000_NS21CountingInputIteratorIllEEPS6_NSA_22TransformInputIteratorIbN2at6native12_GLOBAL__N_19NonZeroOpIN3c108BFloat16EEEPKSK_lEENS0_5tupleIJPlS6_EEENSP_IJSD_SD_EEES6_PiJS6_EEE10hipError_tPvRmT3_T4_T5_T6_T7_T9_mT8_P12ihipStream_tbDpT10_ENKUlT_T0_E_clISt17integral_constantIbLb0EES1C_IbLb1EEEEDaS18_S19_EUlS18_E_NS1_11comp_targetILNS1_3genE5ELNS1_11target_archE942ELNS1_3gpuE9ELNS1_3repE0EEENS1_30default_config_static_selectorELNS0_4arch9wavefront6targetE0EEEvT1_,"axG",@progbits,_ZN7rocprim17ROCPRIM_400000_NS6detail17trampoline_kernelINS0_14default_configENS1_25partition_config_selectorILNS1_17partition_subalgoE5ElNS0_10empty_typeEbEEZZNS1_14partition_implILS5_5ELb0ES3_mN6hipcub16HIPCUB_304000_NS21CountingInputIteratorIllEEPS6_NSA_22TransformInputIteratorIbN2at6native12_GLOBAL__N_19NonZeroOpIN3c108BFloat16EEEPKSK_lEENS0_5tupleIJPlS6_EEENSP_IJSD_SD_EEES6_PiJS6_EEE10hipError_tPvRmT3_T4_T5_T6_T7_T9_mT8_P12ihipStream_tbDpT10_ENKUlT_T0_E_clISt17integral_constantIbLb0EES1C_IbLb1EEEEDaS18_S19_EUlS18_E_NS1_11comp_targetILNS1_3genE5ELNS1_11target_archE942ELNS1_3gpuE9ELNS1_3repE0EEENS1_30default_config_static_selectorELNS0_4arch9wavefront6targetE0EEEvT1_,comdat
	.globl	_ZN7rocprim17ROCPRIM_400000_NS6detail17trampoline_kernelINS0_14default_configENS1_25partition_config_selectorILNS1_17partition_subalgoE5ElNS0_10empty_typeEbEEZZNS1_14partition_implILS5_5ELb0ES3_mN6hipcub16HIPCUB_304000_NS21CountingInputIteratorIllEEPS6_NSA_22TransformInputIteratorIbN2at6native12_GLOBAL__N_19NonZeroOpIN3c108BFloat16EEEPKSK_lEENS0_5tupleIJPlS6_EEENSP_IJSD_SD_EEES6_PiJS6_EEE10hipError_tPvRmT3_T4_T5_T6_T7_T9_mT8_P12ihipStream_tbDpT10_ENKUlT_T0_E_clISt17integral_constantIbLb0EES1C_IbLb1EEEEDaS18_S19_EUlS18_E_NS1_11comp_targetILNS1_3genE5ELNS1_11target_archE942ELNS1_3gpuE9ELNS1_3repE0EEENS1_30default_config_static_selectorELNS0_4arch9wavefront6targetE0EEEvT1_ ; -- Begin function _ZN7rocprim17ROCPRIM_400000_NS6detail17trampoline_kernelINS0_14default_configENS1_25partition_config_selectorILNS1_17partition_subalgoE5ElNS0_10empty_typeEbEEZZNS1_14partition_implILS5_5ELb0ES3_mN6hipcub16HIPCUB_304000_NS21CountingInputIteratorIllEEPS6_NSA_22TransformInputIteratorIbN2at6native12_GLOBAL__N_19NonZeroOpIN3c108BFloat16EEEPKSK_lEENS0_5tupleIJPlS6_EEENSP_IJSD_SD_EEES6_PiJS6_EEE10hipError_tPvRmT3_T4_T5_T6_T7_T9_mT8_P12ihipStream_tbDpT10_ENKUlT_T0_E_clISt17integral_constantIbLb0EES1C_IbLb1EEEEDaS18_S19_EUlS18_E_NS1_11comp_targetILNS1_3genE5ELNS1_11target_archE942ELNS1_3gpuE9ELNS1_3repE0EEENS1_30default_config_static_selectorELNS0_4arch9wavefront6targetE0EEEvT1_
	.p2align	8
	.type	_ZN7rocprim17ROCPRIM_400000_NS6detail17trampoline_kernelINS0_14default_configENS1_25partition_config_selectorILNS1_17partition_subalgoE5ElNS0_10empty_typeEbEEZZNS1_14partition_implILS5_5ELb0ES3_mN6hipcub16HIPCUB_304000_NS21CountingInputIteratorIllEEPS6_NSA_22TransformInputIteratorIbN2at6native12_GLOBAL__N_19NonZeroOpIN3c108BFloat16EEEPKSK_lEENS0_5tupleIJPlS6_EEENSP_IJSD_SD_EEES6_PiJS6_EEE10hipError_tPvRmT3_T4_T5_T6_T7_T9_mT8_P12ihipStream_tbDpT10_ENKUlT_T0_E_clISt17integral_constantIbLb0EES1C_IbLb1EEEEDaS18_S19_EUlS18_E_NS1_11comp_targetILNS1_3genE5ELNS1_11target_archE942ELNS1_3gpuE9ELNS1_3repE0EEENS1_30default_config_static_selectorELNS0_4arch9wavefront6targetE0EEEvT1_,@function
_ZN7rocprim17ROCPRIM_400000_NS6detail17trampoline_kernelINS0_14default_configENS1_25partition_config_selectorILNS1_17partition_subalgoE5ElNS0_10empty_typeEbEEZZNS1_14partition_implILS5_5ELb0ES3_mN6hipcub16HIPCUB_304000_NS21CountingInputIteratorIllEEPS6_NSA_22TransformInputIteratorIbN2at6native12_GLOBAL__N_19NonZeroOpIN3c108BFloat16EEEPKSK_lEENS0_5tupleIJPlS6_EEENSP_IJSD_SD_EEES6_PiJS6_EEE10hipError_tPvRmT3_T4_T5_T6_T7_T9_mT8_P12ihipStream_tbDpT10_ENKUlT_T0_E_clISt17integral_constantIbLb0EES1C_IbLb1EEEEDaS18_S19_EUlS18_E_NS1_11comp_targetILNS1_3genE5ELNS1_11target_archE942ELNS1_3gpuE9ELNS1_3repE0EEENS1_30default_config_static_selectorELNS0_4arch9wavefront6targetE0EEEvT1_: ; @_ZN7rocprim17ROCPRIM_400000_NS6detail17trampoline_kernelINS0_14default_configENS1_25partition_config_selectorILNS1_17partition_subalgoE5ElNS0_10empty_typeEbEEZZNS1_14partition_implILS5_5ELb0ES3_mN6hipcub16HIPCUB_304000_NS21CountingInputIteratorIllEEPS6_NSA_22TransformInputIteratorIbN2at6native12_GLOBAL__N_19NonZeroOpIN3c108BFloat16EEEPKSK_lEENS0_5tupleIJPlS6_EEENSP_IJSD_SD_EEES6_PiJS6_EEE10hipError_tPvRmT3_T4_T5_T6_T7_T9_mT8_P12ihipStream_tbDpT10_ENKUlT_T0_E_clISt17integral_constantIbLb0EES1C_IbLb1EEEEDaS18_S19_EUlS18_E_NS1_11comp_targetILNS1_3genE5ELNS1_11target_archE942ELNS1_3gpuE9ELNS1_3repE0EEENS1_30default_config_static_selectorELNS0_4arch9wavefront6targetE0EEEvT1_
; %bb.0:
	.section	.rodata,"a",@progbits
	.p2align	6, 0x0
	.amdhsa_kernel _ZN7rocprim17ROCPRIM_400000_NS6detail17trampoline_kernelINS0_14default_configENS1_25partition_config_selectorILNS1_17partition_subalgoE5ElNS0_10empty_typeEbEEZZNS1_14partition_implILS5_5ELb0ES3_mN6hipcub16HIPCUB_304000_NS21CountingInputIteratorIllEEPS6_NSA_22TransformInputIteratorIbN2at6native12_GLOBAL__N_19NonZeroOpIN3c108BFloat16EEEPKSK_lEENS0_5tupleIJPlS6_EEENSP_IJSD_SD_EEES6_PiJS6_EEE10hipError_tPvRmT3_T4_T5_T6_T7_T9_mT8_P12ihipStream_tbDpT10_ENKUlT_T0_E_clISt17integral_constantIbLb0EES1C_IbLb1EEEEDaS18_S19_EUlS18_E_NS1_11comp_targetILNS1_3genE5ELNS1_11target_archE942ELNS1_3gpuE9ELNS1_3repE0EEENS1_30default_config_static_selectorELNS0_4arch9wavefront6targetE0EEEvT1_
		.amdhsa_group_segment_fixed_size 0
		.amdhsa_private_segment_fixed_size 0
		.amdhsa_kernarg_size 136
		.amdhsa_user_sgpr_count 2
		.amdhsa_user_sgpr_dispatch_ptr 0
		.amdhsa_user_sgpr_queue_ptr 0
		.amdhsa_user_sgpr_kernarg_segment_ptr 1
		.amdhsa_user_sgpr_dispatch_id 0
		.amdhsa_user_sgpr_private_segment_size 0
		.amdhsa_wavefront_size32 1
		.amdhsa_uses_dynamic_stack 0
		.amdhsa_enable_private_segment 0
		.amdhsa_system_sgpr_workgroup_id_x 1
		.amdhsa_system_sgpr_workgroup_id_y 0
		.amdhsa_system_sgpr_workgroup_id_z 0
		.amdhsa_system_sgpr_workgroup_info 0
		.amdhsa_system_vgpr_workitem_id 0
		.amdhsa_next_free_vgpr 1
		.amdhsa_next_free_sgpr 1
		.amdhsa_reserve_vcc 0
		.amdhsa_float_round_mode_32 0
		.amdhsa_float_round_mode_16_64 0
		.amdhsa_float_denorm_mode_32 3
		.amdhsa_float_denorm_mode_16_64 3
		.amdhsa_fp16_overflow 0
		.amdhsa_workgroup_processor_mode 1
		.amdhsa_memory_ordered 1
		.amdhsa_forward_progress 1
		.amdhsa_inst_pref_size 0
		.amdhsa_round_robin_scheduling 0
		.amdhsa_exception_fp_ieee_invalid_op 0
		.amdhsa_exception_fp_denorm_src 0
		.amdhsa_exception_fp_ieee_div_zero 0
		.amdhsa_exception_fp_ieee_overflow 0
		.amdhsa_exception_fp_ieee_underflow 0
		.amdhsa_exception_fp_ieee_inexact 0
		.amdhsa_exception_int_div_zero 0
	.end_amdhsa_kernel
	.section	.text._ZN7rocprim17ROCPRIM_400000_NS6detail17trampoline_kernelINS0_14default_configENS1_25partition_config_selectorILNS1_17partition_subalgoE5ElNS0_10empty_typeEbEEZZNS1_14partition_implILS5_5ELb0ES3_mN6hipcub16HIPCUB_304000_NS21CountingInputIteratorIllEEPS6_NSA_22TransformInputIteratorIbN2at6native12_GLOBAL__N_19NonZeroOpIN3c108BFloat16EEEPKSK_lEENS0_5tupleIJPlS6_EEENSP_IJSD_SD_EEES6_PiJS6_EEE10hipError_tPvRmT3_T4_T5_T6_T7_T9_mT8_P12ihipStream_tbDpT10_ENKUlT_T0_E_clISt17integral_constantIbLb0EES1C_IbLb1EEEEDaS18_S19_EUlS18_E_NS1_11comp_targetILNS1_3genE5ELNS1_11target_archE942ELNS1_3gpuE9ELNS1_3repE0EEENS1_30default_config_static_selectorELNS0_4arch9wavefront6targetE0EEEvT1_,"axG",@progbits,_ZN7rocprim17ROCPRIM_400000_NS6detail17trampoline_kernelINS0_14default_configENS1_25partition_config_selectorILNS1_17partition_subalgoE5ElNS0_10empty_typeEbEEZZNS1_14partition_implILS5_5ELb0ES3_mN6hipcub16HIPCUB_304000_NS21CountingInputIteratorIllEEPS6_NSA_22TransformInputIteratorIbN2at6native12_GLOBAL__N_19NonZeroOpIN3c108BFloat16EEEPKSK_lEENS0_5tupleIJPlS6_EEENSP_IJSD_SD_EEES6_PiJS6_EEE10hipError_tPvRmT3_T4_T5_T6_T7_T9_mT8_P12ihipStream_tbDpT10_ENKUlT_T0_E_clISt17integral_constantIbLb0EES1C_IbLb1EEEEDaS18_S19_EUlS18_E_NS1_11comp_targetILNS1_3genE5ELNS1_11target_archE942ELNS1_3gpuE9ELNS1_3repE0EEENS1_30default_config_static_selectorELNS0_4arch9wavefront6targetE0EEEvT1_,comdat
.Lfunc_end823:
	.size	_ZN7rocprim17ROCPRIM_400000_NS6detail17trampoline_kernelINS0_14default_configENS1_25partition_config_selectorILNS1_17partition_subalgoE5ElNS0_10empty_typeEbEEZZNS1_14partition_implILS5_5ELb0ES3_mN6hipcub16HIPCUB_304000_NS21CountingInputIteratorIllEEPS6_NSA_22TransformInputIteratorIbN2at6native12_GLOBAL__N_19NonZeroOpIN3c108BFloat16EEEPKSK_lEENS0_5tupleIJPlS6_EEENSP_IJSD_SD_EEES6_PiJS6_EEE10hipError_tPvRmT3_T4_T5_T6_T7_T9_mT8_P12ihipStream_tbDpT10_ENKUlT_T0_E_clISt17integral_constantIbLb0EES1C_IbLb1EEEEDaS18_S19_EUlS18_E_NS1_11comp_targetILNS1_3genE5ELNS1_11target_archE942ELNS1_3gpuE9ELNS1_3repE0EEENS1_30default_config_static_selectorELNS0_4arch9wavefront6targetE0EEEvT1_, .Lfunc_end823-_ZN7rocprim17ROCPRIM_400000_NS6detail17trampoline_kernelINS0_14default_configENS1_25partition_config_selectorILNS1_17partition_subalgoE5ElNS0_10empty_typeEbEEZZNS1_14partition_implILS5_5ELb0ES3_mN6hipcub16HIPCUB_304000_NS21CountingInputIteratorIllEEPS6_NSA_22TransformInputIteratorIbN2at6native12_GLOBAL__N_19NonZeroOpIN3c108BFloat16EEEPKSK_lEENS0_5tupleIJPlS6_EEENSP_IJSD_SD_EEES6_PiJS6_EEE10hipError_tPvRmT3_T4_T5_T6_T7_T9_mT8_P12ihipStream_tbDpT10_ENKUlT_T0_E_clISt17integral_constantIbLb0EES1C_IbLb1EEEEDaS18_S19_EUlS18_E_NS1_11comp_targetILNS1_3genE5ELNS1_11target_archE942ELNS1_3gpuE9ELNS1_3repE0EEENS1_30default_config_static_selectorELNS0_4arch9wavefront6targetE0EEEvT1_
                                        ; -- End function
	.set _ZN7rocprim17ROCPRIM_400000_NS6detail17trampoline_kernelINS0_14default_configENS1_25partition_config_selectorILNS1_17partition_subalgoE5ElNS0_10empty_typeEbEEZZNS1_14partition_implILS5_5ELb0ES3_mN6hipcub16HIPCUB_304000_NS21CountingInputIteratorIllEEPS6_NSA_22TransformInputIteratorIbN2at6native12_GLOBAL__N_19NonZeroOpIN3c108BFloat16EEEPKSK_lEENS0_5tupleIJPlS6_EEENSP_IJSD_SD_EEES6_PiJS6_EEE10hipError_tPvRmT3_T4_T5_T6_T7_T9_mT8_P12ihipStream_tbDpT10_ENKUlT_T0_E_clISt17integral_constantIbLb0EES1C_IbLb1EEEEDaS18_S19_EUlS18_E_NS1_11comp_targetILNS1_3genE5ELNS1_11target_archE942ELNS1_3gpuE9ELNS1_3repE0EEENS1_30default_config_static_selectorELNS0_4arch9wavefront6targetE0EEEvT1_.num_vgpr, 0
	.set _ZN7rocprim17ROCPRIM_400000_NS6detail17trampoline_kernelINS0_14default_configENS1_25partition_config_selectorILNS1_17partition_subalgoE5ElNS0_10empty_typeEbEEZZNS1_14partition_implILS5_5ELb0ES3_mN6hipcub16HIPCUB_304000_NS21CountingInputIteratorIllEEPS6_NSA_22TransformInputIteratorIbN2at6native12_GLOBAL__N_19NonZeroOpIN3c108BFloat16EEEPKSK_lEENS0_5tupleIJPlS6_EEENSP_IJSD_SD_EEES6_PiJS6_EEE10hipError_tPvRmT3_T4_T5_T6_T7_T9_mT8_P12ihipStream_tbDpT10_ENKUlT_T0_E_clISt17integral_constantIbLb0EES1C_IbLb1EEEEDaS18_S19_EUlS18_E_NS1_11comp_targetILNS1_3genE5ELNS1_11target_archE942ELNS1_3gpuE9ELNS1_3repE0EEENS1_30default_config_static_selectorELNS0_4arch9wavefront6targetE0EEEvT1_.num_agpr, 0
	.set _ZN7rocprim17ROCPRIM_400000_NS6detail17trampoline_kernelINS0_14default_configENS1_25partition_config_selectorILNS1_17partition_subalgoE5ElNS0_10empty_typeEbEEZZNS1_14partition_implILS5_5ELb0ES3_mN6hipcub16HIPCUB_304000_NS21CountingInputIteratorIllEEPS6_NSA_22TransformInputIteratorIbN2at6native12_GLOBAL__N_19NonZeroOpIN3c108BFloat16EEEPKSK_lEENS0_5tupleIJPlS6_EEENSP_IJSD_SD_EEES6_PiJS6_EEE10hipError_tPvRmT3_T4_T5_T6_T7_T9_mT8_P12ihipStream_tbDpT10_ENKUlT_T0_E_clISt17integral_constantIbLb0EES1C_IbLb1EEEEDaS18_S19_EUlS18_E_NS1_11comp_targetILNS1_3genE5ELNS1_11target_archE942ELNS1_3gpuE9ELNS1_3repE0EEENS1_30default_config_static_selectorELNS0_4arch9wavefront6targetE0EEEvT1_.numbered_sgpr, 0
	.set _ZN7rocprim17ROCPRIM_400000_NS6detail17trampoline_kernelINS0_14default_configENS1_25partition_config_selectorILNS1_17partition_subalgoE5ElNS0_10empty_typeEbEEZZNS1_14partition_implILS5_5ELb0ES3_mN6hipcub16HIPCUB_304000_NS21CountingInputIteratorIllEEPS6_NSA_22TransformInputIteratorIbN2at6native12_GLOBAL__N_19NonZeroOpIN3c108BFloat16EEEPKSK_lEENS0_5tupleIJPlS6_EEENSP_IJSD_SD_EEES6_PiJS6_EEE10hipError_tPvRmT3_T4_T5_T6_T7_T9_mT8_P12ihipStream_tbDpT10_ENKUlT_T0_E_clISt17integral_constantIbLb0EES1C_IbLb1EEEEDaS18_S19_EUlS18_E_NS1_11comp_targetILNS1_3genE5ELNS1_11target_archE942ELNS1_3gpuE9ELNS1_3repE0EEENS1_30default_config_static_selectorELNS0_4arch9wavefront6targetE0EEEvT1_.num_named_barrier, 0
	.set _ZN7rocprim17ROCPRIM_400000_NS6detail17trampoline_kernelINS0_14default_configENS1_25partition_config_selectorILNS1_17partition_subalgoE5ElNS0_10empty_typeEbEEZZNS1_14partition_implILS5_5ELb0ES3_mN6hipcub16HIPCUB_304000_NS21CountingInputIteratorIllEEPS6_NSA_22TransformInputIteratorIbN2at6native12_GLOBAL__N_19NonZeroOpIN3c108BFloat16EEEPKSK_lEENS0_5tupleIJPlS6_EEENSP_IJSD_SD_EEES6_PiJS6_EEE10hipError_tPvRmT3_T4_T5_T6_T7_T9_mT8_P12ihipStream_tbDpT10_ENKUlT_T0_E_clISt17integral_constantIbLb0EES1C_IbLb1EEEEDaS18_S19_EUlS18_E_NS1_11comp_targetILNS1_3genE5ELNS1_11target_archE942ELNS1_3gpuE9ELNS1_3repE0EEENS1_30default_config_static_selectorELNS0_4arch9wavefront6targetE0EEEvT1_.private_seg_size, 0
	.set _ZN7rocprim17ROCPRIM_400000_NS6detail17trampoline_kernelINS0_14default_configENS1_25partition_config_selectorILNS1_17partition_subalgoE5ElNS0_10empty_typeEbEEZZNS1_14partition_implILS5_5ELb0ES3_mN6hipcub16HIPCUB_304000_NS21CountingInputIteratorIllEEPS6_NSA_22TransformInputIteratorIbN2at6native12_GLOBAL__N_19NonZeroOpIN3c108BFloat16EEEPKSK_lEENS0_5tupleIJPlS6_EEENSP_IJSD_SD_EEES6_PiJS6_EEE10hipError_tPvRmT3_T4_T5_T6_T7_T9_mT8_P12ihipStream_tbDpT10_ENKUlT_T0_E_clISt17integral_constantIbLb0EES1C_IbLb1EEEEDaS18_S19_EUlS18_E_NS1_11comp_targetILNS1_3genE5ELNS1_11target_archE942ELNS1_3gpuE9ELNS1_3repE0EEENS1_30default_config_static_selectorELNS0_4arch9wavefront6targetE0EEEvT1_.uses_vcc, 0
	.set _ZN7rocprim17ROCPRIM_400000_NS6detail17trampoline_kernelINS0_14default_configENS1_25partition_config_selectorILNS1_17partition_subalgoE5ElNS0_10empty_typeEbEEZZNS1_14partition_implILS5_5ELb0ES3_mN6hipcub16HIPCUB_304000_NS21CountingInputIteratorIllEEPS6_NSA_22TransformInputIteratorIbN2at6native12_GLOBAL__N_19NonZeroOpIN3c108BFloat16EEEPKSK_lEENS0_5tupleIJPlS6_EEENSP_IJSD_SD_EEES6_PiJS6_EEE10hipError_tPvRmT3_T4_T5_T6_T7_T9_mT8_P12ihipStream_tbDpT10_ENKUlT_T0_E_clISt17integral_constantIbLb0EES1C_IbLb1EEEEDaS18_S19_EUlS18_E_NS1_11comp_targetILNS1_3genE5ELNS1_11target_archE942ELNS1_3gpuE9ELNS1_3repE0EEENS1_30default_config_static_selectorELNS0_4arch9wavefront6targetE0EEEvT1_.uses_flat_scratch, 0
	.set _ZN7rocprim17ROCPRIM_400000_NS6detail17trampoline_kernelINS0_14default_configENS1_25partition_config_selectorILNS1_17partition_subalgoE5ElNS0_10empty_typeEbEEZZNS1_14partition_implILS5_5ELb0ES3_mN6hipcub16HIPCUB_304000_NS21CountingInputIteratorIllEEPS6_NSA_22TransformInputIteratorIbN2at6native12_GLOBAL__N_19NonZeroOpIN3c108BFloat16EEEPKSK_lEENS0_5tupleIJPlS6_EEENSP_IJSD_SD_EEES6_PiJS6_EEE10hipError_tPvRmT3_T4_T5_T6_T7_T9_mT8_P12ihipStream_tbDpT10_ENKUlT_T0_E_clISt17integral_constantIbLb0EES1C_IbLb1EEEEDaS18_S19_EUlS18_E_NS1_11comp_targetILNS1_3genE5ELNS1_11target_archE942ELNS1_3gpuE9ELNS1_3repE0EEENS1_30default_config_static_selectorELNS0_4arch9wavefront6targetE0EEEvT1_.has_dyn_sized_stack, 0
	.set _ZN7rocprim17ROCPRIM_400000_NS6detail17trampoline_kernelINS0_14default_configENS1_25partition_config_selectorILNS1_17partition_subalgoE5ElNS0_10empty_typeEbEEZZNS1_14partition_implILS5_5ELb0ES3_mN6hipcub16HIPCUB_304000_NS21CountingInputIteratorIllEEPS6_NSA_22TransformInputIteratorIbN2at6native12_GLOBAL__N_19NonZeroOpIN3c108BFloat16EEEPKSK_lEENS0_5tupleIJPlS6_EEENSP_IJSD_SD_EEES6_PiJS6_EEE10hipError_tPvRmT3_T4_T5_T6_T7_T9_mT8_P12ihipStream_tbDpT10_ENKUlT_T0_E_clISt17integral_constantIbLb0EES1C_IbLb1EEEEDaS18_S19_EUlS18_E_NS1_11comp_targetILNS1_3genE5ELNS1_11target_archE942ELNS1_3gpuE9ELNS1_3repE0EEENS1_30default_config_static_selectorELNS0_4arch9wavefront6targetE0EEEvT1_.has_recursion, 0
	.set _ZN7rocprim17ROCPRIM_400000_NS6detail17trampoline_kernelINS0_14default_configENS1_25partition_config_selectorILNS1_17partition_subalgoE5ElNS0_10empty_typeEbEEZZNS1_14partition_implILS5_5ELb0ES3_mN6hipcub16HIPCUB_304000_NS21CountingInputIteratorIllEEPS6_NSA_22TransformInputIteratorIbN2at6native12_GLOBAL__N_19NonZeroOpIN3c108BFloat16EEEPKSK_lEENS0_5tupleIJPlS6_EEENSP_IJSD_SD_EEES6_PiJS6_EEE10hipError_tPvRmT3_T4_T5_T6_T7_T9_mT8_P12ihipStream_tbDpT10_ENKUlT_T0_E_clISt17integral_constantIbLb0EES1C_IbLb1EEEEDaS18_S19_EUlS18_E_NS1_11comp_targetILNS1_3genE5ELNS1_11target_archE942ELNS1_3gpuE9ELNS1_3repE0EEENS1_30default_config_static_selectorELNS0_4arch9wavefront6targetE0EEEvT1_.has_indirect_call, 0
	.section	.AMDGPU.csdata,"",@progbits
; Kernel info:
; codeLenInByte = 0
; TotalNumSgprs: 0
; NumVgprs: 0
; ScratchSize: 0
; MemoryBound: 0
; FloatMode: 240
; IeeeMode: 1
; LDSByteSize: 0 bytes/workgroup (compile time only)
; SGPRBlocks: 0
; VGPRBlocks: 0
; NumSGPRsForWavesPerEU: 1
; NumVGPRsForWavesPerEU: 1
; Occupancy: 16
; WaveLimiterHint : 0
; COMPUTE_PGM_RSRC2:SCRATCH_EN: 0
; COMPUTE_PGM_RSRC2:USER_SGPR: 2
; COMPUTE_PGM_RSRC2:TRAP_HANDLER: 0
; COMPUTE_PGM_RSRC2:TGID_X_EN: 1
; COMPUTE_PGM_RSRC2:TGID_Y_EN: 0
; COMPUTE_PGM_RSRC2:TGID_Z_EN: 0
; COMPUTE_PGM_RSRC2:TIDIG_COMP_CNT: 0
	.section	.text._ZN7rocprim17ROCPRIM_400000_NS6detail17trampoline_kernelINS0_14default_configENS1_25partition_config_selectorILNS1_17partition_subalgoE5ElNS0_10empty_typeEbEEZZNS1_14partition_implILS5_5ELb0ES3_mN6hipcub16HIPCUB_304000_NS21CountingInputIteratorIllEEPS6_NSA_22TransformInputIteratorIbN2at6native12_GLOBAL__N_19NonZeroOpIN3c108BFloat16EEEPKSK_lEENS0_5tupleIJPlS6_EEENSP_IJSD_SD_EEES6_PiJS6_EEE10hipError_tPvRmT3_T4_T5_T6_T7_T9_mT8_P12ihipStream_tbDpT10_ENKUlT_T0_E_clISt17integral_constantIbLb0EES1C_IbLb1EEEEDaS18_S19_EUlS18_E_NS1_11comp_targetILNS1_3genE4ELNS1_11target_archE910ELNS1_3gpuE8ELNS1_3repE0EEENS1_30default_config_static_selectorELNS0_4arch9wavefront6targetE0EEEvT1_,"axG",@progbits,_ZN7rocprim17ROCPRIM_400000_NS6detail17trampoline_kernelINS0_14default_configENS1_25partition_config_selectorILNS1_17partition_subalgoE5ElNS0_10empty_typeEbEEZZNS1_14partition_implILS5_5ELb0ES3_mN6hipcub16HIPCUB_304000_NS21CountingInputIteratorIllEEPS6_NSA_22TransformInputIteratorIbN2at6native12_GLOBAL__N_19NonZeroOpIN3c108BFloat16EEEPKSK_lEENS0_5tupleIJPlS6_EEENSP_IJSD_SD_EEES6_PiJS6_EEE10hipError_tPvRmT3_T4_T5_T6_T7_T9_mT8_P12ihipStream_tbDpT10_ENKUlT_T0_E_clISt17integral_constantIbLb0EES1C_IbLb1EEEEDaS18_S19_EUlS18_E_NS1_11comp_targetILNS1_3genE4ELNS1_11target_archE910ELNS1_3gpuE8ELNS1_3repE0EEENS1_30default_config_static_selectorELNS0_4arch9wavefront6targetE0EEEvT1_,comdat
	.globl	_ZN7rocprim17ROCPRIM_400000_NS6detail17trampoline_kernelINS0_14default_configENS1_25partition_config_selectorILNS1_17partition_subalgoE5ElNS0_10empty_typeEbEEZZNS1_14partition_implILS5_5ELb0ES3_mN6hipcub16HIPCUB_304000_NS21CountingInputIteratorIllEEPS6_NSA_22TransformInputIteratorIbN2at6native12_GLOBAL__N_19NonZeroOpIN3c108BFloat16EEEPKSK_lEENS0_5tupleIJPlS6_EEENSP_IJSD_SD_EEES6_PiJS6_EEE10hipError_tPvRmT3_T4_T5_T6_T7_T9_mT8_P12ihipStream_tbDpT10_ENKUlT_T0_E_clISt17integral_constantIbLb0EES1C_IbLb1EEEEDaS18_S19_EUlS18_E_NS1_11comp_targetILNS1_3genE4ELNS1_11target_archE910ELNS1_3gpuE8ELNS1_3repE0EEENS1_30default_config_static_selectorELNS0_4arch9wavefront6targetE0EEEvT1_ ; -- Begin function _ZN7rocprim17ROCPRIM_400000_NS6detail17trampoline_kernelINS0_14default_configENS1_25partition_config_selectorILNS1_17partition_subalgoE5ElNS0_10empty_typeEbEEZZNS1_14partition_implILS5_5ELb0ES3_mN6hipcub16HIPCUB_304000_NS21CountingInputIteratorIllEEPS6_NSA_22TransformInputIteratorIbN2at6native12_GLOBAL__N_19NonZeroOpIN3c108BFloat16EEEPKSK_lEENS0_5tupleIJPlS6_EEENSP_IJSD_SD_EEES6_PiJS6_EEE10hipError_tPvRmT3_T4_T5_T6_T7_T9_mT8_P12ihipStream_tbDpT10_ENKUlT_T0_E_clISt17integral_constantIbLb0EES1C_IbLb1EEEEDaS18_S19_EUlS18_E_NS1_11comp_targetILNS1_3genE4ELNS1_11target_archE910ELNS1_3gpuE8ELNS1_3repE0EEENS1_30default_config_static_selectorELNS0_4arch9wavefront6targetE0EEEvT1_
	.p2align	8
	.type	_ZN7rocprim17ROCPRIM_400000_NS6detail17trampoline_kernelINS0_14default_configENS1_25partition_config_selectorILNS1_17partition_subalgoE5ElNS0_10empty_typeEbEEZZNS1_14partition_implILS5_5ELb0ES3_mN6hipcub16HIPCUB_304000_NS21CountingInputIteratorIllEEPS6_NSA_22TransformInputIteratorIbN2at6native12_GLOBAL__N_19NonZeroOpIN3c108BFloat16EEEPKSK_lEENS0_5tupleIJPlS6_EEENSP_IJSD_SD_EEES6_PiJS6_EEE10hipError_tPvRmT3_T4_T5_T6_T7_T9_mT8_P12ihipStream_tbDpT10_ENKUlT_T0_E_clISt17integral_constantIbLb0EES1C_IbLb1EEEEDaS18_S19_EUlS18_E_NS1_11comp_targetILNS1_3genE4ELNS1_11target_archE910ELNS1_3gpuE8ELNS1_3repE0EEENS1_30default_config_static_selectorELNS0_4arch9wavefront6targetE0EEEvT1_,@function
_ZN7rocprim17ROCPRIM_400000_NS6detail17trampoline_kernelINS0_14default_configENS1_25partition_config_selectorILNS1_17partition_subalgoE5ElNS0_10empty_typeEbEEZZNS1_14partition_implILS5_5ELb0ES3_mN6hipcub16HIPCUB_304000_NS21CountingInputIteratorIllEEPS6_NSA_22TransformInputIteratorIbN2at6native12_GLOBAL__N_19NonZeroOpIN3c108BFloat16EEEPKSK_lEENS0_5tupleIJPlS6_EEENSP_IJSD_SD_EEES6_PiJS6_EEE10hipError_tPvRmT3_T4_T5_T6_T7_T9_mT8_P12ihipStream_tbDpT10_ENKUlT_T0_E_clISt17integral_constantIbLb0EES1C_IbLb1EEEEDaS18_S19_EUlS18_E_NS1_11comp_targetILNS1_3genE4ELNS1_11target_archE910ELNS1_3gpuE8ELNS1_3repE0EEENS1_30default_config_static_selectorELNS0_4arch9wavefront6targetE0EEEvT1_: ; @_ZN7rocprim17ROCPRIM_400000_NS6detail17trampoline_kernelINS0_14default_configENS1_25partition_config_selectorILNS1_17partition_subalgoE5ElNS0_10empty_typeEbEEZZNS1_14partition_implILS5_5ELb0ES3_mN6hipcub16HIPCUB_304000_NS21CountingInputIteratorIllEEPS6_NSA_22TransformInputIteratorIbN2at6native12_GLOBAL__N_19NonZeroOpIN3c108BFloat16EEEPKSK_lEENS0_5tupleIJPlS6_EEENSP_IJSD_SD_EEES6_PiJS6_EEE10hipError_tPvRmT3_T4_T5_T6_T7_T9_mT8_P12ihipStream_tbDpT10_ENKUlT_T0_E_clISt17integral_constantIbLb0EES1C_IbLb1EEEEDaS18_S19_EUlS18_E_NS1_11comp_targetILNS1_3genE4ELNS1_11target_archE910ELNS1_3gpuE8ELNS1_3repE0EEENS1_30default_config_static_selectorELNS0_4arch9wavefront6targetE0EEEvT1_
; %bb.0:
	.section	.rodata,"a",@progbits
	.p2align	6, 0x0
	.amdhsa_kernel _ZN7rocprim17ROCPRIM_400000_NS6detail17trampoline_kernelINS0_14default_configENS1_25partition_config_selectorILNS1_17partition_subalgoE5ElNS0_10empty_typeEbEEZZNS1_14partition_implILS5_5ELb0ES3_mN6hipcub16HIPCUB_304000_NS21CountingInputIteratorIllEEPS6_NSA_22TransformInputIteratorIbN2at6native12_GLOBAL__N_19NonZeroOpIN3c108BFloat16EEEPKSK_lEENS0_5tupleIJPlS6_EEENSP_IJSD_SD_EEES6_PiJS6_EEE10hipError_tPvRmT3_T4_T5_T6_T7_T9_mT8_P12ihipStream_tbDpT10_ENKUlT_T0_E_clISt17integral_constantIbLb0EES1C_IbLb1EEEEDaS18_S19_EUlS18_E_NS1_11comp_targetILNS1_3genE4ELNS1_11target_archE910ELNS1_3gpuE8ELNS1_3repE0EEENS1_30default_config_static_selectorELNS0_4arch9wavefront6targetE0EEEvT1_
		.amdhsa_group_segment_fixed_size 0
		.amdhsa_private_segment_fixed_size 0
		.amdhsa_kernarg_size 136
		.amdhsa_user_sgpr_count 2
		.amdhsa_user_sgpr_dispatch_ptr 0
		.amdhsa_user_sgpr_queue_ptr 0
		.amdhsa_user_sgpr_kernarg_segment_ptr 1
		.amdhsa_user_sgpr_dispatch_id 0
		.amdhsa_user_sgpr_private_segment_size 0
		.amdhsa_wavefront_size32 1
		.amdhsa_uses_dynamic_stack 0
		.amdhsa_enable_private_segment 0
		.amdhsa_system_sgpr_workgroup_id_x 1
		.amdhsa_system_sgpr_workgroup_id_y 0
		.amdhsa_system_sgpr_workgroup_id_z 0
		.amdhsa_system_sgpr_workgroup_info 0
		.amdhsa_system_vgpr_workitem_id 0
		.amdhsa_next_free_vgpr 1
		.amdhsa_next_free_sgpr 1
		.amdhsa_reserve_vcc 0
		.amdhsa_float_round_mode_32 0
		.amdhsa_float_round_mode_16_64 0
		.amdhsa_float_denorm_mode_32 3
		.amdhsa_float_denorm_mode_16_64 3
		.amdhsa_fp16_overflow 0
		.amdhsa_workgroup_processor_mode 1
		.amdhsa_memory_ordered 1
		.amdhsa_forward_progress 1
		.amdhsa_inst_pref_size 0
		.amdhsa_round_robin_scheduling 0
		.amdhsa_exception_fp_ieee_invalid_op 0
		.amdhsa_exception_fp_denorm_src 0
		.amdhsa_exception_fp_ieee_div_zero 0
		.amdhsa_exception_fp_ieee_overflow 0
		.amdhsa_exception_fp_ieee_underflow 0
		.amdhsa_exception_fp_ieee_inexact 0
		.amdhsa_exception_int_div_zero 0
	.end_amdhsa_kernel
	.section	.text._ZN7rocprim17ROCPRIM_400000_NS6detail17trampoline_kernelINS0_14default_configENS1_25partition_config_selectorILNS1_17partition_subalgoE5ElNS0_10empty_typeEbEEZZNS1_14partition_implILS5_5ELb0ES3_mN6hipcub16HIPCUB_304000_NS21CountingInputIteratorIllEEPS6_NSA_22TransformInputIteratorIbN2at6native12_GLOBAL__N_19NonZeroOpIN3c108BFloat16EEEPKSK_lEENS0_5tupleIJPlS6_EEENSP_IJSD_SD_EEES6_PiJS6_EEE10hipError_tPvRmT3_T4_T5_T6_T7_T9_mT8_P12ihipStream_tbDpT10_ENKUlT_T0_E_clISt17integral_constantIbLb0EES1C_IbLb1EEEEDaS18_S19_EUlS18_E_NS1_11comp_targetILNS1_3genE4ELNS1_11target_archE910ELNS1_3gpuE8ELNS1_3repE0EEENS1_30default_config_static_selectorELNS0_4arch9wavefront6targetE0EEEvT1_,"axG",@progbits,_ZN7rocprim17ROCPRIM_400000_NS6detail17trampoline_kernelINS0_14default_configENS1_25partition_config_selectorILNS1_17partition_subalgoE5ElNS0_10empty_typeEbEEZZNS1_14partition_implILS5_5ELb0ES3_mN6hipcub16HIPCUB_304000_NS21CountingInputIteratorIllEEPS6_NSA_22TransformInputIteratorIbN2at6native12_GLOBAL__N_19NonZeroOpIN3c108BFloat16EEEPKSK_lEENS0_5tupleIJPlS6_EEENSP_IJSD_SD_EEES6_PiJS6_EEE10hipError_tPvRmT3_T4_T5_T6_T7_T9_mT8_P12ihipStream_tbDpT10_ENKUlT_T0_E_clISt17integral_constantIbLb0EES1C_IbLb1EEEEDaS18_S19_EUlS18_E_NS1_11comp_targetILNS1_3genE4ELNS1_11target_archE910ELNS1_3gpuE8ELNS1_3repE0EEENS1_30default_config_static_selectorELNS0_4arch9wavefront6targetE0EEEvT1_,comdat
.Lfunc_end824:
	.size	_ZN7rocprim17ROCPRIM_400000_NS6detail17trampoline_kernelINS0_14default_configENS1_25partition_config_selectorILNS1_17partition_subalgoE5ElNS0_10empty_typeEbEEZZNS1_14partition_implILS5_5ELb0ES3_mN6hipcub16HIPCUB_304000_NS21CountingInputIteratorIllEEPS6_NSA_22TransformInputIteratorIbN2at6native12_GLOBAL__N_19NonZeroOpIN3c108BFloat16EEEPKSK_lEENS0_5tupleIJPlS6_EEENSP_IJSD_SD_EEES6_PiJS6_EEE10hipError_tPvRmT3_T4_T5_T6_T7_T9_mT8_P12ihipStream_tbDpT10_ENKUlT_T0_E_clISt17integral_constantIbLb0EES1C_IbLb1EEEEDaS18_S19_EUlS18_E_NS1_11comp_targetILNS1_3genE4ELNS1_11target_archE910ELNS1_3gpuE8ELNS1_3repE0EEENS1_30default_config_static_selectorELNS0_4arch9wavefront6targetE0EEEvT1_, .Lfunc_end824-_ZN7rocprim17ROCPRIM_400000_NS6detail17trampoline_kernelINS0_14default_configENS1_25partition_config_selectorILNS1_17partition_subalgoE5ElNS0_10empty_typeEbEEZZNS1_14partition_implILS5_5ELb0ES3_mN6hipcub16HIPCUB_304000_NS21CountingInputIteratorIllEEPS6_NSA_22TransformInputIteratorIbN2at6native12_GLOBAL__N_19NonZeroOpIN3c108BFloat16EEEPKSK_lEENS0_5tupleIJPlS6_EEENSP_IJSD_SD_EEES6_PiJS6_EEE10hipError_tPvRmT3_T4_T5_T6_T7_T9_mT8_P12ihipStream_tbDpT10_ENKUlT_T0_E_clISt17integral_constantIbLb0EES1C_IbLb1EEEEDaS18_S19_EUlS18_E_NS1_11comp_targetILNS1_3genE4ELNS1_11target_archE910ELNS1_3gpuE8ELNS1_3repE0EEENS1_30default_config_static_selectorELNS0_4arch9wavefront6targetE0EEEvT1_
                                        ; -- End function
	.set _ZN7rocprim17ROCPRIM_400000_NS6detail17trampoline_kernelINS0_14default_configENS1_25partition_config_selectorILNS1_17partition_subalgoE5ElNS0_10empty_typeEbEEZZNS1_14partition_implILS5_5ELb0ES3_mN6hipcub16HIPCUB_304000_NS21CountingInputIteratorIllEEPS6_NSA_22TransformInputIteratorIbN2at6native12_GLOBAL__N_19NonZeroOpIN3c108BFloat16EEEPKSK_lEENS0_5tupleIJPlS6_EEENSP_IJSD_SD_EEES6_PiJS6_EEE10hipError_tPvRmT3_T4_T5_T6_T7_T9_mT8_P12ihipStream_tbDpT10_ENKUlT_T0_E_clISt17integral_constantIbLb0EES1C_IbLb1EEEEDaS18_S19_EUlS18_E_NS1_11comp_targetILNS1_3genE4ELNS1_11target_archE910ELNS1_3gpuE8ELNS1_3repE0EEENS1_30default_config_static_selectorELNS0_4arch9wavefront6targetE0EEEvT1_.num_vgpr, 0
	.set _ZN7rocprim17ROCPRIM_400000_NS6detail17trampoline_kernelINS0_14default_configENS1_25partition_config_selectorILNS1_17partition_subalgoE5ElNS0_10empty_typeEbEEZZNS1_14partition_implILS5_5ELb0ES3_mN6hipcub16HIPCUB_304000_NS21CountingInputIteratorIllEEPS6_NSA_22TransformInputIteratorIbN2at6native12_GLOBAL__N_19NonZeroOpIN3c108BFloat16EEEPKSK_lEENS0_5tupleIJPlS6_EEENSP_IJSD_SD_EEES6_PiJS6_EEE10hipError_tPvRmT3_T4_T5_T6_T7_T9_mT8_P12ihipStream_tbDpT10_ENKUlT_T0_E_clISt17integral_constantIbLb0EES1C_IbLb1EEEEDaS18_S19_EUlS18_E_NS1_11comp_targetILNS1_3genE4ELNS1_11target_archE910ELNS1_3gpuE8ELNS1_3repE0EEENS1_30default_config_static_selectorELNS0_4arch9wavefront6targetE0EEEvT1_.num_agpr, 0
	.set _ZN7rocprim17ROCPRIM_400000_NS6detail17trampoline_kernelINS0_14default_configENS1_25partition_config_selectorILNS1_17partition_subalgoE5ElNS0_10empty_typeEbEEZZNS1_14partition_implILS5_5ELb0ES3_mN6hipcub16HIPCUB_304000_NS21CountingInputIteratorIllEEPS6_NSA_22TransformInputIteratorIbN2at6native12_GLOBAL__N_19NonZeroOpIN3c108BFloat16EEEPKSK_lEENS0_5tupleIJPlS6_EEENSP_IJSD_SD_EEES6_PiJS6_EEE10hipError_tPvRmT3_T4_T5_T6_T7_T9_mT8_P12ihipStream_tbDpT10_ENKUlT_T0_E_clISt17integral_constantIbLb0EES1C_IbLb1EEEEDaS18_S19_EUlS18_E_NS1_11comp_targetILNS1_3genE4ELNS1_11target_archE910ELNS1_3gpuE8ELNS1_3repE0EEENS1_30default_config_static_selectorELNS0_4arch9wavefront6targetE0EEEvT1_.numbered_sgpr, 0
	.set _ZN7rocprim17ROCPRIM_400000_NS6detail17trampoline_kernelINS0_14default_configENS1_25partition_config_selectorILNS1_17partition_subalgoE5ElNS0_10empty_typeEbEEZZNS1_14partition_implILS5_5ELb0ES3_mN6hipcub16HIPCUB_304000_NS21CountingInputIteratorIllEEPS6_NSA_22TransformInputIteratorIbN2at6native12_GLOBAL__N_19NonZeroOpIN3c108BFloat16EEEPKSK_lEENS0_5tupleIJPlS6_EEENSP_IJSD_SD_EEES6_PiJS6_EEE10hipError_tPvRmT3_T4_T5_T6_T7_T9_mT8_P12ihipStream_tbDpT10_ENKUlT_T0_E_clISt17integral_constantIbLb0EES1C_IbLb1EEEEDaS18_S19_EUlS18_E_NS1_11comp_targetILNS1_3genE4ELNS1_11target_archE910ELNS1_3gpuE8ELNS1_3repE0EEENS1_30default_config_static_selectorELNS0_4arch9wavefront6targetE0EEEvT1_.num_named_barrier, 0
	.set _ZN7rocprim17ROCPRIM_400000_NS6detail17trampoline_kernelINS0_14default_configENS1_25partition_config_selectorILNS1_17partition_subalgoE5ElNS0_10empty_typeEbEEZZNS1_14partition_implILS5_5ELb0ES3_mN6hipcub16HIPCUB_304000_NS21CountingInputIteratorIllEEPS6_NSA_22TransformInputIteratorIbN2at6native12_GLOBAL__N_19NonZeroOpIN3c108BFloat16EEEPKSK_lEENS0_5tupleIJPlS6_EEENSP_IJSD_SD_EEES6_PiJS6_EEE10hipError_tPvRmT3_T4_T5_T6_T7_T9_mT8_P12ihipStream_tbDpT10_ENKUlT_T0_E_clISt17integral_constantIbLb0EES1C_IbLb1EEEEDaS18_S19_EUlS18_E_NS1_11comp_targetILNS1_3genE4ELNS1_11target_archE910ELNS1_3gpuE8ELNS1_3repE0EEENS1_30default_config_static_selectorELNS0_4arch9wavefront6targetE0EEEvT1_.private_seg_size, 0
	.set _ZN7rocprim17ROCPRIM_400000_NS6detail17trampoline_kernelINS0_14default_configENS1_25partition_config_selectorILNS1_17partition_subalgoE5ElNS0_10empty_typeEbEEZZNS1_14partition_implILS5_5ELb0ES3_mN6hipcub16HIPCUB_304000_NS21CountingInputIteratorIllEEPS6_NSA_22TransformInputIteratorIbN2at6native12_GLOBAL__N_19NonZeroOpIN3c108BFloat16EEEPKSK_lEENS0_5tupleIJPlS6_EEENSP_IJSD_SD_EEES6_PiJS6_EEE10hipError_tPvRmT3_T4_T5_T6_T7_T9_mT8_P12ihipStream_tbDpT10_ENKUlT_T0_E_clISt17integral_constantIbLb0EES1C_IbLb1EEEEDaS18_S19_EUlS18_E_NS1_11comp_targetILNS1_3genE4ELNS1_11target_archE910ELNS1_3gpuE8ELNS1_3repE0EEENS1_30default_config_static_selectorELNS0_4arch9wavefront6targetE0EEEvT1_.uses_vcc, 0
	.set _ZN7rocprim17ROCPRIM_400000_NS6detail17trampoline_kernelINS0_14default_configENS1_25partition_config_selectorILNS1_17partition_subalgoE5ElNS0_10empty_typeEbEEZZNS1_14partition_implILS5_5ELb0ES3_mN6hipcub16HIPCUB_304000_NS21CountingInputIteratorIllEEPS6_NSA_22TransformInputIteratorIbN2at6native12_GLOBAL__N_19NonZeroOpIN3c108BFloat16EEEPKSK_lEENS0_5tupleIJPlS6_EEENSP_IJSD_SD_EEES6_PiJS6_EEE10hipError_tPvRmT3_T4_T5_T6_T7_T9_mT8_P12ihipStream_tbDpT10_ENKUlT_T0_E_clISt17integral_constantIbLb0EES1C_IbLb1EEEEDaS18_S19_EUlS18_E_NS1_11comp_targetILNS1_3genE4ELNS1_11target_archE910ELNS1_3gpuE8ELNS1_3repE0EEENS1_30default_config_static_selectorELNS0_4arch9wavefront6targetE0EEEvT1_.uses_flat_scratch, 0
	.set _ZN7rocprim17ROCPRIM_400000_NS6detail17trampoline_kernelINS0_14default_configENS1_25partition_config_selectorILNS1_17partition_subalgoE5ElNS0_10empty_typeEbEEZZNS1_14partition_implILS5_5ELb0ES3_mN6hipcub16HIPCUB_304000_NS21CountingInputIteratorIllEEPS6_NSA_22TransformInputIteratorIbN2at6native12_GLOBAL__N_19NonZeroOpIN3c108BFloat16EEEPKSK_lEENS0_5tupleIJPlS6_EEENSP_IJSD_SD_EEES6_PiJS6_EEE10hipError_tPvRmT3_T4_T5_T6_T7_T9_mT8_P12ihipStream_tbDpT10_ENKUlT_T0_E_clISt17integral_constantIbLb0EES1C_IbLb1EEEEDaS18_S19_EUlS18_E_NS1_11comp_targetILNS1_3genE4ELNS1_11target_archE910ELNS1_3gpuE8ELNS1_3repE0EEENS1_30default_config_static_selectorELNS0_4arch9wavefront6targetE0EEEvT1_.has_dyn_sized_stack, 0
	.set _ZN7rocprim17ROCPRIM_400000_NS6detail17trampoline_kernelINS0_14default_configENS1_25partition_config_selectorILNS1_17partition_subalgoE5ElNS0_10empty_typeEbEEZZNS1_14partition_implILS5_5ELb0ES3_mN6hipcub16HIPCUB_304000_NS21CountingInputIteratorIllEEPS6_NSA_22TransformInputIteratorIbN2at6native12_GLOBAL__N_19NonZeroOpIN3c108BFloat16EEEPKSK_lEENS0_5tupleIJPlS6_EEENSP_IJSD_SD_EEES6_PiJS6_EEE10hipError_tPvRmT3_T4_T5_T6_T7_T9_mT8_P12ihipStream_tbDpT10_ENKUlT_T0_E_clISt17integral_constantIbLb0EES1C_IbLb1EEEEDaS18_S19_EUlS18_E_NS1_11comp_targetILNS1_3genE4ELNS1_11target_archE910ELNS1_3gpuE8ELNS1_3repE0EEENS1_30default_config_static_selectorELNS0_4arch9wavefront6targetE0EEEvT1_.has_recursion, 0
	.set _ZN7rocprim17ROCPRIM_400000_NS6detail17trampoline_kernelINS0_14default_configENS1_25partition_config_selectorILNS1_17partition_subalgoE5ElNS0_10empty_typeEbEEZZNS1_14partition_implILS5_5ELb0ES3_mN6hipcub16HIPCUB_304000_NS21CountingInputIteratorIllEEPS6_NSA_22TransformInputIteratorIbN2at6native12_GLOBAL__N_19NonZeroOpIN3c108BFloat16EEEPKSK_lEENS0_5tupleIJPlS6_EEENSP_IJSD_SD_EEES6_PiJS6_EEE10hipError_tPvRmT3_T4_T5_T6_T7_T9_mT8_P12ihipStream_tbDpT10_ENKUlT_T0_E_clISt17integral_constantIbLb0EES1C_IbLb1EEEEDaS18_S19_EUlS18_E_NS1_11comp_targetILNS1_3genE4ELNS1_11target_archE910ELNS1_3gpuE8ELNS1_3repE0EEENS1_30default_config_static_selectorELNS0_4arch9wavefront6targetE0EEEvT1_.has_indirect_call, 0
	.section	.AMDGPU.csdata,"",@progbits
; Kernel info:
; codeLenInByte = 0
; TotalNumSgprs: 0
; NumVgprs: 0
; ScratchSize: 0
; MemoryBound: 0
; FloatMode: 240
; IeeeMode: 1
; LDSByteSize: 0 bytes/workgroup (compile time only)
; SGPRBlocks: 0
; VGPRBlocks: 0
; NumSGPRsForWavesPerEU: 1
; NumVGPRsForWavesPerEU: 1
; Occupancy: 16
; WaveLimiterHint : 0
; COMPUTE_PGM_RSRC2:SCRATCH_EN: 0
; COMPUTE_PGM_RSRC2:USER_SGPR: 2
; COMPUTE_PGM_RSRC2:TRAP_HANDLER: 0
; COMPUTE_PGM_RSRC2:TGID_X_EN: 1
; COMPUTE_PGM_RSRC2:TGID_Y_EN: 0
; COMPUTE_PGM_RSRC2:TGID_Z_EN: 0
; COMPUTE_PGM_RSRC2:TIDIG_COMP_CNT: 0
	.section	.text._ZN7rocprim17ROCPRIM_400000_NS6detail17trampoline_kernelINS0_14default_configENS1_25partition_config_selectorILNS1_17partition_subalgoE5ElNS0_10empty_typeEbEEZZNS1_14partition_implILS5_5ELb0ES3_mN6hipcub16HIPCUB_304000_NS21CountingInputIteratorIllEEPS6_NSA_22TransformInputIteratorIbN2at6native12_GLOBAL__N_19NonZeroOpIN3c108BFloat16EEEPKSK_lEENS0_5tupleIJPlS6_EEENSP_IJSD_SD_EEES6_PiJS6_EEE10hipError_tPvRmT3_T4_T5_T6_T7_T9_mT8_P12ihipStream_tbDpT10_ENKUlT_T0_E_clISt17integral_constantIbLb0EES1C_IbLb1EEEEDaS18_S19_EUlS18_E_NS1_11comp_targetILNS1_3genE3ELNS1_11target_archE908ELNS1_3gpuE7ELNS1_3repE0EEENS1_30default_config_static_selectorELNS0_4arch9wavefront6targetE0EEEvT1_,"axG",@progbits,_ZN7rocprim17ROCPRIM_400000_NS6detail17trampoline_kernelINS0_14default_configENS1_25partition_config_selectorILNS1_17partition_subalgoE5ElNS0_10empty_typeEbEEZZNS1_14partition_implILS5_5ELb0ES3_mN6hipcub16HIPCUB_304000_NS21CountingInputIteratorIllEEPS6_NSA_22TransformInputIteratorIbN2at6native12_GLOBAL__N_19NonZeroOpIN3c108BFloat16EEEPKSK_lEENS0_5tupleIJPlS6_EEENSP_IJSD_SD_EEES6_PiJS6_EEE10hipError_tPvRmT3_T4_T5_T6_T7_T9_mT8_P12ihipStream_tbDpT10_ENKUlT_T0_E_clISt17integral_constantIbLb0EES1C_IbLb1EEEEDaS18_S19_EUlS18_E_NS1_11comp_targetILNS1_3genE3ELNS1_11target_archE908ELNS1_3gpuE7ELNS1_3repE0EEENS1_30default_config_static_selectorELNS0_4arch9wavefront6targetE0EEEvT1_,comdat
	.globl	_ZN7rocprim17ROCPRIM_400000_NS6detail17trampoline_kernelINS0_14default_configENS1_25partition_config_selectorILNS1_17partition_subalgoE5ElNS0_10empty_typeEbEEZZNS1_14partition_implILS5_5ELb0ES3_mN6hipcub16HIPCUB_304000_NS21CountingInputIteratorIllEEPS6_NSA_22TransformInputIteratorIbN2at6native12_GLOBAL__N_19NonZeroOpIN3c108BFloat16EEEPKSK_lEENS0_5tupleIJPlS6_EEENSP_IJSD_SD_EEES6_PiJS6_EEE10hipError_tPvRmT3_T4_T5_T6_T7_T9_mT8_P12ihipStream_tbDpT10_ENKUlT_T0_E_clISt17integral_constantIbLb0EES1C_IbLb1EEEEDaS18_S19_EUlS18_E_NS1_11comp_targetILNS1_3genE3ELNS1_11target_archE908ELNS1_3gpuE7ELNS1_3repE0EEENS1_30default_config_static_selectorELNS0_4arch9wavefront6targetE0EEEvT1_ ; -- Begin function _ZN7rocprim17ROCPRIM_400000_NS6detail17trampoline_kernelINS0_14default_configENS1_25partition_config_selectorILNS1_17partition_subalgoE5ElNS0_10empty_typeEbEEZZNS1_14partition_implILS5_5ELb0ES3_mN6hipcub16HIPCUB_304000_NS21CountingInputIteratorIllEEPS6_NSA_22TransformInputIteratorIbN2at6native12_GLOBAL__N_19NonZeroOpIN3c108BFloat16EEEPKSK_lEENS0_5tupleIJPlS6_EEENSP_IJSD_SD_EEES6_PiJS6_EEE10hipError_tPvRmT3_T4_T5_T6_T7_T9_mT8_P12ihipStream_tbDpT10_ENKUlT_T0_E_clISt17integral_constantIbLb0EES1C_IbLb1EEEEDaS18_S19_EUlS18_E_NS1_11comp_targetILNS1_3genE3ELNS1_11target_archE908ELNS1_3gpuE7ELNS1_3repE0EEENS1_30default_config_static_selectorELNS0_4arch9wavefront6targetE0EEEvT1_
	.p2align	8
	.type	_ZN7rocprim17ROCPRIM_400000_NS6detail17trampoline_kernelINS0_14default_configENS1_25partition_config_selectorILNS1_17partition_subalgoE5ElNS0_10empty_typeEbEEZZNS1_14partition_implILS5_5ELb0ES3_mN6hipcub16HIPCUB_304000_NS21CountingInputIteratorIllEEPS6_NSA_22TransformInputIteratorIbN2at6native12_GLOBAL__N_19NonZeroOpIN3c108BFloat16EEEPKSK_lEENS0_5tupleIJPlS6_EEENSP_IJSD_SD_EEES6_PiJS6_EEE10hipError_tPvRmT3_T4_T5_T6_T7_T9_mT8_P12ihipStream_tbDpT10_ENKUlT_T0_E_clISt17integral_constantIbLb0EES1C_IbLb1EEEEDaS18_S19_EUlS18_E_NS1_11comp_targetILNS1_3genE3ELNS1_11target_archE908ELNS1_3gpuE7ELNS1_3repE0EEENS1_30default_config_static_selectorELNS0_4arch9wavefront6targetE0EEEvT1_,@function
_ZN7rocprim17ROCPRIM_400000_NS6detail17trampoline_kernelINS0_14default_configENS1_25partition_config_selectorILNS1_17partition_subalgoE5ElNS0_10empty_typeEbEEZZNS1_14partition_implILS5_5ELb0ES3_mN6hipcub16HIPCUB_304000_NS21CountingInputIteratorIllEEPS6_NSA_22TransformInputIteratorIbN2at6native12_GLOBAL__N_19NonZeroOpIN3c108BFloat16EEEPKSK_lEENS0_5tupleIJPlS6_EEENSP_IJSD_SD_EEES6_PiJS6_EEE10hipError_tPvRmT3_T4_T5_T6_T7_T9_mT8_P12ihipStream_tbDpT10_ENKUlT_T0_E_clISt17integral_constantIbLb0EES1C_IbLb1EEEEDaS18_S19_EUlS18_E_NS1_11comp_targetILNS1_3genE3ELNS1_11target_archE908ELNS1_3gpuE7ELNS1_3repE0EEENS1_30default_config_static_selectorELNS0_4arch9wavefront6targetE0EEEvT1_: ; @_ZN7rocprim17ROCPRIM_400000_NS6detail17trampoline_kernelINS0_14default_configENS1_25partition_config_selectorILNS1_17partition_subalgoE5ElNS0_10empty_typeEbEEZZNS1_14partition_implILS5_5ELb0ES3_mN6hipcub16HIPCUB_304000_NS21CountingInputIteratorIllEEPS6_NSA_22TransformInputIteratorIbN2at6native12_GLOBAL__N_19NonZeroOpIN3c108BFloat16EEEPKSK_lEENS0_5tupleIJPlS6_EEENSP_IJSD_SD_EEES6_PiJS6_EEE10hipError_tPvRmT3_T4_T5_T6_T7_T9_mT8_P12ihipStream_tbDpT10_ENKUlT_T0_E_clISt17integral_constantIbLb0EES1C_IbLb1EEEEDaS18_S19_EUlS18_E_NS1_11comp_targetILNS1_3genE3ELNS1_11target_archE908ELNS1_3gpuE7ELNS1_3repE0EEENS1_30default_config_static_selectorELNS0_4arch9wavefront6targetE0EEEvT1_
; %bb.0:
	.section	.rodata,"a",@progbits
	.p2align	6, 0x0
	.amdhsa_kernel _ZN7rocprim17ROCPRIM_400000_NS6detail17trampoline_kernelINS0_14default_configENS1_25partition_config_selectorILNS1_17partition_subalgoE5ElNS0_10empty_typeEbEEZZNS1_14partition_implILS5_5ELb0ES3_mN6hipcub16HIPCUB_304000_NS21CountingInputIteratorIllEEPS6_NSA_22TransformInputIteratorIbN2at6native12_GLOBAL__N_19NonZeroOpIN3c108BFloat16EEEPKSK_lEENS0_5tupleIJPlS6_EEENSP_IJSD_SD_EEES6_PiJS6_EEE10hipError_tPvRmT3_T4_T5_T6_T7_T9_mT8_P12ihipStream_tbDpT10_ENKUlT_T0_E_clISt17integral_constantIbLb0EES1C_IbLb1EEEEDaS18_S19_EUlS18_E_NS1_11comp_targetILNS1_3genE3ELNS1_11target_archE908ELNS1_3gpuE7ELNS1_3repE0EEENS1_30default_config_static_selectorELNS0_4arch9wavefront6targetE0EEEvT1_
		.amdhsa_group_segment_fixed_size 0
		.amdhsa_private_segment_fixed_size 0
		.amdhsa_kernarg_size 136
		.amdhsa_user_sgpr_count 2
		.amdhsa_user_sgpr_dispatch_ptr 0
		.amdhsa_user_sgpr_queue_ptr 0
		.amdhsa_user_sgpr_kernarg_segment_ptr 1
		.amdhsa_user_sgpr_dispatch_id 0
		.amdhsa_user_sgpr_private_segment_size 0
		.amdhsa_wavefront_size32 1
		.amdhsa_uses_dynamic_stack 0
		.amdhsa_enable_private_segment 0
		.amdhsa_system_sgpr_workgroup_id_x 1
		.amdhsa_system_sgpr_workgroup_id_y 0
		.amdhsa_system_sgpr_workgroup_id_z 0
		.amdhsa_system_sgpr_workgroup_info 0
		.amdhsa_system_vgpr_workitem_id 0
		.amdhsa_next_free_vgpr 1
		.amdhsa_next_free_sgpr 1
		.amdhsa_reserve_vcc 0
		.amdhsa_float_round_mode_32 0
		.amdhsa_float_round_mode_16_64 0
		.amdhsa_float_denorm_mode_32 3
		.amdhsa_float_denorm_mode_16_64 3
		.amdhsa_fp16_overflow 0
		.amdhsa_workgroup_processor_mode 1
		.amdhsa_memory_ordered 1
		.amdhsa_forward_progress 1
		.amdhsa_inst_pref_size 0
		.amdhsa_round_robin_scheduling 0
		.amdhsa_exception_fp_ieee_invalid_op 0
		.amdhsa_exception_fp_denorm_src 0
		.amdhsa_exception_fp_ieee_div_zero 0
		.amdhsa_exception_fp_ieee_overflow 0
		.amdhsa_exception_fp_ieee_underflow 0
		.amdhsa_exception_fp_ieee_inexact 0
		.amdhsa_exception_int_div_zero 0
	.end_amdhsa_kernel
	.section	.text._ZN7rocprim17ROCPRIM_400000_NS6detail17trampoline_kernelINS0_14default_configENS1_25partition_config_selectorILNS1_17partition_subalgoE5ElNS0_10empty_typeEbEEZZNS1_14partition_implILS5_5ELb0ES3_mN6hipcub16HIPCUB_304000_NS21CountingInputIteratorIllEEPS6_NSA_22TransformInputIteratorIbN2at6native12_GLOBAL__N_19NonZeroOpIN3c108BFloat16EEEPKSK_lEENS0_5tupleIJPlS6_EEENSP_IJSD_SD_EEES6_PiJS6_EEE10hipError_tPvRmT3_T4_T5_T6_T7_T9_mT8_P12ihipStream_tbDpT10_ENKUlT_T0_E_clISt17integral_constantIbLb0EES1C_IbLb1EEEEDaS18_S19_EUlS18_E_NS1_11comp_targetILNS1_3genE3ELNS1_11target_archE908ELNS1_3gpuE7ELNS1_3repE0EEENS1_30default_config_static_selectorELNS0_4arch9wavefront6targetE0EEEvT1_,"axG",@progbits,_ZN7rocprim17ROCPRIM_400000_NS6detail17trampoline_kernelINS0_14default_configENS1_25partition_config_selectorILNS1_17partition_subalgoE5ElNS0_10empty_typeEbEEZZNS1_14partition_implILS5_5ELb0ES3_mN6hipcub16HIPCUB_304000_NS21CountingInputIteratorIllEEPS6_NSA_22TransformInputIteratorIbN2at6native12_GLOBAL__N_19NonZeroOpIN3c108BFloat16EEEPKSK_lEENS0_5tupleIJPlS6_EEENSP_IJSD_SD_EEES6_PiJS6_EEE10hipError_tPvRmT3_T4_T5_T6_T7_T9_mT8_P12ihipStream_tbDpT10_ENKUlT_T0_E_clISt17integral_constantIbLb0EES1C_IbLb1EEEEDaS18_S19_EUlS18_E_NS1_11comp_targetILNS1_3genE3ELNS1_11target_archE908ELNS1_3gpuE7ELNS1_3repE0EEENS1_30default_config_static_selectorELNS0_4arch9wavefront6targetE0EEEvT1_,comdat
.Lfunc_end825:
	.size	_ZN7rocprim17ROCPRIM_400000_NS6detail17trampoline_kernelINS0_14default_configENS1_25partition_config_selectorILNS1_17partition_subalgoE5ElNS0_10empty_typeEbEEZZNS1_14partition_implILS5_5ELb0ES3_mN6hipcub16HIPCUB_304000_NS21CountingInputIteratorIllEEPS6_NSA_22TransformInputIteratorIbN2at6native12_GLOBAL__N_19NonZeroOpIN3c108BFloat16EEEPKSK_lEENS0_5tupleIJPlS6_EEENSP_IJSD_SD_EEES6_PiJS6_EEE10hipError_tPvRmT3_T4_T5_T6_T7_T9_mT8_P12ihipStream_tbDpT10_ENKUlT_T0_E_clISt17integral_constantIbLb0EES1C_IbLb1EEEEDaS18_S19_EUlS18_E_NS1_11comp_targetILNS1_3genE3ELNS1_11target_archE908ELNS1_3gpuE7ELNS1_3repE0EEENS1_30default_config_static_selectorELNS0_4arch9wavefront6targetE0EEEvT1_, .Lfunc_end825-_ZN7rocprim17ROCPRIM_400000_NS6detail17trampoline_kernelINS0_14default_configENS1_25partition_config_selectorILNS1_17partition_subalgoE5ElNS0_10empty_typeEbEEZZNS1_14partition_implILS5_5ELb0ES3_mN6hipcub16HIPCUB_304000_NS21CountingInputIteratorIllEEPS6_NSA_22TransformInputIteratorIbN2at6native12_GLOBAL__N_19NonZeroOpIN3c108BFloat16EEEPKSK_lEENS0_5tupleIJPlS6_EEENSP_IJSD_SD_EEES6_PiJS6_EEE10hipError_tPvRmT3_T4_T5_T6_T7_T9_mT8_P12ihipStream_tbDpT10_ENKUlT_T0_E_clISt17integral_constantIbLb0EES1C_IbLb1EEEEDaS18_S19_EUlS18_E_NS1_11comp_targetILNS1_3genE3ELNS1_11target_archE908ELNS1_3gpuE7ELNS1_3repE0EEENS1_30default_config_static_selectorELNS0_4arch9wavefront6targetE0EEEvT1_
                                        ; -- End function
	.set _ZN7rocprim17ROCPRIM_400000_NS6detail17trampoline_kernelINS0_14default_configENS1_25partition_config_selectorILNS1_17partition_subalgoE5ElNS0_10empty_typeEbEEZZNS1_14partition_implILS5_5ELb0ES3_mN6hipcub16HIPCUB_304000_NS21CountingInputIteratorIllEEPS6_NSA_22TransformInputIteratorIbN2at6native12_GLOBAL__N_19NonZeroOpIN3c108BFloat16EEEPKSK_lEENS0_5tupleIJPlS6_EEENSP_IJSD_SD_EEES6_PiJS6_EEE10hipError_tPvRmT3_T4_T5_T6_T7_T9_mT8_P12ihipStream_tbDpT10_ENKUlT_T0_E_clISt17integral_constantIbLb0EES1C_IbLb1EEEEDaS18_S19_EUlS18_E_NS1_11comp_targetILNS1_3genE3ELNS1_11target_archE908ELNS1_3gpuE7ELNS1_3repE0EEENS1_30default_config_static_selectorELNS0_4arch9wavefront6targetE0EEEvT1_.num_vgpr, 0
	.set _ZN7rocprim17ROCPRIM_400000_NS6detail17trampoline_kernelINS0_14default_configENS1_25partition_config_selectorILNS1_17partition_subalgoE5ElNS0_10empty_typeEbEEZZNS1_14partition_implILS5_5ELb0ES3_mN6hipcub16HIPCUB_304000_NS21CountingInputIteratorIllEEPS6_NSA_22TransformInputIteratorIbN2at6native12_GLOBAL__N_19NonZeroOpIN3c108BFloat16EEEPKSK_lEENS0_5tupleIJPlS6_EEENSP_IJSD_SD_EEES6_PiJS6_EEE10hipError_tPvRmT3_T4_T5_T6_T7_T9_mT8_P12ihipStream_tbDpT10_ENKUlT_T0_E_clISt17integral_constantIbLb0EES1C_IbLb1EEEEDaS18_S19_EUlS18_E_NS1_11comp_targetILNS1_3genE3ELNS1_11target_archE908ELNS1_3gpuE7ELNS1_3repE0EEENS1_30default_config_static_selectorELNS0_4arch9wavefront6targetE0EEEvT1_.num_agpr, 0
	.set _ZN7rocprim17ROCPRIM_400000_NS6detail17trampoline_kernelINS0_14default_configENS1_25partition_config_selectorILNS1_17partition_subalgoE5ElNS0_10empty_typeEbEEZZNS1_14partition_implILS5_5ELb0ES3_mN6hipcub16HIPCUB_304000_NS21CountingInputIteratorIllEEPS6_NSA_22TransformInputIteratorIbN2at6native12_GLOBAL__N_19NonZeroOpIN3c108BFloat16EEEPKSK_lEENS0_5tupleIJPlS6_EEENSP_IJSD_SD_EEES6_PiJS6_EEE10hipError_tPvRmT3_T4_T5_T6_T7_T9_mT8_P12ihipStream_tbDpT10_ENKUlT_T0_E_clISt17integral_constantIbLb0EES1C_IbLb1EEEEDaS18_S19_EUlS18_E_NS1_11comp_targetILNS1_3genE3ELNS1_11target_archE908ELNS1_3gpuE7ELNS1_3repE0EEENS1_30default_config_static_selectorELNS0_4arch9wavefront6targetE0EEEvT1_.numbered_sgpr, 0
	.set _ZN7rocprim17ROCPRIM_400000_NS6detail17trampoline_kernelINS0_14default_configENS1_25partition_config_selectorILNS1_17partition_subalgoE5ElNS0_10empty_typeEbEEZZNS1_14partition_implILS5_5ELb0ES3_mN6hipcub16HIPCUB_304000_NS21CountingInputIteratorIllEEPS6_NSA_22TransformInputIteratorIbN2at6native12_GLOBAL__N_19NonZeroOpIN3c108BFloat16EEEPKSK_lEENS0_5tupleIJPlS6_EEENSP_IJSD_SD_EEES6_PiJS6_EEE10hipError_tPvRmT3_T4_T5_T6_T7_T9_mT8_P12ihipStream_tbDpT10_ENKUlT_T0_E_clISt17integral_constantIbLb0EES1C_IbLb1EEEEDaS18_S19_EUlS18_E_NS1_11comp_targetILNS1_3genE3ELNS1_11target_archE908ELNS1_3gpuE7ELNS1_3repE0EEENS1_30default_config_static_selectorELNS0_4arch9wavefront6targetE0EEEvT1_.num_named_barrier, 0
	.set _ZN7rocprim17ROCPRIM_400000_NS6detail17trampoline_kernelINS0_14default_configENS1_25partition_config_selectorILNS1_17partition_subalgoE5ElNS0_10empty_typeEbEEZZNS1_14partition_implILS5_5ELb0ES3_mN6hipcub16HIPCUB_304000_NS21CountingInputIteratorIllEEPS6_NSA_22TransformInputIteratorIbN2at6native12_GLOBAL__N_19NonZeroOpIN3c108BFloat16EEEPKSK_lEENS0_5tupleIJPlS6_EEENSP_IJSD_SD_EEES6_PiJS6_EEE10hipError_tPvRmT3_T4_T5_T6_T7_T9_mT8_P12ihipStream_tbDpT10_ENKUlT_T0_E_clISt17integral_constantIbLb0EES1C_IbLb1EEEEDaS18_S19_EUlS18_E_NS1_11comp_targetILNS1_3genE3ELNS1_11target_archE908ELNS1_3gpuE7ELNS1_3repE0EEENS1_30default_config_static_selectorELNS0_4arch9wavefront6targetE0EEEvT1_.private_seg_size, 0
	.set _ZN7rocprim17ROCPRIM_400000_NS6detail17trampoline_kernelINS0_14default_configENS1_25partition_config_selectorILNS1_17partition_subalgoE5ElNS0_10empty_typeEbEEZZNS1_14partition_implILS5_5ELb0ES3_mN6hipcub16HIPCUB_304000_NS21CountingInputIteratorIllEEPS6_NSA_22TransformInputIteratorIbN2at6native12_GLOBAL__N_19NonZeroOpIN3c108BFloat16EEEPKSK_lEENS0_5tupleIJPlS6_EEENSP_IJSD_SD_EEES6_PiJS6_EEE10hipError_tPvRmT3_T4_T5_T6_T7_T9_mT8_P12ihipStream_tbDpT10_ENKUlT_T0_E_clISt17integral_constantIbLb0EES1C_IbLb1EEEEDaS18_S19_EUlS18_E_NS1_11comp_targetILNS1_3genE3ELNS1_11target_archE908ELNS1_3gpuE7ELNS1_3repE0EEENS1_30default_config_static_selectorELNS0_4arch9wavefront6targetE0EEEvT1_.uses_vcc, 0
	.set _ZN7rocprim17ROCPRIM_400000_NS6detail17trampoline_kernelINS0_14default_configENS1_25partition_config_selectorILNS1_17partition_subalgoE5ElNS0_10empty_typeEbEEZZNS1_14partition_implILS5_5ELb0ES3_mN6hipcub16HIPCUB_304000_NS21CountingInputIteratorIllEEPS6_NSA_22TransformInputIteratorIbN2at6native12_GLOBAL__N_19NonZeroOpIN3c108BFloat16EEEPKSK_lEENS0_5tupleIJPlS6_EEENSP_IJSD_SD_EEES6_PiJS6_EEE10hipError_tPvRmT3_T4_T5_T6_T7_T9_mT8_P12ihipStream_tbDpT10_ENKUlT_T0_E_clISt17integral_constantIbLb0EES1C_IbLb1EEEEDaS18_S19_EUlS18_E_NS1_11comp_targetILNS1_3genE3ELNS1_11target_archE908ELNS1_3gpuE7ELNS1_3repE0EEENS1_30default_config_static_selectorELNS0_4arch9wavefront6targetE0EEEvT1_.uses_flat_scratch, 0
	.set _ZN7rocprim17ROCPRIM_400000_NS6detail17trampoline_kernelINS0_14default_configENS1_25partition_config_selectorILNS1_17partition_subalgoE5ElNS0_10empty_typeEbEEZZNS1_14partition_implILS5_5ELb0ES3_mN6hipcub16HIPCUB_304000_NS21CountingInputIteratorIllEEPS6_NSA_22TransformInputIteratorIbN2at6native12_GLOBAL__N_19NonZeroOpIN3c108BFloat16EEEPKSK_lEENS0_5tupleIJPlS6_EEENSP_IJSD_SD_EEES6_PiJS6_EEE10hipError_tPvRmT3_T4_T5_T6_T7_T9_mT8_P12ihipStream_tbDpT10_ENKUlT_T0_E_clISt17integral_constantIbLb0EES1C_IbLb1EEEEDaS18_S19_EUlS18_E_NS1_11comp_targetILNS1_3genE3ELNS1_11target_archE908ELNS1_3gpuE7ELNS1_3repE0EEENS1_30default_config_static_selectorELNS0_4arch9wavefront6targetE0EEEvT1_.has_dyn_sized_stack, 0
	.set _ZN7rocprim17ROCPRIM_400000_NS6detail17trampoline_kernelINS0_14default_configENS1_25partition_config_selectorILNS1_17partition_subalgoE5ElNS0_10empty_typeEbEEZZNS1_14partition_implILS5_5ELb0ES3_mN6hipcub16HIPCUB_304000_NS21CountingInputIteratorIllEEPS6_NSA_22TransformInputIteratorIbN2at6native12_GLOBAL__N_19NonZeroOpIN3c108BFloat16EEEPKSK_lEENS0_5tupleIJPlS6_EEENSP_IJSD_SD_EEES6_PiJS6_EEE10hipError_tPvRmT3_T4_T5_T6_T7_T9_mT8_P12ihipStream_tbDpT10_ENKUlT_T0_E_clISt17integral_constantIbLb0EES1C_IbLb1EEEEDaS18_S19_EUlS18_E_NS1_11comp_targetILNS1_3genE3ELNS1_11target_archE908ELNS1_3gpuE7ELNS1_3repE0EEENS1_30default_config_static_selectorELNS0_4arch9wavefront6targetE0EEEvT1_.has_recursion, 0
	.set _ZN7rocprim17ROCPRIM_400000_NS6detail17trampoline_kernelINS0_14default_configENS1_25partition_config_selectorILNS1_17partition_subalgoE5ElNS0_10empty_typeEbEEZZNS1_14partition_implILS5_5ELb0ES3_mN6hipcub16HIPCUB_304000_NS21CountingInputIteratorIllEEPS6_NSA_22TransformInputIteratorIbN2at6native12_GLOBAL__N_19NonZeroOpIN3c108BFloat16EEEPKSK_lEENS0_5tupleIJPlS6_EEENSP_IJSD_SD_EEES6_PiJS6_EEE10hipError_tPvRmT3_T4_T5_T6_T7_T9_mT8_P12ihipStream_tbDpT10_ENKUlT_T0_E_clISt17integral_constantIbLb0EES1C_IbLb1EEEEDaS18_S19_EUlS18_E_NS1_11comp_targetILNS1_3genE3ELNS1_11target_archE908ELNS1_3gpuE7ELNS1_3repE0EEENS1_30default_config_static_selectorELNS0_4arch9wavefront6targetE0EEEvT1_.has_indirect_call, 0
	.section	.AMDGPU.csdata,"",@progbits
; Kernel info:
; codeLenInByte = 0
; TotalNumSgprs: 0
; NumVgprs: 0
; ScratchSize: 0
; MemoryBound: 0
; FloatMode: 240
; IeeeMode: 1
; LDSByteSize: 0 bytes/workgroup (compile time only)
; SGPRBlocks: 0
; VGPRBlocks: 0
; NumSGPRsForWavesPerEU: 1
; NumVGPRsForWavesPerEU: 1
; Occupancy: 16
; WaveLimiterHint : 0
; COMPUTE_PGM_RSRC2:SCRATCH_EN: 0
; COMPUTE_PGM_RSRC2:USER_SGPR: 2
; COMPUTE_PGM_RSRC2:TRAP_HANDLER: 0
; COMPUTE_PGM_RSRC2:TGID_X_EN: 1
; COMPUTE_PGM_RSRC2:TGID_Y_EN: 0
; COMPUTE_PGM_RSRC2:TGID_Z_EN: 0
; COMPUTE_PGM_RSRC2:TIDIG_COMP_CNT: 0
	.section	.text._ZN7rocprim17ROCPRIM_400000_NS6detail17trampoline_kernelINS0_14default_configENS1_25partition_config_selectorILNS1_17partition_subalgoE5ElNS0_10empty_typeEbEEZZNS1_14partition_implILS5_5ELb0ES3_mN6hipcub16HIPCUB_304000_NS21CountingInputIteratorIllEEPS6_NSA_22TransformInputIteratorIbN2at6native12_GLOBAL__N_19NonZeroOpIN3c108BFloat16EEEPKSK_lEENS0_5tupleIJPlS6_EEENSP_IJSD_SD_EEES6_PiJS6_EEE10hipError_tPvRmT3_T4_T5_T6_T7_T9_mT8_P12ihipStream_tbDpT10_ENKUlT_T0_E_clISt17integral_constantIbLb0EES1C_IbLb1EEEEDaS18_S19_EUlS18_E_NS1_11comp_targetILNS1_3genE2ELNS1_11target_archE906ELNS1_3gpuE6ELNS1_3repE0EEENS1_30default_config_static_selectorELNS0_4arch9wavefront6targetE0EEEvT1_,"axG",@progbits,_ZN7rocprim17ROCPRIM_400000_NS6detail17trampoline_kernelINS0_14default_configENS1_25partition_config_selectorILNS1_17partition_subalgoE5ElNS0_10empty_typeEbEEZZNS1_14partition_implILS5_5ELb0ES3_mN6hipcub16HIPCUB_304000_NS21CountingInputIteratorIllEEPS6_NSA_22TransformInputIteratorIbN2at6native12_GLOBAL__N_19NonZeroOpIN3c108BFloat16EEEPKSK_lEENS0_5tupleIJPlS6_EEENSP_IJSD_SD_EEES6_PiJS6_EEE10hipError_tPvRmT3_T4_T5_T6_T7_T9_mT8_P12ihipStream_tbDpT10_ENKUlT_T0_E_clISt17integral_constantIbLb0EES1C_IbLb1EEEEDaS18_S19_EUlS18_E_NS1_11comp_targetILNS1_3genE2ELNS1_11target_archE906ELNS1_3gpuE6ELNS1_3repE0EEENS1_30default_config_static_selectorELNS0_4arch9wavefront6targetE0EEEvT1_,comdat
	.globl	_ZN7rocprim17ROCPRIM_400000_NS6detail17trampoline_kernelINS0_14default_configENS1_25partition_config_selectorILNS1_17partition_subalgoE5ElNS0_10empty_typeEbEEZZNS1_14partition_implILS5_5ELb0ES3_mN6hipcub16HIPCUB_304000_NS21CountingInputIteratorIllEEPS6_NSA_22TransformInputIteratorIbN2at6native12_GLOBAL__N_19NonZeroOpIN3c108BFloat16EEEPKSK_lEENS0_5tupleIJPlS6_EEENSP_IJSD_SD_EEES6_PiJS6_EEE10hipError_tPvRmT3_T4_T5_T6_T7_T9_mT8_P12ihipStream_tbDpT10_ENKUlT_T0_E_clISt17integral_constantIbLb0EES1C_IbLb1EEEEDaS18_S19_EUlS18_E_NS1_11comp_targetILNS1_3genE2ELNS1_11target_archE906ELNS1_3gpuE6ELNS1_3repE0EEENS1_30default_config_static_selectorELNS0_4arch9wavefront6targetE0EEEvT1_ ; -- Begin function _ZN7rocprim17ROCPRIM_400000_NS6detail17trampoline_kernelINS0_14default_configENS1_25partition_config_selectorILNS1_17partition_subalgoE5ElNS0_10empty_typeEbEEZZNS1_14partition_implILS5_5ELb0ES3_mN6hipcub16HIPCUB_304000_NS21CountingInputIteratorIllEEPS6_NSA_22TransformInputIteratorIbN2at6native12_GLOBAL__N_19NonZeroOpIN3c108BFloat16EEEPKSK_lEENS0_5tupleIJPlS6_EEENSP_IJSD_SD_EEES6_PiJS6_EEE10hipError_tPvRmT3_T4_T5_T6_T7_T9_mT8_P12ihipStream_tbDpT10_ENKUlT_T0_E_clISt17integral_constantIbLb0EES1C_IbLb1EEEEDaS18_S19_EUlS18_E_NS1_11comp_targetILNS1_3genE2ELNS1_11target_archE906ELNS1_3gpuE6ELNS1_3repE0EEENS1_30default_config_static_selectorELNS0_4arch9wavefront6targetE0EEEvT1_
	.p2align	8
	.type	_ZN7rocprim17ROCPRIM_400000_NS6detail17trampoline_kernelINS0_14default_configENS1_25partition_config_selectorILNS1_17partition_subalgoE5ElNS0_10empty_typeEbEEZZNS1_14partition_implILS5_5ELb0ES3_mN6hipcub16HIPCUB_304000_NS21CountingInputIteratorIllEEPS6_NSA_22TransformInputIteratorIbN2at6native12_GLOBAL__N_19NonZeroOpIN3c108BFloat16EEEPKSK_lEENS0_5tupleIJPlS6_EEENSP_IJSD_SD_EEES6_PiJS6_EEE10hipError_tPvRmT3_T4_T5_T6_T7_T9_mT8_P12ihipStream_tbDpT10_ENKUlT_T0_E_clISt17integral_constantIbLb0EES1C_IbLb1EEEEDaS18_S19_EUlS18_E_NS1_11comp_targetILNS1_3genE2ELNS1_11target_archE906ELNS1_3gpuE6ELNS1_3repE0EEENS1_30default_config_static_selectorELNS0_4arch9wavefront6targetE0EEEvT1_,@function
_ZN7rocprim17ROCPRIM_400000_NS6detail17trampoline_kernelINS0_14default_configENS1_25partition_config_selectorILNS1_17partition_subalgoE5ElNS0_10empty_typeEbEEZZNS1_14partition_implILS5_5ELb0ES3_mN6hipcub16HIPCUB_304000_NS21CountingInputIteratorIllEEPS6_NSA_22TransformInputIteratorIbN2at6native12_GLOBAL__N_19NonZeroOpIN3c108BFloat16EEEPKSK_lEENS0_5tupleIJPlS6_EEENSP_IJSD_SD_EEES6_PiJS6_EEE10hipError_tPvRmT3_T4_T5_T6_T7_T9_mT8_P12ihipStream_tbDpT10_ENKUlT_T0_E_clISt17integral_constantIbLb0EES1C_IbLb1EEEEDaS18_S19_EUlS18_E_NS1_11comp_targetILNS1_3genE2ELNS1_11target_archE906ELNS1_3gpuE6ELNS1_3repE0EEENS1_30default_config_static_selectorELNS0_4arch9wavefront6targetE0EEEvT1_: ; @_ZN7rocprim17ROCPRIM_400000_NS6detail17trampoline_kernelINS0_14default_configENS1_25partition_config_selectorILNS1_17partition_subalgoE5ElNS0_10empty_typeEbEEZZNS1_14partition_implILS5_5ELb0ES3_mN6hipcub16HIPCUB_304000_NS21CountingInputIteratorIllEEPS6_NSA_22TransformInputIteratorIbN2at6native12_GLOBAL__N_19NonZeroOpIN3c108BFloat16EEEPKSK_lEENS0_5tupleIJPlS6_EEENSP_IJSD_SD_EEES6_PiJS6_EEE10hipError_tPvRmT3_T4_T5_T6_T7_T9_mT8_P12ihipStream_tbDpT10_ENKUlT_T0_E_clISt17integral_constantIbLb0EES1C_IbLb1EEEEDaS18_S19_EUlS18_E_NS1_11comp_targetILNS1_3genE2ELNS1_11target_archE906ELNS1_3gpuE6ELNS1_3repE0EEENS1_30default_config_static_selectorELNS0_4arch9wavefront6targetE0EEEvT1_
; %bb.0:
	.section	.rodata,"a",@progbits
	.p2align	6, 0x0
	.amdhsa_kernel _ZN7rocprim17ROCPRIM_400000_NS6detail17trampoline_kernelINS0_14default_configENS1_25partition_config_selectorILNS1_17partition_subalgoE5ElNS0_10empty_typeEbEEZZNS1_14partition_implILS5_5ELb0ES3_mN6hipcub16HIPCUB_304000_NS21CountingInputIteratorIllEEPS6_NSA_22TransformInputIteratorIbN2at6native12_GLOBAL__N_19NonZeroOpIN3c108BFloat16EEEPKSK_lEENS0_5tupleIJPlS6_EEENSP_IJSD_SD_EEES6_PiJS6_EEE10hipError_tPvRmT3_T4_T5_T6_T7_T9_mT8_P12ihipStream_tbDpT10_ENKUlT_T0_E_clISt17integral_constantIbLb0EES1C_IbLb1EEEEDaS18_S19_EUlS18_E_NS1_11comp_targetILNS1_3genE2ELNS1_11target_archE906ELNS1_3gpuE6ELNS1_3repE0EEENS1_30default_config_static_selectorELNS0_4arch9wavefront6targetE0EEEvT1_
		.amdhsa_group_segment_fixed_size 0
		.amdhsa_private_segment_fixed_size 0
		.amdhsa_kernarg_size 136
		.amdhsa_user_sgpr_count 2
		.amdhsa_user_sgpr_dispatch_ptr 0
		.amdhsa_user_sgpr_queue_ptr 0
		.amdhsa_user_sgpr_kernarg_segment_ptr 1
		.amdhsa_user_sgpr_dispatch_id 0
		.amdhsa_user_sgpr_private_segment_size 0
		.amdhsa_wavefront_size32 1
		.amdhsa_uses_dynamic_stack 0
		.amdhsa_enable_private_segment 0
		.amdhsa_system_sgpr_workgroup_id_x 1
		.amdhsa_system_sgpr_workgroup_id_y 0
		.amdhsa_system_sgpr_workgroup_id_z 0
		.amdhsa_system_sgpr_workgroup_info 0
		.amdhsa_system_vgpr_workitem_id 0
		.amdhsa_next_free_vgpr 1
		.amdhsa_next_free_sgpr 1
		.amdhsa_reserve_vcc 0
		.amdhsa_float_round_mode_32 0
		.amdhsa_float_round_mode_16_64 0
		.amdhsa_float_denorm_mode_32 3
		.amdhsa_float_denorm_mode_16_64 3
		.amdhsa_fp16_overflow 0
		.amdhsa_workgroup_processor_mode 1
		.amdhsa_memory_ordered 1
		.amdhsa_forward_progress 1
		.amdhsa_inst_pref_size 0
		.amdhsa_round_robin_scheduling 0
		.amdhsa_exception_fp_ieee_invalid_op 0
		.amdhsa_exception_fp_denorm_src 0
		.amdhsa_exception_fp_ieee_div_zero 0
		.amdhsa_exception_fp_ieee_overflow 0
		.amdhsa_exception_fp_ieee_underflow 0
		.amdhsa_exception_fp_ieee_inexact 0
		.amdhsa_exception_int_div_zero 0
	.end_amdhsa_kernel
	.section	.text._ZN7rocprim17ROCPRIM_400000_NS6detail17trampoline_kernelINS0_14default_configENS1_25partition_config_selectorILNS1_17partition_subalgoE5ElNS0_10empty_typeEbEEZZNS1_14partition_implILS5_5ELb0ES3_mN6hipcub16HIPCUB_304000_NS21CountingInputIteratorIllEEPS6_NSA_22TransformInputIteratorIbN2at6native12_GLOBAL__N_19NonZeroOpIN3c108BFloat16EEEPKSK_lEENS0_5tupleIJPlS6_EEENSP_IJSD_SD_EEES6_PiJS6_EEE10hipError_tPvRmT3_T4_T5_T6_T7_T9_mT8_P12ihipStream_tbDpT10_ENKUlT_T0_E_clISt17integral_constantIbLb0EES1C_IbLb1EEEEDaS18_S19_EUlS18_E_NS1_11comp_targetILNS1_3genE2ELNS1_11target_archE906ELNS1_3gpuE6ELNS1_3repE0EEENS1_30default_config_static_selectorELNS0_4arch9wavefront6targetE0EEEvT1_,"axG",@progbits,_ZN7rocprim17ROCPRIM_400000_NS6detail17trampoline_kernelINS0_14default_configENS1_25partition_config_selectorILNS1_17partition_subalgoE5ElNS0_10empty_typeEbEEZZNS1_14partition_implILS5_5ELb0ES3_mN6hipcub16HIPCUB_304000_NS21CountingInputIteratorIllEEPS6_NSA_22TransformInputIteratorIbN2at6native12_GLOBAL__N_19NonZeroOpIN3c108BFloat16EEEPKSK_lEENS0_5tupleIJPlS6_EEENSP_IJSD_SD_EEES6_PiJS6_EEE10hipError_tPvRmT3_T4_T5_T6_T7_T9_mT8_P12ihipStream_tbDpT10_ENKUlT_T0_E_clISt17integral_constantIbLb0EES1C_IbLb1EEEEDaS18_S19_EUlS18_E_NS1_11comp_targetILNS1_3genE2ELNS1_11target_archE906ELNS1_3gpuE6ELNS1_3repE0EEENS1_30default_config_static_selectorELNS0_4arch9wavefront6targetE0EEEvT1_,comdat
.Lfunc_end826:
	.size	_ZN7rocprim17ROCPRIM_400000_NS6detail17trampoline_kernelINS0_14default_configENS1_25partition_config_selectorILNS1_17partition_subalgoE5ElNS0_10empty_typeEbEEZZNS1_14partition_implILS5_5ELb0ES3_mN6hipcub16HIPCUB_304000_NS21CountingInputIteratorIllEEPS6_NSA_22TransformInputIteratorIbN2at6native12_GLOBAL__N_19NonZeroOpIN3c108BFloat16EEEPKSK_lEENS0_5tupleIJPlS6_EEENSP_IJSD_SD_EEES6_PiJS6_EEE10hipError_tPvRmT3_T4_T5_T6_T7_T9_mT8_P12ihipStream_tbDpT10_ENKUlT_T0_E_clISt17integral_constantIbLb0EES1C_IbLb1EEEEDaS18_S19_EUlS18_E_NS1_11comp_targetILNS1_3genE2ELNS1_11target_archE906ELNS1_3gpuE6ELNS1_3repE0EEENS1_30default_config_static_selectorELNS0_4arch9wavefront6targetE0EEEvT1_, .Lfunc_end826-_ZN7rocprim17ROCPRIM_400000_NS6detail17trampoline_kernelINS0_14default_configENS1_25partition_config_selectorILNS1_17partition_subalgoE5ElNS0_10empty_typeEbEEZZNS1_14partition_implILS5_5ELb0ES3_mN6hipcub16HIPCUB_304000_NS21CountingInputIteratorIllEEPS6_NSA_22TransformInputIteratorIbN2at6native12_GLOBAL__N_19NonZeroOpIN3c108BFloat16EEEPKSK_lEENS0_5tupleIJPlS6_EEENSP_IJSD_SD_EEES6_PiJS6_EEE10hipError_tPvRmT3_T4_T5_T6_T7_T9_mT8_P12ihipStream_tbDpT10_ENKUlT_T0_E_clISt17integral_constantIbLb0EES1C_IbLb1EEEEDaS18_S19_EUlS18_E_NS1_11comp_targetILNS1_3genE2ELNS1_11target_archE906ELNS1_3gpuE6ELNS1_3repE0EEENS1_30default_config_static_selectorELNS0_4arch9wavefront6targetE0EEEvT1_
                                        ; -- End function
	.set _ZN7rocprim17ROCPRIM_400000_NS6detail17trampoline_kernelINS0_14default_configENS1_25partition_config_selectorILNS1_17partition_subalgoE5ElNS0_10empty_typeEbEEZZNS1_14partition_implILS5_5ELb0ES3_mN6hipcub16HIPCUB_304000_NS21CountingInputIteratorIllEEPS6_NSA_22TransformInputIteratorIbN2at6native12_GLOBAL__N_19NonZeroOpIN3c108BFloat16EEEPKSK_lEENS0_5tupleIJPlS6_EEENSP_IJSD_SD_EEES6_PiJS6_EEE10hipError_tPvRmT3_T4_T5_T6_T7_T9_mT8_P12ihipStream_tbDpT10_ENKUlT_T0_E_clISt17integral_constantIbLb0EES1C_IbLb1EEEEDaS18_S19_EUlS18_E_NS1_11comp_targetILNS1_3genE2ELNS1_11target_archE906ELNS1_3gpuE6ELNS1_3repE0EEENS1_30default_config_static_selectorELNS0_4arch9wavefront6targetE0EEEvT1_.num_vgpr, 0
	.set _ZN7rocprim17ROCPRIM_400000_NS6detail17trampoline_kernelINS0_14default_configENS1_25partition_config_selectorILNS1_17partition_subalgoE5ElNS0_10empty_typeEbEEZZNS1_14partition_implILS5_5ELb0ES3_mN6hipcub16HIPCUB_304000_NS21CountingInputIteratorIllEEPS6_NSA_22TransformInputIteratorIbN2at6native12_GLOBAL__N_19NonZeroOpIN3c108BFloat16EEEPKSK_lEENS0_5tupleIJPlS6_EEENSP_IJSD_SD_EEES6_PiJS6_EEE10hipError_tPvRmT3_T4_T5_T6_T7_T9_mT8_P12ihipStream_tbDpT10_ENKUlT_T0_E_clISt17integral_constantIbLb0EES1C_IbLb1EEEEDaS18_S19_EUlS18_E_NS1_11comp_targetILNS1_3genE2ELNS1_11target_archE906ELNS1_3gpuE6ELNS1_3repE0EEENS1_30default_config_static_selectorELNS0_4arch9wavefront6targetE0EEEvT1_.num_agpr, 0
	.set _ZN7rocprim17ROCPRIM_400000_NS6detail17trampoline_kernelINS0_14default_configENS1_25partition_config_selectorILNS1_17partition_subalgoE5ElNS0_10empty_typeEbEEZZNS1_14partition_implILS5_5ELb0ES3_mN6hipcub16HIPCUB_304000_NS21CountingInputIteratorIllEEPS6_NSA_22TransformInputIteratorIbN2at6native12_GLOBAL__N_19NonZeroOpIN3c108BFloat16EEEPKSK_lEENS0_5tupleIJPlS6_EEENSP_IJSD_SD_EEES6_PiJS6_EEE10hipError_tPvRmT3_T4_T5_T6_T7_T9_mT8_P12ihipStream_tbDpT10_ENKUlT_T0_E_clISt17integral_constantIbLb0EES1C_IbLb1EEEEDaS18_S19_EUlS18_E_NS1_11comp_targetILNS1_3genE2ELNS1_11target_archE906ELNS1_3gpuE6ELNS1_3repE0EEENS1_30default_config_static_selectorELNS0_4arch9wavefront6targetE0EEEvT1_.numbered_sgpr, 0
	.set _ZN7rocprim17ROCPRIM_400000_NS6detail17trampoline_kernelINS0_14default_configENS1_25partition_config_selectorILNS1_17partition_subalgoE5ElNS0_10empty_typeEbEEZZNS1_14partition_implILS5_5ELb0ES3_mN6hipcub16HIPCUB_304000_NS21CountingInputIteratorIllEEPS6_NSA_22TransformInputIteratorIbN2at6native12_GLOBAL__N_19NonZeroOpIN3c108BFloat16EEEPKSK_lEENS0_5tupleIJPlS6_EEENSP_IJSD_SD_EEES6_PiJS6_EEE10hipError_tPvRmT3_T4_T5_T6_T7_T9_mT8_P12ihipStream_tbDpT10_ENKUlT_T0_E_clISt17integral_constantIbLb0EES1C_IbLb1EEEEDaS18_S19_EUlS18_E_NS1_11comp_targetILNS1_3genE2ELNS1_11target_archE906ELNS1_3gpuE6ELNS1_3repE0EEENS1_30default_config_static_selectorELNS0_4arch9wavefront6targetE0EEEvT1_.num_named_barrier, 0
	.set _ZN7rocprim17ROCPRIM_400000_NS6detail17trampoline_kernelINS0_14default_configENS1_25partition_config_selectorILNS1_17partition_subalgoE5ElNS0_10empty_typeEbEEZZNS1_14partition_implILS5_5ELb0ES3_mN6hipcub16HIPCUB_304000_NS21CountingInputIteratorIllEEPS6_NSA_22TransformInputIteratorIbN2at6native12_GLOBAL__N_19NonZeroOpIN3c108BFloat16EEEPKSK_lEENS0_5tupleIJPlS6_EEENSP_IJSD_SD_EEES6_PiJS6_EEE10hipError_tPvRmT3_T4_T5_T6_T7_T9_mT8_P12ihipStream_tbDpT10_ENKUlT_T0_E_clISt17integral_constantIbLb0EES1C_IbLb1EEEEDaS18_S19_EUlS18_E_NS1_11comp_targetILNS1_3genE2ELNS1_11target_archE906ELNS1_3gpuE6ELNS1_3repE0EEENS1_30default_config_static_selectorELNS0_4arch9wavefront6targetE0EEEvT1_.private_seg_size, 0
	.set _ZN7rocprim17ROCPRIM_400000_NS6detail17trampoline_kernelINS0_14default_configENS1_25partition_config_selectorILNS1_17partition_subalgoE5ElNS0_10empty_typeEbEEZZNS1_14partition_implILS5_5ELb0ES3_mN6hipcub16HIPCUB_304000_NS21CountingInputIteratorIllEEPS6_NSA_22TransformInputIteratorIbN2at6native12_GLOBAL__N_19NonZeroOpIN3c108BFloat16EEEPKSK_lEENS0_5tupleIJPlS6_EEENSP_IJSD_SD_EEES6_PiJS6_EEE10hipError_tPvRmT3_T4_T5_T6_T7_T9_mT8_P12ihipStream_tbDpT10_ENKUlT_T0_E_clISt17integral_constantIbLb0EES1C_IbLb1EEEEDaS18_S19_EUlS18_E_NS1_11comp_targetILNS1_3genE2ELNS1_11target_archE906ELNS1_3gpuE6ELNS1_3repE0EEENS1_30default_config_static_selectorELNS0_4arch9wavefront6targetE0EEEvT1_.uses_vcc, 0
	.set _ZN7rocprim17ROCPRIM_400000_NS6detail17trampoline_kernelINS0_14default_configENS1_25partition_config_selectorILNS1_17partition_subalgoE5ElNS0_10empty_typeEbEEZZNS1_14partition_implILS5_5ELb0ES3_mN6hipcub16HIPCUB_304000_NS21CountingInputIteratorIllEEPS6_NSA_22TransformInputIteratorIbN2at6native12_GLOBAL__N_19NonZeroOpIN3c108BFloat16EEEPKSK_lEENS0_5tupleIJPlS6_EEENSP_IJSD_SD_EEES6_PiJS6_EEE10hipError_tPvRmT3_T4_T5_T6_T7_T9_mT8_P12ihipStream_tbDpT10_ENKUlT_T0_E_clISt17integral_constantIbLb0EES1C_IbLb1EEEEDaS18_S19_EUlS18_E_NS1_11comp_targetILNS1_3genE2ELNS1_11target_archE906ELNS1_3gpuE6ELNS1_3repE0EEENS1_30default_config_static_selectorELNS0_4arch9wavefront6targetE0EEEvT1_.uses_flat_scratch, 0
	.set _ZN7rocprim17ROCPRIM_400000_NS6detail17trampoline_kernelINS0_14default_configENS1_25partition_config_selectorILNS1_17partition_subalgoE5ElNS0_10empty_typeEbEEZZNS1_14partition_implILS5_5ELb0ES3_mN6hipcub16HIPCUB_304000_NS21CountingInputIteratorIllEEPS6_NSA_22TransformInputIteratorIbN2at6native12_GLOBAL__N_19NonZeroOpIN3c108BFloat16EEEPKSK_lEENS0_5tupleIJPlS6_EEENSP_IJSD_SD_EEES6_PiJS6_EEE10hipError_tPvRmT3_T4_T5_T6_T7_T9_mT8_P12ihipStream_tbDpT10_ENKUlT_T0_E_clISt17integral_constantIbLb0EES1C_IbLb1EEEEDaS18_S19_EUlS18_E_NS1_11comp_targetILNS1_3genE2ELNS1_11target_archE906ELNS1_3gpuE6ELNS1_3repE0EEENS1_30default_config_static_selectorELNS0_4arch9wavefront6targetE0EEEvT1_.has_dyn_sized_stack, 0
	.set _ZN7rocprim17ROCPRIM_400000_NS6detail17trampoline_kernelINS0_14default_configENS1_25partition_config_selectorILNS1_17partition_subalgoE5ElNS0_10empty_typeEbEEZZNS1_14partition_implILS5_5ELb0ES3_mN6hipcub16HIPCUB_304000_NS21CountingInputIteratorIllEEPS6_NSA_22TransformInputIteratorIbN2at6native12_GLOBAL__N_19NonZeroOpIN3c108BFloat16EEEPKSK_lEENS0_5tupleIJPlS6_EEENSP_IJSD_SD_EEES6_PiJS6_EEE10hipError_tPvRmT3_T4_T5_T6_T7_T9_mT8_P12ihipStream_tbDpT10_ENKUlT_T0_E_clISt17integral_constantIbLb0EES1C_IbLb1EEEEDaS18_S19_EUlS18_E_NS1_11comp_targetILNS1_3genE2ELNS1_11target_archE906ELNS1_3gpuE6ELNS1_3repE0EEENS1_30default_config_static_selectorELNS0_4arch9wavefront6targetE0EEEvT1_.has_recursion, 0
	.set _ZN7rocprim17ROCPRIM_400000_NS6detail17trampoline_kernelINS0_14default_configENS1_25partition_config_selectorILNS1_17partition_subalgoE5ElNS0_10empty_typeEbEEZZNS1_14partition_implILS5_5ELb0ES3_mN6hipcub16HIPCUB_304000_NS21CountingInputIteratorIllEEPS6_NSA_22TransformInputIteratorIbN2at6native12_GLOBAL__N_19NonZeroOpIN3c108BFloat16EEEPKSK_lEENS0_5tupleIJPlS6_EEENSP_IJSD_SD_EEES6_PiJS6_EEE10hipError_tPvRmT3_T4_T5_T6_T7_T9_mT8_P12ihipStream_tbDpT10_ENKUlT_T0_E_clISt17integral_constantIbLb0EES1C_IbLb1EEEEDaS18_S19_EUlS18_E_NS1_11comp_targetILNS1_3genE2ELNS1_11target_archE906ELNS1_3gpuE6ELNS1_3repE0EEENS1_30default_config_static_selectorELNS0_4arch9wavefront6targetE0EEEvT1_.has_indirect_call, 0
	.section	.AMDGPU.csdata,"",@progbits
; Kernel info:
; codeLenInByte = 0
; TotalNumSgprs: 0
; NumVgprs: 0
; ScratchSize: 0
; MemoryBound: 0
; FloatMode: 240
; IeeeMode: 1
; LDSByteSize: 0 bytes/workgroup (compile time only)
; SGPRBlocks: 0
; VGPRBlocks: 0
; NumSGPRsForWavesPerEU: 1
; NumVGPRsForWavesPerEU: 1
; Occupancy: 16
; WaveLimiterHint : 0
; COMPUTE_PGM_RSRC2:SCRATCH_EN: 0
; COMPUTE_PGM_RSRC2:USER_SGPR: 2
; COMPUTE_PGM_RSRC2:TRAP_HANDLER: 0
; COMPUTE_PGM_RSRC2:TGID_X_EN: 1
; COMPUTE_PGM_RSRC2:TGID_Y_EN: 0
; COMPUTE_PGM_RSRC2:TGID_Z_EN: 0
; COMPUTE_PGM_RSRC2:TIDIG_COMP_CNT: 0
	.section	.text._ZN7rocprim17ROCPRIM_400000_NS6detail17trampoline_kernelINS0_14default_configENS1_25partition_config_selectorILNS1_17partition_subalgoE5ElNS0_10empty_typeEbEEZZNS1_14partition_implILS5_5ELb0ES3_mN6hipcub16HIPCUB_304000_NS21CountingInputIteratorIllEEPS6_NSA_22TransformInputIteratorIbN2at6native12_GLOBAL__N_19NonZeroOpIN3c108BFloat16EEEPKSK_lEENS0_5tupleIJPlS6_EEENSP_IJSD_SD_EEES6_PiJS6_EEE10hipError_tPvRmT3_T4_T5_T6_T7_T9_mT8_P12ihipStream_tbDpT10_ENKUlT_T0_E_clISt17integral_constantIbLb0EES1C_IbLb1EEEEDaS18_S19_EUlS18_E_NS1_11comp_targetILNS1_3genE10ELNS1_11target_archE1200ELNS1_3gpuE4ELNS1_3repE0EEENS1_30default_config_static_selectorELNS0_4arch9wavefront6targetE0EEEvT1_,"axG",@progbits,_ZN7rocprim17ROCPRIM_400000_NS6detail17trampoline_kernelINS0_14default_configENS1_25partition_config_selectorILNS1_17partition_subalgoE5ElNS0_10empty_typeEbEEZZNS1_14partition_implILS5_5ELb0ES3_mN6hipcub16HIPCUB_304000_NS21CountingInputIteratorIllEEPS6_NSA_22TransformInputIteratorIbN2at6native12_GLOBAL__N_19NonZeroOpIN3c108BFloat16EEEPKSK_lEENS0_5tupleIJPlS6_EEENSP_IJSD_SD_EEES6_PiJS6_EEE10hipError_tPvRmT3_T4_T5_T6_T7_T9_mT8_P12ihipStream_tbDpT10_ENKUlT_T0_E_clISt17integral_constantIbLb0EES1C_IbLb1EEEEDaS18_S19_EUlS18_E_NS1_11comp_targetILNS1_3genE10ELNS1_11target_archE1200ELNS1_3gpuE4ELNS1_3repE0EEENS1_30default_config_static_selectorELNS0_4arch9wavefront6targetE0EEEvT1_,comdat
	.globl	_ZN7rocprim17ROCPRIM_400000_NS6detail17trampoline_kernelINS0_14default_configENS1_25partition_config_selectorILNS1_17partition_subalgoE5ElNS0_10empty_typeEbEEZZNS1_14partition_implILS5_5ELb0ES3_mN6hipcub16HIPCUB_304000_NS21CountingInputIteratorIllEEPS6_NSA_22TransformInputIteratorIbN2at6native12_GLOBAL__N_19NonZeroOpIN3c108BFloat16EEEPKSK_lEENS0_5tupleIJPlS6_EEENSP_IJSD_SD_EEES6_PiJS6_EEE10hipError_tPvRmT3_T4_T5_T6_T7_T9_mT8_P12ihipStream_tbDpT10_ENKUlT_T0_E_clISt17integral_constantIbLb0EES1C_IbLb1EEEEDaS18_S19_EUlS18_E_NS1_11comp_targetILNS1_3genE10ELNS1_11target_archE1200ELNS1_3gpuE4ELNS1_3repE0EEENS1_30default_config_static_selectorELNS0_4arch9wavefront6targetE0EEEvT1_ ; -- Begin function _ZN7rocprim17ROCPRIM_400000_NS6detail17trampoline_kernelINS0_14default_configENS1_25partition_config_selectorILNS1_17partition_subalgoE5ElNS0_10empty_typeEbEEZZNS1_14partition_implILS5_5ELb0ES3_mN6hipcub16HIPCUB_304000_NS21CountingInputIteratorIllEEPS6_NSA_22TransformInputIteratorIbN2at6native12_GLOBAL__N_19NonZeroOpIN3c108BFloat16EEEPKSK_lEENS0_5tupleIJPlS6_EEENSP_IJSD_SD_EEES6_PiJS6_EEE10hipError_tPvRmT3_T4_T5_T6_T7_T9_mT8_P12ihipStream_tbDpT10_ENKUlT_T0_E_clISt17integral_constantIbLb0EES1C_IbLb1EEEEDaS18_S19_EUlS18_E_NS1_11comp_targetILNS1_3genE10ELNS1_11target_archE1200ELNS1_3gpuE4ELNS1_3repE0EEENS1_30default_config_static_selectorELNS0_4arch9wavefront6targetE0EEEvT1_
	.p2align	8
	.type	_ZN7rocprim17ROCPRIM_400000_NS6detail17trampoline_kernelINS0_14default_configENS1_25partition_config_selectorILNS1_17partition_subalgoE5ElNS0_10empty_typeEbEEZZNS1_14partition_implILS5_5ELb0ES3_mN6hipcub16HIPCUB_304000_NS21CountingInputIteratorIllEEPS6_NSA_22TransformInputIteratorIbN2at6native12_GLOBAL__N_19NonZeroOpIN3c108BFloat16EEEPKSK_lEENS0_5tupleIJPlS6_EEENSP_IJSD_SD_EEES6_PiJS6_EEE10hipError_tPvRmT3_T4_T5_T6_T7_T9_mT8_P12ihipStream_tbDpT10_ENKUlT_T0_E_clISt17integral_constantIbLb0EES1C_IbLb1EEEEDaS18_S19_EUlS18_E_NS1_11comp_targetILNS1_3genE10ELNS1_11target_archE1200ELNS1_3gpuE4ELNS1_3repE0EEENS1_30default_config_static_selectorELNS0_4arch9wavefront6targetE0EEEvT1_,@function
_ZN7rocprim17ROCPRIM_400000_NS6detail17trampoline_kernelINS0_14default_configENS1_25partition_config_selectorILNS1_17partition_subalgoE5ElNS0_10empty_typeEbEEZZNS1_14partition_implILS5_5ELb0ES3_mN6hipcub16HIPCUB_304000_NS21CountingInputIteratorIllEEPS6_NSA_22TransformInputIteratorIbN2at6native12_GLOBAL__N_19NonZeroOpIN3c108BFloat16EEEPKSK_lEENS0_5tupleIJPlS6_EEENSP_IJSD_SD_EEES6_PiJS6_EEE10hipError_tPvRmT3_T4_T5_T6_T7_T9_mT8_P12ihipStream_tbDpT10_ENKUlT_T0_E_clISt17integral_constantIbLb0EES1C_IbLb1EEEEDaS18_S19_EUlS18_E_NS1_11comp_targetILNS1_3genE10ELNS1_11target_archE1200ELNS1_3gpuE4ELNS1_3repE0EEENS1_30default_config_static_selectorELNS0_4arch9wavefront6targetE0EEEvT1_: ; @_ZN7rocprim17ROCPRIM_400000_NS6detail17trampoline_kernelINS0_14default_configENS1_25partition_config_selectorILNS1_17partition_subalgoE5ElNS0_10empty_typeEbEEZZNS1_14partition_implILS5_5ELb0ES3_mN6hipcub16HIPCUB_304000_NS21CountingInputIteratorIllEEPS6_NSA_22TransformInputIteratorIbN2at6native12_GLOBAL__N_19NonZeroOpIN3c108BFloat16EEEPKSK_lEENS0_5tupleIJPlS6_EEENSP_IJSD_SD_EEES6_PiJS6_EEE10hipError_tPvRmT3_T4_T5_T6_T7_T9_mT8_P12ihipStream_tbDpT10_ENKUlT_T0_E_clISt17integral_constantIbLb0EES1C_IbLb1EEEEDaS18_S19_EUlS18_E_NS1_11comp_targetILNS1_3genE10ELNS1_11target_archE1200ELNS1_3gpuE4ELNS1_3repE0EEENS1_30default_config_static_selectorELNS0_4arch9wavefront6targetE0EEEvT1_
; %bb.0:
	s_clause 0x3
	s_load_b64 s[12:13], s[0:1], 0x30
	s_load_b128 s[4:7], s[0:1], 0x48
	s_load_b64 s[18:19], s[0:1], 0x58
	s_load_b64 s[14:15], s[0:1], 0x68
	v_cmp_eq_u32_e64 s2, 0, v0
	s_and_saveexec_b32 s3, s2
	s_cbranch_execz .LBB827_4
; %bb.1:
	s_mov_b32 s9, exec_lo
	s_mov_b32 s8, exec_lo
	v_mbcnt_lo_u32_b32 v1, s9, 0
                                        ; implicit-def: $vgpr2
	s_delay_alu instid0(VALU_DEP_1)
	v_cmpx_eq_u32_e32 0, v1
	s_cbranch_execz .LBB827_3
; %bb.2:
	s_load_b64 s[10:11], s[0:1], 0x78
	s_bcnt1_i32_b32 s9, s9
	s_wait_alu 0xfffe
	v_dual_mov_b32 v2, 0 :: v_dual_mov_b32 v3, s9
	s_wait_kmcnt 0x0
	global_atomic_add_u32 v2, v2, v3, s[10:11] th:TH_ATOMIC_RETURN scope:SCOPE_DEV
.LBB827_3:
	s_or_b32 exec_lo, exec_lo, s8
	s_wait_loadcnt 0x0
	v_readfirstlane_b32 s8, v2
	s_wait_alu 0xf1ff
	s_delay_alu instid0(VALU_DEP_1)
	v_dual_mov_b32 v2, 0 :: v_dual_add_nc_u32 v1, s8, v1
	ds_store_b32 v2, v1
.LBB827_4:
	s_or_b32 exec_lo, exec_lo, s3
	v_mov_b32_e32 v1, 0
	s_clause 0x2
	s_load_b128 s[8:11], s[0:1], 0x8
	s_load_b64 s[16:17], s[0:1], 0x20
	s_load_b32 s0, s[0:1], 0x70
	s_wait_dscnt 0x0
	s_barrier_signal -1
	s_barrier_wait -1
	global_inv scope:SCOPE_SE
	ds_load_b32 v2, v1
	s_wait_loadcnt_dscnt 0x0
	s_barrier_signal -1
	s_barrier_wait -1
	global_inv scope:SCOPE_SE
	s_wait_kmcnt 0x0
	global_load_b64 v[17:18], v1, s[6:7]
	s_mov_b32 s7, 0
	v_lshrrev_b32_e32 v1, 2, v0
	v_or_b32_e32 v10, 0x200, v0
	v_or_b32_e32 v9, 0x300, v0
	s_add_nc_u64 s[8:9], s[10:11], s[8:9]
	s_lshl_b32 s6, s0, 10
	s_add_co_i32 s20, s0, -1
	s_add_nc_u64 s[0:1], s[10:11], s[6:7]
	s_lshl_b32 s6, s20, 10
	v_cmp_le_u64_e64 s1, s[18:19], s[0:1]
	v_readfirstlane_b32 s21, v2
	s_add_co_i32 s0, s10, s6
	s_lshl_b32 s3, s21, 10
	s_cmp_eq_u32 s21, s20
	s_mov_b32 s6, s3
	s_cselect_b32 s19, -1, 0
	s_wait_alu 0xfffe
	s_and_b32 s1, s1, s19
	s_wait_alu 0xfffe
	s_xor_b32 s20, s1, -1
	s_mov_b32 s1, -1
	s_and_b32 vcc_lo, exec_lo, s20
	s_cbranch_vccz .LBB827_6
; %bb.5:
	v_or_b32_e32 v8, 0x100, v0
	s_add_nc_u64 s[22:23], s[6:7], s[8:9]
	v_lshrrev_b32_e32 v11, 2, v10
	v_add_co_u32 v2, s1, s22, v0
	s_delay_alu instid0(VALU_DEP_3)
	v_lshrrev_b32_e32 v8, 2, v8
	v_lshrrev_b32_e32 v12, 2, v9
	s_wait_alu 0xf1fe
	v_add_co_ci_u32_e64 v3, null, s23, 0, s1
	v_and_b32_e32 v13, 56, v1
	v_lshlrev_b32_e32 v14, 3, v0
	v_and_b32_e32 v8, 0x78, v8
	v_add_co_u32 v4, vcc_lo, 0x100, v2
	v_and_b32_e32 v15, 0xb8, v11
	v_and_b32_e32 v16, 0xf8, v12
	v_add_co_ci_u32_e64 v5, null, 0, v3, vcc_lo
	v_add_co_u32 v6, vcc_lo, 0x200, v2
	v_add_nc_u32_e32 v13, v13, v14
	s_wait_alu 0xfffd
	v_add_co_ci_u32_e64 v7, null, 0, v3, vcc_lo
	v_add_co_u32 v11, vcc_lo, 0x300, v2
	v_add_nc_u32_e32 v8, v8, v14
	v_add_nc_u32_e32 v15, v15, v14
	s_wait_alu 0xfffd
	v_add_co_ci_u32_e64 v12, null, 0, v3, vcc_lo
	v_add_nc_u32_e32 v14, v16, v14
	ds_store_b64 v13, v[2:3]
	ds_store_b64 v8, v[4:5] offset:2048
	ds_store_b64 v15, v[6:7] offset:4096
	;; [unrolled: 1-line block ×3, first 2 shown]
	s_wait_loadcnt_dscnt 0x0
	s_barrier_signal -1
	s_mov_b32 s1, s7
	s_barrier_wait -1
.LBB827_6:
	s_sub_co_i32 s3, s18, s0
	s_wait_alu 0xfffe
	s_and_not1_b32 vcc_lo, exec_lo, s1
	v_cmp_gt_u32_e64 s0, s3, v0
	s_wait_alu 0xfffe
	s_cbranch_vccnz .LBB827_8
; %bb.7:
	v_or_b32_e32 v8, 0x100, v0
	s_add_nc_u64 s[8:9], s[8:9], s[6:7]
	v_lshrrev_b32_e32 v13, 2, v10
	s_wait_alu 0xfffe
	v_add_co_u32 v2, s1, s8, v0
	s_wait_alu 0xf1ff
	v_add_co_ci_u32_e64 v3, null, s9, 0, s1
	v_add_co_u32 v4, s1, s8, v8
	s_wait_alu 0xf1ff
	v_add_co_ci_u32_e64 v5, null, s9, 0, s1
	v_cmp_gt_u32_e32 vcc_lo, s3, v8
	v_add_co_u32 v11, s1, s8, v9
	s_wait_alu 0xf1ff
	v_add_co_ci_u32_e64 v12, null, s9, 0, s1
	s_wait_alu 0xfffd
	v_dual_cndmask_b32 v5, 0, v5 :: v_dual_cndmask_b32 v4, 0, v4
	v_cmp_gt_u32_e32 vcc_lo, s3, v9
	v_lshrrev_b32_e32 v8, 2, v8
	v_lshrrev_b32_e32 v14, 2, v9
	v_cndmask_b32_e64 v3, 0, v3, s0
	v_cndmask_b32_e64 v2, 0, v2, s0
	v_add_co_u32 v6, s0, s8, v10
	s_wait_alu 0xfffd
	v_dual_cndmask_b32 v12, 0, v12 :: v_dual_and_b32 v1, 56, v1
	v_lshlrev_b32_e32 v15, 3, v0
	v_dual_cndmask_b32 v11, 0, v11 :: v_dual_and_b32 v8, 0x78, v8
	s_wait_alu 0xf1ff
	v_add_co_ci_u32_e64 v7, null, s9, 0, s0
	v_cmp_gt_u32_e64 s0, s3, v10
	v_and_b32_e32 v13, 0xb8, v13
	v_and_b32_e32 v14, 0xf8, v14
	v_add_nc_u32_e32 v1, v1, v15
	v_add_nc_u32_e32 v8, v8, v15
	s_wait_alu 0xf1ff
	v_cndmask_b32_e64 v7, 0, v7, s0
	v_cndmask_b32_e64 v6, 0, v6, s0
	v_add_nc_u32_e32 v13, v13, v15
	v_add_nc_u32_e32 v14, v14, v15
	ds_store_b64 v1, v[2:3]
	ds_store_b64 v8, v[4:5] offset:2048
	ds_store_b64 v13, v[6:7] offset:4096
	;; [unrolled: 1-line block ×3, first 2 shown]
	s_wait_loadcnt_dscnt 0x0
	s_barrier_signal -1
	s_barrier_wait -1
.LBB827_8:
	v_and_b32_e32 v1, 0xf8, v0
	s_wait_loadcnt 0x0
	global_inv scope:SCOPE_SE
	s_lshl_b64 s[0:1], s[10:11], 1
	v_lshlrev_b32_e32 v11, 1, v0
	v_lshrrev_b32_e32 v28, 5, v0
	v_lshl_add_u32 v1, v0, 5, v1
	s_wait_alu 0xfffe
	s_add_nc_u64 s[0:1], s[16:17], s[0:1]
	s_lshl_b64 s[6:7], s[6:7], 1
	s_and_b32 vcc_lo, exec_lo, s20
	s_wait_alu 0xfffe
	s_add_nc_u64 s[0:1], s[0:1], s[6:7]
	ds_load_2addr_b64 v[5:8], v1 offset1:1
	ds_load_2addr_b64 v[1:4], v1 offset0:2 offset1:3
	s_mov_b32 s6, -1
	s_wait_loadcnt_dscnt 0x0
	s_barrier_signal -1
	s_barrier_wait -1
	global_inv scope:SCOPE_SE
	s_cbranch_vccz .LBB827_10
; %bb.9:
	s_clause 0x3
	global_load_u16 v12, v11, s[0:1]
	global_load_u16 v13, v11, s[0:1] offset:512
	global_load_u16 v14, v11, s[0:1] offset:1024
	;; [unrolled: 1-line block ×3, first 2 shown]
	v_or_b32_e32 v16, 0x100, v0
	v_lshrrev_b32_e32 v19, 5, v10
	v_lshrrev_b32_e32 v20, 5, v9
	v_and_b32_e32 v21, 4, v28
	s_mov_b32 s6, 0
	v_lshrrev_b32_e32 v16, 5, v16
	v_and_b32_e32 v19, 20, v19
	v_and_b32_e32 v20, 28, v20
	v_add_nc_u32_e32 v21, v21, v0
	s_delay_alu instid0(VALU_DEP_4) | instskip(NEXT) | instid1(VALU_DEP_4)
	v_and_b32_e32 v16, 12, v16
	v_add_nc_u32_e32 v19, v19, v0
	s_delay_alu instid0(VALU_DEP_4) | instskip(NEXT) | instid1(VALU_DEP_3)
	v_add_nc_u32_e32 v20, v20, v0
	v_add_nc_u32_e32 v16, v16, v0
	s_wait_loadcnt 0x3
	v_and_b32_e32 v12, 0x7fff, v12
	s_wait_loadcnt 0x2
	v_and_b32_e32 v13, 0x7fff, v13
	;; [unrolled: 2-line block ×4, first 2 shown]
	v_cmp_ne_u16_e32 vcc_lo, 0, v12
	s_wait_alu 0xfffd
	v_cndmask_b32_e64 v12, 0, 1, vcc_lo
	v_cmp_ne_u16_e32 vcc_lo, 0, v13
	s_wait_alu 0xfffd
	v_cndmask_b32_e64 v13, 0, 1, vcc_lo
	;; [unrolled: 3-line block ×4, first 2 shown]
	ds_store_b8 v21, v12
	ds_store_b8 v16, v13 offset:256
	ds_store_b8 v19, v14 offset:512
	;; [unrolled: 1-line block ×3, first 2 shown]
	s_wait_dscnt 0x0
	s_barrier_signal -1
	s_barrier_wait -1
.LBB827_10:
	v_lshlrev_b32_e32 v12, 2, v0
	v_lshrrev_b32_e32 v13, 3, v0
	s_and_not1_b32 vcc_lo, exec_lo, s6
	s_wait_alu 0xfffe
	s_cbranch_vccnz .LBB827_18
; %bb.11:
	v_dual_mov_b32 v14, 0 :: v_dual_mov_b32 v15, 0
	s_mov_b32 s6, exec_lo
	v_cmpx_gt_u32_e64 s3, v0
	s_cbranch_execz .LBB827_13
; %bb.12:
	global_load_u16 v14, v11, s[0:1]
	s_wait_loadcnt 0x0
	v_and_b32_e32 v14, 0x7fff, v14
	s_delay_alu instid0(VALU_DEP_1)
	v_cmp_ne_u16_e32 vcc_lo, 0, v14
	s_wait_alu 0xfffd
	v_cndmask_b32_e64 v14, 0, 1, vcc_lo
	v_cndmask_b32_e64 v15, 0, 1, vcc_lo
.LBB827_13:
	s_or_b32 exec_lo, exec_lo, s6
	v_or_b32_e32 v16, 0x100, v0
	s_mov_b32 s6, exec_lo
	s_delay_alu instid0(VALU_DEP_1)
	v_cmpx_gt_u32_e64 s3, v16
	s_cbranch_execnz .LBB827_132
; %bb.14:
	s_or_b32 exec_lo, exec_lo, s6
	s_delay_alu instid0(SALU_CYCLE_1)
	s_mov_b32 s6, exec_lo
	v_cmpx_gt_u32_e64 s3, v10
	s_cbranch_execnz .LBB827_133
.LBB827_15:
	s_or_b32 exec_lo, exec_lo, s6
	v_cmp_gt_u32_e32 vcc_lo, s3, v9
	s_and_saveexec_b32 s3, vcc_lo
	s_cbranch_execz .LBB827_17
.LBB827_16:
	global_load_u16 v11, v11, s[0:1] offset:1536
	v_lshrrev_b32_e32 v19, 16, v15
	s_wait_loadcnt 0x0
	v_and_b32_e32 v11, 0x7fff, v11
	s_delay_alu instid0(VALU_DEP_1) | instskip(SKIP_2) | instid1(VALU_DEP_1)
	v_cmp_ne_u16_e32 vcc_lo, 0, v11
	s_wait_alu 0xfffd
	v_cndmask_b32_e64 v11, 0, 1, vcc_lo
	v_lshlrev_b16 v11, 8, v11
	s_delay_alu instid0(VALU_DEP_1) | instskip(NEXT) | instid1(VALU_DEP_1)
	v_or_b32_e32 v11, v19, v11
	v_lshlrev_b32_e32 v11, 16, v11
	s_delay_alu instid0(VALU_DEP_1)
	v_and_or_b32 v15, 0xffff, v15, v11
.LBB827_17:
	s_wait_alu 0xfffe
	s_or_b32 exec_lo, exec_lo, s3
	v_lshrrev_b32_e32 v11, 5, v16
	v_lshrrev_b32_e32 v10, 5, v10
	v_lshrrev_b32_e32 v9, 5, v9
	v_and_b32_e32 v16, 4, v28
	v_lshrrev_b32_e32 v19, 8, v15
	v_and_b32_e32 v11, 12, v11
	v_and_b32_e32 v10, 28, v10
	;; [unrolled: 1-line block ×3, first 2 shown]
	v_add_nc_u32_e32 v16, v16, v0
	v_lshrrev_b32_e32 v20, 24, v15
	v_add_nc_u32_e32 v11, v11, v0
	v_add_nc_u32_e32 v10, v10, v0
	;; [unrolled: 1-line block ×3, first 2 shown]
	ds_store_b8 v16, v14
	ds_store_b8 v11, v19 offset:256
	ds_store_b8_d16_hi v10, v15 offset:512
	ds_store_b8 v9, v20 offset:768
	s_wait_loadcnt_dscnt 0x0
	s_barrier_signal -1
	s_barrier_wait -1
.LBB827_18:
	s_delay_alu instid0(VALU_DEP_1)
	v_dual_mov_b32 v10, 0 :: v_dual_and_b32 v9, 28, v13
	s_wait_loadcnt 0x0
	global_inv scope:SCOPE_SE
	v_mbcnt_lo_u32_b32 v33, -1, 0
	s_cmp_lg_u32 s21, 0
	v_add_nc_u32_e32 v9, v9, v12
	s_mov_b32 s1, -1
	s_delay_alu instid0(VALU_DEP_2)
	v_and_b32_e32 v34, 15, v33
	ds_load_b32 v29, v9
	s_wait_loadcnt_dscnt 0x0
	s_barrier_signal -1
	s_barrier_wait -1
	global_inv scope:SCOPE_SE
	v_and_b32_e32 v32, 0xff, v29
	v_bfe_u32 v31, v29, 8, 8
	v_bfe_u32 v30, v29, 16, 8
	v_lshrrev_b32_e32 v27, 24, v29
	s_delay_alu instid0(VALU_DEP_2) | instskip(NEXT) | instid1(VALU_DEP_1)
	v_add3_u32 v9, v31, v32, v30
	v_add_co_u32 v19, s0, v9, v27
	s_wait_alu 0xf1ff
	v_add_co_ci_u32_e64 v20, null, 0, 0, s0
	v_cmp_ne_u32_e64 s0, 0, v34
	s_cbranch_scc0 .LBB827_75
; %bb.19:
	v_mov_b32_e32 v11, v19
	v_mov_b32_dpp v9, v19 row_shr:1 row_mask:0xf bank_mask:0xf
	v_mov_b32_dpp v14, v10 row_shr:1 row_mask:0xf bank_mask:0xf
	v_dual_mov_b32 v13, v19 :: v_dual_mov_b32 v12, v20
	s_and_saveexec_b32 s1, s0
; %bb.20:
	s_delay_alu instid0(VALU_DEP_3) | instskip(SKIP_2) | instid1(VALU_DEP_2)
	v_add_co_u32 v13, vcc_lo, v19, v9
	s_wait_alu 0xfffd
	v_add_co_ci_u32_e64 v10, null, 0, v20, vcc_lo
	v_add_co_u32 v9, vcc_lo, 0, v13
	s_wait_alu 0xfffd
	s_delay_alu instid0(VALU_DEP_2) | instskip(NEXT) | instid1(VALU_DEP_1)
	v_add_co_ci_u32_e64 v10, null, v14, v10, vcc_lo
	v_dual_mov_b32 v12, v10 :: v_dual_mov_b32 v11, v9
; %bb.21:
	s_wait_alu 0xfffe
	s_or_b32 exec_lo, exec_lo, s1
	v_mov_b32_dpp v9, v13 row_shr:2 row_mask:0xf bank_mask:0xf
	v_mov_b32_dpp v14, v10 row_shr:2 row_mask:0xf bank_mask:0xf
	s_mov_b32 s1, exec_lo
	v_cmpx_lt_u32_e32 1, v34
; %bb.22:
	s_delay_alu instid0(VALU_DEP_3) | instskip(SKIP_2) | instid1(VALU_DEP_2)
	v_add_co_u32 v13, vcc_lo, v11, v9
	s_wait_alu 0xfffd
	v_add_co_ci_u32_e64 v10, null, 0, v12, vcc_lo
	v_add_co_u32 v9, vcc_lo, 0, v13
	s_wait_alu 0xfffd
	s_delay_alu instid0(VALU_DEP_2) | instskip(NEXT) | instid1(VALU_DEP_1)
	v_add_co_ci_u32_e64 v10, null, v14, v10, vcc_lo
	v_dual_mov_b32 v12, v10 :: v_dual_mov_b32 v11, v9
; %bb.23:
	s_wait_alu 0xfffe
	s_or_b32 exec_lo, exec_lo, s1
	v_mov_b32_dpp v9, v13 row_shr:4 row_mask:0xf bank_mask:0xf
	v_mov_b32_dpp v14, v10 row_shr:4 row_mask:0xf bank_mask:0xf
	s_mov_b32 s1, exec_lo
	v_cmpx_lt_u32_e32 3, v34
	;; [unrolled: 17-line block ×3, first 2 shown]
; %bb.26:
	s_delay_alu instid0(VALU_DEP_3) | instskip(SKIP_2) | instid1(VALU_DEP_2)
	v_add_co_u32 v13, vcc_lo, v11, v14
	s_wait_alu 0xfffd
	v_add_co_ci_u32_e64 v10, null, 0, v12, vcc_lo
	v_add_co_u32 v11, vcc_lo, 0, v13
	s_wait_alu 0xfffd
	s_delay_alu instid0(VALU_DEP_2) | instskip(NEXT) | instid1(VALU_DEP_1)
	v_add_co_ci_u32_e64 v12, null, v9, v10, vcc_lo
	v_mov_b32_e32 v10, v12
; %bb.27:
	s_wait_alu 0xfffe
	s_or_b32 exec_lo, exec_lo, s1
	ds_swizzle_b32 v9, v13 offset:swizzle(BROADCAST,32,15)
	ds_swizzle_b32 v14, v10 offset:swizzle(BROADCAST,32,15)
	v_and_b32_e32 v15, 16, v33
	s_mov_b32 s1, exec_lo
	s_delay_alu instid0(VALU_DEP_1)
	v_cmpx_ne_u32_e32 0, v15
	s_cbranch_execz .LBB827_29
; %bb.28:
	s_wait_dscnt 0x1
	v_add_co_u32 v13, vcc_lo, v11, v9
	s_wait_alu 0xfffd
	v_add_co_ci_u32_e64 v10, null, 0, v12, vcc_lo
	s_delay_alu instid0(VALU_DEP_2) | instskip(SKIP_2) | instid1(VALU_DEP_2)
	v_add_co_u32 v9, vcc_lo, 0, v13
	s_wait_dscnt 0x0
	s_wait_alu 0xfffd
	v_add_co_ci_u32_e64 v10, null, v14, v10, vcc_lo
	s_delay_alu instid0(VALU_DEP_1)
	v_dual_mov_b32 v12, v10 :: v_dual_mov_b32 v11, v9
.LBB827_29:
	s_wait_alu 0xfffe
	s_or_b32 exec_lo, exec_lo, s1
	s_wait_dscnt 0x1
	v_or_b32_e32 v9, 31, v0
	s_mov_b32 s1, exec_lo
	s_delay_alu instid0(VALU_DEP_1)
	v_cmpx_eq_u32_e64 v0, v9
; %bb.30:
	v_lshlrev_b32_e32 v9, 3, v28
	ds_store_b64 v9, v[11:12]
; %bb.31:
	s_wait_alu 0xfffe
	s_or_b32 exec_lo, exec_lo, s1
	s_delay_alu instid0(SALU_CYCLE_1)
	s_mov_b32 s1, exec_lo
	s_wait_loadcnt_dscnt 0x0
	s_barrier_signal -1
	s_barrier_wait -1
	global_inv scope:SCOPE_SE
	v_cmpx_gt_u32_e32 8, v0
	s_cbranch_execz .LBB827_39
; %bb.32:
	v_lshlrev_b32_e32 v9, 3, v0
	s_mov_b32 s3, exec_lo
	ds_load_b64 v[11:12], v9
	s_wait_dscnt 0x0
	v_dual_mov_b32 v15, v11 :: v_dual_and_b32 v14, 7, v33
	v_mov_b32_dpp v21, v11 row_shr:1 row_mask:0xf bank_mask:0xf
	v_mov_b32_dpp v16, v12 row_shr:1 row_mask:0xf bank_mask:0xf
	s_delay_alu instid0(VALU_DEP_3)
	v_cmpx_ne_u32_e32 0, v14
; %bb.33:
	s_delay_alu instid0(VALU_DEP_3) | instskip(SKIP_2) | instid1(VALU_DEP_2)
	v_add_co_u32 v15, vcc_lo, v11, v21
	s_wait_alu 0xfffd
	v_add_co_ci_u32_e64 v12, null, 0, v12, vcc_lo
	v_add_co_u32 v11, vcc_lo, 0, v15
	s_wait_alu 0xfffd
	s_delay_alu instid0(VALU_DEP_2)
	v_add_co_ci_u32_e64 v12, null, v16, v12, vcc_lo
; %bb.34:
	s_wait_alu 0xfffe
	s_or_b32 exec_lo, exec_lo, s3
	v_mov_b32_dpp v21, v15 row_shr:2 row_mask:0xf bank_mask:0xf
	s_delay_alu instid0(VALU_DEP_2)
	v_mov_b32_dpp v16, v12 row_shr:2 row_mask:0xf bank_mask:0xf
	s_mov_b32 s3, exec_lo
	v_cmpx_lt_u32_e32 1, v14
; %bb.35:
	s_delay_alu instid0(VALU_DEP_3) | instskip(SKIP_2) | instid1(VALU_DEP_2)
	v_add_co_u32 v15, vcc_lo, v11, v21
	s_wait_alu 0xfffd
	v_add_co_ci_u32_e64 v12, null, 0, v12, vcc_lo
	v_add_co_u32 v11, vcc_lo, 0, v15
	s_wait_alu 0xfffd
	s_delay_alu instid0(VALU_DEP_2)
	v_add_co_ci_u32_e64 v12, null, v16, v12, vcc_lo
; %bb.36:
	s_wait_alu 0xfffe
	s_or_b32 exec_lo, exec_lo, s3
	v_mov_b32_dpp v16, v15 row_shr:4 row_mask:0xf bank_mask:0xf
	s_delay_alu instid0(VALU_DEP_2)
	v_mov_b32_dpp v15, v12 row_shr:4 row_mask:0xf bank_mask:0xf
	s_mov_b32 s3, exec_lo
	v_cmpx_lt_u32_e32 3, v14
; %bb.37:
	s_delay_alu instid0(VALU_DEP_3) | instskip(SKIP_2) | instid1(VALU_DEP_2)
	v_add_co_u32 v11, vcc_lo, v11, v16
	s_wait_alu 0xfffd
	v_add_co_ci_u32_e64 v12, null, 0, v12, vcc_lo
	v_add_co_u32 v11, vcc_lo, v11, 0
	s_wait_alu 0xfffd
	s_delay_alu instid0(VALU_DEP_2)
	v_add_co_ci_u32_e64 v12, null, v12, v15, vcc_lo
; %bb.38:
	s_wait_alu 0xfffe
	s_or_b32 exec_lo, exec_lo, s3
	ds_store_b64 v9, v[11:12]
.LBB827_39:
	s_wait_alu 0xfffe
	s_or_b32 exec_lo, exec_lo, s1
	s_delay_alu instid0(SALU_CYCLE_1)
	s_mov_b32 s3, exec_lo
	v_cmp_gt_u32_e32 vcc_lo, 32, v0
	s_wait_loadcnt_dscnt 0x0
	s_barrier_signal -1
	s_barrier_wait -1
	global_inv scope:SCOPE_SE
                                        ; implicit-def: $vgpr21_vgpr22
	v_cmpx_lt_u32_e32 31, v0
	s_cbranch_execz .LBB827_41
; %bb.40:
	v_lshl_add_u32 v9, v28, 3, -8
	ds_load_b64 v[21:22], v9
	s_wait_dscnt 0x0
	v_add_co_u32 v13, s1, v13, v21
	s_wait_alu 0xf1ff
	v_add_co_ci_u32_e64 v10, null, v10, v22, s1
.LBB827_41:
	s_wait_alu 0xfffe
	s_or_b32 exec_lo, exec_lo, s3
	v_sub_co_u32 v9, s1, v33, 1
	s_delay_alu instid0(VALU_DEP_1) | instskip(SKIP_1) | instid1(VALU_DEP_1)
	v_cmp_gt_i32_e64 s3, 0, v9
	s_wait_alu 0xf1ff
	v_cndmask_b32_e64 v9, v9, v33, s3
	s_delay_alu instid0(VALU_DEP_1)
	v_lshlrev_b32_e32 v9, 2, v9
	ds_bpermute_b32 v35, v9, v13
	ds_bpermute_b32 v36, v9, v10
	s_and_saveexec_b32 s3, vcc_lo
	s_cbranch_execz .LBB827_80
; %bb.42:
	v_mov_b32_e32 v12, 0
	ds_load_b64 v[9:10], v12 offset:56
	s_and_saveexec_b32 s6, s1
	s_cbranch_execz .LBB827_44
; %bb.43:
	s_add_co_i32 s8, s21, 32
	s_mov_b32 s9, 0
	s_wait_alu 0xfffe
	s_lshl_b64 s[8:9], s[8:9], 4
	s_wait_alu 0xfffe
	s_add_nc_u64 s[8:9], s[14:15], s[8:9]
	s_wait_alu 0xfffe
	v_dual_mov_b32 v11, 1 :: v_dual_mov_b32 v14, s9
	v_mov_b32_e32 v13, s8
	s_wait_dscnt 0x0
	;;#ASMSTART
	global_store_b128 v[13:14], v[9:12] off scope:SCOPE_DEV	
s_wait_storecnt 0x0
	;;#ASMEND
.LBB827_44:
	s_or_b32 exec_lo, exec_lo, s6
	v_xad_u32 v23, v33, -1, s21
	s_mov_b32 s7, 0
	s_mov_b32 s6, exec_lo
	s_delay_alu instid0(VALU_DEP_1) | instskip(NEXT) | instid1(VALU_DEP_1)
	v_add_nc_u32_e32 v11, 32, v23
	v_lshlrev_b64_e32 v[11:12], 4, v[11:12]
	s_delay_alu instid0(VALU_DEP_1) | instskip(SKIP_1) | instid1(VALU_DEP_2)
	v_add_co_u32 v11, vcc_lo, s14, v11
	s_wait_alu 0xfffd
	v_add_co_ci_u32_e64 v12, null, s15, v12, vcc_lo
	;;#ASMSTART
	global_load_b128 v[13:16], v[11:12] off scope:SCOPE_DEV	
s_wait_loadcnt 0x0
	;;#ASMEND
	v_and_b32_e32 v16, 0xff, v15
	s_delay_alu instid0(VALU_DEP_1)
	v_cmpx_eq_u16_e32 0, v16
	s_cbranch_execz .LBB827_47
.LBB827_45:                             ; =>This Inner Loop Header: Depth=1
	;;#ASMSTART
	global_load_b128 v[13:16], v[11:12] off scope:SCOPE_DEV	
s_wait_loadcnt 0x0
	;;#ASMEND
	v_and_b32_e32 v16, 0xff, v15
	s_delay_alu instid0(VALU_DEP_1) | instskip(SKIP_1) | instid1(SALU_CYCLE_1)
	v_cmp_ne_u16_e32 vcc_lo, 0, v16
	s_or_b32 s7, vcc_lo, s7
	s_and_not1_b32 exec_lo, exec_lo, s7
	s_cbranch_execnz .LBB827_45
; %bb.46:
	s_or_b32 exec_lo, exec_lo, s7
.LBB827_47:
	s_delay_alu instid0(SALU_CYCLE_1)
	s_or_b32 exec_lo, exec_lo, s6
	v_cmp_ne_u32_e32 vcc_lo, 31, v33
	v_and_b32_e32 v12, 0xff, v15
	v_lshlrev_b32_e64 v38, v33, -1
	s_mov_b32 s6, exec_lo
	s_wait_alu 0xfffd
	v_add_co_ci_u32_e64 v11, null, 0, v33, vcc_lo
	v_cmp_eq_u16_e32 vcc_lo, 2, v12
	s_delay_alu instid0(VALU_DEP_2)
	v_dual_mov_b32 v12, v13 :: v_dual_lshlrev_b32 v37, 2, v11
	s_wait_alu 0xfffd
	v_and_or_b32 v11, vcc_lo, v38, 0x80000000
	ds_bpermute_b32 v24, v37, v13
	ds_bpermute_b32 v16, v37, v14
	v_ctz_i32_b32_e32 v11, v11
	s_delay_alu instid0(VALU_DEP_1)
	v_cmpx_lt_u32_e64 v33, v11
	s_cbranch_execz .LBB827_49
; %bb.48:
	s_wait_dscnt 0x1
	v_add_co_u32 v12, vcc_lo, v13, v24
	s_wait_alu 0xfffd
	v_add_co_ci_u32_e64 v14, null, 0, v14, vcc_lo
	s_delay_alu instid0(VALU_DEP_2) | instskip(SKIP_2) | instid1(VALU_DEP_2)
	v_add_co_u32 v13, vcc_lo, 0, v12
	s_wait_dscnt 0x0
	s_wait_alu 0xfffd
	v_add_co_ci_u32_e64 v14, null, v16, v14, vcc_lo
.LBB827_49:
	s_or_b32 exec_lo, exec_lo, s6
	v_cmp_gt_u32_e32 vcc_lo, 30, v33
	v_add_nc_u32_e32 v40, 2, v33
	s_mov_b32 s6, exec_lo
	s_wait_dscnt 0x0
	s_wait_alu 0xfffd
	v_cndmask_b32_e64 v16, 0, 2, vcc_lo
	s_delay_alu instid0(VALU_DEP_1)
	v_add_lshl_u32 v39, v16, v33, 2
	ds_bpermute_b32 v24, v39, v12
	ds_bpermute_b32 v16, v39, v14
	v_cmpx_le_u32_e64 v40, v11
	s_cbranch_execz .LBB827_51
; %bb.50:
	s_wait_dscnt 0x1
	v_add_co_u32 v12, vcc_lo, v13, v24
	s_wait_alu 0xfffd
	v_add_co_ci_u32_e64 v14, null, 0, v14, vcc_lo
	s_delay_alu instid0(VALU_DEP_2) | instskip(SKIP_2) | instid1(VALU_DEP_2)
	v_add_co_u32 v13, vcc_lo, 0, v12
	s_wait_dscnt 0x0
	s_wait_alu 0xfffd
	v_add_co_ci_u32_e64 v14, null, v16, v14, vcc_lo
.LBB827_51:
	s_or_b32 exec_lo, exec_lo, s6
	v_cmp_gt_u32_e32 vcc_lo, 28, v33
	v_add_nc_u32_e32 v42, 4, v33
	s_mov_b32 s6, exec_lo
	s_wait_dscnt 0x0
	s_wait_alu 0xfffd
	v_cndmask_b32_e64 v16, 0, 4, vcc_lo
	s_delay_alu instid0(VALU_DEP_1)
	v_add_lshl_u32 v41, v16, v33, 2
	ds_bpermute_b32 v24, v41, v12
	ds_bpermute_b32 v16, v41, v14
	v_cmpx_le_u32_e64 v42, v11
	;; [unrolled: 24-line block ×3, first 2 shown]
	s_cbranch_execz .LBB827_55
; %bb.54:
	s_wait_dscnt 0x1
	v_add_co_u32 v12, vcc_lo, v13, v24
	s_wait_alu 0xfffd
	v_add_co_ci_u32_e64 v14, null, 0, v14, vcc_lo
	s_delay_alu instid0(VALU_DEP_2) | instskip(SKIP_2) | instid1(VALU_DEP_2)
	v_add_co_u32 v13, vcc_lo, 0, v12
	s_wait_dscnt 0x0
	s_wait_alu 0xfffd
	v_add_co_ci_u32_e64 v14, null, v16, v14, vcc_lo
.LBB827_55:
	s_or_b32 exec_lo, exec_lo, s6
	v_lshl_or_b32 v45, v33, 2, 64
	v_add_nc_u32_e32 v46, 16, v33
	s_mov_b32 s6, exec_lo
	s_wait_dscnt 0x0
	ds_bpermute_b32 v16, v45, v12
	ds_bpermute_b32 v12, v45, v14
	v_cmpx_le_u32_e64 v46, v11
	s_cbranch_execz .LBB827_57
; %bb.56:
	s_wait_dscnt 0x1
	v_add_co_u32 v11, vcc_lo, v13, v16
	s_wait_alu 0xfffd
	v_add_co_ci_u32_e64 v14, null, 0, v14, vcc_lo
	s_delay_alu instid0(VALU_DEP_2) | instskip(SKIP_2) | instid1(VALU_DEP_2)
	v_add_co_u32 v13, vcc_lo, v11, 0
	s_wait_dscnt 0x0
	s_wait_alu 0xfffd
	v_add_co_ci_u32_e64 v14, null, v14, v12, vcc_lo
.LBB827_57:
	s_or_b32 exec_lo, exec_lo, s6
	v_mov_b32_e32 v24, 0
	s_branch .LBB827_60
.LBB827_58:                             ;   in Loop: Header=BB827_60 Depth=1
	s_or_b32 exec_lo, exec_lo, s6
	v_add_co_u32 v13, vcc_lo, v13, v11
	v_subrev_nc_u32_e32 v23, 32, v23
	s_wait_alu 0xfffd
	v_add_co_ci_u32_e64 v14, null, v14, v12, vcc_lo
	s_mov_b32 s6, 0
.LBB827_59:                             ;   in Loop: Header=BB827_60 Depth=1
	s_delay_alu instid0(SALU_CYCLE_1)
	s_and_b32 vcc_lo, exec_lo, s6
	s_wait_alu 0xfffe
	s_cbranch_vccnz .LBB827_76
.LBB827_60:                             ; =>This Loop Header: Depth=1
                                        ;     Child Loop BB827_63 Depth 2
	v_and_b32_e32 v11, 0xff, v15
	s_mov_b32 s6, -1
	s_delay_alu instid0(VALU_DEP_1)
	v_cmp_ne_u16_e32 vcc_lo, 2, v11
	s_wait_dscnt 0x0
	v_dual_mov_b32 v11, v13 :: v_dual_mov_b32 v12, v14
                                        ; implicit-def: $vgpr13_vgpr14
	s_cmp_lg_u32 vcc_lo, exec_lo
	s_cbranch_scc1 .LBB827_59
; %bb.61:                               ;   in Loop: Header=BB827_60 Depth=1
	v_lshlrev_b64_e32 v[13:14], 4, v[23:24]
	s_mov_b32 s6, exec_lo
	s_delay_alu instid0(VALU_DEP_1) | instskip(SKIP_1) | instid1(VALU_DEP_2)
	v_add_co_u32 v25, vcc_lo, s14, v13
	s_wait_alu 0xfffd
	v_add_co_ci_u32_e64 v26, null, s15, v14, vcc_lo
	;;#ASMSTART
	global_load_b128 v[13:16], v[25:26] off scope:SCOPE_DEV	
s_wait_loadcnt 0x0
	;;#ASMEND
	v_and_b32_e32 v16, 0xff, v15
	s_delay_alu instid0(VALU_DEP_1)
	v_cmpx_eq_u16_e32 0, v16
	s_cbranch_execz .LBB827_65
; %bb.62:                               ;   in Loop: Header=BB827_60 Depth=1
	s_mov_b32 s7, 0
.LBB827_63:                             ;   Parent Loop BB827_60 Depth=1
                                        ; =>  This Inner Loop Header: Depth=2
	;;#ASMSTART
	global_load_b128 v[13:16], v[25:26] off scope:SCOPE_DEV	
s_wait_loadcnt 0x0
	;;#ASMEND
	v_and_b32_e32 v16, 0xff, v15
	s_delay_alu instid0(VALU_DEP_1) | instskip(SKIP_1) | instid1(SALU_CYCLE_1)
	v_cmp_ne_u16_e32 vcc_lo, 0, v16
	s_or_b32 s7, vcc_lo, s7
	s_and_not1_b32 exec_lo, exec_lo, s7
	s_cbranch_execnz .LBB827_63
; %bb.64:                               ;   in Loop: Header=BB827_60 Depth=1
	s_or_b32 exec_lo, exec_lo, s7
.LBB827_65:                             ;   in Loop: Header=BB827_60 Depth=1
	s_delay_alu instid0(SALU_CYCLE_1)
	s_or_b32 exec_lo, exec_lo, s6
	v_dual_mov_b32 v25, v13 :: v_dual_and_b32 v16, 0xff, v15
	ds_bpermute_b32 v47, v37, v13
	ds_bpermute_b32 v26, v37, v14
	s_mov_b32 s6, exec_lo
	v_cmp_eq_u16_e32 vcc_lo, 2, v16
	s_wait_alu 0xfffd
	v_and_or_b32 v16, vcc_lo, v38, 0x80000000
	s_delay_alu instid0(VALU_DEP_1) | instskip(NEXT) | instid1(VALU_DEP_1)
	v_ctz_i32_b32_e32 v16, v16
	v_cmpx_lt_u32_e64 v33, v16
	s_cbranch_execz .LBB827_67
; %bb.66:                               ;   in Loop: Header=BB827_60 Depth=1
	s_wait_dscnt 0x1
	v_add_co_u32 v25, vcc_lo, v13, v47
	s_wait_alu 0xfffd
	v_add_co_ci_u32_e64 v14, null, 0, v14, vcc_lo
	s_delay_alu instid0(VALU_DEP_2) | instskip(SKIP_2) | instid1(VALU_DEP_2)
	v_add_co_u32 v13, vcc_lo, 0, v25
	s_wait_dscnt 0x0
	s_wait_alu 0xfffd
	v_add_co_ci_u32_e64 v14, null, v26, v14, vcc_lo
.LBB827_67:                             ;   in Loop: Header=BB827_60 Depth=1
	s_or_b32 exec_lo, exec_lo, s6
	s_wait_dscnt 0x1
	ds_bpermute_b32 v47, v39, v25
	s_wait_dscnt 0x1
	ds_bpermute_b32 v26, v39, v14
	s_mov_b32 s6, exec_lo
	v_cmpx_le_u32_e64 v40, v16
	s_cbranch_execz .LBB827_69
; %bb.68:                               ;   in Loop: Header=BB827_60 Depth=1
	s_wait_dscnt 0x1
	v_add_co_u32 v25, vcc_lo, v13, v47
	s_wait_alu 0xfffd
	v_add_co_ci_u32_e64 v14, null, 0, v14, vcc_lo
	s_delay_alu instid0(VALU_DEP_2) | instskip(SKIP_2) | instid1(VALU_DEP_2)
	v_add_co_u32 v13, vcc_lo, 0, v25
	s_wait_dscnt 0x0
	s_wait_alu 0xfffd
	v_add_co_ci_u32_e64 v14, null, v26, v14, vcc_lo
.LBB827_69:                             ;   in Loop: Header=BB827_60 Depth=1
	s_or_b32 exec_lo, exec_lo, s6
	s_wait_dscnt 0x1
	ds_bpermute_b32 v47, v41, v25
	s_wait_dscnt 0x1
	ds_bpermute_b32 v26, v41, v14
	s_mov_b32 s6, exec_lo
	v_cmpx_le_u32_e64 v42, v16
	;; [unrolled: 19-line block ×3, first 2 shown]
	s_cbranch_execz .LBB827_73
; %bb.72:                               ;   in Loop: Header=BB827_60 Depth=1
	s_wait_dscnt 0x1
	v_add_co_u32 v25, vcc_lo, v13, v47
	s_wait_alu 0xfffd
	v_add_co_ci_u32_e64 v14, null, 0, v14, vcc_lo
	s_delay_alu instid0(VALU_DEP_2) | instskip(SKIP_2) | instid1(VALU_DEP_2)
	v_add_co_u32 v13, vcc_lo, 0, v25
	s_wait_dscnt 0x0
	s_wait_alu 0xfffd
	v_add_co_ci_u32_e64 v14, null, v26, v14, vcc_lo
.LBB827_73:                             ;   in Loop: Header=BB827_60 Depth=1
	s_or_b32 exec_lo, exec_lo, s6
	s_wait_dscnt 0x0
	ds_bpermute_b32 v26, v45, v25
	ds_bpermute_b32 v25, v45, v14
	s_mov_b32 s6, exec_lo
	v_cmpx_le_u32_e64 v46, v16
	s_cbranch_execz .LBB827_58
; %bb.74:                               ;   in Loop: Header=BB827_60 Depth=1
	s_wait_dscnt 0x1
	v_add_co_u32 v13, vcc_lo, v13, v26
	s_wait_alu 0xfffd
	v_add_co_ci_u32_e64 v14, null, 0, v14, vcc_lo
	s_delay_alu instid0(VALU_DEP_2) | instskip(SKIP_2) | instid1(VALU_DEP_2)
	v_add_co_u32 v13, vcc_lo, v13, 0
	s_wait_dscnt 0x0
	s_wait_alu 0xfffd
	v_add_co_ci_u32_e64 v14, null, v14, v25, vcc_lo
	s_branch .LBB827_58
.LBB827_75:
                                        ; implicit-def: $vgpr15_vgpr16
                                        ; implicit-def: $vgpr13_vgpr14
                                        ; implicit-def: $vgpr21_vgpr22
                                        ; implicit-def: $vgpr23_vgpr24
                                        ; implicit-def: $vgpr11_vgpr12
	s_wait_alu 0xfffe
	s_and_b32 vcc_lo, exec_lo, s1
	s_wait_alu 0xfffe
	s_cbranch_vccnz .LBB827_81
	s_branch .LBB827_106
.LBB827_76:
	s_and_saveexec_b32 s6, s1
	s_cbranch_execz .LBB827_78
; %bb.77:
	s_add_co_i32 s8, s21, 32
	s_mov_b32 s9, 0
	v_add_co_u32 v13, vcc_lo, v11, v9
	s_wait_alu 0xfffe
	s_lshl_b64 s[8:9], s[8:9], 4
	v_dual_mov_b32 v15, 2 :: v_dual_mov_b32 v16, 0
	s_wait_alu 0xfffe
	s_add_nc_u64 s[8:9], s[14:15], s[8:9]
	s_wait_alu 0xfffd
	v_add_co_ci_u32_e64 v14, null, v12, v10, vcc_lo
	s_wait_alu 0xfffe
	v_dual_mov_b32 v24, s9 :: v_dual_mov_b32 v23, s8
	;;#ASMSTART
	global_store_b128 v[23:24], v[13:16] off scope:SCOPE_DEV	
s_wait_storecnt 0x0
	;;#ASMEND
	ds_store_b128 v16, v[9:12] offset:8448
.LBB827_78:
	s_or_b32 exec_lo, exec_lo, s6
	s_delay_alu instid0(SALU_CYCLE_1)
	s_and_b32 exec_lo, exec_lo, s2
; %bb.79:
	v_mov_b32_e32 v9, 0
	ds_store_b64 v9, v[11:12] offset:56
.LBB827_80:
	s_wait_alu 0xfffe
	s_or_b32 exec_lo, exec_lo, s3
	v_mov_b32_e32 v9, 0
	s_wait_loadcnt_dscnt 0x0
	s_barrier_signal -1
	s_barrier_wait -1
	global_inv scope:SCOPE_SE
	ds_load_b64 v[13:14], v9 offset:56
	v_cndmask_b32_e64 v11, v35, v21, s1
	v_cndmask_b32_e64 v10, v36, v22, s1
	s_wait_loadcnt_dscnt 0x0
	s_barrier_signal -1
	s_barrier_wait -1
	v_cndmask_b32_e64 v16, v11, 0, s2
	v_cndmask_b32_e64 v15, v10, 0, s2
	global_inv scope:SCOPE_SE
	ds_load_b128 v[9:12], v9 offset:8448
	v_add_co_u32 v23, vcc_lo, v13, v16
	s_wait_alu 0xfffd
	v_add_co_ci_u32_e64 v24, null, v14, v15, vcc_lo
	s_delay_alu instid0(VALU_DEP_2) | instskip(SKIP_1) | instid1(VALU_DEP_2)
	v_add_co_u32 v21, vcc_lo, v23, v32
	s_wait_alu 0xfffd
	v_add_co_ci_u32_e64 v22, null, 0, v24, vcc_lo
	s_delay_alu instid0(VALU_DEP_2) | instskip(SKIP_1) | instid1(VALU_DEP_2)
	v_add_co_u32 v13, vcc_lo, v21, v31
	s_wait_alu 0xfffd
	v_add_co_ci_u32_e64 v14, null, 0, v22, vcc_lo
	s_delay_alu instid0(VALU_DEP_2) | instskip(SKIP_1) | instid1(VALU_DEP_2)
	v_add_co_u32 v15, vcc_lo, v13, v30
	s_wait_alu 0xfffd
	v_add_co_ci_u32_e64 v16, null, 0, v14, vcc_lo
	s_branch .LBB827_106
.LBB827_81:
	s_wait_dscnt 0x0
	v_dual_mov_b32 v10, 0 :: v_dual_mov_b32 v11, v19
	v_mov_b32_dpp v12, v19 row_shr:1 row_mask:0xf bank_mask:0xf
	s_delay_alu instid0(VALU_DEP_2)
	v_mov_b32_dpp v9, v10 row_shr:1 row_mask:0xf bank_mask:0xf
	s_and_saveexec_b32 s1, s0
; %bb.82:
	s_delay_alu instid0(VALU_DEP_2) | instskip(SKIP_2) | instid1(VALU_DEP_2)
	v_add_co_u32 v11, vcc_lo, v19, v12
	s_wait_alu 0xfffd
	v_add_co_ci_u32_e64 v10, null, 0, v20, vcc_lo
	v_add_co_u32 v19, vcc_lo, 0, v11
	s_wait_alu 0xfffd
	s_delay_alu instid0(VALU_DEP_2) | instskip(NEXT) | instid1(VALU_DEP_1)
	v_add_co_ci_u32_e64 v20, null, v9, v10, vcc_lo
	v_mov_b32_e32 v10, v20
; %bb.83:
	s_wait_alu 0xfffe
	s_or_b32 exec_lo, exec_lo, s1
	v_mov_b32_dpp v9, v11 row_shr:2 row_mask:0xf bank_mask:0xf
	s_delay_alu instid0(VALU_DEP_2)
	v_mov_b32_dpp v12, v10 row_shr:2 row_mask:0xf bank_mask:0xf
	s_mov_b32 s0, exec_lo
	v_cmpx_lt_u32_e32 1, v34
; %bb.84:
	s_delay_alu instid0(VALU_DEP_3) | instskip(SKIP_2) | instid1(VALU_DEP_2)
	v_add_co_u32 v11, vcc_lo, v19, v9
	s_wait_alu 0xfffd
	v_add_co_ci_u32_e64 v10, null, 0, v20, vcc_lo
	v_add_co_u32 v9, vcc_lo, 0, v11
	s_wait_alu 0xfffd
	s_delay_alu instid0(VALU_DEP_2) | instskip(NEXT) | instid1(VALU_DEP_1)
	v_add_co_ci_u32_e64 v10, null, v12, v10, vcc_lo
	v_dual_mov_b32 v20, v10 :: v_dual_mov_b32 v19, v9
; %bb.85:
	s_wait_alu 0xfffe
	s_or_b32 exec_lo, exec_lo, s0
	v_mov_b32_dpp v9, v11 row_shr:4 row_mask:0xf bank_mask:0xf
	v_mov_b32_dpp v12, v10 row_shr:4 row_mask:0xf bank_mask:0xf
	s_mov_b32 s0, exec_lo
	v_cmpx_lt_u32_e32 3, v34
; %bb.86:
	s_delay_alu instid0(VALU_DEP_3) | instskip(SKIP_2) | instid1(VALU_DEP_2)
	v_add_co_u32 v11, vcc_lo, v19, v9
	s_wait_alu 0xfffd
	v_add_co_ci_u32_e64 v10, null, 0, v20, vcc_lo
	v_add_co_u32 v9, vcc_lo, 0, v11
	s_wait_alu 0xfffd
	s_delay_alu instid0(VALU_DEP_2) | instskip(NEXT) | instid1(VALU_DEP_1)
	v_add_co_ci_u32_e64 v10, null, v12, v10, vcc_lo
	v_dual_mov_b32 v20, v10 :: v_dual_mov_b32 v19, v9
; %bb.87:
	s_wait_alu 0xfffe
	s_or_b32 exec_lo, exec_lo, s0
	v_mov_b32_dpp v12, v11 row_shr:8 row_mask:0xf bank_mask:0xf
	v_mov_b32_dpp v9, v10 row_shr:8 row_mask:0xf bank_mask:0xf
	s_mov_b32 s0, exec_lo
	v_cmpx_lt_u32_e32 7, v34
; %bb.88:
	s_delay_alu instid0(VALU_DEP_3) | instskip(SKIP_2) | instid1(VALU_DEP_2)
	v_add_co_u32 v11, vcc_lo, v19, v12
	s_wait_alu 0xfffd
	v_add_co_ci_u32_e64 v10, null, 0, v20, vcc_lo
	v_add_co_u32 v19, vcc_lo, 0, v11
	s_wait_alu 0xfffd
	s_delay_alu instid0(VALU_DEP_2) | instskip(NEXT) | instid1(VALU_DEP_1)
	v_add_co_ci_u32_e64 v20, null, v9, v10, vcc_lo
	v_mov_b32_e32 v10, v20
; %bb.89:
	s_wait_alu 0xfffe
	s_or_b32 exec_lo, exec_lo, s0
	ds_swizzle_b32 v11, v11 offset:swizzle(BROADCAST,32,15)
	ds_swizzle_b32 v9, v10 offset:swizzle(BROADCAST,32,15)
	v_and_b32_e32 v10, 16, v33
	s_mov_b32 s0, exec_lo
	s_delay_alu instid0(VALU_DEP_1)
	v_cmpx_ne_u32_e32 0, v10
	s_cbranch_execz .LBB827_91
; %bb.90:
	s_wait_dscnt 0x1
	v_add_co_u32 v10, vcc_lo, v19, v11
	s_wait_alu 0xfffd
	v_add_co_ci_u32_e64 v11, null, 0, v20, vcc_lo
	s_delay_alu instid0(VALU_DEP_2) | instskip(SKIP_2) | instid1(VALU_DEP_2)
	v_add_co_u32 v19, vcc_lo, v10, 0
	s_wait_dscnt 0x0
	s_wait_alu 0xfffd
	v_add_co_ci_u32_e64 v20, null, v11, v9, vcc_lo
.LBB827_91:
	s_wait_alu 0xfffe
	s_or_b32 exec_lo, exec_lo, s0
	s_wait_dscnt 0x0
	v_or_b32_e32 v9, 31, v0
	s_mov_b32 s0, exec_lo
	s_delay_alu instid0(VALU_DEP_1)
	v_cmpx_eq_u32_e64 v0, v9
; %bb.92:
	v_lshlrev_b32_e32 v9, 3, v28
	ds_store_b64 v9, v[19:20]
; %bb.93:
	s_wait_alu 0xfffe
	s_or_b32 exec_lo, exec_lo, s0
	s_delay_alu instid0(SALU_CYCLE_1)
	s_mov_b32 s0, exec_lo
	s_wait_loadcnt_dscnt 0x0
	s_barrier_signal -1
	s_barrier_wait -1
	global_inv scope:SCOPE_SE
	v_cmpx_gt_u32_e32 8, v0
	s_cbranch_execz .LBB827_101
; %bb.94:
	v_lshlrev_b32_e32 v11, 3, v0
	s_mov_b32 s1, exec_lo
	ds_load_b64 v[9:10], v11
	s_wait_dscnt 0x0
	v_dual_mov_b32 v13, v9 :: v_dual_and_b32 v12, 7, v33
	v_mov_b32_dpp v15, v9 row_shr:1 row_mask:0xf bank_mask:0xf
	v_mov_b32_dpp v14, v10 row_shr:1 row_mask:0xf bank_mask:0xf
	s_delay_alu instid0(VALU_DEP_3)
	v_cmpx_ne_u32_e32 0, v12
; %bb.95:
	s_delay_alu instid0(VALU_DEP_3) | instskip(SKIP_2) | instid1(VALU_DEP_2)
	v_add_co_u32 v13, vcc_lo, v9, v15
	s_wait_alu 0xfffd
	v_add_co_ci_u32_e64 v10, null, 0, v10, vcc_lo
	v_add_co_u32 v9, vcc_lo, 0, v13
	s_wait_alu 0xfffd
	s_delay_alu instid0(VALU_DEP_2)
	v_add_co_ci_u32_e64 v10, null, v14, v10, vcc_lo
; %bb.96:
	s_wait_alu 0xfffe
	s_or_b32 exec_lo, exec_lo, s1
	v_mov_b32_dpp v15, v13 row_shr:2 row_mask:0xf bank_mask:0xf
	s_delay_alu instid0(VALU_DEP_2)
	v_mov_b32_dpp v14, v10 row_shr:2 row_mask:0xf bank_mask:0xf
	s_mov_b32 s1, exec_lo
	v_cmpx_lt_u32_e32 1, v12
; %bb.97:
	s_delay_alu instid0(VALU_DEP_3) | instskip(SKIP_2) | instid1(VALU_DEP_2)
	v_add_co_u32 v13, vcc_lo, v9, v15
	s_wait_alu 0xfffd
	v_add_co_ci_u32_e64 v10, null, 0, v10, vcc_lo
	v_add_co_u32 v9, vcc_lo, 0, v13
	s_wait_alu 0xfffd
	s_delay_alu instid0(VALU_DEP_2)
	v_add_co_ci_u32_e64 v10, null, v14, v10, vcc_lo
; %bb.98:
	s_wait_alu 0xfffe
	s_or_b32 exec_lo, exec_lo, s1
	v_mov_b32_dpp v14, v13 row_shr:4 row_mask:0xf bank_mask:0xf
	s_delay_alu instid0(VALU_DEP_2)
	v_mov_b32_dpp v13, v10 row_shr:4 row_mask:0xf bank_mask:0xf
	s_mov_b32 s1, exec_lo
	v_cmpx_lt_u32_e32 3, v12
; %bb.99:
	s_delay_alu instid0(VALU_DEP_3) | instskip(SKIP_2) | instid1(VALU_DEP_2)
	v_add_co_u32 v9, vcc_lo, v9, v14
	s_wait_alu 0xfffd
	v_add_co_ci_u32_e64 v10, null, 0, v10, vcc_lo
	v_add_co_u32 v9, vcc_lo, v9, 0
	s_wait_alu 0xfffd
	s_delay_alu instid0(VALU_DEP_2)
	v_add_co_ci_u32_e64 v10, null, v10, v13, vcc_lo
; %bb.100:
	s_wait_alu 0xfffe
	s_or_b32 exec_lo, exec_lo, s1
	ds_store_b64 v11, v[9:10]
.LBB827_101:
	s_wait_alu 0xfffe
	s_or_b32 exec_lo, exec_lo, s0
	v_mov_b32_e32 v13, 0
	v_mov_b32_e32 v14, 0
	s_mov_b32 s0, exec_lo
	s_wait_loadcnt_dscnt 0x0
	s_barrier_signal -1
	s_barrier_wait -1
	global_inv scope:SCOPE_SE
	v_cmpx_lt_u32_e32 31, v0
; %bb.102:
	v_lshl_add_u32 v9, v28, 3, -8
	ds_load_b64 v[13:14], v9
; %bb.103:
	s_wait_alu 0xfffe
	s_or_b32 exec_lo, exec_lo, s0
	v_sub_co_u32 v9, vcc_lo, v33, 1
	v_mov_b32_e32 v12, 0
	s_delay_alu instid0(VALU_DEP_2) | instskip(SKIP_1) | instid1(VALU_DEP_1)
	v_cmp_gt_i32_e64 s0, 0, v9
	s_wait_alu 0xf1ff
	v_cndmask_b32_e64 v9, v9, v33, s0
	s_wait_dscnt 0x0
	v_add_co_u32 v10, s0, v13, v19
	s_wait_alu 0xf1ff
	v_add_co_ci_u32_e64 v11, null, v14, v20, s0
	v_lshlrev_b32_e32 v9, 2, v9
	ds_bpermute_b32 v15, v9, v10
	ds_bpermute_b32 v16, v9, v11
	ds_load_b64 v[9:10], v12 offset:56
	s_and_saveexec_b32 s0, s2
	s_cbranch_execz .LBB827_105
; %bb.104:
	s_add_nc_u64 s[6:7], s[14:15], 0x200
	s_delay_alu instid0(SALU_CYCLE_1)
	v_dual_mov_b32 v11, 2 :: v_dual_mov_b32 v20, s7
	v_mov_b32_e32 v19, s6
	s_wait_dscnt 0x0
	;;#ASMSTART
	global_store_b128 v[19:20], v[9:12] off scope:SCOPE_DEV	
s_wait_storecnt 0x0
	;;#ASMEND
.LBB827_105:
	s_wait_alu 0xfffe
	s_or_b32 exec_lo, exec_lo, s0
	s_wait_dscnt 0x1
	s_wait_alu 0xfffd
	v_dual_cndmask_b32 v11, v15, v13 :: v_dual_cndmask_b32 v12, v16, v14
	s_wait_loadcnt_dscnt 0x0
	s_barrier_signal -1
	s_barrier_wait -1
	s_delay_alu instid0(VALU_DEP_1)
	v_cndmask_b32_e64 v23, v11, 0, s2
	v_cndmask_b32_e64 v24, v12, 0, s2
	v_mov_b32_e32 v11, 0
	v_mov_b32_e32 v12, 0
	global_inv scope:SCOPE_SE
	v_add_co_u32 v21, vcc_lo, v23, v32
	s_wait_alu 0xfffd
	v_add_co_ci_u32_e64 v22, null, 0, v24, vcc_lo
	s_delay_alu instid0(VALU_DEP_2) | instskip(SKIP_1) | instid1(VALU_DEP_2)
	v_add_co_u32 v13, vcc_lo, v21, v31
	s_wait_alu 0xfffd
	v_add_co_ci_u32_e64 v14, null, 0, v22, vcc_lo
	s_delay_alu instid0(VALU_DEP_2) | instskip(SKIP_1) | instid1(VALU_DEP_2)
	v_add_co_u32 v15, vcc_lo, v13, v30
	s_wait_alu 0xfffd
	v_add_co_ci_u32_e64 v16, null, 0, v14, vcc_lo
.LBB827_106:
	v_and_b32_e32 v28, 1, v29
	s_wait_dscnt 0x0
	v_cmp_gt_u64_e32 vcc_lo, 0x101, v[9:10]
	v_lshrrev_b32_e32 v25, 16, v29
	v_lshrrev_b32_e32 v26, 8, v29
	s_mov_b32 s1, -1
	v_cmp_eq_u32_e64 s0, 1, v28
	s_cbranch_vccnz .LBB827_110
; %bb.107:
	s_wait_alu 0xfffe
	s_and_b32 vcc_lo, exec_lo, s1
	s_wait_alu 0xfffe
	s_cbranch_vccnz .LBB827_119
.LBB827_108:
	s_and_b32 s0, s2, s19
	s_wait_alu 0xfffe
	s_and_saveexec_b32 s1, s0
	s_cbranch_execnz .LBB827_131
.LBB827_109:
	s_endpgm
.LBB827_110:
	v_add_co_u32 v19, vcc_lo, v11, v9
	s_wait_alu 0xfffd
	v_add_co_ci_u32_e64 v20, null, v12, v10, vcc_lo
	s_delay_alu instid0(VALU_DEP_1)
	v_cmp_lt_u64_e32 vcc_lo, v[23:24], v[19:20]
	s_or_b32 s1, s20, vcc_lo
	s_wait_alu 0xfffe
	s_and_b32 s1, s1, s0
	s_wait_alu 0xfffe
	s_and_saveexec_b32 s0, s1
	s_cbranch_execz .LBB827_112
; %bb.111:
	v_lshlrev_b64_e32 v[29:30], 3, v[17:18]
	v_lshlrev_b64_e32 v[31:32], 3, v[23:24]
	s_delay_alu instid0(VALU_DEP_2) | instskip(SKIP_1) | instid1(VALU_DEP_3)
	v_add_co_u32 v24, vcc_lo, s12, v29
	s_wait_alu 0xfffd
	v_add_co_ci_u32_e64 v30, null, s13, v30, vcc_lo
	s_delay_alu instid0(VALU_DEP_2) | instskip(SKIP_1) | instid1(VALU_DEP_2)
	v_add_co_u32 v29, vcc_lo, v24, v31
	s_wait_alu 0xfffd
	v_add_co_ci_u32_e64 v30, null, v30, v32, vcc_lo
	global_store_b64 v[29:30], v[5:6], off
.LBB827_112:
	s_wait_alu 0xfffe
	s_or_b32 exec_lo, exec_lo, s0
	v_and_b32_e32 v24, 1, v26
	v_cmp_lt_u64_e32 vcc_lo, v[21:22], v[19:20]
	s_delay_alu instid0(VALU_DEP_2)
	v_cmp_eq_u32_e64 s0, 1, v24
	s_or_b32 s1, s20, vcc_lo
	s_wait_alu 0xfffe
	s_and_b32 s1, s1, s0
	s_wait_alu 0xfffe
	s_and_saveexec_b32 s0, s1
	s_cbranch_execz .LBB827_114
; %bb.113:
	v_lshlrev_b64_e32 v[29:30], 3, v[17:18]
	v_lshlrev_b64_e32 v[31:32], 3, v[21:22]
	s_delay_alu instid0(VALU_DEP_2) | instskip(SKIP_1) | instid1(VALU_DEP_3)
	v_add_co_u32 v22, vcc_lo, s12, v29
	s_wait_alu 0xfffd
	v_add_co_ci_u32_e64 v24, null, s13, v30, vcc_lo
	s_delay_alu instid0(VALU_DEP_2) | instskip(SKIP_1) | instid1(VALU_DEP_2)
	v_add_co_u32 v29, vcc_lo, v22, v31
	s_wait_alu 0xfffd
	v_add_co_ci_u32_e64 v30, null, v24, v32, vcc_lo
	global_store_b64 v[29:30], v[7:8], off
.LBB827_114:
	s_wait_alu 0xfffe
	s_or_b32 exec_lo, exec_lo, s0
	v_and_b32_e32 v22, 1, v25
	v_cmp_lt_u64_e32 vcc_lo, v[13:14], v[19:20]
	s_delay_alu instid0(VALU_DEP_2)
	v_cmp_eq_u32_e64 s0, 1, v22
	;; [unrolled: 25-line block ×3, first 2 shown]
	s_or_b32 s1, s20, vcc_lo
	s_wait_alu 0xfffe
	s_and_b32 s1, s1, s0
	s_wait_alu 0xfffe
	s_and_saveexec_b32 s0, s1
	s_cbranch_execz .LBB827_118
; %bb.117:
	v_lshlrev_b64_e32 v[19:20], 3, v[17:18]
	v_lshlrev_b64_e32 v[29:30], 3, v[15:16]
	s_delay_alu instid0(VALU_DEP_2) | instskip(SKIP_1) | instid1(VALU_DEP_3)
	v_add_co_u32 v14, vcc_lo, s12, v19
	s_wait_alu 0xfffd
	v_add_co_ci_u32_e64 v16, null, s13, v20, vcc_lo
	s_delay_alu instid0(VALU_DEP_2) | instskip(SKIP_1) | instid1(VALU_DEP_2)
	v_add_co_u32 v19, vcc_lo, v14, v29
	s_wait_alu 0xfffd
	v_add_co_ci_u32_e64 v20, null, v16, v30, vcc_lo
	global_store_b64 v[19:20], v[3:4], off
.LBB827_118:
	s_wait_alu 0xfffe
	s_or_b32 exec_lo, exec_lo, s0
	s_branch .LBB827_108
.LBB827_119:
	s_mov_b32 s0, exec_lo
	v_cmpx_eq_u32_e32 1, v28
; %bb.120:
	v_sub_nc_u32_e32 v14, v23, v11
	s_delay_alu instid0(VALU_DEP_1)
	v_lshlrev_b32_e32 v14, 3, v14
	ds_store_b64 v14, v[5:6]
; %bb.121:
	s_wait_alu 0xfffe
	s_or_b32 exec_lo, exec_lo, s0
	v_and_b32_e32 v5, 1, v26
	s_mov_b32 s0, exec_lo
	s_delay_alu instid0(VALU_DEP_1)
	v_cmpx_eq_u32_e32 1, v5
; %bb.122:
	v_sub_nc_u32_e32 v5, v21, v11
	s_delay_alu instid0(VALU_DEP_1)
	v_lshlrev_b32_e32 v5, 3, v5
	ds_store_b64 v5, v[7:8]
; %bb.123:
	s_wait_alu 0xfffe
	s_or_b32 exec_lo, exec_lo, s0
	v_and_b32_e32 v5, 1, v25
	s_mov_b32 s0, exec_lo
	s_delay_alu instid0(VALU_DEP_1)
	;; [unrolled: 12-line block ×3, first 2 shown]
	v_cmpx_eq_u32_e32 1, v1
; %bb.126:
	v_sub_nc_u32_e32 v1, v15, v11
	s_delay_alu instid0(VALU_DEP_1)
	v_lshlrev_b32_e32 v1, 3, v1
	ds_store_b64 v1, v[3:4]
; %bb.127:
	s_wait_alu 0xfffe
	s_or_b32 exec_lo, exec_lo, s0
	v_mov_b32_e32 v1, 0
	s_mov_b32 s1, exec_lo
	s_wait_storecnt 0x0
	s_wait_loadcnt_dscnt 0x0
	s_barrier_signal -1
	s_barrier_wait -1
	global_inv scope:SCOPE_SE
	v_cmpx_gt_u64_e64 v[9:10], v[0:1]
	s_cbranch_execz .LBB827_130
; %bb.128:
	v_lshlrev_b64_e32 v[2:3], 3, v[11:12]
	v_lshlrev_b64_e32 v[4:5], 3, v[17:18]
	s_mov_b32 s3, 0
	s_delay_alu instid0(VALU_DEP_2) | instskip(SKIP_1) | instid1(VALU_DEP_3)
	v_add_co_u32 v6, vcc_lo, s12, v2
	s_wait_alu 0xfffd
	v_add_co_ci_u32_e64 v7, null, s13, v3, vcc_lo
	v_dual_mov_b32 v3, v1 :: v_dual_mov_b32 v2, v0
	s_delay_alu instid0(VALU_DEP_3) | instskip(SKIP_1) | instid1(VALU_DEP_3)
	v_add_co_u32 v4, vcc_lo, v6, v4
	s_wait_alu 0xfffd
	v_add_co_ci_u32_e64 v5, null, v7, v5, vcc_lo
	v_or_b32_e32 v0, 0x100, v0
.LBB827_129:                            ; =>This Inner Loop Header: Depth=1
	v_lshlrev_b32_e32 v6, 3, v2
	v_lshlrev_b64_e32 v[13:14], 3, v[2:3]
	v_mov_b32_e32 v3, v1
	s_delay_alu instid0(VALU_DEP_4)
	v_cmp_le_u64_e32 vcc_lo, v[9:10], v[0:1]
	v_mov_b32_e32 v2, v0
	ds_load_b64 v[6:7], v6
	v_add_nc_u32_e32 v0, 0x100, v0
	v_add_co_u32 v13, s0, v4, v13
	s_wait_alu 0xf1ff
	v_add_co_ci_u32_e64 v14, null, v5, v14, s0
	s_wait_alu 0xfffe
	s_or_b32 s3, vcc_lo, s3
	s_wait_dscnt 0x0
	global_store_b64 v[13:14], v[6:7], off
	s_wait_alu 0xfffe
	s_and_not1_b32 exec_lo, exec_lo, s3
	s_cbranch_execnz .LBB827_129
.LBB827_130:
	s_wait_alu 0xfffe
	s_or_b32 exec_lo, exec_lo, s1
	s_and_b32 s0, s2, s19
	s_wait_alu 0xfffe
	s_and_saveexec_b32 s1, s0
	s_cbranch_execz .LBB827_109
.LBB827_131:
	v_add_co_u32 v0, vcc_lo, v11, v9
	s_wait_alu 0xfffd
	v_add_co_ci_u32_e64 v1, null, v12, v10, vcc_lo
	v_mov_b32_e32 v2, 0
	s_delay_alu instid0(VALU_DEP_3) | instskip(SKIP_1) | instid1(VALU_DEP_3)
	v_add_co_u32 v0, vcc_lo, v0, v17
	s_wait_alu 0xfffd
	v_add_co_ci_u32_e64 v1, null, v1, v18, vcc_lo
	global_store_b64 v2, v[0:1], s[4:5]
	s_endpgm
.LBB827_132:
	global_load_u16 v19, v11, s[0:1] offset:512
	s_wait_loadcnt 0x0
	v_and_b32_e32 v19, 0x7fff, v19
	s_delay_alu instid0(VALU_DEP_1) | instskip(SKIP_2) | instid1(VALU_DEP_1)
	v_cmp_ne_u16_e32 vcc_lo, 0, v19
	s_wait_alu 0xfffd
	v_cndmask_b32_e64 v19, 0, 1, vcc_lo
	v_lshlrev_b16 v19, 8, v19
	s_delay_alu instid0(VALU_DEP_1) | instskip(NEXT) | instid1(VALU_DEP_1)
	v_or_b32_e32 v15, v15, v19
	v_and_b32_e32 v15, 0xffff, v15
	s_or_b32 exec_lo, exec_lo, s6
	s_delay_alu instid0(SALU_CYCLE_1)
	s_mov_b32 s6, exec_lo
	v_cmpx_gt_u32_e64 s3, v10
	s_cbranch_execz .LBB827_15
.LBB827_133:
	global_load_u16 v19, v11, s[0:1] offset:1024
	s_wait_loadcnt 0x0
	v_and_b32_e32 v19, 0x7fff, v19
	s_delay_alu instid0(VALU_DEP_1) | instskip(SKIP_2) | instid1(VALU_DEP_1)
	v_cmp_ne_u16_e32 vcc_lo, 0, v19
	s_wait_alu 0xfffd
	v_cndmask_b32_e64 v19, 0, 1, vcc_lo
	v_lshl_or_b32 v15, v19, 16, v15
	s_or_b32 exec_lo, exec_lo, s6
	v_cmp_gt_u32_e32 vcc_lo, s3, v9
	s_and_saveexec_b32 s3, vcc_lo
	s_cbranch_execnz .LBB827_16
	s_branch .LBB827_17
	.section	.rodata,"a",@progbits
	.p2align	6, 0x0
	.amdhsa_kernel _ZN7rocprim17ROCPRIM_400000_NS6detail17trampoline_kernelINS0_14default_configENS1_25partition_config_selectorILNS1_17partition_subalgoE5ElNS0_10empty_typeEbEEZZNS1_14partition_implILS5_5ELb0ES3_mN6hipcub16HIPCUB_304000_NS21CountingInputIteratorIllEEPS6_NSA_22TransformInputIteratorIbN2at6native12_GLOBAL__N_19NonZeroOpIN3c108BFloat16EEEPKSK_lEENS0_5tupleIJPlS6_EEENSP_IJSD_SD_EEES6_PiJS6_EEE10hipError_tPvRmT3_T4_T5_T6_T7_T9_mT8_P12ihipStream_tbDpT10_ENKUlT_T0_E_clISt17integral_constantIbLb0EES1C_IbLb1EEEEDaS18_S19_EUlS18_E_NS1_11comp_targetILNS1_3genE10ELNS1_11target_archE1200ELNS1_3gpuE4ELNS1_3repE0EEENS1_30default_config_static_selectorELNS0_4arch9wavefront6targetE0EEEvT1_
		.amdhsa_group_segment_fixed_size 8464
		.amdhsa_private_segment_fixed_size 0
		.amdhsa_kernarg_size 136
		.amdhsa_user_sgpr_count 2
		.amdhsa_user_sgpr_dispatch_ptr 0
		.amdhsa_user_sgpr_queue_ptr 0
		.amdhsa_user_sgpr_kernarg_segment_ptr 1
		.amdhsa_user_sgpr_dispatch_id 0
		.amdhsa_user_sgpr_private_segment_size 0
		.amdhsa_wavefront_size32 1
		.amdhsa_uses_dynamic_stack 0
		.amdhsa_enable_private_segment 0
		.amdhsa_system_sgpr_workgroup_id_x 1
		.amdhsa_system_sgpr_workgroup_id_y 0
		.amdhsa_system_sgpr_workgroup_id_z 0
		.amdhsa_system_sgpr_workgroup_info 0
		.amdhsa_system_vgpr_workitem_id 0
		.amdhsa_next_free_vgpr 48
		.amdhsa_next_free_sgpr 24
		.amdhsa_reserve_vcc 1
		.amdhsa_float_round_mode_32 0
		.amdhsa_float_round_mode_16_64 0
		.amdhsa_float_denorm_mode_32 3
		.amdhsa_float_denorm_mode_16_64 3
		.amdhsa_fp16_overflow 0
		.amdhsa_workgroup_processor_mode 1
		.amdhsa_memory_ordered 1
		.amdhsa_forward_progress 1
		.amdhsa_inst_pref_size 55
		.amdhsa_round_robin_scheduling 0
		.amdhsa_exception_fp_ieee_invalid_op 0
		.amdhsa_exception_fp_denorm_src 0
		.amdhsa_exception_fp_ieee_div_zero 0
		.amdhsa_exception_fp_ieee_overflow 0
		.amdhsa_exception_fp_ieee_underflow 0
		.amdhsa_exception_fp_ieee_inexact 0
		.amdhsa_exception_int_div_zero 0
	.end_amdhsa_kernel
	.section	.text._ZN7rocprim17ROCPRIM_400000_NS6detail17trampoline_kernelINS0_14default_configENS1_25partition_config_selectorILNS1_17partition_subalgoE5ElNS0_10empty_typeEbEEZZNS1_14partition_implILS5_5ELb0ES3_mN6hipcub16HIPCUB_304000_NS21CountingInputIteratorIllEEPS6_NSA_22TransformInputIteratorIbN2at6native12_GLOBAL__N_19NonZeroOpIN3c108BFloat16EEEPKSK_lEENS0_5tupleIJPlS6_EEENSP_IJSD_SD_EEES6_PiJS6_EEE10hipError_tPvRmT3_T4_T5_T6_T7_T9_mT8_P12ihipStream_tbDpT10_ENKUlT_T0_E_clISt17integral_constantIbLb0EES1C_IbLb1EEEEDaS18_S19_EUlS18_E_NS1_11comp_targetILNS1_3genE10ELNS1_11target_archE1200ELNS1_3gpuE4ELNS1_3repE0EEENS1_30default_config_static_selectorELNS0_4arch9wavefront6targetE0EEEvT1_,"axG",@progbits,_ZN7rocprim17ROCPRIM_400000_NS6detail17trampoline_kernelINS0_14default_configENS1_25partition_config_selectorILNS1_17partition_subalgoE5ElNS0_10empty_typeEbEEZZNS1_14partition_implILS5_5ELb0ES3_mN6hipcub16HIPCUB_304000_NS21CountingInputIteratorIllEEPS6_NSA_22TransformInputIteratorIbN2at6native12_GLOBAL__N_19NonZeroOpIN3c108BFloat16EEEPKSK_lEENS0_5tupleIJPlS6_EEENSP_IJSD_SD_EEES6_PiJS6_EEE10hipError_tPvRmT3_T4_T5_T6_T7_T9_mT8_P12ihipStream_tbDpT10_ENKUlT_T0_E_clISt17integral_constantIbLb0EES1C_IbLb1EEEEDaS18_S19_EUlS18_E_NS1_11comp_targetILNS1_3genE10ELNS1_11target_archE1200ELNS1_3gpuE4ELNS1_3repE0EEENS1_30default_config_static_selectorELNS0_4arch9wavefront6targetE0EEEvT1_,comdat
.Lfunc_end827:
	.size	_ZN7rocprim17ROCPRIM_400000_NS6detail17trampoline_kernelINS0_14default_configENS1_25partition_config_selectorILNS1_17partition_subalgoE5ElNS0_10empty_typeEbEEZZNS1_14partition_implILS5_5ELb0ES3_mN6hipcub16HIPCUB_304000_NS21CountingInputIteratorIllEEPS6_NSA_22TransformInputIteratorIbN2at6native12_GLOBAL__N_19NonZeroOpIN3c108BFloat16EEEPKSK_lEENS0_5tupleIJPlS6_EEENSP_IJSD_SD_EEES6_PiJS6_EEE10hipError_tPvRmT3_T4_T5_T6_T7_T9_mT8_P12ihipStream_tbDpT10_ENKUlT_T0_E_clISt17integral_constantIbLb0EES1C_IbLb1EEEEDaS18_S19_EUlS18_E_NS1_11comp_targetILNS1_3genE10ELNS1_11target_archE1200ELNS1_3gpuE4ELNS1_3repE0EEENS1_30default_config_static_selectorELNS0_4arch9wavefront6targetE0EEEvT1_, .Lfunc_end827-_ZN7rocprim17ROCPRIM_400000_NS6detail17trampoline_kernelINS0_14default_configENS1_25partition_config_selectorILNS1_17partition_subalgoE5ElNS0_10empty_typeEbEEZZNS1_14partition_implILS5_5ELb0ES3_mN6hipcub16HIPCUB_304000_NS21CountingInputIteratorIllEEPS6_NSA_22TransformInputIteratorIbN2at6native12_GLOBAL__N_19NonZeroOpIN3c108BFloat16EEEPKSK_lEENS0_5tupleIJPlS6_EEENSP_IJSD_SD_EEES6_PiJS6_EEE10hipError_tPvRmT3_T4_T5_T6_T7_T9_mT8_P12ihipStream_tbDpT10_ENKUlT_T0_E_clISt17integral_constantIbLb0EES1C_IbLb1EEEEDaS18_S19_EUlS18_E_NS1_11comp_targetILNS1_3genE10ELNS1_11target_archE1200ELNS1_3gpuE4ELNS1_3repE0EEENS1_30default_config_static_selectorELNS0_4arch9wavefront6targetE0EEEvT1_
                                        ; -- End function
	.set _ZN7rocprim17ROCPRIM_400000_NS6detail17trampoline_kernelINS0_14default_configENS1_25partition_config_selectorILNS1_17partition_subalgoE5ElNS0_10empty_typeEbEEZZNS1_14partition_implILS5_5ELb0ES3_mN6hipcub16HIPCUB_304000_NS21CountingInputIteratorIllEEPS6_NSA_22TransformInputIteratorIbN2at6native12_GLOBAL__N_19NonZeroOpIN3c108BFloat16EEEPKSK_lEENS0_5tupleIJPlS6_EEENSP_IJSD_SD_EEES6_PiJS6_EEE10hipError_tPvRmT3_T4_T5_T6_T7_T9_mT8_P12ihipStream_tbDpT10_ENKUlT_T0_E_clISt17integral_constantIbLb0EES1C_IbLb1EEEEDaS18_S19_EUlS18_E_NS1_11comp_targetILNS1_3genE10ELNS1_11target_archE1200ELNS1_3gpuE4ELNS1_3repE0EEENS1_30default_config_static_selectorELNS0_4arch9wavefront6targetE0EEEvT1_.num_vgpr, 48
	.set _ZN7rocprim17ROCPRIM_400000_NS6detail17trampoline_kernelINS0_14default_configENS1_25partition_config_selectorILNS1_17partition_subalgoE5ElNS0_10empty_typeEbEEZZNS1_14partition_implILS5_5ELb0ES3_mN6hipcub16HIPCUB_304000_NS21CountingInputIteratorIllEEPS6_NSA_22TransformInputIteratorIbN2at6native12_GLOBAL__N_19NonZeroOpIN3c108BFloat16EEEPKSK_lEENS0_5tupleIJPlS6_EEENSP_IJSD_SD_EEES6_PiJS6_EEE10hipError_tPvRmT3_T4_T5_T6_T7_T9_mT8_P12ihipStream_tbDpT10_ENKUlT_T0_E_clISt17integral_constantIbLb0EES1C_IbLb1EEEEDaS18_S19_EUlS18_E_NS1_11comp_targetILNS1_3genE10ELNS1_11target_archE1200ELNS1_3gpuE4ELNS1_3repE0EEENS1_30default_config_static_selectorELNS0_4arch9wavefront6targetE0EEEvT1_.num_agpr, 0
	.set _ZN7rocprim17ROCPRIM_400000_NS6detail17trampoline_kernelINS0_14default_configENS1_25partition_config_selectorILNS1_17partition_subalgoE5ElNS0_10empty_typeEbEEZZNS1_14partition_implILS5_5ELb0ES3_mN6hipcub16HIPCUB_304000_NS21CountingInputIteratorIllEEPS6_NSA_22TransformInputIteratorIbN2at6native12_GLOBAL__N_19NonZeroOpIN3c108BFloat16EEEPKSK_lEENS0_5tupleIJPlS6_EEENSP_IJSD_SD_EEES6_PiJS6_EEE10hipError_tPvRmT3_T4_T5_T6_T7_T9_mT8_P12ihipStream_tbDpT10_ENKUlT_T0_E_clISt17integral_constantIbLb0EES1C_IbLb1EEEEDaS18_S19_EUlS18_E_NS1_11comp_targetILNS1_3genE10ELNS1_11target_archE1200ELNS1_3gpuE4ELNS1_3repE0EEENS1_30default_config_static_selectorELNS0_4arch9wavefront6targetE0EEEvT1_.numbered_sgpr, 24
	.set _ZN7rocprim17ROCPRIM_400000_NS6detail17trampoline_kernelINS0_14default_configENS1_25partition_config_selectorILNS1_17partition_subalgoE5ElNS0_10empty_typeEbEEZZNS1_14partition_implILS5_5ELb0ES3_mN6hipcub16HIPCUB_304000_NS21CountingInputIteratorIllEEPS6_NSA_22TransformInputIteratorIbN2at6native12_GLOBAL__N_19NonZeroOpIN3c108BFloat16EEEPKSK_lEENS0_5tupleIJPlS6_EEENSP_IJSD_SD_EEES6_PiJS6_EEE10hipError_tPvRmT3_T4_T5_T6_T7_T9_mT8_P12ihipStream_tbDpT10_ENKUlT_T0_E_clISt17integral_constantIbLb0EES1C_IbLb1EEEEDaS18_S19_EUlS18_E_NS1_11comp_targetILNS1_3genE10ELNS1_11target_archE1200ELNS1_3gpuE4ELNS1_3repE0EEENS1_30default_config_static_selectorELNS0_4arch9wavefront6targetE0EEEvT1_.num_named_barrier, 0
	.set _ZN7rocprim17ROCPRIM_400000_NS6detail17trampoline_kernelINS0_14default_configENS1_25partition_config_selectorILNS1_17partition_subalgoE5ElNS0_10empty_typeEbEEZZNS1_14partition_implILS5_5ELb0ES3_mN6hipcub16HIPCUB_304000_NS21CountingInputIteratorIllEEPS6_NSA_22TransformInputIteratorIbN2at6native12_GLOBAL__N_19NonZeroOpIN3c108BFloat16EEEPKSK_lEENS0_5tupleIJPlS6_EEENSP_IJSD_SD_EEES6_PiJS6_EEE10hipError_tPvRmT3_T4_T5_T6_T7_T9_mT8_P12ihipStream_tbDpT10_ENKUlT_T0_E_clISt17integral_constantIbLb0EES1C_IbLb1EEEEDaS18_S19_EUlS18_E_NS1_11comp_targetILNS1_3genE10ELNS1_11target_archE1200ELNS1_3gpuE4ELNS1_3repE0EEENS1_30default_config_static_selectorELNS0_4arch9wavefront6targetE0EEEvT1_.private_seg_size, 0
	.set _ZN7rocprim17ROCPRIM_400000_NS6detail17trampoline_kernelINS0_14default_configENS1_25partition_config_selectorILNS1_17partition_subalgoE5ElNS0_10empty_typeEbEEZZNS1_14partition_implILS5_5ELb0ES3_mN6hipcub16HIPCUB_304000_NS21CountingInputIteratorIllEEPS6_NSA_22TransformInputIteratorIbN2at6native12_GLOBAL__N_19NonZeroOpIN3c108BFloat16EEEPKSK_lEENS0_5tupleIJPlS6_EEENSP_IJSD_SD_EEES6_PiJS6_EEE10hipError_tPvRmT3_T4_T5_T6_T7_T9_mT8_P12ihipStream_tbDpT10_ENKUlT_T0_E_clISt17integral_constantIbLb0EES1C_IbLb1EEEEDaS18_S19_EUlS18_E_NS1_11comp_targetILNS1_3genE10ELNS1_11target_archE1200ELNS1_3gpuE4ELNS1_3repE0EEENS1_30default_config_static_selectorELNS0_4arch9wavefront6targetE0EEEvT1_.uses_vcc, 1
	.set _ZN7rocprim17ROCPRIM_400000_NS6detail17trampoline_kernelINS0_14default_configENS1_25partition_config_selectorILNS1_17partition_subalgoE5ElNS0_10empty_typeEbEEZZNS1_14partition_implILS5_5ELb0ES3_mN6hipcub16HIPCUB_304000_NS21CountingInputIteratorIllEEPS6_NSA_22TransformInputIteratorIbN2at6native12_GLOBAL__N_19NonZeroOpIN3c108BFloat16EEEPKSK_lEENS0_5tupleIJPlS6_EEENSP_IJSD_SD_EEES6_PiJS6_EEE10hipError_tPvRmT3_T4_T5_T6_T7_T9_mT8_P12ihipStream_tbDpT10_ENKUlT_T0_E_clISt17integral_constantIbLb0EES1C_IbLb1EEEEDaS18_S19_EUlS18_E_NS1_11comp_targetILNS1_3genE10ELNS1_11target_archE1200ELNS1_3gpuE4ELNS1_3repE0EEENS1_30default_config_static_selectorELNS0_4arch9wavefront6targetE0EEEvT1_.uses_flat_scratch, 0
	.set _ZN7rocprim17ROCPRIM_400000_NS6detail17trampoline_kernelINS0_14default_configENS1_25partition_config_selectorILNS1_17partition_subalgoE5ElNS0_10empty_typeEbEEZZNS1_14partition_implILS5_5ELb0ES3_mN6hipcub16HIPCUB_304000_NS21CountingInputIteratorIllEEPS6_NSA_22TransformInputIteratorIbN2at6native12_GLOBAL__N_19NonZeroOpIN3c108BFloat16EEEPKSK_lEENS0_5tupleIJPlS6_EEENSP_IJSD_SD_EEES6_PiJS6_EEE10hipError_tPvRmT3_T4_T5_T6_T7_T9_mT8_P12ihipStream_tbDpT10_ENKUlT_T0_E_clISt17integral_constantIbLb0EES1C_IbLb1EEEEDaS18_S19_EUlS18_E_NS1_11comp_targetILNS1_3genE10ELNS1_11target_archE1200ELNS1_3gpuE4ELNS1_3repE0EEENS1_30default_config_static_selectorELNS0_4arch9wavefront6targetE0EEEvT1_.has_dyn_sized_stack, 0
	.set _ZN7rocprim17ROCPRIM_400000_NS6detail17trampoline_kernelINS0_14default_configENS1_25partition_config_selectorILNS1_17partition_subalgoE5ElNS0_10empty_typeEbEEZZNS1_14partition_implILS5_5ELb0ES3_mN6hipcub16HIPCUB_304000_NS21CountingInputIteratorIllEEPS6_NSA_22TransformInputIteratorIbN2at6native12_GLOBAL__N_19NonZeroOpIN3c108BFloat16EEEPKSK_lEENS0_5tupleIJPlS6_EEENSP_IJSD_SD_EEES6_PiJS6_EEE10hipError_tPvRmT3_T4_T5_T6_T7_T9_mT8_P12ihipStream_tbDpT10_ENKUlT_T0_E_clISt17integral_constantIbLb0EES1C_IbLb1EEEEDaS18_S19_EUlS18_E_NS1_11comp_targetILNS1_3genE10ELNS1_11target_archE1200ELNS1_3gpuE4ELNS1_3repE0EEENS1_30default_config_static_selectorELNS0_4arch9wavefront6targetE0EEEvT1_.has_recursion, 0
	.set _ZN7rocprim17ROCPRIM_400000_NS6detail17trampoline_kernelINS0_14default_configENS1_25partition_config_selectorILNS1_17partition_subalgoE5ElNS0_10empty_typeEbEEZZNS1_14partition_implILS5_5ELb0ES3_mN6hipcub16HIPCUB_304000_NS21CountingInputIteratorIllEEPS6_NSA_22TransformInputIteratorIbN2at6native12_GLOBAL__N_19NonZeroOpIN3c108BFloat16EEEPKSK_lEENS0_5tupleIJPlS6_EEENSP_IJSD_SD_EEES6_PiJS6_EEE10hipError_tPvRmT3_T4_T5_T6_T7_T9_mT8_P12ihipStream_tbDpT10_ENKUlT_T0_E_clISt17integral_constantIbLb0EES1C_IbLb1EEEEDaS18_S19_EUlS18_E_NS1_11comp_targetILNS1_3genE10ELNS1_11target_archE1200ELNS1_3gpuE4ELNS1_3repE0EEENS1_30default_config_static_selectorELNS0_4arch9wavefront6targetE0EEEvT1_.has_indirect_call, 0
	.section	.AMDGPU.csdata,"",@progbits
; Kernel info:
; codeLenInByte = 7000
; TotalNumSgprs: 26
; NumVgprs: 48
; ScratchSize: 0
; MemoryBound: 0
; FloatMode: 240
; IeeeMode: 1
; LDSByteSize: 8464 bytes/workgroup (compile time only)
; SGPRBlocks: 0
; VGPRBlocks: 5
; NumSGPRsForWavesPerEU: 26
; NumVGPRsForWavesPerEU: 48
; Occupancy: 16
; WaveLimiterHint : 1
; COMPUTE_PGM_RSRC2:SCRATCH_EN: 0
; COMPUTE_PGM_RSRC2:USER_SGPR: 2
; COMPUTE_PGM_RSRC2:TRAP_HANDLER: 0
; COMPUTE_PGM_RSRC2:TGID_X_EN: 1
; COMPUTE_PGM_RSRC2:TGID_Y_EN: 0
; COMPUTE_PGM_RSRC2:TGID_Z_EN: 0
; COMPUTE_PGM_RSRC2:TIDIG_COMP_CNT: 0
	.section	.text._ZN7rocprim17ROCPRIM_400000_NS6detail17trampoline_kernelINS0_14default_configENS1_25partition_config_selectorILNS1_17partition_subalgoE5ElNS0_10empty_typeEbEEZZNS1_14partition_implILS5_5ELb0ES3_mN6hipcub16HIPCUB_304000_NS21CountingInputIteratorIllEEPS6_NSA_22TransformInputIteratorIbN2at6native12_GLOBAL__N_19NonZeroOpIN3c108BFloat16EEEPKSK_lEENS0_5tupleIJPlS6_EEENSP_IJSD_SD_EEES6_PiJS6_EEE10hipError_tPvRmT3_T4_T5_T6_T7_T9_mT8_P12ihipStream_tbDpT10_ENKUlT_T0_E_clISt17integral_constantIbLb0EES1C_IbLb1EEEEDaS18_S19_EUlS18_E_NS1_11comp_targetILNS1_3genE9ELNS1_11target_archE1100ELNS1_3gpuE3ELNS1_3repE0EEENS1_30default_config_static_selectorELNS0_4arch9wavefront6targetE0EEEvT1_,"axG",@progbits,_ZN7rocprim17ROCPRIM_400000_NS6detail17trampoline_kernelINS0_14default_configENS1_25partition_config_selectorILNS1_17partition_subalgoE5ElNS0_10empty_typeEbEEZZNS1_14partition_implILS5_5ELb0ES3_mN6hipcub16HIPCUB_304000_NS21CountingInputIteratorIllEEPS6_NSA_22TransformInputIteratorIbN2at6native12_GLOBAL__N_19NonZeroOpIN3c108BFloat16EEEPKSK_lEENS0_5tupleIJPlS6_EEENSP_IJSD_SD_EEES6_PiJS6_EEE10hipError_tPvRmT3_T4_T5_T6_T7_T9_mT8_P12ihipStream_tbDpT10_ENKUlT_T0_E_clISt17integral_constantIbLb0EES1C_IbLb1EEEEDaS18_S19_EUlS18_E_NS1_11comp_targetILNS1_3genE9ELNS1_11target_archE1100ELNS1_3gpuE3ELNS1_3repE0EEENS1_30default_config_static_selectorELNS0_4arch9wavefront6targetE0EEEvT1_,comdat
	.globl	_ZN7rocprim17ROCPRIM_400000_NS6detail17trampoline_kernelINS0_14default_configENS1_25partition_config_selectorILNS1_17partition_subalgoE5ElNS0_10empty_typeEbEEZZNS1_14partition_implILS5_5ELb0ES3_mN6hipcub16HIPCUB_304000_NS21CountingInputIteratorIllEEPS6_NSA_22TransformInputIteratorIbN2at6native12_GLOBAL__N_19NonZeroOpIN3c108BFloat16EEEPKSK_lEENS0_5tupleIJPlS6_EEENSP_IJSD_SD_EEES6_PiJS6_EEE10hipError_tPvRmT3_T4_T5_T6_T7_T9_mT8_P12ihipStream_tbDpT10_ENKUlT_T0_E_clISt17integral_constantIbLb0EES1C_IbLb1EEEEDaS18_S19_EUlS18_E_NS1_11comp_targetILNS1_3genE9ELNS1_11target_archE1100ELNS1_3gpuE3ELNS1_3repE0EEENS1_30default_config_static_selectorELNS0_4arch9wavefront6targetE0EEEvT1_ ; -- Begin function _ZN7rocprim17ROCPRIM_400000_NS6detail17trampoline_kernelINS0_14default_configENS1_25partition_config_selectorILNS1_17partition_subalgoE5ElNS0_10empty_typeEbEEZZNS1_14partition_implILS5_5ELb0ES3_mN6hipcub16HIPCUB_304000_NS21CountingInputIteratorIllEEPS6_NSA_22TransformInputIteratorIbN2at6native12_GLOBAL__N_19NonZeroOpIN3c108BFloat16EEEPKSK_lEENS0_5tupleIJPlS6_EEENSP_IJSD_SD_EEES6_PiJS6_EEE10hipError_tPvRmT3_T4_T5_T6_T7_T9_mT8_P12ihipStream_tbDpT10_ENKUlT_T0_E_clISt17integral_constantIbLb0EES1C_IbLb1EEEEDaS18_S19_EUlS18_E_NS1_11comp_targetILNS1_3genE9ELNS1_11target_archE1100ELNS1_3gpuE3ELNS1_3repE0EEENS1_30default_config_static_selectorELNS0_4arch9wavefront6targetE0EEEvT1_
	.p2align	8
	.type	_ZN7rocprim17ROCPRIM_400000_NS6detail17trampoline_kernelINS0_14default_configENS1_25partition_config_selectorILNS1_17partition_subalgoE5ElNS0_10empty_typeEbEEZZNS1_14partition_implILS5_5ELb0ES3_mN6hipcub16HIPCUB_304000_NS21CountingInputIteratorIllEEPS6_NSA_22TransformInputIteratorIbN2at6native12_GLOBAL__N_19NonZeroOpIN3c108BFloat16EEEPKSK_lEENS0_5tupleIJPlS6_EEENSP_IJSD_SD_EEES6_PiJS6_EEE10hipError_tPvRmT3_T4_T5_T6_T7_T9_mT8_P12ihipStream_tbDpT10_ENKUlT_T0_E_clISt17integral_constantIbLb0EES1C_IbLb1EEEEDaS18_S19_EUlS18_E_NS1_11comp_targetILNS1_3genE9ELNS1_11target_archE1100ELNS1_3gpuE3ELNS1_3repE0EEENS1_30default_config_static_selectorELNS0_4arch9wavefront6targetE0EEEvT1_,@function
_ZN7rocprim17ROCPRIM_400000_NS6detail17trampoline_kernelINS0_14default_configENS1_25partition_config_selectorILNS1_17partition_subalgoE5ElNS0_10empty_typeEbEEZZNS1_14partition_implILS5_5ELb0ES3_mN6hipcub16HIPCUB_304000_NS21CountingInputIteratorIllEEPS6_NSA_22TransformInputIteratorIbN2at6native12_GLOBAL__N_19NonZeroOpIN3c108BFloat16EEEPKSK_lEENS0_5tupleIJPlS6_EEENSP_IJSD_SD_EEES6_PiJS6_EEE10hipError_tPvRmT3_T4_T5_T6_T7_T9_mT8_P12ihipStream_tbDpT10_ENKUlT_T0_E_clISt17integral_constantIbLb0EES1C_IbLb1EEEEDaS18_S19_EUlS18_E_NS1_11comp_targetILNS1_3genE9ELNS1_11target_archE1100ELNS1_3gpuE3ELNS1_3repE0EEENS1_30default_config_static_selectorELNS0_4arch9wavefront6targetE0EEEvT1_: ; @_ZN7rocprim17ROCPRIM_400000_NS6detail17trampoline_kernelINS0_14default_configENS1_25partition_config_selectorILNS1_17partition_subalgoE5ElNS0_10empty_typeEbEEZZNS1_14partition_implILS5_5ELb0ES3_mN6hipcub16HIPCUB_304000_NS21CountingInputIteratorIllEEPS6_NSA_22TransformInputIteratorIbN2at6native12_GLOBAL__N_19NonZeroOpIN3c108BFloat16EEEPKSK_lEENS0_5tupleIJPlS6_EEENSP_IJSD_SD_EEES6_PiJS6_EEE10hipError_tPvRmT3_T4_T5_T6_T7_T9_mT8_P12ihipStream_tbDpT10_ENKUlT_T0_E_clISt17integral_constantIbLb0EES1C_IbLb1EEEEDaS18_S19_EUlS18_E_NS1_11comp_targetILNS1_3genE9ELNS1_11target_archE1100ELNS1_3gpuE3ELNS1_3repE0EEENS1_30default_config_static_selectorELNS0_4arch9wavefront6targetE0EEEvT1_
; %bb.0:
	.section	.rodata,"a",@progbits
	.p2align	6, 0x0
	.amdhsa_kernel _ZN7rocprim17ROCPRIM_400000_NS6detail17trampoline_kernelINS0_14default_configENS1_25partition_config_selectorILNS1_17partition_subalgoE5ElNS0_10empty_typeEbEEZZNS1_14partition_implILS5_5ELb0ES3_mN6hipcub16HIPCUB_304000_NS21CountingInputIteratorIllEEPS6_NSA_22TransformInputIteratorIbN2at6native12_GLOBAL__N_19NonZeroOpIN3c108BFloat16EEEPKSK_lEENS0_5tupleIJPlS6_EEENSP_IJSD_SD_EEES6_PiJS6_EEE10hipError_tPvRmT3_T4_T5_T6_T7_T9_mT8_P12ihipStream_tbDpT10_ENKUlT_T0_E_clISt17integral_constantIbLb0EES1C_IbLb1EEEEDaS18_S19_EUlS18_E_NS1_11comp_targetILNS1_3genE9ELNS1_11target_archE1100ELNS1_3gpuE3ELNS1_3repE0EEENS1_30default_config_static_selectorELNS0_4arch9wavefront6targetE0EEEvT1_
		.amdhsa_group_segment_fixed_size 0
		.amdhsa_private_segment_fixed_size 0
		.amdhsa_kernarg_size 136
		.amdhsa_user_sgpr_count 2
		.amdhsa_user_sgpr_dispatch_ptr 0
		.amdhsa_user_sgpr_queue_ptr 0
		.amdhsa_user_sgpr_kernarg_segment_ptr 1
		.amdhsa_user_sgpr_dispatch_id 0
		.amdhsa_user_sgpr_private_segment_size 0
		.amdhsa_wavefront_size32 1
		.amdhsa_uses_dynamic_stack 0
		.amdhsa_enable_private_segment 0
		.amdhsa_system_sgpr_workgroup_id_x 1
		.amdhsa_system_sgpr_workgroup_id_y 0
		.amdhsa_system_sgpr_workgroup_id_z 0
		.amdhsa_system_sgpr_workgroup_info 0
		.amdhsa_system_vgpr_workitem_id 0
		.amdhsa_next_free_vgpr 1
		.amdhsa_next_free_sgpr 1
		.amdhsa_reserve_vcc 0
		.amdhsa_float_round_mode_32 0
		.amdhsa_float_round_mode_16_64 0
		.amdhsa_float_denorm_mode_32 3
		.amdhsa_float_denorm_mode_16_64 3
		.amdhsa_fp16_overflow 0
		.amdhsa_workgroup_processor_mode 1
		.amdhsa_memory_ordered 1
		.amdhsa_forward_progress 1
		.amdhsa_inst_pref_size 0
		.amdhsa_round_robin_scheduling 0
		.amdhsa_exception_fp_ieee_invalid_op 0
		.amdhsa_exception_fp_denorm_src 0
		.amdhsa_exception_fp_ieee_div_zero 0
		.amdhsa_exception_fp_ieee_overflow 0
		.amdhsa_exception_fp_ieee_underflow 0
		.amdhsa_exception_fp_ieee_inexact 0
		.amdhsa_exception_int_div_zero 0
	.end_amdhsa_kernel
	.section	.text._ZN7rocprim17ROCPRIM_400000_NS6detail17trampoline_kernelINS0_14default_configENS1_25partition_config_selectorILNS1_17partition_subalgoE5ElNS0_10empty_typeEbEEZZNS1_14partition_implILS5_5ELb0ES3_mN6hipcub16HIPCUB_304000_NS21CountingInputIteratorIllEEPS6_NSA_22TransformInputIteratorIbN2at6native12_GLOBAL__N_19NonZeroOpIN3c108BFloat16EEEPKSK_lEENS0_5tupleIJPlS6_EEENSP_IJSD_SD_EEES6_PiJS6_EEE10hipError_tPvRmT3_T4_T5_T6_T7_T9_mT8_P12ihipStream_tbDpT10_ENKUlT_T0_E_clISt17integral_constantIbLb0EES1C_IbLb1EEEEDaS18_S19_EUlS18_E_NS1_11comp_targetILNS1_3genE9ELNS1_11target_archE1100ELNS1_3gpuE3ELNS1_3repE0EEENS1_30default_config_static_selectorELNS0_4arch9wavefront6targetE0EEEvT1_,"axG",@progbits,_ZN7rocprim17ROCPRIM_400000_NS6detail17trampoline_kernelINS0_14default_configENS1_25partition_config_selectorILNS1_17partition_subalgoE5ElNS0_10empty_typeEbEEZZNS1_14partition_implILS5_5ELb0ES3_mN6hipcub16HIPCUB_304000_NS21CountingInputIteratorIllEEPS6_NSA_22TransformInputIteratorIbN2at6native12_GLOBAL__N_19NonZeroOpIN3c108BFloat16EEEPKSK_lEENS0_5tupleIJPlS6_EEENSP_IJSD_SD_EEES6_PiJS6_EEE10hipError_tPvRmT3_T4_T5_T6_T7_T9_mT8_P12ihipStream_tbDpT10_ENKUlT_T0_E_clISt17integral_constantIbLb0EES1C_IbLb1EEEEDaS18_S19_EUlS18_E_NS1_11comp_targetILNS1_3genE9ELNS1_11target_archE1100ELNS1_3gpuE3ELNS1_3repE0EEENS1_30default_config_static_selectorELNS0_4arch9wavefront6targetE0EEEvT1_,comdat
.Lfunc_end828:
	.size	_ZN7rocprim17ROCPRIM_400000_NS6detail17trampoline_kernelINS0_14default_configENS1_25partition_config_selectorILNS1_17partition_subalgoE5ElNS0_10empty_typeEbEEZZNS1_14partition_implILS5_5ELb0ES3_mN6hipcub16HIPCUB_304000_NS21CountingInputIteratorIllEEPS6_NSA_22TransformInputIteratorIbN2at6native12_GLOBAL__N_19NonZeroOpIN3c108BFloat16EEEPKSK_lEENS0_5tupleIJPlS6_EEENSP_IJSD_SD_EEES6_PiJS6_EEE10hipError_tPvRmT3_T4_T5_T6_T7_T9_mT8_P12ihipStream_tbDpT10_ENKUlT_T0_E_clISt17integral_constantIbLb0EES1C_IbLb1EEEEDaS18_S19_EUlS18_E_NS1_11comp_targetILNS1_3genE9ELNS1_11target_archE1100ELNS1_3gpuE3ELNS1_3repE0EEENS1_30default_config_static_selectorELNS0_4arch9wavefront6targetE0EEEvT1_, .Lfunc_end828-_ZN7rocprim17ROCPRIM_400000_NS6detail17trampoline_kernelINS0_14default_configENS1_25partition_config_selectorILNS1_17partition_subalgoE5ElNS0_10empty_typeEbEEZZNS1_14partition_implILS5_5ELb0ES3_mN6hipcub16HIPCUB_304000_NS21CountingInputIteratorIllEEPS6_NSA_22TransformInputIteratorIbN2at6native12_GLOBAL__N_19NonZeroOpIN3c108BFloat16EEEPKSK_lEENS0_5tupleIJPlS6_EEENSP_IJSD_SD_EEES6_PiJS6_EEE10hipError_tPvRmT3_T4_T5_T6_T7_T9_mT8_P12ihipStream_tbDpT10_ENKUlT_T0_E_clISt17integral_constantIbLb0EES1C_IbLb1EEEEDaS18_S19_EUlS18_E_NS1_11comp_targetILNS1_3genE9ELNS1_11target_archE1100ELNS1_3gpuE3ELNS1_3repE0EEENS1_30default_config_static_selectorELNS0_4arch9wavefront6targetE0EEEvT1_
                                        ; -- End function
	.set _ZN7rocprim17ROCPRIM_400000_NS6detail17trampoline_kernelINS0_14default_configENS1_25partition_config_selectorILNS1_17partition_subalgoE5ElNS0_10empty_typeEbEEZZNS1_14partition_implILS5_5ELb0ES3_mN6hipcub16HIPCUB_304000_NS21CountingInputIteratorIllEEPS6_NSA_22TransformInputIteratorIbN2at6native12_GLOBAL__N_19NonZeroOpIN3c108BFloat16EEEPKSK_lEENS0_5tupleIJPlS6_EEENSP_IJSD_SD_EEES6_PiJS6_EEE10hipError_tPvRmT3_T4_T5_T6_T7_T9_mT8_P12ihipStream_tbDpT10_ENKUlT_T0_E_clISt17integral_constantIbLb0EES1C_IbLb1EEEEDaS18_S19_EUlS18_E_NS1_11comp_targetILNS1_3genE9ELNS1_11target_archE1100ELNS1_3gpuE3ELNS1_3repE0EEENS1_30default_config_static_selectorELNS0_4arch9wavefront6targetE0EEEvT1_.num_vgpr, 0
	.set _ZN7rocprim17ROCPRIM_400000_NS6detail17trampoline_kernelINS0_14default_configENS1_25partition_config_selectorILNS1_17partition_subalgoE5ElNS0_10empty_typeEbEEZZNS1_14partition_implILS5_5ELb0ES3_mN6hipcub16HIPCUB_304000_NS21CountingInputIteratorIllEEPS6_NSA_22TransformInputIteratorIbN2at6native12_GLOBAL__N_19NonZeroOpIN3c108BFloat16EEEPKSK_lEENS0_5tupleIJPlS6_EEENSP_IJSD_SD_EEES6_PiJS6_EEE10hipError_tPvRmT3_T4_T5_T6_T7_T9_mT8_P12ihipStream_tbDpT10_ENKUlT_T0_E_clISt17integral_constantIbLb0EES1C_IbLb1EEEEDaS18_S19_EUlS18_E_NS1_11comp_targetILNS1_3genE9ELNS1_11target_archE1100ELNS1_3gpuE3ELNS1_3repE0EEENS1_30default_config_static_selectorELNS0_4arch9wavefront6targetE0EEEvT1_.num_agpr, 0
	.set _ZN7rocprim17ROCPRIM_400000_NS6detail17trampoline_kernelINS0_14default_configENS1_25partition_config_selectorILNS1_17partition_subalgoE5ElNS0_10empty_typeEbEEZZNS1_14partition_implILS5_5ELb0ES3_mN6hipcub16HIPCUB_304000_NS21CountingInputIteratorIllEEPS6_NSA_22TransformInputIteratorIbN2at6native12_GLOBAL__N_19NonZeroOpIN3c108BFloat16EEEPKSK_lEENS0_5tupleIJPlS6_EEENSP_IJSD_SD_EEES6_PiJS6_EEE10hipError_tPvRmT3_T4_T5_T6_T7_T9_mT8_P12ihipStream_tbDpT10_ENKUlT_T0_E_clISt17integral_constantIbLb0EES1C_IbLb1EEEEDaS18_S19_EUlS18_E_NS1_11comp_targetILNS1_3genE9ELNS1_11target_archE1100ELNS1_3gpuE3ELNS1_3repE0EEENS1_30default_config_static_selectorELNS0_4arch9wavefront6targetE0EEEvT1_.numbered_sgpr, 0
	.set _ZN7rocprim17ROCPRIM_400000_NS6detail17trampoline_kernelINS0_14default_configENS1_25partition_config_selectorILNS1_17partition_subalgoE5ElNS0_10empty_typeEbEEZZNS1_14partition_implILS5_5ELb0ES3_mN6hipcub16HIPCUB_304000_NS21CountingInputIteratorIllEEPS6_NSA_22TransformInputIteratorIbN2at6native12_GLOBAL__N_19NonZeroOpIN3c108BFloat16EEEPKSK_lEENS0_5tupleIJPlS6_EEENSP_IJSD_SD_EEES6_PiJS6_EEE10hipError_tPvRmT3_T4_T5_T6_T7_T9_mT8_P12ihipStream_tbDpT10_ENKUlT_T0_E_clISt17integral_constantIbLb0EES1C_IbLb1EEEEDaS18_S19_EUlS18_E_NS1_11comp_targetILNS1_3genE9ELNS1_11target_archE1100ELNS1_3gpuE3ELNS1_3repE0EEENS1_30default_config_static_selectorELNS0_4arch9wavefront6targetE0EEEvT1_.num_named_barrier, 0
	.set _ZN7rocprim17ROCPRIM_400000_NS6detail17trampoline_kernelINS0_14default_configENS1_25partition_config_selectorILNS1_17partition_subalgoE5ElNS0_10empty_typeEbEEZZNS1_14partition_implILS5_5ELb0ES3_mN6hipcub16HIPCUB_304000_NS21CountingInputIteratorIllEEPS6_NSA_22TransformInputIteratorIbN2at6native12_GLOBAL__N_19NonZeroOpIN3c108BFloat16EEEPKSK_lEENS0_5tupleIJPlS6_EEENSP_IJSD_SD_EEES6_PiJS6_EEE10hipError_tPvRmT3_T4_T5_T6_T7_T9_mT8_P12ihipStream_tbDpT10_ENKUlT_T0_E_clISt17integral_constantIbLb0EES1C_IbLb1EEEEDaS18_S19_EUlS18_E_NS1_11comp_targetILNS1_3genE9ELNS1_11target_archE1100ELNS1_3gpuE3ELNS1_3repE0EEENS1_30default_config_static_selectorELNS0_4arch9wavefront6targetE0EEEvT1_.private_seg_size, 0
	.set _ZN7rocprim17ROCPRIM_400000_NS6detail17trampoline_kernelINS0_14default_configENS1_25partition_config_selectorILNS1_17partition_subalgoE5ElNS0_10empty_typeEbEEZZNS1_14partition_implILS5_5ELb0ES3_mN6hipcub16HIPCUB_304000_NS21CountingInputIteratorIllEEPS6_NSA_22TransformInputIteratorIbN2at6native12_GLOBAL__N_19NonZeroOpIN3c108BFloat16EEEPKSK_lEENS0_5tupleIJPlS6_EEENSP_IJSD_SD_EEES6_PiJS6_EEE10hipError_tPvRmT3_T4_T5_T6_T7_T9_mT8_P12ihipStream_tbDpT10_ENKUlT_T0_E_clISt17integral_constantIbLb0EES1C_IbLb1EEEEDaS18_S19_EUlS18_E_NS1_11comp_targetILNS1_3genE9ELNS1_11target_archE1100ELNS1_3gpuE3ELNS1_3repE0EEENS1_30default_config_static_selectorELNS0_4arch9wavefront6targetE0EEEvT1_.uses_vcc, 0
	.set _ZN7rocprim17ROCPRIM_400000_NS6detail17trampoline_kernelINS0_14default_configENS1_25partition_config_selectorILNS1_17partition_subalgoE5ElNS0_10empty_typeEbEEZZNS1_14partition_implILS5_5ELb0ES3_mN6hipcub16HIPCUB_304000_NS21CountingInputIteratorIllEEPS6_NSA_22TransformInputIteratorIbN2at6native12_GLOBAL__N_19NonZeroOpIN3c108BFloat16EEEPKSK_lEENS0_5tupleIJPlS6_EEENSP_IJSD_SD_EEES6_PiJS6_EEE10hipError_tPvRmT3_T4_T5_T6_T7_T9_mT8_P12ihipStream_tbDpT10_ENKUlT_T0_E_clISt17integral_constantIbLb0EES1C_IbLb1EEEEDaS18_S19_EUlS18_E_NS1_11comp_targetILNS1_3genE9ELNS1_11target_archE1100ELNS1_3gpuE3ELNS1_3repE0EEENS1_30default_config_static_selectorELNS0_4arch9wavefront6targetE0EEEvT1_.uses_flat_scratch, 0
	.set _ZN7rocprim17ROCPRIM_400000_NS6detail17trampoline_kernelINS0_14default_configENS1_25partition_config_selectorILNS1_17partition_subalgoE5ElNS0_10empty_typeEbEEZZNS1_14partition_implILS5_5ELb0ES3_mN6hipcub16HIPCUB_304000_NS21CountingInputIteratorIllEEPS6_NSA_22TransformInputIteratorIbN2at6native12_GLOBAL__N_19NonZeroOpIN3c108BFloat16EEEPKSK_lEENS0_5tupleIJPlS6_EEENSP_IJSD_SD_EEES6_PiJS6_EEE10hipError_tPvRmT3_T4_T5_T6_T7_T9_mT8_P12ihipStream_tbDpT10_ENKUlT_T0_E_clISt17integral_constantIbLb0EES1C_IbLb1EEEEDaS18_S19_EUlS18_E_NS1_11comp_targetILNS1_3genE9ELNS1_11target_archE1100ELNS1_3gpuE3ELNS1_3repE0EEENS1_30default_config_static_selectorELNS0_4arch9wavefront6targetE0EEEvT1_.has_dyn_sized_stack, 0
	.set _ZN7rocprim17ROCPRIM_400000_NS6detail17trampoline_kernelINS0_14default_configENS1_25partition_config_selectorILNS1_17partition_subalgoE5ElNS0_10empty_typeEbEEZZNS1_14partition_implILS5_5ELb0ES3_mN6hipcub16HIPCUB_304000_NS21CountingInputIteratorIllEEPS6_NSA_22TransformInputIteratorIbN2at6native12_GLOBAL__N_19NonZeroOpIN3c108BFloat16EEEPKSK_lEENS0_5tupleIJPlS6_EEENSP_IJSD_SD_EEES6_PiJS6_EEE10hipError_tPvRmT3_T4_T5_T6_T7_T9_mT8_P12ihipStream_tbDpT10_ENKUlT_T0_E_clISt17integral_constantIbLb0EES1C_IbLb1EEEEDaS18_S19_EUlS18_E_NS1_11comp_targetILNS1_3genE9ELNS1_11target_archE1100ELNS1_3gpuE3ELNS1_3repE0EEENS1_30default_config_static_selectorELNS0_4arch9wavefront6targetE0EEEvT1_.has_recursion, 0
	.set _ZN7rocprim17ROCPRIM_400000_NS6detail17trampoline_kernelINS0_14default_configENS1_25partition_config_selectorILNS1_17partition_subalgoE5ElNS0_10empty_typeEbEEZZNS1_14partition_implILS5_5ELb0ES3_mN6hipcub16HIPCUB_304000_NS21CountingInputIteratorIllEEPS6_NSA_22TransformInputIteratorIbN2at6native12_GLOBAL__N_19NonZeroOpIN3c108BFloat16EEEPKSK_lEENS0_5tupleIJPlS6_EEENSP_IJSD_SD_EEES6_PiJS6_EEE10hipError_tPvRmT3_T4_T5_T6_T7_T9_mT8_P12ihipStream_tbDpT10_ENKUlT_T0_E_clISt17integral_constantIbLb0EES1C_IbLb1EEEEDaS18_S19_EUlS18_E_NS1_11comp_targetILNS1_3genE9ELNS1_11target_archE1100ELNS1_3gpuE3ELNS1_3repE0EEENS1_30default_config_static_selectorELNS0_4arch9wavefront6targetE0EEEvT1_.has_indirect_call, 0
	.section	.AMDGPU.csdata,"",@progbits
; Kernel info:
; codeLenInByte = 0
; TotalNumSgprs: 0
; NumVgprs: 0
; ScratchSize: 0
; MemoryBound: 0
; FloatMode: 240
; IeeeMode: 1
; LDSByteSize: 0 bytes/workgroup (compile time only)
; SGPRBlocks: 0
; VGPRBlocks: 0
; NumSGPRsForWavesPerEU: 1
; NumVGPRsForWavesPerEU: 1
; Occupancy: 16
; WaveLimiterHint : 0
; COMPUTE_PGM_RSRC2:SCRATCH_EN: 0
; COMPUTE_PGM_RSRC2:USER_SGPR: 2
; COMPUTE_PGM_RSRC2:TRAP_HANDLER: 0
; COMPUTE_PGM_RSRC2:TGID_X_EN: 1
; COMPUTE_PGM_RSRC2:TGID_Y_EN: 0
; COMPUTE_PGM_RSRC2:TGID_Z_EN: 0
; COMPUTE_PGM_RSRC2:TIDIG_COMP_CNT: 0
	.section	.text._ZN7rocprim17ROCPRIM_400000_NS6detail17trampoline_kernelINS0_14default_configENS1_25partition_config_selectorILNS1_17partition_subalgoE5ElNS0_10empty_typeEbEEZZNS1_14partition_implILS5_5ELb0ES3_mN6hipcub16HIPCUB_304000_NS21CountingInputIteratorIllEEPS6_NSA_22TransformInputIteratorIbN2at6native12_GLOBAL__N_19NonZeroOpIN3c108BFloat16EEEPKSK_lEENS0_5tupleIJPlS6_EEENSP_IJSD_SD_EEES6_PiJS6_EEE10hipError_tPvRmT3_T4_T5_T6_T7_T9_mT8_P12ihipStream_tbDpT10_ENKUlT_T0_E_clISt17integral_constantIbLb0EES1C_IbLb1EEEEDaS18_S19_EUlS18_E_NS1_11comp_targetILNS1_3genE8ELNS1_11target_archE1030ELNS1_3gpuE2ELNS1_3repE0EEENS1_30default_config_static_selectorELNS0_4arch9wavefront6targetE0EEEvT1_,"axG",@progbits,_ZN7rocprim17ROCPRIM_400000_NS6detail17trampoline_kernelINS0_14default_configENS1_25partition_config_selectorILNS1_17partition_subalgoE5ElNS0_10empty_typeEbEEZZNS1_14partition_implILS5_5ELb0ES3_mN6hipcub16HIPCUB_304000_NS21CountingInputIteratorIllEEPS6_NSA_22TransformInputIteratorIbN2at6native12_GLOBAL__N_19NonZeroOpIN3c108BFloat16EEEPKSK_lEENS0_5tupleIJPlS6_EEENSP_IJSD_SD_EEES6_PiJS6_EEE10hipError_tPvRmT3_T4_T5_T6_T7_T9_mT8_P12ihipStream_tbDpT10_ENKUlT_T0_E_clISt17integral_constantIbLb0EES1C_IbLb1EEEEDaS18_S19_EUlS18_E_NS1_11comp_targetILNS1_3genE8ELNS1_11target_archE1030ELNS1_3gpuE2ELNS1_3repE0EEENS1_30default_config_static_selectorELNS0_4arch9wavefront6targetE0EEEvT1_,comdat
	.globl	_ZN7rocprim17ROCPRIM_400000_NS6detail17trampoline_kernelINS0_14default_configENS1_25partition_config_selectorILNS1_17partition_subalgoE5ElNS0_10empty_typeEbEEZZNS1_14partition_implILS5_5ELb0ES3_mN6hipcub16HIPCUB_304000_NS21CountingInputIteratorIllEEPS6_NSA_22TransformInputIteratorIbN2at6native12_GLOBAL__N_19NonZeroOpIN3c108BFloat16EEEPKSK_lEENS0_5tupleIJPlS6_EEENSP_IJSD_SD_EEES6_PiJS6_EEE10hipError_tPvRmT3_T4_T5_T6_T7_T9_mT8_P12ihipStream_tbDpT10_ENKUlT_T0_E_clISt17integral_constantIbLb0EES1C_IbLb1EEEEDaS18_S19_EUlS18_E_NS1_11comp_targetILNS1_3genE8ELNS1_11target_archE1030ELNS1_3gpuE2ELNS1_3repE0EEENS1_30default_config_static_selectorELNS0_4arch9wavefront6targetE0EEEvT1_ ; -- Begin function _ZN7rocprim17ROCPRIM_400000_NS6detail17trampoline_kernelINS0_14default_configENS1_25partition_config_selectorILNS1_17partition_subalgoE5ElNS0_10empty_typeEbEEZZNS1_14partition_implILS5_5ELb0ES3_mN6hipcub16HIPCUB_304000_NS21CountingInputIteratorIllEEPS6_NSA_22TransformInputIteratorIbN2at6native12_GLOBAL__N_19NonZeroOpIN3c108BFloat16EEEPKSK_lEENS0_5tupleIJPlS6_EEENSP_IJSD_SD_EEES6_PiJS6_EEE10hipError_tPvRmT3_T4_T5_T6_T7_T9_mT8_P12ihipStream_tbDpT10_ENKUlT_T0_E_clISt17integral_constantIbLb0EES1C_IbLb1EEEEDaS18_S19_EUlS18_E_NS1_11comp_targetILNS1_3genE8ELNS1_11target_archE1030ELNS1_3gpuE2ELNS1_3repE0EEENS1_30default_config_static_selectorELNS0_4arch9wavefront6targetE0EEEvT1_
	.p2align	8
	.type	_ZN7rocprim17ROCPRIM_400000_NS6detail17trampoline_kernelINS0_14default_configENS1_25partition_config_selectorILNS1_17partition_subalgoE5ElNS0_10empty_typeEbEEZZNS1_14partition_implILS5_5ELb0ES3_mN6hipcub16HIPCUB_304000_NS21CountingInputIteratorIllEEPS6_NSA_22TransformInputIteratorIbN2at6native12_GLOBAL__N_19NonZeroOpIN3c108BFloat16EEEPKSK_lEENS0_5tupleIJPlS6_EEENSP_IJSD_SD_EEES6_PiJS6_EEE10hipError_tPvRmT3_T4_T5_T6_T7_T9_mT8_P12ihipStream_tbDpT10_ENKUlT_T0_E_clISt17integral_constantIbLb0EES1C_IbLb1EEEEDaS18_S19_EUlS18_E_NS1_11comp_targetILNS1_3genE8ELNS1_11target_archE1030ELNS1_3gpuE2ELNS1_3repE0EEENS1_30default_config_static_selectorELNS0_4arch9wavefront6targetE0EEEvT1_,@function
_ZN7rocprim17ROCPRIM_400000_NS6detail17trampoline_kernelINS0_14default_configENS1_25partition_config_selectorILNS1_17partition_subalgoE5ElNS0_10empty_typeEbEEZZNS1_14partition_implILS5_5ELb0ES3_mN6hipcub16HIPCUB_304000_NS21CountingInputIteratorIllEEPS6_NSA_22TransformInputIteratorIbN2at6native12_GLOBAL__N_19NonZeroOpIN3c108BFloat16EEEPKSK_lEENS0_5tupleIJPlS6_EEENSP_IJSD_SD_EEES6_PiJS6_EEE10hipError_tPvRmT3_T4_T5_T6_T7_T9_mT8_P12ihipStream_tbDpT10_ENKUlT_T0_E_clISt17integral_constantIbLb0EES1C_IbLb1EEEEDaS18_S19_EUlS18_E_NS1_11comp_targetILNS1_3genE8ELNS1_11target_archE1030ELNS1_3gpuE2ELNS1_3repE0EEENS1_30default_config_static_selectorELNS0_4arch9wavefront6targetE0EEEvT1_: ; @_ZN7rocprim17ROCPRIM_400000_NS6detail17trampoline_kernelINS0_14default_configENS1_25partition_config_selectorILNS1_17partition_subalgoE5ElNS0_10empty_typeEbEEZZNS1_14partition_implILS5_5ELb0ES3_mN6hipcub16HIPCUB_304000_NS21CountingInputIteratorIllEEPS6_NSA_22TransformInputIteratorIbN2at6native12_GLOBAL__N_19NonZeroOpIN3c108BFloat16EEEPKSK_lEENS0_5tupleIJPlS6_EEENSP_IJSD_SD_EEES6_PiJS6_EEE10hipError_tPvRmT3_T4_T5_T6_T7_T9_mT8_P12ihipStream_tbDpT10_ENKUlT_T0_E_clISt17integral_constantIbLb0EES1C_IbLb1EEEEDaS18_S19_EUlS18_E_NS1_11comp_targetILNS1_3genE8ELNS1_11target_archE1030ELNS1_3gpuE2ELNS1_3repE0EEENS1_30default_config_static_selectorELNS0_4arch9wavefront6targetE0EEEvT1_
; %bb.0:
	.section	.rodata,"a",@progbits
	.p2align	6, 0x0
	.amdhsa_kernel _ZN7rocprim17ROCPRIM_400000_NS6detail17trampoline_kernelINS0_14default_configENS1_25partition_config_selectorILNS1_17partition_subalgoE5ElNS0_10empty_typeEbEEZZNS1_14partition_implILS5_5ELb0ES3_mN6hipcub16HIPCUB_304000_NS21CountingInputIteratorIllEEPS6_NSA_22TransformInputIteratorIbN2at6native12_GLOBAL__N_19NonZeroOpIN3c108BFloat16EEEPKSK_lEENS0_5tupleIJPlS6_EEENSP_IJSD_SD_EEES6_PiJS6_EEE10hipError_tPvRmT3_T4_T5_T6_T7_T9_mT8_P12ihipStream_tbDpT10_ENKUlT_T0_E_clISt17integral_constantIbLb0EES1C_IbLb1EEEEDaS18_S19_EUlS18_E_NS1_11comp_targetILNS1_3genE8ELNS1_11target_archE1030ELNS1_3gpuE2ELNS1_3repE0EEENS1_30default_config_static_selectorELNS0_4arch9wavefront6targetE0EEEvT1_
		.amdhsa_group_segment_fixed_size 0
		.amdhsa_private_segment_fixed_size 0
		.amdhsa_kernarg_size 136
		.amdhsa_user_sgpr_count 2
		.amdhsa_user_sgpr_dispatch_ptr 0
		.amdhsa_user_sgpr_queue_ptr 0
		.amdhsa_user_sgpr_kernarg_segment_ptr 1
		.amdhsa_user_sgpr_dispatch_id 0
		.amdhsa_user_sgpr_private_segment_size 0
		.amdhsa_wavefront_size32 1
		.amdhsa_uses_dynamic_stack 0
		.amdhsa_enable_private_segment 0
		.amdhsa_system_sgpr_workgroup_id_x 1
		.amdhsa_system_sgpr_workgroup_id_y 0
		.amdhsa_system_sgpr_workgroup_id_z 0
		.amdhsa_system_sgpr_workgroup_info 0
		.amdhsa_system_vgpr_workitem_id 0
		.amdhsa_next_free_vgpr 1
		.amdhsa_next_free_sgpr 1
		.amdhsa_reserve_vcc 0
		.amdhsa_float_round_mode_32 0
		.amdhsa_float_round_mode_16_64 0
		.amdhsa_float_denorm_mode_32 3
		.amdhsa_float_denorm_mode_16_64 3
		.amdhsa_fp16_overflow 0
		.amdhsa_workgroup_processor_mode 1
		.amdhsa_memory_ordered 1
		.amdhsa_forward_progress 1
		.amdhsa_inst_pref_size 0
		.amdhsa_round_robin_scheduling 0
		.amdhsa_exception_fp_ieee_invalid_op 0
		.amdhsa_exception_fp_denorm_src 0
		.amdhsa_exception_fp_ieee_div_zero 0
		.amdhsa_exception_fp_ieee_overflow 0
		.amdhsa_exception_fp_ieee_underflow 0
		.amdhsa_exception_fp_ieee_inexact 0
		.amdhsa_exception_int_div_zero 0
	.end_amdhsa_kernel
	.section	.text._ZN7rocprim17ROCPRIM_400000_NS6detail17trampoline_kernelINS0_14default_configENS1_25partition_config_selectorILNS1_17partition_subalgoE5ElNS0_10empty_typeEbEEZZNS1_14partition_implILS5_5ELb0ES3_mN6hipcub16HIPCUB_304000_NS21CountingInputIteratorIllEEPS6_NSA_22TransformInputIteratorIbN2at6native12_GLOBAL__N_19NonZeroOpIN3c108BFloat16EEEPKSK_lEENS0_5tupleIJPlS6_EEENSP_IJSD_SD_EEES6_PiJS6_EEE10hipError_tPvRmT3_T4_T5_T6_T7_T9_mT8_P12ihipStream_tbDpT10_ENKUlT_T0_E_clISt17integral_constantIbLb0EES1C_IbLb1EEEEDaS18_S19_EUlS18_E_NS1_11comp_targetILNS1_3genE8ELNS1_11target_archE1030ELNS1_3gpuE2ELNS1_3repE0EEENS1_30default_config_static_selectorELNS0_4arch9wavefront6targetE0EEEvT1_,"axG",@progbits,_ZN7rocprim17ROCPRIM_400000_NS6detail17trampoline_kernelINS0_14default_configENS1_25partition_config_selectorILNS1_17partition_subalgoE5ElNS0_10empty_typeEbEEZZNS1_14partition_implILS5_5ELb0ES3_mN6hipcub16HIPCUB_304000_NS21CountingInputIteratorIllEEPS6_NSA_22TransformInputIteratorIbN2at6native12_GLOBAL__N_19NonZeroOpIN3c108BFloat16EEEPKSK_lEENS0_5tupleIJPlS6_EEENSP_IJSD_SD_EEES6_PiJS6_EEE10hipError_tPvRmT3_T4_T5_T6_T7_T9_mT8_P12ihipStream_tbDpT10_ENKUlT_T0_E_clISt17integral_constantIbLb0EES1C_IbLb1EEEEDaS18_S19_EUlS18_E_NS1_11comp_targetILNS1_3genE8ELNS1_11target_archE1030ELNS1_3gpuE2ELNS1_3repE0EEENS1_30default_config_static_selectorELNS0_4arch9wavefront6targetE0EEEvT1_,comdat
.Lfunc_end829:
	.size	_ZN7rocprim17ROCPRIM_400000_NS6detail17trampoline_kernelINS0_14default_configENS1_25partition_config_selectorILNS1_17partition_subalgoE5ElNS0_10empty_typeEbEEZZNS1_14partition_implILS5_5ELb0ES3_mN6hipcub16HIPCUB_304000_NS21CountingInputIteratorIllEEPS6_NSA_22TransformInputIteratorIbN2at6native12_GLOBAL__N_19NonZeroOpIN3c108BFloat16EEEPKSK_lEENS0_5tupleIJPlS6_EEENSP_IJSD_SD_EEES6_PiJS6_EEE10hipError_tPvRmT3_T4_T5_T6_T7_T9_mT8_P12ihipStream_tbDpT10_ENKUlT_T0_E_clISt17integral_constantIbLb0EES1C_IbLb1EEEEDaS18_S19_EUlS18_E_NS1_11comp_targetILNS1_3genE8ELNS1_11target_archE1030ELNS1_3gpuE2ELNS1_3repE0EEENS1_30default_config_static_selectorELNS0_4arch9wavefront6targetE0EEEvT1_, .Lfunc_end829-_ZN7rocprim17ROCPRIM_400000_NS6detail17trampoline_kernelINS0_14default_configENS1_25partition_config_selectorILNS1_17partition_subalgoE5ElNS0_10empty_typeEbEEZZNS1_14partition_implILS5_5ELb0ES3_mN6hipcub16HIPCUB_304000_NS21CountingInputIteratorIllEEPS6_NSA_22TransformInputIteratorIbN2at6native12_GLOBAL__N_19NonZeroOpIN3c108BFloat16EEEPKSK_lEENS0_5tupleIJPlS6_EEENSP_IJSD_SD_EEES6_PiJS6_EEE10hipError_tPvRmT3_T4_T5_T6_T7_T9_mT8_P12ihipStream_tbDpT10_ENKUlT_T0_E_clISt17integral_constantIbLb0EES1C_IbLb1EEEEDaS18_S19_EUlS18_E_NS1_11comp_targetILNS1_3genE8ELNS1_11target_archE1030ELNS1_3gpuE2ELNS1_3repE0EEENS1_30default_config_static_selectorELNS0_4arch9wavefront6targetE0EEEvT1_
                                        ; -- End function
	.set _ZN7rocprim17ROCPRIM_400000_NS6detail17trampoline_kernelINS0_14default_configENS1_25partition_config_selectorILNS1_17partition_subalgoE5ElNS0_10empty_typeEbEEZZNS1_14partition_implILS5_5ELb0ES3_mN6hipcub16HIPCUB_304000_NS21CountingInputIteratorIllEEPS6_NSA_22TransformInputIteratorIbN2at6native12_GLOBAL__N_19NonZeroOpIN3c108BFloat16EEEPKSK_lEENS0_5tupleIJPlS6_EEENSP_IJSD_SD_EEES6_PiJS6_EEE10hipError_tPvRmT3_T4_T5_T6_T7_T9_mT8_P12ihipStream_tbDpT10_ENKUlT_T0_E_clISt17integral_constantIbLb0EES1C_IbLb1EEEEDaS18_S19_EUlS18_E_NS1_11comp_targetILNS1_3genE8ELNS1_11target_archE1030ELNS1_3gpuE2ELNS1_3repE0EEENS1_30default_config_static_selectorELNS0_4arch9wavefront6targetE0EEEvT1_.num_vgpr, 0
	.set _ZN7rocprim17ROCPRIM_400000_NS6detail17trampoline_kernelINS0_14default_configENS1_25partition_config_selectorILNS1_17partition_subalgoE5ElNS0_10empty_typeEbEEZZNS1_14partition_implILS5_5ELb0ES3_mN6hipcub16HIPCUB_304000_NS21CountingInputIteratorIllEEPS6_NSA_22TransformInputIteratorIbN2at6native12_GLOBAL__N_19NonZeroOpIN3c108BFloat16EEEPKSK_lEENS0_5tupleIJPlS6_EEENSP_IJSD_SD_EEES6_PiJS6_EEE10hipError_tPvRmT3_T4_T5_T6_T7_T9_mT8_P12ihipStream_tbDpT10_ENKUlT_T0_E_clISt17integral_constantIbLb0EES1C_IbLb1EEEEDaS18_S19_EUlS18_E_NS1_11comp_targetILNS1_3genE8ELNS1_11target_archE1030ELNS1_3gpuE2ELNS1_3repE0EEENS1_30default_config_static_selectorELNS0_4arch9wavefront6targetE0EEEvT1_.num_agpr, 0
	.set _ZN7rocprim17ROCPRIM_400000_NS6detail17trampoline_kernelINS0_14default_configENS1_25partition_config_selectorILNS1_17partition_subalgoE5ElNS0_10empty_typeEbEEZZNS1_14partition_implILS5_5ELb0ES3_mN6hipcub16HIPCUB_304000_NS21CountingInputIteratorIllEEPS6_NSA_22TransformInputIteratorIbN2at6native12_GLOBAL__N_19NonZeroOpIN3c108BFloat16EEEPKSK_lEENS0_5tupleIJPlS6_EEENSP_IJSD_SD_EEES6_PiJS6_EEE10hipError_tPvRmT3_T4_T5_T6_T7_T9_mT8_P12ihipStream_tbDpT10_ENKUlT_T0_E_clISt17integral_constantIbLb0EES1C_IbLb1EEEEDaS18_S19_EUlS18_E_NS1_11comp_targetILNS1_3genE8ELNS1_11target_archE1030ELNS1_3gpuE2ELNS1_3repE0EEENS1_30default_config_static_selectorELNS0_4arch9wavefront6targetE0EEEvT1_.numbered_sgpr, 0
	.set _ZN7rocprim17ROCPRIM_400000_NS6detail17trampoline_kernelINS0_14default_configENS1_25partition_config_selectorILNS1_17partition_subalgoE5ElNS0_10empty_typeEbEEZZNS1_14partition_implILS5_5ELb0ES3_mN6hipcub16HIPCUB_304000_NS21CountingInputIteratorIllEEPS6_NSA_22TransformInputIteratorIbN2at6native12_GLOBAL__N_19NonZeroOpIN3c108BFloat16EEEPKSK_lEENS0_5tupleIJPlS6_EEENSP_IJSD_SD_EEES6_PiJS6_EEE10hipError_tPvRmT3_T4_T5_T6_T7_T9_mT8_P12ihipStream_tbDpT10_ENKUlT_T0_E_clISt17integral_constantIbLb0EES1C_IbLb1EEEEDaS18_S19_EUlS18_E_NS1_11comp_targetILNS1_3genE8ELNS1_11target_archE1030ELNS1_3gpuE2ELNS1_3repE0EEENS1_30default_config_static_selectorELNS0_4arch9wavefront6targetE0EEEvT1_.num_named_barrier, 0
	.set _ZN7rocprim17ROCPRIM_400000_NS6detail17trampoline_kernelINS0_14default_configENS1_25partition_config_selectorILNS1_17partition_subalgoE5ElNS0_10empty_typeEbEEZZNS1_14partition_implILS5_5ELb0ES3_mN6hipcub16HIPCUB_304000_NS21CountingInputIteratorIllEEPS6_NSA_22TransformInputIteratorIbN2at6native12_GLOBAL__N_19NonZeroOpIN3c108BFloat16EEEPKSK_lEENS0_5tupleIJPlS6_EEENSP_IJSD_SD_EEES6_PiJS6_EEE10hipError_tPvRmT3_T4_T5_T6_T7_T9_mT8_P12ihipStream_tbDpT10_ENKUlT_T0_E_clISt17integral_constantIbLb0EES1C_IbLb1EEEEDaS18_S19_EUlS18_E_NS1_11comp_targetILNS1_3genE8ELNS1_11target_archE1030ELNS1_3gpuE2ELNS1_3repE0EEENS1_30default_config_static_selectorELNS0_4arch9wavefront6targetE0EEEvT1_.private_seg_size, 0
	.set _ZN7rocprim17ROCPRIM_400000_NS6detail17trampoline_kernelINS0_14default_configENS1_25partition_config_selectorILNS1_17partition_subalgoE5ElNS0_10empty_typeEbEEZZNS1_14partition_implILS5_5ELb0ES3_mN6hipcub16HIPCUB_304000_NS21CountingInputIteratorIllEEPS6_NSA_22TransformInputIteratorIbN2at6native12_GLOBAL__N_19NonZeroOpIN3c108BFloat16EEEPKSK_lEENS0_5tupleIJPlS6_EEENSP_IJSD_SD_EEES6_PiJS6_EEE10hipError_tPvRmT3_T4_T5_T6_T7_T9_mT8_P12ihipStream_tbDpT10_ENKUlT_T0_E_clISt17integral_constantIbLb0EES1C_IbLb1EEEEDaS18_S19_EUlS18_E_NS1_11comp_targetILNS1_3genE8ELNS1_11target_archE1030ELNS1_3gpuE2ELNS1_3repE0EEENS1_30default_config_static_selectorELNS0_4arch9wavefront6targetE0EEEvT1_.uses_vcc, 0
	.set _ZN7rocprim17ROCPRIM_400000_NS6detail17trampoline_kernelINS0_14default_configENS1_25partition_config_selectorILNS1_17partition_subalgoE5ElNS0_10empty_typeEbEEZZNS1_14partition_implILS5_5ELb0ES3_mN6hipcub16HIPCUB_304000_NS21CountingInputIteratorIllEEPS6_NSA_22TransformInputIteratorIbN2at6native12_GLOBAL__N_19NonZeroOpIN3c108BFloat16EEEPKSK_lEENS0_5tupleIJPlS6_EEENSP_IJSD_SD_EEES6_PiJS6_EEE10hipError_tPvRmT3_T4_T5_T6_T7_T9_mT8_P12ihipStream_tbDpT10_ENKUlT_T0_E_clISt17integral_constantIbLb0EES1C_IbLb1EEEEDaS18_S19_EUlS18_E_NS1_11comp_targetILNS1_3genE8ELNS1_11target_archE1030ELNS1_3gpuE2ELNS1_3repE0EEENS1_30default_config_static_selectorELNS0_4arch9wavefront6targetE0EEEvT1_.uses_flat_scratch, 0
	.set _ZN7rocprim17ROCPRIM_400000_NS6detail17trampoline_kernelINS0_14default_configENS1_25partition_config_selectorILNS1_17partition_subalgoE5ElNS0_10empty_typeEbEEZZNS1_14partition_implILS5_5ELb0ES3_mN6hipcub16HIPCUB_304000_NS21CountingInputIteratorIllEEPS6_NSA_22TransformInputIteratorIbN2at6native12_GLOBAL__N_19NonZeroOpIN3c108BFloat16EEEPKSK_lEENS0_5tupleIJPlS6_EEENSP_IJSD_SD_EEES6_PiJS6_EEE10hipError_tPvRmT3_T4_T5_T6_T7_T9_mT8_P12ihipStream_tbDpT10_ENKUlT_T0_E_clISt17integral_constantIbLb0EES1C_IbLb1EEEEDaS18_S19_EUlS18_E_NS1_11comp_targetILNS1_3genE8ELNS1_11target_archE1030ELNS1_3gpuE2ELNS1_3repE0EEENS1_30default_config_static_selectorELNS0_4arch9wavefront6targetE0EEEvT1_.has_dyn_sized_stack, 0
	.set _ZN7rocprim17ROCPRIM_400000_NS6detail17trampoline_kernelINS0_14default_configENS1_25partition_config_selectorILNS1_17partition_subalgoE5ElNS0_10empty_typeEbEEZZNS1_14partition_implILS5_5ELb0ES3_mN6hipcub16HIPCUB_304000_NS21CountingInputIteratorIllEEPS6_NSA_22TransformInputIteratorIbN2at6native12_GLOBAL__N_19NonZeroOpIN3c108BFloat16EEEPKSK_lEENS0_5tupleIJPlS6_EEENSP_IJSD_SD_EEES6_PiJS6_EEE10hipError_tPvRmT3_T4_T5_T6_T7_T9_mT8_P12ihipStream_tbDpT10_ENKUlT_T0_E_clISt17integral_constantIbLb0EES1C_IbLb1EEEEDaS18_S19_EUlS18_E_NS1_11comp_targetILNS1_3genE8ELNS1_11target_archE1030ELNS1_3gpuE2ELNS1_3repE0EEENS1_30default_config_static_selectorELNS0_4arch9wavefront6targetE0EEEvT1_.has_recursion, 0
	.set _ZN7rocprim17ROCPRIM_400000_NS6detail17trampoline_kernelINS0_14default_configENS1_25partition_config_selectorILNS1_17partition_subalgoE5ElNS0_10empty_typeEbEEZZNS1_14partition_implILS5_5ELb0ES3_mN6hipcub16HIPCUB_304000_NS21CountingInputIteratorIllEEPS6_NSA_22TransformInputIteratorIbN2at6native12_GLOBAL__N_19NonZeroOpIN3c108BFloat16EEEPKSK_lEENS0_5tupleIJPlS6_EEENSP_IJSD_SD_EEES6_PiJS6_EEE10hipError_tPvRmT3_T4_T5_T6_T7_T9_mT8_P12ihipStream_tbDpT10_ENKUlT_T0_E_clISt17integral_constantIbLb0EES1C_IbLb1EEEEDaS18_S19_EUlS18_E_NS1_11comp_targetILNS1_3genE8ELNS1_11target_archE1030ELNS1_3gpuE2ELNS1_3repE0EEENS1_30default_config_static_selectorELNS0_4arch9wavefront6targetE0EEEvT1_.has_indirect_call, 0
	.section	.AMDGPU.csdata,"",@progbits
; Kernel info:
; codeLenInByte = 0
; TotalNumSgprs: 0
; NumVgprs: 0
; ScratchSize: 0
; MemoryBound: 0
; FloatMode: 240
; IeeeMode: 1
; LDSByteSize: 0 bytes/workgroup (compile time only)
; SGPRBlocks: 0
; VGPRBlocks: 0
; NumSGPRsForWavesPerEU: 1
; NumVGPRsForWavesPerEU: 1
; Occupancy: 16
; WaveLimiterHint : 0
; COMPUTE_PGM_RSRC2:SCRATCH_EN: 0
; COMPUTE_PGM_RSRC2:USER_SGPR: 2
; COMPUTE_PGM_RSRC2:TRAP_HANDLER: 0
; COMPUTE_PGM_RSRC2:TGID_X_EN: 1
; COMPUTE_PGM_RSRC2:TGID_Y_EN: 0
; COMPUTE_PGM_RSRC2:TGID_Z_EN: 0
; COMPUTE_PGM_RSRC2:TIDIG_COMP_CNT: 0
	.section	.text._ZN7rocprim17ROCPRIM_400000_NS6detail17trampoline_kernelINS0_14default_configENS1_22reduce_config_selectorIiEEZNS1_11reduce_implILb1ES3_PiS7_iN6hipcub16HIPCUB_304000_NS6detail34convert_binary_result_type_wrapperINS9_3SumENS9_22TransformInputIteratorIbN2at6native12_GLOBAL__N_19NonZeroOpIN3c104HalfEEEPKSJ_lEEiEEEE10hipError_tPvRmT1_T2_T3_mT4_P12ihipStream_tbEUlT_E0_NS1_11comp_targetILNS1_3genE0ELNS1_11target_archE4294967295ELNS1_3gpuE0ELNS1_3repE0EEENS1_30default_config_static_selectorELNS0_4arch9wavefront6targetE0EEEvSS_,"axG",@progbits,_ZN7rocprim17ROCPRIM_400000_NS6detail17trampoline_kernelINS0_14default_configENS1_22reduce_config_selectorIiEEZNS1_11reduce_implILb1ES3_PiS7_iN6hipcub16HIPCUB_304000_NS6detail34convert_binary_result_type_wrapperINS9_3SumENS9_22TransformInputIteratorIbN2at6native12_GLOBAL__N_19NonZeroOpIN3c104HalfEEEPKSJ_lEEiEEEE10hipError_tPvRmT1_T2_T3_mT4_P12ihipStream_tbEUlT_E0_NS1_11comp_targetILNS1_3genE0ELNS1_11target_archE4294967295ELNS1_3gpuE0ELNS1_3repE0EEENS1_30default_config_static_selectorELNS0_4arch9wavefront6targetE0EEEvSS_,comdat
	.globl	_ZN7rocprim17ROCPRIM_400000_NS6detail17trampoline_kernelINS0_14default_configENS1_22reduce_config_selectorIiEEZNS1_11reduce_implILb1ES3_PiS7_iN6hipcub16HIPCUB_304000_NS6detail34convert_binary_result_type_wrapperINS9_3SumENS9_22TransformInputIteratorIbN2at6native12_GLOBAL__N_19NonZeroOpIN3c104HalfEEEPKSJ_lEEiEEEE10hipError_tPvRmT1_T2_T3_mT4_P12ihipStream_tbEUlT_E0_NS1_11comp_targetILNS1_3genE0ELNS1_11target_archE4294967295ELNS1_3gpuE0ELNS1_3repE0EEENS1_30default_config_static_selectorELNS0_4arch9wavefront6targetE0EEEvSS_ ; -- Begin function _ZN7rocprim17ROCPRIM_400000_NS6detail17trampoline_kernelINS0_14default_configENS1_22reduce_config_selectorIiEEZNS1_11reduce_implILb1ES3_PiS7_iN6hipcub16HIPCUB_304000_NS6detail34convert_binary_result_type_wrapperINS9_3SumENS9_22TransformInputIteratorIbN2at6native12_GLOBAL__N_19NonZeroOpIN3c104HalfEEEPKSJ_lEEiEEEE10hipError_tPvRmT1_T2_T3_mT4_P12ihipStream_tbEUlT_E0_NS1_11comp_targetILNS1_3genE0ELNS1_11target_archE4294967295ELNS1_3gpuE0ELNS1_3repE0EEENS1_30default_config_static_selectorELNS0_4arch9wavefront6targetE0EEEvSS_
	.p2align	8
	.type	_ZN7rocprim17ROCPRIM_400000_NS6detail17trampoline_kernelINS0_14default_configENS1_22reduce_config_selectorIiEEZNS1_11reduce_implILb1ES3_PiS7_iN6hipcub16HIPCUB_304000_NS6detail34convert_binary_result_type_wrapperINS9_3SumENS9_22TransformInputIteratorIbN2at6native12_GLOBAL__N_19NonZeroOpIN3c104HalfEEEPKSJ_lEEiEEEE10hipError_tPvRmT1_T2_T3_mT4_P12ihipStream_tbEUlT_E0_NS1_11comp_targetILNS1_3genE0ELNS1_11target_archE4294967295ELNS1_3gpuE0ELNS1_3repE0EEENS1_30default_config_static_selectorELNS0_4arch9wavefront6targetE0EEEvSS_,@function
_ZN7rocprim17ROCPRIM_400000_NS6detail17trampoline_kernelINS0_14default_configENS1_22reduce_config_selectorIiEEZNS1_11reduce_implILb1ES3_PiS7_iN6hipcub16HIPCUB_304000_NS6detail34convert_binary_result_type_wrapperINS9_3SumENS9_22TransformInputIteratorIbN2at6native12_GLOBAL__N_19NonZeroOpIN3c104HalfEEEPKSJ_lEEiEEEE10hipError_tPvRmT1_T2_T3_mT4_P12ihipStream_tbEUlT_E0_NS1_11comp_targetILNS1_3genE0ELNS1_11target_archE4294967295ELNS1_3gpuE0ELNS1_3repE0EEENS1_30default_config_static_selectorELNS0_4arch9wavefront6targetE0EEEvSS_: ; @_ZN7rocprim17ROCPRIM_400000_NS6detail17trampoline_kernelINS0_14default_configENS1_22reduce_config_selectorIiEEZNS1_11reduce_implILb1ES3_PiS7_iN6hipcub16HIPCUB_304000_NS6detail34convert_binary_result_type_wrapperINS9_3SumENS9_22TransformInputIteratorIbN2at6native12_GLOBAL__N_19NonZeroOpIN3c104HalfEEEPKSJ_lEEiEEEE10hipError_tPvRmT1_T2_T3_mT4_P12ihipStream_tbEUlT_E0_NS1_11comp_targetILNS1_3genE0ELNS1_11target_archE4294967295ELNS1_3gpuE0ELNS1_3repE0EEENS1_30default_config_static_selectorELNS0_4arch9wavefront6targetE0EEEvSS_
; %bb.0:
	.section	.rodata,"a",@progbits
	.p2align	6, 0x0
	.amdhsa_kernel _ZN7rocprim17ROCPRIM_400000_NS6detail17trampoline_kernelINS0_14default_configENS1_22reduce_config_selectorIiEEZNS1_11reduce_implILb1ES3_PiS7_iN6hipcub16HIPCUB_304000_NS6detail34convert_binary_result_type_wrapperINS9_3SumENS9_22TransformInputIteratorIbN2at6native12_GLOBAL__N_19NonZeroOpIN3c104HalfEEEPKSJ_lEEiEEEE10hipError_tPvRmT1_T2_T3_mT4_P12ihipStream_tbEUlT_E0_NS1_11comp_targetILNS1_3genE0ELNS1_11target_archE4294967295ELNS1_3gpuE0ELNS1_3repE0EEENS1_30default_config_static_selectorELNS0_4arch9wavefront6targetE0EEEvSS_
		.amdhsa_group_segment_fixed_size 0
		.amdhsa_private_segment_fixed_size 0
		.amdhsa_kernarg_size 56
		.amdhsa_user_sgpr_count 2
		.amdhsa_user_sgpr_dispatch_ptr 0
		.amdhsa_user_sgpr_queue_ptr 0
		.amdhsa_user_sgpr_kernarg_segment_ptr 1
		.amdhsa_user_sgpr_dispatch_id 0
		.amdhsa_user_sgpr_private_segment_size 0
		.amdhsa_wavefront_size32 1
		.amdhsa_uses_dynamic_stack 0
		.amdhsa_enable_private_segment 0
		.amdhsa_system_sgpr_workgroup_id_x 1
		.amdhsa_system_sgpr_workgroup_id_y 0
		.amdhsa_system_sgpr_workgroup_id_z 0
		.amdhsa_system_sgpr_workgroup_info 0
		.amdhsa_system_vgpr_workitem_id 0
		.amdhsa_next_free_vgpr 1
		.amdhsa_next_free_sgpr 1
		.amdhsa_reserve_vcc 0
		.amdhsa_float_round_mode_32 0
		.amdhsa_float_round_mode_16_64 0
		.amdhsa_float_denorm_mode_32 3
		.amdhsa_float_denorm_mode_16_64 3
		.amdhsa_fp16_overflow 0
		.amdhsa_workgroup_processor_mode 1
		.amdhsa_memory_ordered 1
		.amdhsa_forward_progress 1
		.amdhsa_inst_pref_size 0
		.amdhsa_round_robin_scheduling 0
		.amdhsa_exception_fp_ieee_invalid_op 0
		.amdhsa_exception_fp_denorm_src 0
		.amdhsa_exception_fp_ieee_div_zero 0
		.amdhsa_exception_fp_ieee_overflow 0
		.amdhsa_exception_fp_ieee_underflow 0
		.amdhsa_exception_fp_ieee_inexact 0
		.amdhsa_exception_int_div_zero 0
	.end_amdhsa_kernel
	.section	.text._ZN7rocprim17ROCPRIM_400000_NS6detail17trampoline_kernelINS0_14default_configENS1_22reduce_config_selectorIiEEZNS1_11reduce_implILb1ES3_PiS7_iN6hipcub16HIPCUB_304000_NS6detail34convert_binary_result_type_wrapperINS9_3SumENS9_22TransformInputIteratorIbN2at6native12_GLOBAL__N_19NonZeroOpIN3c104HalfEEEPKSJ_lEEiEEEE10hipError_tPvRmT1_T2_T3_mT4_P12ihipStream_tbEUlT_E0_NS1_11comp_targetILNS1_3genE0ELNS1_11target_archE4294967295ELNS1_3gpuE0ELNS1_3repE0EEENS1_30default_config_static_selectorELNS0_4arch9wavefront6targetE0EEEvSS_,"axG",@progbits,_ZN7rocprim17ROCPRIM_400000_NS6detail17trampoline_kernelINS0_14default_configENS1_22reduce_config_selectorIiEEZNS1_11reduce_implILb1ES3_PiS7_iN6hipcub16HIPCUB_304000_NS6detail34convert_binary_result_type_wrapperINS9_3SumENS9_22TransformInputIteratorIbN2at6native12_GLOBAL__N_19NonZeroOpIN3c104HalfEEEPKSJ_lEEiEEEE10hipError_tPvRmT1_T2_T3_mT4_P12ihipStream_tbEUlT_E0_NS1_11comp_targetILNS1_3genE0ELNS1_11target_archE4294967295ELNS1_3gpuE0ELNS1_3repE0EEENS1_30default_config_static_selectorELNS0_4arch9wavefront6targetE0EEEvSS_,comdat
.Lfunc_end830:
	.size	_ZN7rocprim17ROCPRIM_400000_NS6detail17trampoline_kernelINS0_14default_configENS1_22reduce_config_selectorIiEEZNS1_11reduce_implILb1ES3_PiS7_iN6hipcub16HIPCUB_304000_NS6detail34convert_binary_result_type_wrapperINS9_3SumENS9_22TransformInputIteratorIbN2at6native12_GLOBAL__N_19NonZeroOpIN3c104HalfEEEPKSJ_lEEiEEEE10hipError_tPvRmT1_T2_T3_mT4_P12ihipStream_tbEUlT_E0_NS1_11comp_targetILNS1_3genE0ELNS1_11target_archE4294967295ELNS1_3gpuE0ELNS1_3repE0EEENS1_30default_config_static_selectorELNS0_4arch9wavefront6targetE0EEEvSS_, .Lfunc_end830-_ZN7rocprim17ROCPRIM_400000_NS6detail17trampoline_kernelINS0_14default_configENS1_22reduce_config_selectorIiEEZNS1_11reduce_implILb1ES3_PiS7_iN6hipcub16HIPCUB_304000_NS6detail34convert_binary_result_type_wrapperINS9_3SumENS9_22TransformInputIteratorIbN2at6native12_GLOBAL__N_19NonZeroOpIN3c104HalfEEEPKSJ_lEEiEEEE10hipError_tPvRmT1_T2_T3_mT4_P12ihipStream_tbEUlT_E0_NS1_11comp_targetILNS1_3genE0ELNS1_11target_archE4294967295ELNS1_3gpuE0ELNS1_3repE0EEENS1_30default_config_static_selectorELNS0_4arch9wavefront6targetE0EEEvSS_
                                        ; -- End function
	.set _ZN7rocprim17ROCPRIM_400000_NS6detail17trampoline_kernelINS0_14default_configENS1_22reduce_config_selectorIiEEZNS1_11reduce_implILb1ES3_PiS7_iN6hipcub16HIPCUB_304000_NS6detail34convert_binary_result_type_wrapperINS9_3SumENS9_22TransformInputIteratorIbN2at6native12_GLOBAL__N_19NonZeroOpIN3c104HalfEEEPKSJ_lEEiEEEE10hipError_tPvRmT1_T2_T3_mT4_P12ihipStream_tbEUlT_E0_NS1_11comp_targetILNS1_3genE0ELNS1_11target_archE4294967295ELNS1_3gpuE0ELNS1_3repE0EEENS1_30default_config_static_selectorELNS0_4arch9wavefront6targetE0EEEvSS_.num_vgpr, 0
	.set _ZN7rocprim17ROCPRIM_400000_NS6detail17trampoline_kernelINS0_14default_configENS1_22reduce_config_selectorIiEEZNS1_11reduce_implILb1ES3_PiS7_iN6hipcub16HIPCUB_304000_NS6detail34convert_binary_result_type_wrapperINS9_3SumENS9_22TransformInputIteratorIbN2at6native12_GLOBAL__N_19NonZeroOpIN3c104HalfEEEPKSJ_lEEiEEEE10hipError_tPvRmT1_T2_T3_mT4_P12ihipStream_tbEUlT_E0_NS1_11comp_targetILNS1_3genE0ELNS1_11target_archE4294967295ELNS1_3gpuE0ELNS1_3repE0EEENS1_30default_config_static_selectorELNS0_4arch9wavefront6targetE0EEEvSS_.num_agpr, 0
	.set _ZN7rocprim17ROCPRIM_400000_NS6detail17trampoline_kernelINS0_14default_configENS1_22reduce_config_selectorIiEEZNS1_11reduce_implILb1ES3_PiS7_iN6hipcub16HIPCUB_304000_NS6detail34convert_binary_result_type_wrapperINS9_3SumENS9_22TransformInputIteratorIbN2at6native12_GLOBAL__N_19NonZeroOpIN3c104HalfEEEPKSJ_lEEiEEEE10hipError_tPvRmT1_T2_T3_mT4_P12ihipStream_tbEUlT_E0_NS1_11comp_targetILNS1_3genE0ELNS1_11target_archE4294967295ELNS1_3gpuE0ELNS1_3repE0EEENS1_30default_config_static_selectorELNS0_4arch9wavefront6targetE0EEEvSS_.numbered_sgpr, 0
	.set _ZN7rocprim17ROCPRIM_400000_NS6detail17trampoline_kernelINS0_14default_configENS1_22reduce_config_selectorIiEEZNS1_11reduce_implILb1ES3_PiS7_iN6hipcub16HIPCUB_304000_NS6detail34convert_binary_result_type_wrapperINS9_3SumENS9_22TransformInputIteratorIbN2at6native12_GLOBAL__N_19NonZeroOpIN3c104HalfEEEPKSJ_lEEiEEEE10hipError_tPvRmT1_T2_T3_mT4_P12ihipStream_tbEUlT_E0_NS1_11comp_targetILNS1_3genE0ELNS1_11target_archE4294967295ELNS1_3gpuE0ELNS1_3repE0EEENS1_30default_config_static_selectorELNS0_4arch9wavefront6targetE0EEEvSS_.num_named_barrier, 0
	.set _ZN7rocprim17ROCPRIM_400000_NS6detail17trampoline_kernelINS0_14default_configENS1_22reduce_config_selectorIiEEZNS1_11reduce_implILb1ES3_PiS7_iN6hipcub16HIPCUB_304000_NS6detail34convert_binary_result_type_wrapperINS9_3SumENS9_22TransformInputIteratorIbN2at6native12_GLOBAL__N_19NonZeroOpIN3c104HalfEEEPKSJ_lEEiEEEE10hipError_tPvRmT1_T2_T3_mT4_P12ihipStream_tbEUlT_E0_NS1_11comp_targetILNS1_3genE0ELNS1_11target_archE4294967295ELNS1_3gpuE0ELNS1_3repE0EEENS1_30default_config_static_selectorELNS0_4arch9wavefront6targetE0EEEvSS_.private_seg_size, 0
	.set _ZN7rocprim17ROCPRIM_400000_NS6detail17trampoline_kernelINS0_14default_configENS1_22reduce_config_selectorIiEEZNS1_11reduce_implILb1ES3_PiS7_iN6hipcub16HIPCUB_304000_NS6detail34convert_binary_result_type_wrapperINS9_3SumENS9_22TransformInputIteratorIbN2at6native12_GLOBAL__N_19NonZeroOpIN3c104HalfEEEPKSJ_lEEiEEEE10hipError_tPvRmT1_T2_T3_mT4_P12ihipStream_tbEUlT_E0_NS1_11comp_targetILNS1_3genE0ELNS1_11target_archE4294967295ELNS1_3gpuE0ELNS1_3repE0EEENS1_30default_config_static_selectorELNS0_4arch9wavefront6targetE0EEEvSS_.uses_vcc, 0
	.set _ZN7rocprim17ROCPRIM_400000_NS6detail17trampoline_kernelINS0_14default_configENS1_22reduce_config_selectorIiEEZNS1_11reduce_implILb1ES3_PiS7_iN6hipcub16HIPCUB_304000_NS6detail34convert_binary_result_type_wrapperINS9_3SumENS9_22TransformInputIteratorIbN2at6native12_GLOBAL__N_19NonZeroOpIN3c104HalfEEEPKSJ_lEEiEEEE10hipError_tPvRmT1_T2_T3_mT4_P12ihipStream_tbEUlT_E0_NS1_11comp_targetILNS1_3genE0ELNS1_11target_archE4294967295ELNS1_3gpuE0ELNS1_3repE0EEENS1_30default_config_static_selectorELNS0_4arch9wavefront6targetE0EEEvSS_.uses_flat_scratch, 0
	.set _ZN7rocprim17ROCPRIM_400000_NS6detail17trampoline_kernelINS0_14default_configENS1_22reduce_config_selectorIiEEZNS1_11reduce_implILb1ES3_PiS7_iN6hipcub16HIPCUB_304000_NS6detail34convert_binary_result_type_wrapperINS9_3SumENS9_22TransformInputIteratorIbN2at6native12_GLOBAL__N_19NonZeroOpIN3c104HalfEEEPKSJ_lEEiEEEE10hipError_tPvRmT1_T2_T3_mT4_P12ihipStream_tbEUlT_E0_NS1_11comp_targetILNS1_3genE0ELNS1_11target_archE4294967295ELNS1_3gpuE0ELNS1_3repE0EEENS1_30default_config_static_selectorELNS0_4arch9wavefront6targetE0EEEvSS_.has_dyn_sized_stack, 0
	.set _ZN7rocprim17ROCPRIM_400000_NS6detail17trampoline_kernelINS0_14default_configENS1_22reduce_config_selectorIiEEZNS1_11reduce_implILb1ES3_PiS7_iN6hipcub16HIPCUB_304000_NS6detail34convert_binary_result_type_wrapperINS9_3SumENS9_22TransformInputIteratorIbN2at6native12_GLOBAL__N_19NonZeroOpIN3c104HalfEEEPKSJ_lEEiEEEE10hipError_tPvRmT1_T2_T3_mT4_P12ihipStream_tbEUlT_E0_NS1_11comp_targetILNS1_3genE0ELNS1_11target_archE4294967295ELNS1_3gpuE0ELNS1_3repE0EEENS1_30default_config_static_selectorELNS0_4arch9wavefront6targetE0EEEvSS_.has_recursion, 0
	.set _ZN7rocprim17ROCPRIM_400000_NS6detail17trampoline_kernelINS0_14default_configENS1_22reduce_config_selectorIiEEZNS1_11reduce_implILb1ES3_PiS7_iN6hipcub16HIPCUB_304000_NS6detail34convert_binary_result_type_wrapperINS9_3SumENS9_22TransformInputIteratorIbN2at6native12_GLOBAL__N_19NonZeroOpIN3c104HalfEEEPKSJ_lEEiEEEE10hipError_tPvRmT1_T2_T3_mT4_P12ihipStream_tbEUlT_E0_NS1_11comp_targetILNS1_3genE0ELNS1_11target_archE4294967295ELNS1_3gpuE0ELNS1_3repE0EEENS1_30default_config_static_selectorELNS0_4arch9wavefront6targetE0EEEvSS_.has_indirect_call, 0
	.section	.AMDGPU.csdata,"",@progbits
; Kernel info:
; codeLenInByte = 0
; TotalNumSgprs: 0
; NumVgprs: 0
; ScratchSize: 0
; MemoryBound: 0
; FloatMode: 240
; IeeeMode: 1
; LDSByteSize: 0 bytes/workgroup (compile time only)
; SGPRBlocks: 0
; VGPRBlocks: 0
; NumSGPRsForWavesPerEU: 1
; NumVGPRsForWavesPerEU: 1
; Occupancy: 16
; WaveLimiterHint : 0
; COMPUTE_PGM_RSRC2:SCRATCH_EN: 0
; COMPUTE_PGM_RSRC2:USER_SGPR: 2
; COMPUTE_PGM_RSRC2:TRAP_HANDLER: 0
; COMPUTE_PGM_RSRC2:TGID_X_EN: 1
; COMPUTE_PGM_RSRC2:TGID_Y_EN: 0
; COMPUTE_PGM_RSRC2:TGID_Z_EN: 0
; COMPUTE_PGM_RSRC2:TIDIG_COMP_CNT: 0
	.section	.text._ZN7rocprim17ROCPRIM_400000_NS6detail17trampoline_kernelINS0_14default_configENS1_22reduce_config_selectorIiEEZNS1_11reduce_implILb1ES3_PiS7_iN6hipcub16HIPCUB_304000_NS6detail34convert_binary_result_type_wrapperINS9_3SumENS9_22TransformInputIteratorIbN2at6native12_GLOBAL__N_19NonZeroOpIN3c104HalfEEEPKSJ_lEEiEEEE10hipError_tPvRmT1_T2_T3_mT4_P12ihipStream_tbEUlT_E0_NS1_11comp_targetILNS1_3genE5ELNS1_11target_archE942ELNS1_3gpuE9ELNS1_3repE0EEENS1_30default_config_static_selectorELNS0_4arch9wavefront6targetE0EEEvSS_,"axG",@progbits,_ZN7rocprim17ROCPRIM_400000_NS6detail17trampoline_kernelINS0_14default_configENS1_22reduce_config_selectorIiEEZNS1_11reduce_implILb1ES3_PiS7_iN6hipcub16HIPCUB_304000_NS6detail34convert_binary_result_type_wrapperINS9_3SumENS9_22TransformInputIteratorIbN2at6native12_GLOBAL__N_19NonZeroOpIN3c104HalfEEEPKSJ_lEEiEEEE10hipError_tPvRmT1_T2_T3_mT4_P12ihipStream_tbEUlT_E0_NS1_11comp_targetILNS1_3genE5ELNS1_11target_archE942ELNS1_3gpuE9ELNS1_3repE0EEENS1_30default_config_static_selectorELNS0_4arch9wavefront6targetE0EEEvSS_,comdat
	.globl	_ZN7rocprim17ROCPRIM_400000_NS6detail17trampoline_kernelINS0_14default_configENS1_22reduce_config_selectorIiEEZNS1_11reduce_implILb1ES3_PiS7_iN6hipcub16HIPCUB_304000_NS6detail34convert_binary_result_type_wrapperINS9_3SumENS9_22TransformInputIteratorIbN2at6native12_GLOBAL__N_19NonZeroOpIN3c104HalfEEEPKSJ_lEEiEEEE10hipError_tPvRmT1_T2_T3_mT4_P12ihipStream_tbEUlT_E0_NS1_11comp_targetILNS1_3genE5ELNS1_11target_archE942ELNS1_3gpuE9ELNS1_3repE0EEENS1_30default_config_static_selectorELNS0_4arch9wavefront6targetE0EEEvSS_ ; -- Begin function _ZN7rocprim17ROCPRIM_400000_NS6detail17trampoline_kernelINS0_14default_configENS1_22reduce_config_selectorIiEEZNS1_11reduce_implILb1ES3_PiS7_iN6hipcub16HIPCUB_304000_NS6detail34convert_binary_result_type_wrapperINS9_3SumENS9_22TransformInputIteratorIbN2at6native12_GLOBAL__N_19NonZeroOpIN3c104HalfEEEPKSJ_lEEiEEEE10hipError_tPvRmT1_T2_T3_mT4_P12ihipStream_tbEUlT_E0_NS1_11comp_targetILNS1_3genE5ELNS1_11target_archE942ELNS1_3gpuE9ELNS1_3repE0EEENS1_30default_config_static_selectorELNS0_4arch9wavefront6targetE0EEEvSS_
	.p2align	8
	.type	_ZN7rocprim17ROCPRIM_400000_NS6detail17trampoline_kernelINS0_14default_configENS1_22reduce_config_selectorIiEEZNS1_11reduce_implILb1ES3_PiS7_iN6hipcub16HIPCUB_304000_NS6detail34convert_binary_result_type_wrapperINS9_3SumENS9_22TransformInputIteratorIbN2at6native12_GLOBAL__N_19NonZeroOpIN3c104HalfEEEPKSJ_lEEiEEEE10hipError_tPvRmT1_T2_T3_mT4_P12ihipStream_tbEUlT_E0_NS1_11comp_targetILNS1_3genE5ELNS1_11target_archE942ELNS1_3gpuE9ELNS1_3repE0EEENS1_30default_config_static_selectorELNS0_4arch9wavefront6targetE0EEEvSS_,@function
_ZN7rocprim17ROCPRIM_400000_NS6detail17trampoline_kernelINS0_14default_configENS1_22reduce_config_selectorIiEEZNS1_11reduce_implILb1ES3_PiS7_iN6hipcub16HIPCUB_304000_NS6detail34convert_binary_result_type_wrapperINS9_3SumENS9_22TransformInputIteratorIbN2at6native12_GLOBAL__N_19NonZeroOpIN3c104HalfEEEPKSJ_lEEiEEEE10hipError_tPvRmT1_T2_T3_mT4_P12ihipStream_tbEUlT_E0_NS1_11comp_targetILNS1_3genE5ELNS1_11target_archE942ELNS1_3gpuE9ELNS1_3repE0EEENS1_30default_config_static_selectorELNS0_4arch9wavefront6targetE0EEEvSS_: ; @_ZN7rocprim17ROCPRIM_400000_NS6detail17trampoline_kernelINS0_14default_configENS1_22reduce_config_selectorIiEEZNS1_11reduce_implILb1ES3_PiS7_iN6hipcub16HIPCUB_304000_NS6detail34convert_binary_result_type_wrapperINS9_3SumENS9_22TransformInputIteratorIbN2at6native12_GLOBAL__N_19NonZeroOpIN3c104HalfEEEPKSJ_lEEiEEEE10hipError_tPvRmT1_T2_T3_mT4_P12ihipStream_tbEUlT_E0_NS1_11comp_targetILNS1_3genE5ELNS1_11target_archE942ELNS1_3gpuE9ELNS1_3repE0EEENS1_30default_config_static_selectorELNS0_4arch9wavefront6targetE0EEEvSS_
; %bb.0:
	.section	.rodata,"a",@progbits
	.p2align	6, 0x0
	.amdhsa_kernel _ZN7rocprim17ROCPRIM_400000_NS6detail17trampoline_kernelINS0_14default_configENS1_22reduce_config_selectorIiEEZNS1_11reduce_implILb1ES3_PiS7_iN6hipcub16HIPCUB_304000_NS6detail34convert_binary_result_type_wrapperINS9_3SumENS9_22TransformInputIteratorIbN2at6native12_GLOBAL__N_19NonZeroOpIN3c104HalfEEEPKSJ_lEEiEEEE10hipError_tPvRmT1_T2_T3_mT4_P12ihipStream_tbEUlT_E0_NS1_11comp_targetILNS1_3genE5ELNS1_11target_archE942ELNS1_3gpuE9ELNS1_3repE0EEENS1_30default_config_static_selectorELNS0_4arch9wavefront6targetE0EEEvSS_
		.amdhsa_group_segment_fixed_size 0
		.amdhsa_private_segment_fixed_size 0
		.amdhsa_kernarg_size 56
		.amdhsa_user_sgpr_count 2
		.amdhsa_user_sgpr_dispatch_ptr 0
		.amdhsa_user_sgpr_queue_ptr 0
		.amdhsa_user_sgpr_kernarg_segment_ptr 1
		.amdhsa_user_sgpr_dispatch_id 0
		.amdhsa_user_sgpr_private_segment_size 0
		.amdhsa_wavefront_size32 1
		.amdhsa_uses_dynamic_stack 0
		.amdhsa_enable_private_segment 0
		.amdhsa_system_sgpr_workgroup_id_x 1
		.amdhsa_system_sgpr_workgroup_id_y 0
		.amdhsa_system_sgpr_workgroup_id_z 0
		.amdhsa_system_sgpr_workgroup_info 0
		.amdhsa_system_vgpr_workitem_id 0
		.amdhsa_next_free_vgpr 1
		.amdhsa_next_free_sgpr 1
		.amdhsa_reserve_vcc 0
		.amdhsa_float_round_mode_32 0
		.amdhsa_float_round_mode_16_64 0
		.amdhsa_float_denorm_mode_32 3
		.amdhsa_float_denorm_mode_16_64 3
		.amdhsa_fp16_overflow 0
		.amdhsa_workgroup_processor_mode 1
		.amdhsa_memory_ordered 1
		.amdhsa_forward_progress 1
		.amdhsa_inst_pref_size 0
		.amdhsa_round_robin_scheduling 0
		.amdhsa_exception_fp_ieee_invalid_op 0
		.amdhsa_exception_fp_denorm_src 0
		.amdhsa_exception_fp_ieee_div_zero 0
		.amdhsa_exception_fp_ieee_overflow 0
		.amdhsa_exception_fp_ieee_underflow 0
		.amdhsa_exception_fp_ieee_inexact 0
		.amdhsa_exception_int_div_zero 0
	.end_amdhsa_kernel
	.section	.text._ZN7rocprim17ROCPRIM_400000_NS6detail17trampoline_kernelINS0_14default_configENS1_22reduce_config_selectorIiEEZNS1_11reduce_implILb1ES3_PiS7_iN6hipcub16HIPCUB_304000_NS6detail34convert_binary_result_type_wrapperINS9_3SumENS9_22TransformInputIteratorIbN2at6native12_GLOBAL__N_19NonZeroOpIN3c104HalfEEEPKSJ_lEEiEEEE10hipError_tPvRmT1_T2_T3_mT4_P12ihipStream_tbEUlT_E0_NS1_11comp_targetILNS1_3genE5ELNS1_11target_archE942ELNS1_3gpuE9ELNS1_3repE0EEENS1_30default_config_static_selectorELNS0_4arch9wavefront6targetE0EEEvSS_,"axG",@progbits,_ZN7rocprim17ROCPRIM_400000_NS6detail17trampoline_kernelINS0_14default_configENS1_22reduce_config_selectorIiEEZNS1_11reduce_implILb1ES3_PiS7_iN6hipcub16HIPCUB_304000_NS6detail34convert_binary_result_type_wrapperINS9_3SumENS9_22TransformInputIteratorIbN2at6native12_GLOBAL__N_19NonZeroOpIN3c104HalfEEEPKSJ_lEEiEEEE10hipError_tPvRmT1_T2_T3_mT4_P12ihipStream_tbEUlT_E0_NS1_11comp_targetILNS1_3genE5ELNS1_11target_archE942ELNS1_3gpuE9ELNS1_3repE0EEENS1_30default_config_static_selectorELNS0_4arch9wavefront6targetE0EEEvSS_,comdat
.Lfunc_end831:
	.size	_ZN7rocprim17ROCPRIM_400000_NS6detail17trampoline_kernelINS0_14default_configENS1_22reduce_config_selectorIiEEZNS1_11reduce_implILb1ES3_PiS7_iN6hipcub16HIPCUB_304000_NS6detail34convert_binary_result_type_wrapperINS9_3SumENS9_22TransformInputIteratorIbN2at6native12_GLOBAL__N_19NonZeroOpIN3c104HalfEEEPKSJ_lEEiEEEE10hipError_tPvRmT1_T2_T3_mT4_P12ihipStream_tbEUlT_E0_NS1_11comp_targetILNS1_3genE5ELNS1_11target_archE942ELNS1_3gpuE9ELNS1_3repE0EEENS1_30default_config_static_selectorELNS0_4arch9wavefront6targetE0EEEvSS_, .Lfunc_end831-_ZN7rocprim17ROCPRIM_400000_NS6detail17trampoline_kernelINS0_14default_configENS1_22reduce_config_selectorIiEEZNS1_11reduce_implILb1ES3_PiS7_iN6hipcub16HIPCUB_304000_NS6detail34convert_binary_result_type_wrapperINS9_3SumENS9_22TransformInputIteratorIbN2at6native12_GLOBAL__N_19NonZeroOpIN3c104HalfEEEPKSJ_lEEiEEEE10hipError_tPvRmT1_T2_T3_mT4_P12ihipStream_tbEUlT_E0_NS1_11comp_targetILNS1_3genE5ELNS1_11target_archE942ELNS1_3gpuE9ELNS1_3repE0EEENS1_30default_config_static_selectorELNS0_4arch9wavefront6targetE0EEEvSS_
                                        ; -- End function
	.set _ZN7rocprim17ROCPRIM_400000_NS6detail17trampoline_kernelINS0_14default_configENS1_22reduce_config_selectorIiEEZNS1_11reduce_implILb1ES3_PiS7_iN6hipcub16HIPCUB_304000_NS6detail34convert_binary_result_type_wrapperINS9_3SumENS9_22TransformInputIteratorIbN2at6native12_GLOBAL__N_19NonZeroOpIN3c104HalfEEEPKSJ_lEEiEEEE10hipError_tPvRmT1_T2_T3_mT4_P12ihipStream_tbEUlT_E0_NS1_11comp_targetILNS1_3genE5ELNS1_11target_archE942ELNS1_3gpuE9ELNS1_3repE0EEENS1_30default_config_static_selectorELNS0_4arch9wavefront6targetE0EEEvSS_.num_vgpr, 0
	.set _ZN7rocprim17ROCPRIM_400000_NS6detail17trampoline_kernelINS0_14default_configENS1_22reduce_config_selectorIiEEZNS1_11reduce_implILb1ES3_PiS7_iN6hipcub16HIPCUB_304000_NS6detail34convert_binary_result_type_wrapperINS9_3SumENS9_22TransformInputIteratorIbN2at6native12_GLOBAL__N_19NonZeroOpIN3c104HalfEEEPKSJ_lEEiEEEE10hipError_tPvRmT1_T2_T3_mT4_P12ihipStream_tbEUlT_E0_NS1_11comp_targetILNS1_3genE5ELNS1_11target_archE942ELNS1_3gpuE9ELNS1_3repE0EEENS1_30default_config_static_selectorELNS0_4arch9wavefront6targetE0EEEvSS_.num_agpr, 0
	.set _ZN7rocprim17ROCPRIM_400000_NS6detail17trampoline_kernelINS0_14default_configENS1_22reduce_config_selectorIiEEZNS1_11reduce_implILb1ES3_PiS7_iN6hipcub16HIPCUB_304000_NS6detail34convert_binary_result_type_wrapperINS9_3SumENS9_22TransformInputIteratorIbN2at6native12_GLOBAL__N_19NonZeroOpIN3c104HalfEEEPKSJ_lEEiEEEE10hipError_tPvRmT1_T2_T3_mT4_P12ihipStream_tbEUlT_E0_NS1_11comp_targetILNS1_3genE5ELNS1_11target_archE942ELNS1_3gpuE9ELNS1_3repE0EEENS1_30default_config_static_selectorELNS0_4arch9wavefront6targetE0EEEvSS_.numbered_sgpr, 0
	.set _ZN7rocprim17ROCPRIM_400000_NS6detail17trampoline_kernelINS0_14default_configENS1_22reduce_config_selectorIiEEZNS1_11reduce_implILb1ES3_PiS7_iN6hipcub16HIPCUB_304000_NS6detail34convert_binary_result_type_wrapperINS9_3SumENS9_22TransformInputIteratorIbN2at6native12_GLOBAL__N_19NonZeroOpIN3c104HalfEEEPKSJ_lEEiEEEE10hipError_tPvRmT1_T2_T3_mT4_P12ihipStream_tbEUlT_E0_NS1_11comp_targetILNS1_3genE5ELNS1_11target_archE942ELNS1_3gpuE9ELNS1_3repE0EEENS1_30default_config_static_selectorELNS0_4arch9wavefront6targetE0EEEvSS_.num_named_barrier, 0
	.set _ZN7rocprim17ROCPRIM_400000_NS6detail17trampoline_kernelINS0_14default_configENS1_22reduce_config_selectorIiEEZNS1_11reduce_implILb1ES3_PiS7_iN6hipcub16HIPCUB_304000_NS6detail34convert_binary_result_type_wrapperINS9_3SumENS9_22TransformInputIteratorIbN2at6native12_GLOBAL__N_19NonZeroOpIN3c104HalfEEEPKSJ_lEEiEEEE10hipError_tPvRmT1_T2_T3_mT4_P12ihipStream_tbEUlT_E0_NS1_11comp_targetILNS1_3genE5ELNS1_11target_archE942ELNS1_3gpuE9ELNS1_3repE0EEENS1_30default_config_static_selectorELNS0_4arch9wavefront6targetE0EEEvSS_.private_seg_size, 0
	.set _ZN7rocprim17ROCPRIM_400000_NS6detail17trampoline_kernelINS0_14default_configENS1_22reduce_config_selectorIiEEZNS1_11reduce_implILb1ES3_PiS7_iN6hipcub16HIPCUB_304000_NS6detail34convert_binary_result_type_wrapperINS9_3SumENS9_22TransformInputIteratorIbN2at6native12_GLOBAL__N_19NonZeroOpIN3c104HalfEEEPKSJ_lEEiEEEE10hipError_tPvRmT1_T2_T3_mT4_P12ihipStream_tbEUlT_E0_NS1_11comp_targetILNS1_3genE5ELNS1_11target_archE942ELNS1_3gpuE9ELNS1_3repE0EEENS1_30default_config_static_selectorELNS0_4arch9wavefront6targetE0EEEvSS_.uses_vcc, 0
	.set _ZN7rocprim17ROCPRIM_400000_NS6detail17trampoline_kernelINS0_14default_configENS1_22reduce_config_selectorIiEEZNS1_11reduce_implILb1ES3_PiS7_iN6hipcub16HIPCUB_304000_NS6detail34convert_binary_result_type_wrapperINS9_3SumENS9_22TransformInputIteratorIbN2at6native12_GLOBAL__N_19NonZeroOpIN3c104HalfEEEPKSJ_lEEiEEEE10hipError_tPvRmT1_T2_T3_mT4_P12ihipStream_tbEUlT_E0_NS1_11comp_targetILNS1_3genE5ELNS1_11target_archE942ELNS1_3gpuE9ELNS1_3repE0EEENS1_30default_config_static_selectorELNS0_4arch9wavefront6targetE0EEEvSS_.uses_flat_scratch, 0
	.set _ZN7rocprim17ROCPRIM_400000_NS6detail17trampoline_kernelINS0_14default_configENS1_22reduce_config_selectorIiEEZNS1_11reduce_implILb1ES3_PiS7_iN6hipcub16HIPCUB_304000_NS6detail34convert_binary_result_type_wrapperINS9_3SumENS9_22TransformInputIteratorIbN2at6native12_GLOBAL__N_19NonZeroOpIN3c104HalfEEEPKSJ_lEEiEEEE10hipError_tPvRmT1_T2_T3_mT4_P12ihipStream_tbEUlT_E0_NS1_11comp_targetILNS1_3genE5ELNS1_11target_archE942ELNS1_3gpuE9ELNS1_3repE0EEENS1_30default_config_static_selectorELNS0_4arch9wavefront6targetE0EEEvSS_.has_dyn_sized_stack, 0
	.set _ZN7rocprim17ROCPRIM_400000_NS6detail17trampoline_kernelINS0_14default_configENS1_22reduce_config_selectorIiEEZNS1_11reduce_implILb1ES3_PiS7_iN6hipcub16HIPCUB_304000_NS6detail34convert_binary_result_type_wrapperINS9_3SumENS9_22TransformInputIteratorIbN2at6native12_GLOBAL__N_19NonZeroOpIN3c104HalfEEEPKSJ_lEEiEEEE10hipError_tPvRmT1_T2_T3_mT4_P12ihipStream_tbEUlT_E0_NS1_11comp_targetILNS1_3genE5ELNS1_11target_archE942ELNS1_3gpuE9ELNS1_3repE0EEENS1_30default_config_static_selectorELNS0_4arch9wavefront6targetE0EEEvSS_.has_recursion, 0
	.set _ZN7rocprim17ROCPRIM_400000_NS6detail17trampoline_kernelINS0_14default_configENS1_22reduce_config_selectorIiEEZNS1_11reduce_implILb1ES3_PiS7_iN6hipcub16HIPCUB_304000_NS6detail34convert_binary_result_type_wrapperINS9_3SumENS9_22TransformInputIteratorIbN2at6native12_GLOBAL__N_19NonZeroOpIN3c104HalfEEEPKSJ_lEEiEEEE10hipError_tPvRmT1_T2_T3_mT4_P12ihipStream_tbEUlT_E0_NS1_11comp_targetILNS1_3genE5ELNS1_11target_archE942ELNS1_3gpuE9ELNS1_3repE0EEENS1_30default_config_static_selectorELNS0_4arch9wavefront6targetE0EEEvSS_.has_indirect_call, 0
	.section	.AMDGPU.csdata,"",@progbits
; Kernel info:
; codeLenInByte = 0
; TotalNumSgprs: 0
; NumVgprs: 0
; ScratchSize: 0
; MemoryBound: 0
; FloatMode: 240
; IeeeMode: 1
; LDSByteSize: 0 bytes/workgroup (compile time only)
; SGPRBlocks: 0
; VGPRBlocks: 0
; NumSGPRsForWavesPerEU: 1
; NumVGPRsForWavesPerEU: 1
; Occupancy: 16
; WaveLimiterHint : 0
; COMPUTE_PGM_RSRC2:SCRATCH_EN: 0
; COMPUTE_PGM_RSRC2:USER_SGPR: 2
; COMPUTE_PGM_RSRC2:TRAP_HANDLER: 0
; COMPUTE_PGM_RSRC2:TGID_X_EN: 1
; COMPUTE_PGM_RSRC2:TGID_Y_EN: 0
; COMPUTE_PGM_RSRC2:TGID_Z_EN: 0
; COMPUTE_PGM_RSRC2:TIDIG_COMP_CNT: 0
	.section	.text._ZN7rocprim17ROCPRIM_400000_NS6detail17trampoline_kernelINS0_14default_configENS1_22reduce_config_selectorIiEEZNS1_11reduce_implILb1ES3_PiS7_iN6hipcub16HIPCUB_304000_NS6detail34convert_binary_result_type_wrapperINS9_3SumENS9_22TransformInputIteratorIbN2at6native12_GLOBAL__N_19NonZeroOpIN3c104HalfEEEPKSJ_lEEiEEEE10hipError_tPvRmT1_T2_T3_mT4_P12ihipStream_tbEUlT_E0_NS1_11comp_targetILNS1_3genE4ELNS1_11target_archE910ELNS1_3gpuE8ELNS1_3repE0EEENS1_30default_config_static_selectorELNS0_4arch9wavefront6targetE0EEEvSS_,"axG",@progbits,_ZN7rocprim17ROCPRIM_400000_NS6detail17trampoline_kernelINS0_14default_configENS1_22reduce_config_selectorIiEEZNS1_11reduce_implILb1ES3_PiS7_iN6hipcub16HIPCUB_304000_NS6detail34convert_binary_result_type_wrapperINS9_3SumENS9_22TransformInputIteratorIbN2at6native12_GLOBAL__N_19NonZeroOpIN3c104HalfEEEPKSJ_lEEiEEEE10hipError_tPvRmT1_T2_T3_mT4_P12ihipStream_tbEUlT_E0_NS1_11comp_targetILNS1_3genE4ELNS1_11target_archE910ELNS1_3gpuE8ELNS1_3repE0EEENS1_30default_config_static_selectorELNS0_4arch9wavefront6targetE0EEEvSS_,comdat
	.globl	_ZN7rocprim17ROCPRIM_400000_NS6detail17trampoline_kernelINS0_14default_configENS1_22reduce_config_selectorIiEEZNS1_11reduce_implILb1ES3_PiS7_iN6hipcub16HIPCUB_304000_NS6detail34convert_binary_result_type_wrapperINS9_3SumENS9_22TransformInputIteratorIbN2at6native12_GLOBAL__N_19NonZeroOpIN3c104HalfEEEPKSJ_lEEiEEEE10hipError_tPvRmT1_T2_T3_mT4_P12ihipStream_tbEUlT_E0_NS1_11comp_targetILNS1_3genE4ELNS1_11target_archE910ELNS1_3gpuE8ELNS1_3repE0EEENS1_30default_config_static_selectorELNS0_4arch9wavefront6targetE0EEEvSS_ ; -- Begin function _ZN7rocprim17ROCPRIM_400000_NS6detail17trampoline_kernelINS0_14default_configENS1_22reduce_config_selectorIiEEZNS1_11reduce_implILb1ES3_PiS7_iN6hipcub16HIPCUB_304000_NS6detail34convert_binary_result_type_wrapperINS9_3SumENS9_22TransformInputIteratorIbN2at6native12_GLOBAL__N_19NonZeroOpIN3c104HalfEEEPKSJ_lEEiEEEE10hipError_tPvRmT1_T2_T3_mT4_P12ihipStream_tbEUlT_E0_NS1_11comp_targetILNS1_3genE4ELNS1_11target_archE910ELNS1_3gpuE8ELNS1_3repE0EEENS1_30default_config_static_selectorELNS0_4arch9wavefront6targetE0EEEvSS_
	.p2align	8
	.type	_ZN7rocprim17ROCPRIM_400000_NS6detail17trampoline_kernelINS0_14default_configENS1_22reduce_config_selectorIiEEZNS1_11reduce_implILb1ES3_PiS7_iN6hipcub16HIPCUB_304000_NS6detail34convert_binary_result_type_wrapperINS9_3SumENS9_22TransformInputIteratorIbN2at6native12_GLOBAL__N_19NonZeroOpIN3c104HalfEEEPKSJ_lEEiEEEE10hipError_tPvRmT1_T2_T3_mT4_P12ihipStream_tbEUlT_E0_NS1_11comp_targetILNS1_3genE4ELNS1_11target_archE910ELNS1_3gpuE8ELNS1_3repE0EEENS1_30default_config_static_selectorELNS0_4arch9wavefront6targetE0EEEvSS_,@function
_ZN7rocprim17ROCPRIM_400000_NS6detail17trampoline_kernelINS0_14default_configENS1_22reduce_config_selectorIiEEZNS1_11reduce_implILb1ES3_PiS7_iN6hipcub16HIPCUB_304000_NS6detail34convert_binary_result_type_wrapperINS9_3SumENS9_22TransformInputIteratorIbN2at6native12_GLOBAL__N_19NonZeroOpIN3c104HalfEEEPKSJ_lEEiEEEE10hipError_tPvRmT1_T2_T3_mT4_P12ihipStream_tbEUlT_E0_NS1_11comp_targetILNS1_3genE4ELNS1_11target_archE910ELNS1_3gpuE8ELNS1_3repE0EEENS1_30default_config_static_selectorELNS0_4arch9wavefront6targetE0EEEvSS_: ; @_ZN7rocprim17ROCPRIM_400000_NS6detail17trampoline_kernelINS0_14default_configENS1_22reduce_config_selectorIiEEZNS1_11reduce_implILb1ES3_PiS7_iN6hipcub16HIPCUB_304000_NS6detail34convert_binary_result_type_wrapperINS9_3SumENS9_22TransformInputIteratorIbN2at6native12_GLOBAL__N_19NonZeroOpIN3c104HalfEEEPKSJ_lEEiEEEE10hipError_tPvRmT1_T2_T3_mT4_P12ihipStream_tbEUlT_E0_NS1_11comp_targetILNS1_3genE4ELNS1_11target_archE910ELNS1_3gpuE8ELNS1_3repE0EEENS1_30default_config_static_selectorELNS0_4arch9wavefront6targetE0EEEvSS_
; %bb.0:
	.section	.rodata,"a",@progbits
	.p2align	6, 0x0
	.amdhsa_kernel _ZN7rocprim17ROCPRIM_400000_NS6detail17trampoline_kernelINS0_14default_configENS1_22reduce_config_selectorIiEEZNS1_11reduce_implILb1ES3_PiS7_iN6hipcub16HIPCUB_304000_NS6detail34convert_binary_result_type_wrapperINS9_3SumENS9_22TransformInputIteratorIbN2at6native12_GLOBAL__N_19NonZeroOpIN3c104HalfEEEPKSJ_lEEiEEEE10hipError_tPvRmT1_T2_T3_mT4_P12ihipStream_tbEUlT_E0_NS1_11comp_targetILNS1_3genE4ELNS1_11target_archE910ELNS1_3gpuE8ELNS1_3repE0EEENS1_30default_config_static_selectorELNS0_4arch9wavefront6targetE0EEEvSS_
		.amdhsa_group_segment_fixed_size 0
		.amdhsa_private_segment_fixed_size 0
		.amdhsa_kernarg_size 56
		.amdhsa_user_sgpr_count 2
		.amdhsa_user_sgpr_dispatch_ptr 0
		.amdhsa_user_sgpr_queue_ptr 0
		.amdhsa_user_sgpr_kernarg_segment_ptr 1
		.amdhsa_user_sgpr_dispatch_id 0
		.amdhsa_user_sgpr_private_segment_size 0
		.amdhsa_wavefront_size32 1
		.amdhsa_uses_dynamic_stack 0
		.amdhsa_enable_private_segment 0
		.amdhsa_system_sgpr_workgroup_id_x 1
		.amdhsa_system_sgpr_workgroup_id_y 0
		.amdhsa_system_sgpr_workgroup_id_z 0
		.amdhsa_system_sgpr_workgroup_info 0
		.amdhsa_system_vgpr_workitem_id 0
		.amdhsa_next_free_vgpr 1
		.amdhsa_next_free_sgpr 1
		.amdhsa_reserve_vcc 0
		.amdhsa_float_round_mode_32 0
		.amdhsa_float_round_mode_16_64 0
		.amdhsa_float_denorm_mode_32 3
		.amdhsa_float_denorm_mode_16_64 3
		.amdhsa_fp16_overflow 0
		.amdhsa_workgroup_processor_mode 1
		.amdhsa_memory_ordered 1
		.amdhsa_forward_progress 1
		.amdhsa_inst_pref_size 0
		.amdhsa_round_robin_scheduling 0
		.amdhsa_exception_fp_ieee_invalid_op 0
		.amdhsa_exception_fp_denorm_src 0
		.amdhsa_exception_fp_ieee_div_zero 0
		.amdhsa_exception_fp_ieee_overflow 0
		.amdhsa_exception_fp_ieee_underflow 0
		.amdhsa_exception_fp_ieee_inexact 0
		.amdhsa_exception_int_div_zero 0
	.end_amdhsa_kernel
	.section	.text._ZN7rocprim17ROCPRIM_400000_NS6detail17trampoline_kernelINS0_14default_configENS1_22reduce_config_selectorIiEEZNS1_11reduce_implILb1ES3_PiS7_iN6hipcub16HIPCUB_304000_NS6detail34convert_binary_result_type_wrapperINS9_3SumENS9_22TransformInputIteratorIbN2at6native12_GLOBAL__N_19NonZeroOpIN3c104HalfEEEPKSJ_lEEiEEEE10hipError_tPvRmT1_T2_T3_mT4_P12ihipStream_tbEUlT_E0_NS1_11comp_targetILNS1_3genE4ELNS1_11target_archE910ELNS1_3gpuE8ELNS1_3repE0EEENS1_30default_config_static_selectorELNS0_4arch9wavefront6targetE0EEEvSS_,"axG",@progbits,_ZN7rocprim17ROCPRIM_400000_NS6detail17trampoline_kernelINS0_14default_configENS1_22reduce_config_selectorIiEEZNS1_11reduce_implILb1ES3_PiS7_iN6hipcub16HIPCUB_304000_NS6detail34convert_binary_result_type_wrapperINS9_3SumENS9_22TransformInputIteratorIbN2at6native12_GLOBAL__N_19NonZeroOpIN3c104HalfEEEPKSJ_lEEiEEEE10hipError_tPvRmT1_T2_T3_mT4_P12ihipStream_tbEUlT_E0_NS1_11comp_targetILNS1_3genE4ELNS1_11target_archE910ELNS1_3gpuE8ELNS1_3repE0EEENS1_30default_config_static_selectorELNS0_4arch9wavefront6targetE0EEEvSS_,comdat
.Lfunc_end832:
	.size	_ZN7rocprim17ROCPRIM_400000_NS6detail17trampoline_kernelINS0_14default_configENS1_22reduce_config_selectorIiEEZNS1_11reduce_implILb1ES3_PiS7_iN6hipcub16HIPCUB_304000_NS6detail34convert_binary_result_type_wrapperINS9_3SumENS9_22TransformInputIteratorIbN2at6native12_GLOBAL__N_19NonZeroOpIN3c104HalfEEEPKSJ_lEEiEEEE10hipError_tPvRmT1_T2_T3_mT4_P12ihipStream_tbEUlT_E0_NS1_11comp_targetILNS1_3genE4ELNS1_11target_archE910ELNS1_3gpuE8ELNS1_3repE0EEENS1_30default_config_static_selectorELNS0_4arch9wavefront6targetE0EEEvSS_, .Lfunc_end832-_ZN7rocprim17ROCPRIM_400000_NS6detail17trampoline_kernelINS0_14default_configENS1_22reduce_config_selectorIiEEZNS1_11reduce_implILb1ES3_PiS7_iN6hipcub16HIPCUB_304000_NS6detail34convert_binary_result_type_wrapperINS9_3SumENS9_22TransformInputIteratorIbN2at6native12_GLOBAL__N_19NonZeroOpIN3c104HalfEEEPKSJ_lEEiEEEE10hipError_tPvRmT1_T2_T3_mT4_P12ihipStream_tbEUlT_E0_NS1_11comp_targetILNS1_3genE4ELNS1_11target_archE910ELNS1_3gpuE8ELNS1_3repE0EEENS1_30default_config_static_selectorELNS0_4arch9wavefront6targetE0EEEvSS_
                                        ; -- End function
	.set _ZN7rocprim17ROCPRIM_400000_NS6detail17trampoline_kernelINS0_14default_configENS1_22reduce_config_selectorIiEEZNS1_11reduce_implILb1ES3_PiS7_iN6hipcub16HIPCUB_304000_NS6detail34convert_binary_result_type_wrapperINS9_3SumENS9_22TransformInputIteratorIbN2at6native12_GLOBAL__N_19NonZeroOpIN3c104HalfEEEPKSJ_lEEiEEEE10hipError_tPvRmT1_T2_T3_mT4_P12ihipStream_tbEUlT_E0_NS1_11comp_targetILNS1_3genE4ELNS1_11target_archE910ELNS1_3gpuE8ELNS1_3repE0EEENS1_30default_config_static_selectorELNS0_4arch9wavefront6targetE0EEEvSS_.num_vgpr, 0
	.set _ZN7rocprim17ROCPRIM_400000_NS6detail17trampoline_kernelINS0_14default_configENS1_22reduce_config_selectorIiEEZNS1_11reduce_implILb1ES3_PiS7_iN6hipcub16HIPCUB_304000_NS6detail34convert_binary_result_type_wrapperINS9_3SumENS9_22TransformInputIteratorIbN2at6native12_GLOBAL__N_19NonZeroOpIN3c104HalfEEEPKSJ_lEEiEEEE10hipError_tPvRmT1_T2_T3_mT4_P12ihipStream_tbEUlT_E0_NS1_11comp_targetILNS1_3genE4ELNS1_11target_archE910ELNS1_3gpuE8ELNS1_3repE0EEENS1_30default_config_static_selectorELNS0_4arch9wavefront6targetE0EEEvSS_.num_agpr, 0
	.set _ZN7rocprim17ROCPRIM_400000_NS6detail17trampoline_kernelINS0_14default_configENS1_22reduce_config_selectorIiEEZNS1_11reduce_implILb1ES3_PiS7_iN6hipcub16HIPCUB_304000_NS6detail34convert_binary_result_type_wrapperINS9_3SumENS9_22TransformInputIteratorIbN2at6native12_GLOBAL__N_19NonZeroOpIN3c104HalfEEEPKSJ_lEEiEEEE10hipError_tPvRmT1_T2_T3_mT4_P12ihipStream_tbEUlT_E0_NS1_11comp_targetILNS1_3genE4ELNS1_11target_archE910ELNS1_3gpuE8ELNS1_3repE0EEENS1_30default_config_static_selectorELNS0_4arch9wavefront6targetE0EEEvSS_.numbered_sgpr, 0
	.set _ZN7rocprim17ROCPRIM_400000_NS6detail17trampoline_kernelINS0_14default_configENS1_22reduce_config_selectorIiEEZNS1_11reduce_implILb1ES3_PiS7_iN6hipcub16HIPCUB_304000_NS6detail34convert_binary_result_type_wrapperINS9_3SumENS9_22TransformInputIteratorIbN2at6native12_GLOBAL__N_19NonZeroOpIN3c104HalfEEEPKSJ_lEEiEEEE10hipError_tPvRmT1_T2_T3_mT4_P12ihipStream_tbEUlT_E0_NS1_11comp_targetILNS1_3genE4ELNS1_11target_archE910ELNS1_3gpuE8ELNS1_3repE0EEENS1_30default_config_static_selectorELNS0_4arch9wavefront6targetE0EEEvSS_.num_named_barrier, 0
	.set _ZN7rocprim17ROCPRIM_400000_NS6detail17trampoline_kernelINS0_14default_configENS1_22reduce_config_selectorIiEEZNS1_11reduce_implILb1ES3_PiS7_iN6hipcub16HIPCUB_304000_NS6detail34convert_binary_result_type_wrapperINS9_3SumENS9_22TransformInputIteratorIbN2at6native12_GLOBAL__N_19NonZeroOpIN3c104HalfEEEPKSJ_lEEiEEEE10hipError_tPvRmT1_T2_T3_mT4_P12ihipStream_tbEUlT_E0_NS1_11comp_targetILNS1_3genE4ELNS1_11target_archE910ELNS1_3gpuE8ELNS1_3repE0EEENS1_30default_config_static_selectorELNS0_4arch9wavefront6targetE0EEEvSS_.private_seg_size, 0
	.set _ZN7rocprim17ROCPRIM_400000_NS6detail17trampoline_kernelINS0_14default_configENS1_22reduce_config_selectorIiEEZNS1_11reduce_implILb1ES3_PiS7_iN6hipcub16HIPCUB_304000_NS6detail34convert_binary_result_type_wrapperINS9_3SumENS9_22TransformInputIteratorIbN2at6native12_GLOBAL__N_19NonZeroOpIN3c104HalfEEEPKSJ_lEEiEEEE10hipError_tPvRmT1_T2_T3_mT4_P12ihipStream_tbEUlT_E0_NS1_11comp_targetILNS1_3genE4ELNS1_11target_archE910ELNS1_3gpuE8ELNS1_3repE0EEENS1_30default_config_static_selectorELNS0_4arch9wavefront6targetE0EEEvSS_.uses_vcc, 0
	.set _ZN7rocprim17ROCPRIM_400000_NS6detail17trampoline_kernelINS0_14default_configENS1_22reduce_config_selectorIiEEZNS1_11reduce_implILb1ES3_PiS7_iN6hipcub16HIPCUB_304000_NS6detail34convert_binary_result_type_wrapperINS9_3SumENS9_22TransformInputIteratorIbN2at6native12_GLOBAL__N_19NonZeroOpIN3c104HalfEEEPKSJ_lEEiEEEE10hipError_tPvRmT1_T2_T3_mT4_P12ihipStream_tbEUlT_E0_NS1_11comp_targetILNS1_3genE4ELNS1_11target_archE910ELNS1_3gpuE8ELNS1_3repE0EEENS1_30default_config_static_selectorELNS0_4arch9wavefront6targetE0EEEvSS_.uses_flat_scratch, 0
	.set _ZN7rocprim17ROCPRIM_400000_NS6detail17trampoline_kernelINS0_14default_configENS1_22reduce_config_selectorIiEEZNS1_11reduce_implILb1ES3_PiS7_iN6hipcub16HIPCUB_304000_NS6detail34convert_binary_result_type_wrapperINS9_3SumENS9_22TransformInputIteratorIbN2at6native12_GLOBAL__N_19NonZeroOpIN3c104HalfEEEPKSJ_lEEiEEEE10hipError_tPvRmT1_T2_T3_mT4_P12ihipStream_tbEUlT_E0_NS1_11comp_targetILNS1_3genE4ELNS1_11target_archE910ELNS1_3gpuE8ELNS1_3repE0EEENS1_30default_config_static_selectorELNS0_4arch9wavefront6targetE0EEEvSS_.has_dyn_sized_stack, 0
	.set _ZN7rocprim17ROCPRIM_400000_NS6detail17trampoline_kernelINS0_14default_configENS1_22reduce_config_selectorIiEEZNS1_11reduce_implILb1ES3_PiS7_iN6hipcub16HIPCUB_304000_NS6detail34convert_binary_result_type_wrapperINS9_3SumENS9_22TransformInputIteratorIbN2at6native12_GLOBAL__N_19NonZeroOpIN3c104HalfEEEPKSJ_lEEiEEEE10hipError_tPvRmT1_T2_T3_mT4_P12ihipStream_tbEUlT_E0_NS1_11comp_targetILNS1_3genE4ELNS1_11target_archE910ELNS1_3gpuE8ELNS1_3repE0EEENS1_30default_config_static_selectorELNS0_4arch9wavefront6targetE0EEEvSS_.has_recursion, 0
	.set _ZN7rocprim17ROCPRIM_400000_NS6detail17trampoline_kernelINS0_14default_configENS1_22reduce_config_selectorIiEEZNS1_11reduce_implILb1ES3_PiS7_iN6hipcub16HIPCUB_304000_NS6detail34convert_binary_result_type_wrapperINS9_3SumENS9_22TransformInputIteratorIbN2at6native12_GLOBAL__N_19NonZeroOpIN3c104HalfEEEPKSJ_lEEiEEEE10hipError_tPvRmT1_T2_T3_mT4_P12ihipStream_tbEUlT_E0_NS1_11comp_targetILNS1_3genE4ELNS1_11target_archE910ELNS1_3gpuE8ELNS1_3repE0EEENS1_30default_config_static_selectorELNS0_4arch9wavefront6targetE0EEEvSS_.has_indirect_call, 0
	.section	.AMDGPU.csdata,"",@progbits
; Kernel info:
; codeLenInByte = 0
; TotalNumSgprs: 0
; NumVgprs: 0
; ScratchSize: 0
; MemoryBound: 0
; FloatMode: 240
; IeeeMode: 1
; LDSByteSize: 0 bytes/workgroup (compile time only)
; SGPRBlocks: 0
; VGPRBlocks: 0
; NumSGPRsForWavesPerEU: 1
; NumVGPRsForWavesPerEU: 1
; Occupancy: 16
; WaveLimiterHint : 0
; COMPUTE_PGM_RSRC2:SCRATCH_EN: 0
; COMPUTE_PGM_RSRC2:USER_SGPR: 2
; COMPUTE_PGM_RSRC2:TRAP_HANDLER: 0
; COMPUTE_PGM_RSRC2:TGID_X_EN: 1
; COMPUTE_PGM_RSRC2:TGID_Y_EN: 0
; COMPUTE_PGM_RSRC2:TGID_Z_EN: 0
; COMPUTE_PGM_RSRC2:TIDIG_COMP_CNT: 0
	.section	.text._ZN7rocprim17ROCPRIM_400000_NS6detail17trampoline_kernelINS0_14default_configENS1_22reduce_config_selectorIiEEZNS1_11reduce_implILb1ES3_PiS7_iN6hipcub16HIPCUB_304000_NS6detail34convert_binary_result_type_wrapperINS9_3SumENS9_22TransformInputIteratorIbN2at6native12_GLOBAL__N_19NonZeroOpIN3c104HalfEEEPKSJ_lEEiEEEE10hipError_tPvRmT1_T2_T3_mT4_P12ihipStream_tbEUlT_E0_NS1_11comp_targetILNS1_3genE3ELNS1_11target_archE908ELNS1_3gpuE7ELNS1_3repE0EEENS1_30default_config_static_selectorELNS0_4arch9wavefront6targetE0EEEvSS_,"axG",@progbits,_ZN7rocprim17ROCPRIM_400000_NS6detail17trampoline_kernelINS0_14default_configENS1_22reduce_config_selectorIiEEZNS1_11reduce_implILb1ES3_PiS7_iN6hipcub16HIPCUB_304000_NS6detail34convert_binary_result_type_wrapperINS9_3SumENS9_22TransformInputIteratorIbN2at6native12_GLOBAL__N_19NonZeroOpIN3c104HalfEEEPKSJ_lEEiEEEE10hipError_tPvRmT1_T2_T3_mT4_P12ihipStream_tbEUlT_E0_NS1_11comp_targetILNS1_3genE3ELNS1_11target_archE908ELNS1_3gpuE7ELNS1_3repE0EEENS1_30default_config_static_selectorELNS0_4arch9wavefront6targetE0EEEvSS_,comdat
	.globl	_ZN7rocprim17ROCPRIM_400000_NS6detail17trampoline_kernelINS0_14default_configENS1_22reduce_config_selectorIiEEZNS1_11reduce_implILb1ES3_PiS7_iN6hipcub16HIPCUB_304000_NS6detail34convert_binary_result_type_wrapperINS9_3SumENS9_22TransformInputIteratorIbN2at6native12_GLOBAL__N_19NonZeroOpIN3c104HalfEEEPKSJ_lEEiEEEE10hipError_tPvRmT1_T2_T3_mT4_P12ihipStream_tbEUlT_E0_NS1_11comp_targetILNS1_3genE3ELNS1_11target_archE908ELNS1_3gpuE7ELNS1_3repE0EEENS1_30default_config_static_selectorELNS0_4arch9wavefront6targetE0EEEvSS_ ; -- Begin function _ZN7rocprim17ROCPRIM_400000_NS6detail17trampoline_kernelINS0_14default_configENS1_22reduce_config_selectorIiEEZNS1_11reduce_implILb1ES3_PiS7_iN6hipcub16HIPCUB_304000_NS6detail34convert_binary_result_type_wrapperINS9_3SumENS9_22TransformInputIteratorIbN2at6native12_GLOBAL__N_19NonZeroOpIN3c104HalfEEEPKSJ_lEEiEEEE10hipError_tPvRmT1_T2_T3_mT4_P12ihipStream_tbEUlT_E0_NS1_11comp_targetILNS1_3genE3ELNS1_11target_archE908ELNS1_3gpuE7ELNS1_3repE0EEENS1_30default_config_static_selectorELNS0_4arch9wavefront6targetE0EEEvSS_
	.p2align	8
	.type	_ZN7rocprim17ROCPRIM_400000_NS6detail17trampoline_kernelINS0_14default_configENS1_22reduce_config_selectorIiEEZNS1_11reduce_implILb1ES3_PiS7_iN6hipcub16HIPCUB_304000_NS6detail34convert_binary_result_type_wrapperINS9_3SumENS9_22TransformInputIteratorIbN2at6native12_GLOBAL__N_19NonZeroOpIN3c104HalfEEEPKSJ_lEEiEEEE10hipError_tPvRmT1_T2_T3_mT4_P12ihipStream_tbEUlT_E0_NS1_11comp_targetILNS1_3genE3ELNS1_11target_archE908ELNS1_3gpuE7ELNS1_3repE0EEENS1_30default_config_static_selectorELNS0_4arch9wavefront6targetE0EEEvSS_,@function
_ZN7rocprim17ROCPRIM_400000_NS6detail17trampoline_kernelINS0_14default_configENS1_22reduce_config_selectorIiEEZNS1_11reduce_implILb1ES3_PiS7_iN6hipcub16HIPCUB_304000_NS6detail34convert_binary_result_type_wrapperINS9_3SumENS9_22TransformInputIteratorIbN2at6native12_GLOBAL__N_19NonZeroOpIN3c104HalfEEEPKSJ_lEEiEEEE10hipError_tPvRmT1_T2_T3_mT4_P12ihipStream_tbEUlT_E0_NS1_11comp_targetILNS1_3genE3ELNS1_11target_archE908ELNS1_3gpuE7ELNS1_3repE0EEENS1_30default_config_static_selectorELNS0_4arch9wavefront6targetE0EEEvSS_: ; @_ZN7rocprim17ROCPRIM_400000_NS6detail17trampoline_kernelINS0_14default_configENS1_22reduce_config_selectorIiEEZNS1_11reduce_implILb1ES3_PiS7_iN6hipcub16HIPCUB_304000_NS6detail34convert_binary_result_type_wrapperINS9_3SumENS9_22TransformInputIteratorIbN2at6native12_GLOBAL__N_19NonZeroOpIN3c104HalfEEEPKSJ_lEEiEEEE10hipError_tPvRmT1_T2_T3_mT4_P12ihipStream_tbEUlT_E0_NS1_11comp_targetILNS1_3genE3ELNS1_11target_archE908ELNS1_3gpuE7ELNS1_3repE0EEENS1_30default_config_static_selectorELNS0_4arch9wavefront6targetE0EEEvSS_
; %bb.0:
	.section	.rodata,"a",@progbits
	.p2align	6, 0x0
	.amdhsa_kernel _ZN7rocprim17ROCPRIM_400000_NS6detail17trampoline_kernelINS0_14default_configENS1_22reduce_config_selectorIiEEZNS1_11reduce_implILb1ES3_PiS7_iN6hipcub16HIPCUB_304000_NS6detail34convert_binary_result_type_wrapperINS9_3SumENS9_22TransformInputIteratorIbN2at6native12_GLOBAL__N_19NonZeroOpIN3c104HalfEEEPKSJ_lEEiEEEE10hipError_tPvRmT1_T2_T3_mT4_P12ihipStream_tbEUlT_E0_NS1_11comp_targetILNS1_3genE3ELNS1_11target_archE908ELNS1_3gpuE7ELNS1_3repE0EEENS1_30default_config_static_selectorELNS0_4arch9wavefront6targetE0EEEvSS_
		.amdhsa_group_segment_fixed_size 0
		.amdhsa_private_segment_fixed_size 0
		.amdhsa_kernarg_size 56
		.amdhsa_user_sgpr_count 2
		.amdhsa_user_sgpr_dispatch_ptr 0
		.amdhsa_user_sgpr_queue_ptr 0
		.amdhsa_user_sgpr_kernarg_segment_ptr 1
		.amdhsa_user_sgpr_dispatch_id 0
		.amdhsa_user_sgpr_private_segment_size 0
		.amdhsa_wavefront_size32 1
		.amdhsa_uses_dynamic_stack 0
		.amdhsa_enable_private_segment 0
		.amdhsa_system_sgpr_workgroup_id_x 1
		.amdhsa_system_sgpr_workgroup_id_y 0
		.amdhsa_system_sgpr_workgroup_id_z 0
		.amdhsa_system_sgpr_workgroup_info 0
		.amdhsa_system_vgpr_workitem_id 0
		.amdhsa_next_free_vgpr 1
		.amdhsa_next_free_sgpr 1
		.amdhsa_reserve_vcc 0
		.amdhsa_float_round_mode_32 0
		.amdhsa_float_round_mode_16_64 0
		.amdhsa_float_denorm_mode_32 3
		.amdhsa_float_denorm_mode_16_64 3
		.amdhsa_fp16_overflow 0
		.amdhsa_workgroup_processor_mode 1
		.amdhsa_memory_ordered 1
		.amdhsa_forward_progress 1
		.amdhsa_inst_pref_size 0
		.amdhsa_round_robin_scheduling 0
		.amdhsa_exception_fp_ieee_invalid_op 0
		.amdhsa_exception_fp_denorm_src 0
		.amdhsa_exception_fp_ieee_div_zero 0
		.amdhsa_exception_fp_ieee_overflow 0
		.amdhsa_exception_fp_ieee_underflow 0
		.amdhsa_exception_fp_ieee_inexact 0
		.amdhsa_exception_int_div_zero 0
	.end_amdhsa_kernel
	.section	.text._ZN7rocprim17ROCPRIM_400000_NS6detail17trampoline_kernelINS0_14default_configENS1_22reduce_config_selectorIiEEZNS1_11reduce_implILb1ES3_PiS7_iN6hipcub16HIPCUB_304000_NS6detail34convert_binary_result_type_wrapperINS9_3SumENS9_22TransformInputIteratorIbN2at6native12_GLOBAL__N_19NonZeroOpIN3c104HalfEEEPKSJ_lEEiEEEE10hipError_tPvRmT1_T2_T3_mT4_P12ihipStream_tbEUlT_E0_NS1_11comp_targetILNS1_3genE3ELNS1_11target_archE908ELNS1_3gpuE7ELNS1_3repE0EEENS1_30default_config_static_selectorELNS0_4arch9wavefront6targetE0EEEvSS_,"axG",@progbits,_ZN7rocprim17ROCPRIM_400000_NS6detail17trampoline_kernelINS0_14default_configENS1_22reduce_config_selectorIiEEZNS1_11reduce_implILb1ES3_PiS7_iN6hipcub16HIPCUB_304000_NS6detail34convert_binary_result_type_wrapperINS9_3SumENS9_22TransformInputIteratorIbN2at6native12_GLOBAL__N_19NonZeroOpIN3c104HalfEEEPKSJ_lEEiEEEE10hipError_tPvRmT1_T2_T3_mT4_P12ihipStream_tbEUlT_E0_NS1_11comp_targetILNS1_3genE3ELNS1_11target_archE908ELNS1_3gpuE7ELNS1_3repE0EEENS1_30default_config_static_selectorELNS0_4arch9wavefront6targetE0EEEvSS_,comdat
.Lfunc_end833:
	.size	_ZN7rocprim17ROCPRIM_400000_NS6detail17trampoline_kernelINS0_14default_configENS1_22reduce_config_selectorIiEEZNS1_11reduce_implILb1ES3_PiS7_iN6hipcub16HIPCUB_304000_NS6detail34convert_binary_result_type_wrapperINS9_3SumENS9_22TransformInputIteratorIbN2at6native12_GLOBAL__N_19NonZeroOpIN3c104HalfEEEPKSJ_lEEiEEEE10hipError_tPvRmT1_T2_T3_mT4_P12ihipStream_tbEUlT_E0_NS1_11comp_targetILNS1_3genE3ELNS1_11target_archE908ELNS1_3gpuE7ELNS1_3repE0EEENS1_30default_config_static_selectorELNS0_4arch9wavefront6targetE0EEEvSS_, .Lfunc_end833-_ZN7rocprim17ROCPRIM_400000_NS6detail17trampoline_kernelINS0_14default_configENS1_22reduce_config_selectorIiEEZNS1_11reduce_implILb1ES3_PiS7_iN6hipcub16HIPCUB_304000_NS6detail34convert_binary_result_type_wrapperINS9_3SumENS9_22TransformInputIteratorIbN2at6native12_GLOBAL__N_19NonZeroOpIN3c104HalfEEEPKSJ_lEEiEEEE10hipError_tPvRmT1_T2_T3_mT4_P12ihipStream_tbEUlT_E0_NS1_11comp_targetILNS1_3genE3ELNS1_11target_archE908ELNS1_3gpuE7ELNS1_3repE0EEENS1_30default_config_static_selectorELNS0_4arch9wavefront6targetE0EEEvSS_
                                        ; -- End function
	.set _ZN7rocprim17ROCPRIM_400000_NS6detail17trampoline_kernelINS0_14default_configENS1_22reduce_config_selectorIiEEZNS1_11reduce_implILb1ES3_PiS7_iN6hipcub16HIPCUB_304000_NS6detail34convert_binary_result_type_wrapperINS9_3SumENS9_22TransformInputIteratorIbN2at6native12_GLOBAL__N_19NonZeroOpIN3c104HalfEEEPKSJ_lEEiEEEE10hipError_tPvRmT1_T2_T3_mT4_P12ihipStream_tbEUlT_E0_NS1_11comp_targetILNS1_3genE3ELNS1_11target_archE908ELNS1_3gpuE7ELNS1_3repE0EEENS1_30default_config_static_selectorELNS0_4arch9wavefront6targetE0EEEvSS_.num_vgpr, 0
	.set _ZN7rocprim17ROCPRIM_400000_NS6detail17trampoline_kernelINS0_14default_configENS1_22reduce_config_selectorIiEEZNS1_11reduce_implILb1ES3_PiS7_iN6hipcub16HIPCUB_304000_NS6detail34convert_binary_result_type_wrapperINS9_3SumENS9_22TransformInputIteratorIbN2at6native12_GLOBAL__N_19NonZeroOpIN3c104HalfEEEPKSJ_lEEiEEEE10hipError_tPvRmT1_T2_T3_mT4_P12ihipStream_tbEUlT_E0_NS1_11comp_targetILNS1_3genE3ELNS1_11target_archE908ELNS1_3gpuE7ELNS1_3repE0EEENS1_30default_config_static_selectorELNS0_4arch9wavefront6targetE0EEEvSS_.num_agpr, 0
	.set _ZN7rocprim17ROCPRIM_400000_NS6detail17trampoline_kernelINS0_14default_configENS1_22reduce_config_selectorIiEEZNS1_11reduce_implILb1ES3_PiS7_iN6hipcub16HIPCUB_304000_NS6detail34convert_binary_result_type_wrapperINS9_3SumENS9_22TransformInputIteratorIbN2at6native12_GLOBAL__N_19NonZeroOpIN3c104HalfEEEPKSJ_lEEiEEEE10hipError_tPvRmT1_T2_T3_mT4_P12ihipStream_tbEUlT_E0_NS1_11comp_targetILNS1_3genE3ELNS1_11target_archE908ELNS1_3gpuE7ELNS1_3repE0EEENS1_30default_config_static_selectorELNS0_4arch9wavefront6targetE0EEEvSS_.numbered_sgpr, 0
	.set _ZN7rocprim17ROCPRIM_400000_NS6detail17trampoline_kernelINS0_14default_configENS1_22reduce_config_selectorIiEEZNS1_11reduce_implILb1ES3_PiS7_iN6hipcub16HIPCUB_304000_NS6detail34convert_binary_result_type_wrapperINS9_3SumENS9_22TransformInputIteratorIbN2at6native12_GLOBAL__N_19NonZeroOpIN3c104HalfEEEPKSJ_lEEiEEEE10hipError_tPvRmT1_T2_T3_mT4_P12ihipStream_tbEUlT_E0_NS1_11comp_targetILNS1_3genE3ELNS1_11target_archE908ELNS1_3gpuE7ELNS1_3repE0EEENS1_30default_config_static_selectorELNS0_4arch9wavefront6targetE0EEEvSS_.num_named_barrier, 0
	.set _ZN7rocprim17ROCPRIM_400000_NS6detail17trampoline_kernelINS0_14default_configENS1_22reduce_config_selectorIiEEZNS1_11reduce_implILb1ES3_PiS7_iN6hipcub16HIPCUB_304000_NS6detail34convert_binary_result_type_wrapperINS9_3SumENS9_22TransformInputIteratorIbN2at6native12_GLOBAL__N_19NonZeroOpIN3c104HalfEEEPKSJ_lEEiEEEE10hipError_tPvRmT1_T2_T3_mT4_P12ihipStream_tbEUlT_E0_NS1_11comp_targetILNS1_3genE3ELNS1_11target_archE908ELNS1_3gpuE7ELNS1_3repE0EEENS1_30default_config_static_selectorELNS0_4arch9wavefront6targetE0EEEvSS_.private_seg_size, 0
	.set _ZN7rocprim17ROCPRIM_400000_NS6detail17trampoline_kernelINS0_14default_configENS1_22reduce_config_selectorIiEEZNS1_11reduce_implILb1ES3_PiS7_iN6hipcub16HIPCUB_304000_NS6detail34convert_binary_result_type_wrapperINS9_3SumENS9_22TransformInputIteratorIbN2at6native12_GLOBAL__N_19NonZeroOpIN3c104HalfEEEPKSJ_lEEiEEEE10hipError_tPvRmT1_T2_T3_mT4_P12ihipStream_tbEUlT_E0_NS1_11comp_targetILNS1_3genE3ELNS1_11target_archE908ELNS1_3gpuE7ELNS1_3repE0EEENS1_30default_config_static_selectorELNS0_4arch9wavefront6targetE0EEEvSS_.uses_vcc, 0
	.set _ZN7rocprim17ROCPRIM_400000_NS6detail17trampoline_kernelINS0_14default_configENS1_22reduce_config_selectorIiEEZNS1_11reduce_implILb1ES3_PiS7_iN6hipcub16HIPCUB_304000_NS6detail34convert_binary_result_type_wrapperINS9_3SumENS9_22TransformInputIteratorIbN2at6native12_GLOBAL__N_19NonZeroOpIN3c104HalfEEEPKSJ_lEEiEEEE10hipError_tPvRmT1_T2_T3_mT4_P12ihipStream_tbEUlT_E0_NS1_11comp_targetILNS1_3genE3ELNS1_11target_archE908ELNS1_3gpuE7ELNS1_3repE0EEENS1_30default_config_static_selectorELNS0_4arch9wavefront6targetE0EEEvSS_.uses_flat_scratch, 0
	.set _ZN7rocprim17ROCPRIM_400000_NS6detail17trampoline_kernelINS0_14default_configENS1_22reduce_config_selectorIiEEZNS1_11reduce_implILb1ES3_PiS7_iN6hipcub16HIPCUB_304000_NS6detail34convert_binary_result_type_wrapperINS9_3SumENS9_22TransformInputIteratorIbN2at6native12_GLOBAL__N_19NonZeroOpIN3c104HalfEEEPKSJ_lEEiEEEE10hipError_tPvRmT1_T2_T3_mT4_P12ihipStream_tbEUlT_E0_NS1_11comp_targetILNS1_3genE3ELNS1_11target_archE908ELNS1_3gpuE7ELNS1_3repE0EEENS1_30default_config_static_selectorELNS0_4arch9wavefront6targetE0EEEvSS_.has_dyn_sized_stack, 0
	.set _ZN7rocprim17ROCPRIM_400000_NS6detail17trampoline_kernelINS0_14default_configENS1_22reduce_config_selectorIiEEZNS1_11reduce_implILb1ES3_PiS7_iN6hipcub16HIPCUB_304000_NS6detail34convert_binary_result_type_wrapperINS9_3SumENS9_22TransformInputIteratorIbN2at6native12_GLOBAL__N_19NonZeroOpIN3c104HalfEEEPKSJ_lEEiEEEE10hipError_tPvRmT1_T2_T3_mT4_P12ihipStream_tbEUlT_E0_NS1_11comp_targetILNS1_3genE3ELNS1_11target_archE908ELNS1_3gpuE7ELNS1_3repE0EEENS1_30default_config_static_selectorELNS0_4arch9wavefront6targetE0EEEvSS_.has_recursion, 0
	.set _ZN7rocprim17ROCPRIM_400000_NS6detail17trampoline_kernelINS0_14default_configENS1_22reduce_config_selectorIiEEZNS1_11reduce_implILb1ES3_PiS7_iN6hipcub16HIPCUB_304000_NS6detail34convert_binary_result_type_wrapperINS9_3SumENS9_22TransformInputIteratorIbN2at6native12_GLOBAL__N_19NonZeroOpIN3c104HalfEEEPKSJ_lEEiEEEE10hipError_tPvRmT1_T2_T3_mT4_P12ihipStream_tbEUlT_E0_NS1_11comp_targetILNS1_3genE3ELNS1_11target_archE908ELNS1_3gpuE7ELNS1_3repE0EEENS1_30default_config_static_selectorELNS0_4arch9wavefront6targetE0EEEvSS_.has_indirect_call, 0
	.section	.AMDGPU.csdata,"",@progbits
; Kernel info:
; codeLenInByte = 0
; TotalNumSgprs: 0
; NumVgprs: 0
; ScratchSize: 0
; MemoryBound: 0
; FloatMode: 240
; IeeeMode: 1
; LDSByteSize: 0 bytes/workgroup (compile time only)
; SGPRBlocks: 0
; VGPRBlocks: 0
; NumSGPRsForWavesPerEU: 1
; NumVGPRsForWavesPerEU: 1
; Occupancy: 16
; WaveLimiterHint : 0
; COMPUTE_PGM_RSRC2:SCRATCH_EN: 0
; COMPUTE_PGM_RSRC2:USER_SGPR: 2
; COMPUTE_PGM_RSRC2:TRAP_HANDLER: 0
; COMPUTE_PGM_RSRC2:TGID_X_EN: 1
; COMPUTE_PGM_RSRC2:TGID_Y_EN: 0
; COMPUTE_PGM_RSRC2:TGID_Z_EN: 0
; COMPUTE_PGM_RSRC2:TIDIG_COMP_CNT: 0
	.section	.text._ZN7rocprim17ROCPRIM_400000_NS6detail17trampoline_kernelINS0_14default_configENS1_22reduce_config_selectorIiEEZNS1_11reduce_implILb1ES3_PiS7_iN6hipcub16HIPCUB_304000_NS6detail34convert_binary_result_type_wrapperINS9_3SumENS9_22TransformInputIteratorIbN2at6native12_GLOBAL__N_19NonZeroOpIN3c104HalfEEEPKSJ_lEEiEEEE10hipError_tPvRmT1_T2_T3_mT4_P12ihipStream_tbEUlT_E0_NS1_11comp_targetILNS1_3genE2ELNS1_11target_archE906ELNS1_3gpuE6ELNS1_3repE0EEENS1_30default_config_static_selectorELNS0_4arch9wavefront6targetE0EEEvSS_,"axG",@progbits,_ZN7rocprim17ROCPRIM_400000_NS6detail17trampoline_kernelINS0_14default_configENS1_22reduce_config_selectorIiEEZNS1_11reduce_implILb1ES3_PiS7_iN6hipcub16HIPCUB_304000_NS6detail34convert_binary_result_type_wrapperINS9_3SumENS9_22TransformInputIteratorIbN2at6native12_GLOBAL__N_19NonZeroOpIN3c104HalfEEEPKSJ_lEEiEEEE10hipError_tPvRmT1_T2_T3_mT4_P12ihipStream_tbEUlT_E0_NS1_11comp_targetILNS1_3genE2ELNS1_11target_archE906ELNS1_3gpuE6ELNS1_3repE0EEENS1_30default_config_static_selectorELNS0_4arch9wavefront6targetE0EEEvSS_,comdat
	.globl	_ZN7rocprim17ROCPRIM_400000_NS6detail17trampoline_kernelINS0_14default_configENS1_22reduce_config_selectorIiEEZNS1_11reduce_implILb1ES3_PiS7_iN6hipcub16HIPCUB_304000_NS6detail34convert_binary_result_type_wrapperINS9_3SumENS9_22TransformInputIteratorIbN2at6native12_GLOBAL__N_19NonZeroOpIN3c104HalfEEEPKSJ_lEEiEEEE10hipError_tPvRmT1_T2_T3_mT4_P12ihipStream_tbEUlT_E0_NS1_11comp_targetILNS1_3genE2ELNS1_11target_archE906ELNS1_3gpuE6ELNS1_3repE0EEENS1_30default_config_static_selectorELNS0_4arch9wavefront6targetE0EEEvSS_ ; -- Begin function _ZN7rocprim17ROCPRIM_400000_NS6detail17trampoline_kernelINS0_14default_configENS1_22reduce_config_selectorIiEEZNS1_11reduce_implILb1ES3_PiS7_iN6hipcub16HIPCUB_304000_NS6detail34convert_binary_result_type_wrapperINS9_3SumENS9_22TransformInputIteratorIbN2at6native12_GLOBAL__N_19NonZeroOpIN3c104HalfEEEPKSJ_lEEiEEEE10hipError_tPvRmT1_T2_T3_mT4_P12ihipStream_tbEUlT_E0_NS1_11comp_targetILNS1_3genE2ELNS1_11target_archE906ELNS1_3gpuE6ELNS1_3repE0EEENS1_30default_config_static_selectorELNS0_4arch9wavefront6targetE0EEEvSS_
	.p2align	8
	.type	_ZN7rocprim17ROCPRIM_400000_NS6detail17trampoline_kernelINS0_14default_configENS1_22reduce_config_selectorIiEEZNS1_11reduce_implILb1ES3_PiS7_iN6hipcub16HIPCUB_304000_NS6detail34convert_binary_result_type_wrapperINS9_3SumENS9_22TransformInputIteratorIbN2at6native12_GLOBAL__N_19NonZeroOpIN3c104HalfEEEPKSJ_lEEiEEEE10hipError_tPvRmT1_T2_T3_mT4_P12ihipStream_tbEUlT_E0_NS1_11comp_targetILNS1_3genE2ELNS1_11target_archE906ELNS1_3gpuE6ELNS1_3repE0EEENS1_30default_config_static_selectorELNS0_4arch9wavefront6targetE0EEEvSS_,@function
_ZN7rocprim17ROCPRIM_400000_NS6detail17trampoline_kernelINS0_14default_configENS1_22reduce_config_selectorIiEEZNS1_11reduce_implILb1ES3_PiS7_iN6hipcub16HIPCUB_304000_NS6detail34convert_binary_result_type_wrapperINS9_3SumENS9_22TransformInputIteratorIbN2at6native12_GLOBAL__N_19NonZeroOpIN3c104HalfEEEPKSJ_lEEiEEEE10hipError_tPvRmT1_T2_T3_mT4_P12ihipStream_tbEUlT_E0_NS1_11comp_targetILNS1_3genE2ELNS1_11target_archE906ELNS1_3gpuE6ELNS1_3repE0EEENS1_30default_config_static_selectorELNS0_4arch9wavefront6targetE0EEEvSS_: ; @_ZN7rocprim17ROCPRIM_400000_NS6detail17trampoline_kernelINS0_14default_configENS1_22reduce_config_selectorIiEEZNS1_11reduce_implILb1ES3_PiS7_iN6hipcub16HIPCUB_304000_NS6detail34convert_binary_result_type_wrapperINS9_3SumENS9_22TransformInputIteratorIbN2at6native12_GLOBAL__N_19NonZeroOpIN3c104HalfEEEPKSJ_lEEiEEEE10hipError_tPvRmT1_T2_T3_mT4_P12ihipStream_tbEUlT_E0_NS1_11comp_targetILNS1_3genE2ELNS1_11target_archE906ELNS1_3gpuE6ELNS1_3repE0EEENS1_30default_config_static_selectorELNS0_4arch9wavefront6targetE0EEEvSS_
; %bb.0:
	.section	.rodata,"a",@progbits
	.p2align	6, 0x0
	.amdhsa_kernel _ZN7rocprim17ROCPRIM_400000_NS6detail17trampoline_kernelINS0_14default_configENS1_22reduce_config_selectorIiEEZNS1_11reduce_implILb1ES3_PiS7_iN6hipcub16HIPCUB_304000_NS6detail34convert_binary_result_type_wrapperINS9_3SumENS9_22TransformInputIteratorIbN2at6native12_GLOBAL__N_19NonZeroOpIN3c104HalfEEEPKSJ_lEEiEEEE10hipError_tPvRmT1_T2_T3_mT4_P12ihipStream_tbEUlT_E0_NS1_11comp_targetILNS1_3genE2ELNS1_11target_archE906ELNS1_3gpuE6ELNS1_3repE0EEENS1_30default_config_static_selectorELNS0_4arch9wavefront6targetE0EEEvSS_
		.amdhsa_group_segment_fixed_size 0
		.amdhsa_private_segment_fixed_size 0
		.amdhsa_kernarg_size 56
		.amdhsa_user_sgpr_count 2
		.amdhsa_user_sgpr_dispatch_ptr 0
		.amdhsa_user_sgpr_queue_ptr 0
		.amdhsa_user_sgpr_kernarg_segment_ptr 1
		.amdhsa_user_sgpr_dispatch_id 0
		.amdhsa_user_sgpr_private_segment_size 0
		.amdhsa_wavefront_size32 1
		.amdhsa_uses_dynamic_stack 0
		.amdhsa_enable_private_segment 0
		.amdhsa_system_sgpr_workgroup_id_x 1
		.amdhsa_system_sgpr_workgroup_id_y 0
		.amdhsa_system_sgpr_workgroup_id_z 0
		.amdhsa_system_sgpr_workgroup_info 0
		.amdhsa_system_vgpr_workitem_id 0
		.amdhsa_next_free_vgpr 1
		.amdhsa_next_free_sgpr 1
		.amdhsa_reserve_vcc 0
		.amdhsa_float_round_mode_32 0
		.amdhsa_float_round_mode_16_64 0
		.amdhsa_float_denorm_mode_32 3
		.amdhsa_float_denorm_mode_16_64 3
		.amdhsa_fp16_overflow 0
		.amdhsa_workgroup_processor_mode 1
		.amdhsa_memory_ordered 1
		.amdhsa_forward_progress 1
		.amdhsa_inst_pref_size 0
		.amdhsa_round_robin_scheduling 0
		.amdhsa_exception_fp_ieee_invalid_op 0
		.amdhsa_exception_fp_denorm_src 0
		.amdhsa_exception_fp_ieee_div_zero 0
		.amdhsa_exception_fp_ieee_overflow 0
		.amdhsa_exception_fp_ieee_underflow 0
		.amdhsa_exception_fp_ieee_inexact 0
		.amdhsa_exception_int_div_zero 0
	.end_amdhsa_kernel
	.section	.text._ZN7rocprim17ROCPRIM_400000_NS6detail17trampoline_kernelINS0_14default_configENS1_22reduce_config_selectorIiEEZNS1_11reduce_implILb1ES3_PiS7_iN6hipcub16HIPCUB_304000_NS6detail34convert_binary_result_type_wrapperINS9_3SumENS9_22TransformInputIteratorIbN2at6native12_GLOBAL__N_19NonZeroOpIN3c104HalfEEEPKSJ_lEEiEEEE10hipError_tPvRmT1_T2_T3_mT4_P12ihipStream_tbEUlT_E0_NS1_11comp_targetILNS1_3genE2ELNS1_11target_archE906ELNS1_3gpuE6ELNS1_3repE0EEENS1_30default_config_static_selectorELNS0_4arch9wavefront6targetE0EEEvSS_,"axG",@progbits,_ZN7rocprim17ROCPRIM_400000_NS6detail17trampoline_kernelINS0_14default_configENS1_22reduce_config_selectorIiEEZNS1_11reduce_implILb1ES3_PiS7_iN6hipcub16HIPCUB_304000_NS6detail34convert_binary_result_type_wrapperINS9_3SumENS9_22TransformInputIteratorIbN2at6native12_GLOBAL__N_19NonZeroOpIN3c104HalfEEEPKSJ_lEEiEEEE10hipError_tPvRmT1_T2_T3_mT4_P12ihipStream_tbEUlT_E0_NS1_11comp_targetILNS1_3genE2ELNS1_11target_archE906ELNS1_3gpuE6ELNS1_3repE0EEENS1_30default_config_static_selectorELNS0_4arch9wavefront6targetE0EEEvSS_,comdat
.Lfunc_end834:
	.size	_ZN7rocprim17ROCPRIM_400000_NS6detail17trampoline_kernelINS0_14default_configENS1_22reduce_config_selectorIiEEZNS1_11reduce_implILb1ES3_PiS7_iN6hipcub16HIPCUB_304000_NS6detail34convert_binary_result_type_wrapperINS9_3SumENS9_22TransformInputIteratorIbN2at6native12_GLOBAL__N_19NonZeroOpIN3c104HalfEEEPKSJ_lEEiEEEE10hipError_tPvRmT1_T2_T3_mT4_P12ihipStream_tbEUlT_E0_NS1_11comp_targetILNS1_3genE2ELNS1_11target_archE906ELNS1_3gpuE6ELNS1_3repE0EEENS1_30default_config_static_selectorELNS0_4arch9wavefront6targetE0EEEvSS_, .Lfunc_end834-_ZN7rocprim17ROCPRIM_400000_NS6detail17trampoline_kernelINS0_14default_configENS1_22reduce_config_selectorIiEEZNS1_11reduce_implILb1ES3_PiS7_iN6hipcub16HIPCUB_304000_NS6detail34convert_binary_result_type_wrapperINS9_3SumENS9_22TransformInputIteratorIbN2at6native12_GLOBAL__N_19NonZeroOpIN3c104HalfEEEPKSJ_lEEiEEEE10hipError_tPvRmT1_T2_T3_mT4_P12ihipStream_tbEUlT_E0_NS1_11comp_targetILNS1_3genE2ELNS1_11target_archE906ELNS1_3gpuE6ELNS1_3repE0EEENS1_30default_config_static_selectorELNS0_4arch9wavefront6targetE0EEEvSS_
                                        ; -- End function
	.set _ZN7rocprim17ROCPRIM_400000_NS6detail17trampoline_kernelINS0_14default_configENS1_22reduce_config_selectorIiEEZNS1_11reduce_implILb1ES3_PiS7_iN6hipcub16HIPCUB_304000_NS6detail34convert_binary_result_type_wrapperINS9_3SumENS9_22TransformInputIteratorIbN2at6native12_GLOBAL__N_19NonZeroOpIN3c104HalfEEEPKSJ_lEEiEEEE10hipError_tPvRmT1_T2_T3_mT4_P12ihipStream_tbEUlT_E0_NS1_11comp_targetILNS1_3genE2ELNS1_11target_archE906ELNS1_3gpuE6ELNS1_3repE0EEENS1_30default_config_static_selectorELNS0_4arch9wavefront6targetE0EEEvSS_.num_vgpr, 0
	.set _ZN7rocprim17ROCPRIM_400000_NS6detail17trampoline_kernelINS0_14default_configENS1_22reduce_config_selectorIiEEZNS1_11reduce_implILb1ES3_PiS7_iN6hipcub16HIPCUB_304000_NS6detail34convert_binary_result_type_wrapperINS9_3SumENS9_22TransformInputIteratorIbN2at6native12_GLOBAL__N_19NonZeroOpIN3c104HalfEEEPKSJ_lEEiEEEE10hipError_tPvRmT1_T2_T3_mT4_P12ihipStream_tbEUlT_E0_NS1_11comp_targetILNS1_3genE2ELNS1_11target_archE906ELNS1_3gpuE6ELNS1_3repE0EEENS1_30default_config_static_selectorELNS0_4arch9wavefront6targetE0EEEvSS_.num_agpr, 0
	.set _ZN7rocprim17ROCPRIM_400000_NS6detail17trampoline_kernelINS0_14default_configENS1_22reduce_config_selectorIiEEZNS1_11reduce_implILb1ES3_PiS7_iN6hipcub16HIPCUB_304000_NS6detail34convert_binary_result_type_wrapperINS9_3SumENS9_22TransformInputIteratorIbN2at6native12_GLOBAL__N_19NonZeroOpIN3c104HalfEEEPKSJ_lEEiEEEE10hipError_tPvRmT1_T2_T3_mT4_P12ihipStream_tbEUlT_E0_NS1_11comp_targetILNS1_3genE2ELNS1_11target_archE906ELNS1_3gpuE6ELNS1_3repE0EEENS1_30default_config_static_selectorELNS0_4arch9wavefront6targetE0EEEvSS_.numbered_sgpr, 0
	.set _ZN7rocprim17ROCPRIM_400000_NS6detail17trampoline_kernelINS0_14default_configENS1_22reduce_config_selectorIiEEZNS1_11reduce_implILb1ES3_PiS7_iN6hipcub16HIPCUB_304000_NS6detail34convert_binary_result_type_wrapperINS9_3SumENS9_22TransformInputIteratorIbN2at6native12_GLOBAL__N_19NonZeroOpIN3c104HalfEEEPKSJ_lEEiEEEE10hipError_tPvRmT1_T2_T3_mT4_P12ihipStream_tbEUlT_E0_NS1_11comp_targetILNS1_3genE2ELNS1_11target_archE906ELNS1_3gpuE6ELNS1_3repE0EEENS1_30default_config_static_selectorELNS0_4arch9wavefront6targetE0EEEvSS_.num_named_barrier, 0
	.set _ZN7rocprim17ROCPRIM_400000_NS6detail17trampoline_kernelINS0_14default_configENS1_22reduce_config_selectorIiEEZNS1_11reduce_implILb1ES3_PiS7_iN6hipcub16HIPCUB_304000_NS6detail34convert_binary_result_type_wrapperINS9_3SumENS9_22TransformInputIteratorIbN2at6native12_GLOBAL__N_19NonZeroOpIN3c104HalfEEEPKSJ_lEEiEEEE10hipError_tPvRmT1_T2_T3_mT4_P12ihipStream_tbEUlT_E0_NS1_11comp_targetILNS1_3genE2ELNS1_11target_archE906ELNS1_3gpuE6ELNS1_3repE0EEENS1_30default_config_static_selectorELNS0_4arch9wavefront6targetE0EEEvSS_.private_seg_size, 0
	.set _ZN7rocprim17ROCPRIM_400000_NS6detail17trampoline_kernelINS0_14default_configENS1_22reduce_config_selectorIiEEZNS1_11reduce_implILb1ES3_PiS7_iN6hipcub16HIPCUB_304000_NS6detail34convert_binary_result_type_wrapperINS9_3SumENS9_22TransformInputIteratorIbN2at6native12_GLOBAL__N_19NonZeroOpIN3c104HalfEEEPKSJ_lEEiEEEE10hipError_tPvRmT1_T2_T3_mT4_P12ihipStream_tbEUlT_E0_NS1_11comp_targetILNS1_3genE2ELNS1_11target_archE906ELNS1_3gpuE6ELNS1_3repE0EEENS1_30default_config_static_selectorELNS0_4arch9wavefront6targetE0EEEvSS_.uses_vcc, 0
	.set _ZN7rocprim17ROCPRIM_400000_NS6detail17trampoline_kernelINS0_14default_configENS1_22reduce_config_selectorIiEEZNS1_11reduce_implILb1ES3_PiS7_iN6hipcub16HIPCUB_304000_NS6detail34convert_binary_result_type_wrapperINS9_3SumENS9_22TransformInputIteratorIbN2at6native12_GLOBAL__N_19NonZeroOpIN3c104HalfEEEPKSJ_lEEiEEEE10hipError_tPvRmT1_T2_T3_mT4_P12ihipStream_tbEUlT_E0_NS1_11comp_targetILNS1_3genE2ELNS1_11target_archE906ELNS1_3gpuE6ELNS1_3repE0EEENS1_30default_config_static_selectorELNS0_4arch9wavefront6targetE0EEEvSS_.uses_flat_scratch, 0
	.set _ZN7rocprim17ROCPRIM_400000_NS6detail17trampoline_kernelINS0_14default_configENS1_22reduce_config_selectorIiEEZNS1_11reduce_implILb1ES3_PiS7_iN6hipcub16HIPCUB_304000_NS6detail34convert_binary_result_type_wrapperINS9_3SumENS9_22TransformInputIteratorIbN2at6native12_GLOBAL__N_19NonZeroOpIN3c104HalfEEEPKSJ_lEEiEEEE10hipError_tPvRmT1_T2_T3_mT4_P12ihipStream_tbEUlT_E0_NS1_11comp_targetILNS1_3genE2ELNS1_11target_archE906ELNS1_3gpuE6ELNS1_3repE0EEENS1_30default_config_static_selectorELNS0_4arch9wavefront6targetE0EEEvSS_.has_dyn_sized_stack, 0
	.set _ZN7rocprim17ROCPRIM_400000_NS6detail17trampoline_kernelINS0_14default_configENS1_22reduce_config_selectorIiEEZNS1_11reduce_implILb1ES3_PiS7_iN6hipcub16HIPCUB_304000_NS6detail34convert_binary_result_type_wrapperINS9_3SumENS9_22TransformInputIteratorIbN2at6native12_GLOBAL__N_19NonZeroOpIN3c104HalfEEEPKSJ_lEEiEEEE10hipError_tPvRmT1_T2_T3_mT4_P12ihipStream_tbEUlT_E0_NS1_11comp_targetILNS1_3genE2ELNS1_11target_archE906ELNS1_3gpuE6ELNS1_3repE0EEENS1_30default_config_static_selectorELNS0_4arch9wavefront6targetE0EEEvSS_.has_recursion, 0
	.set _ZN7rocprim17ROCPRIM_400000_NS6detail17trampoline_kernelINS0_14default_configENS1_22reduce_config_selectorIiEEZNS1_11reduce_implILb1ES3_PiS7_iN6hipcub16HIPCUB_304000_NS6detail34convert_binary_result_type_wrapperINS9_3SumENS9_22TransformInputIteratorIbN2at6native12_GLOBAL__N_19NonZeroOpIN3c104HalfEEEPKSJ_lEEiEEEE10hipError_tPvRmT1_T2_T3_mT4_P12ihipStream_tbEUlT_E0_NS1_11comp_targetILNS1_3genE2ELNS1_11target_archE906ELNS1_3gpuE6ELNS1_3repE0EEENS1_30default_config_static_selectorELNS0_4arch9wavefront6targetE0EEEvSS_.has_indirect_call, 0
	.section	.AMDGPU.csdata,"",@progbits
; Kernel info:
; codeLenInByte = 0
; TotalNumSgprs: 0
; NumVgprs: 0
; ScratchSize: 0
; MemoryBound: 0
; FloatMode: 240
; IeeeMode: 1
; LDSByteSize: 0 bytes/workgroup (compile time only)
; SGPRBlocks: 0
; VGPRBlocks: 0
; NumSGPRsForWavesPerEU: 1
; NumVGPRsForWavesPerEU: 1
; Occupancy: 16
; WaveLimiterHint : 0
; COMPUTE_PGM_RSRC2:SCRATCH_EN: 0
; COMPUTE_PGM_RSRC2:USER_SGPR: 2
; COMPUTE_PGM_RSRC2:TRAP_HANDLER: 0
; COMPUTE_PGM_RSRC2:TGID_X_EN: 1
; COMPUTE_PGM_RSRC2:TGID_Y_EN: 0
; COMPUTE_PGM_RSRC2:TGID_Z_EN: 0
; COMPUTE_PGM_RSRC2:TIDIG_COMP_CNT: 0
	.section	.text._ZN7rocprim17ROCPRIM_400000_NS6detail17trampoline_kernelINS0_14default_configENS1_22reduce_config_selectorIiEEZNS1_11reduce_implILb1ES3_PiS7_iN6hipcub16HIPCUB_304000_NS6detail34convert_binary_result_type_wrapperINS9_3SumENS9_22TransformInputIteratorIbN2at6native12_GLOBAL__N_19NonZeroOpIN3c104HalfEEEPKSJ_lEEiEEEE10hipError_tPvRmT1_T2_T3_mT4_P12ihipStream_tbEUlT_E0_NS1_11comp_targetILNS1_3genE10ELNS1_11target_archE1201ELNS1_3gpuE5ELNS1_3repE0EEENS1_30default_config_static_selectorELNS0_4arch9wavefront6targetE0EEEvSS_,"axG",@progbits,_ZN7rocprim17ROCPRIM_400000_NS6detail17trampoline_kernelINS0_14default_configENS1_22reduce_config_selectorIiEEZNS1_11reduce_implILb1ES3_PiS7_iN6hipcub16HIPCUB_304000_NS6detail34convert_binary_result_type_wrapperINS9_3SumENS9_22TransformInputIteratorIbN2at6native12_GLOBAL__N_19NonZeroOpIN3c104HalfEEEPKSJ_lEEiEEEE10hipError_tPvRmT1_T2_T3_mT4_P12ihipStream_tbEUlT_E0_NS1_11comp_targetILNS1_3genE10ELNS1_11target_archE1201ELNS1_3gpuE5ELNS1_3repE0EEENS1_30default_config_static_selectorELNS0_4arch9wavefront6targetE0EEEvSS_,comdat
	.globl	_ZN7rocprim17ROCPRIM_400000_NS6detail17trampoline_kernelINS0_14default_configENS1_22reduce_config_selectorIiEEZNS1_11reduce_implILb1ES3_PiS7_iN6hipcub16HIPCUB_304000_NS6detail34convert_binary_result_type_wrapperINS9_3SumENS9_22TransformInputIteratorIbN2at6native12_GLOBAL__N_19NonZeroOpIN3c104HalfEEEPKSJ_lEEiEEEE10hipError_tPvRmT1_T2_T3_mT4_P12ihipStream_tbEUlT_E0_NS1_11comp_targetILNS1_3genE10ELNS1_11target_archE1201ELNS1_3gpuE5ELNS1_3repE0EEENS1_30default_config_static_selectorELNS0_4arch9wavefront6targetE0EEEvSS_ ; -- Begin function _ZN7rocprim17ROCPRIM_400000_NS6detail17trampoline_kernelINS0_14default_configENS1_22reduce_config_selectorIiEEZNS1_11reduce_implILb1ES3_PiS7_iN6hipcub16HIPCUB_304000_NS6detail34convert_binary_result_type_wrapperINS9_3SumENS9_22TransformInputIteratorIbN2at6native12_GLOBAL__N_19NonZeroOpIN3c104HalfEEEPKSJ_lEEiEEEE10hipError_tPvRmT1_T2_T3_mT4_P12ihipStream_tbEUlT_E0_NS1_11comp_targetILNS1_3genE10ELNS1_11target_archE1201ELNS1_3gpuE5ELNS1_3repE0EEENS1_30default_config_static_selectorELNS0_4arch9wavefront6targetE0EEEvSS_
	.p2align	8
	.type	_ZN7rocprim17ROCPRIM_400000_NS6detail17trampoline_kernelINS0_14default_configENS1_22reduce_config_selectorIiEEZNS1_11reduce_implILb1ES3_PiS7_iN6hipcub16HIPCUB_304000_NS6detail34convert_binary_result_type_wrapperINS9_3SumENS9_22TransformInputIteratorIbN2at6native12_GLOBAL__N_19NonZeroOpIN3c104HalfEEEPKSJ_lEEiEEEE10hipError_tPvRmT1_T2_T3_mT4_P12ihipStream_tbEUlT_E0_NS1_11comp_targetILNS1_3genE10ELNS1_11target_archE1201ELNS1_3gpuE5ELNS1_3repE0EEENS1_30default_config_static_selectorELNS0_4arch9wavefront6targetE0EEEvSS_,@function
_ZN7rocprim17ROCPRIM_400000_NS6detail17trampoline_kernelINS0_14default_configENS1_22reduce_config_selectorIiEEZNS1_11reduce_implILb1ES3_PiS7_iN6hipcub16HIPCUB_304000_NS6detail34convert_binary_result_type_wrapperINS9_3SumENS9_22TransformInputIteratorIbN2at6native12_GLOBAL__N_19NonZeroOpIN3c104HalfEEEPKSJ_lEEiEEEE10hipError_tPvRmT1_T2_T3_mT4_P12ihipStream_tbEUlT_E0_NS1_11comp_targetILNS1_3genE10ELNS1_11target_archE1201ELNS1_3gpuE5ELNS1_3repE0EEENS1_30default_config_static_selectorELNS0_4arch9wavefront6targetE0EEEvSS_: ; @_ZN7rocprim17ROCPRIM_400000_NS6detail17trampoline_kernelINS0_14default_configENS1_22reduce_config_selectorIiEEZNS1_11reduce_implILb1ES3_PiS7_iN6hipcub16HIPCUB_304000_NS6detail34convert_binary_result_type_wrapperINS9_3SumENS9_22TransformInputIteratorIbN2at6native12_GLOBAL__N_19NonZeroOpIN3c104HalfEEEPKSJ_lEEiEEEE10hipError_tPvRmT1_T2_T3_mT4_P12ihipStream_tbEUlT_E0_NS1_11comp_targetILNS1_3genE10ELNS1_11target_archE1201ELNS1_3gpuE5ELNS1_3repE0EEENS1_30default_config_static_selectorELNS0_4arch9wavefront6targetE0EEEvSS_
; %bb.0:
	s_clause 0x1
	s_load_b256 s[12:19], s[0:1], 0x0
	s_load_b128 s[20:23], s[0:1], 0x20
	s_lshl_b32 s2, ttmp9, 12
	s_mov_b32 s3, 0
	v_mbcnt_lo_u32_b32 v18, -1, 0
	v_lshlrev_b32_e32 v19, 2, v0
	s_mov_b32 s24, ttmp9
	s_mov_b32 s25, s3
	s_lshl_b64 s[8:9], s[2:3], 2
	s_wait_kmcnt 0x0
	s_lshl_b64 s[4:5], s[14:15], 2
	s_lshr_b64 s[6:7], s[16:17], 12
	s_add_nc_u64 s[4:5], s[12:13], s[4:5]
	s_cmp_lg_u64 s[6:7], s[24:25]
	s_add_nc_u64 s[26:27], s[4:5], s[8:9]
	s_cbranch_scc0 .LBB835_6
; %bb.1:
	s_clause 0xf
	global_load_b32 v1, v19, s[26:27]
	global_load_b32 v2, v19, s[26:27] offset:1024
	global_load_b32 v3, v19, s[26:27] offset:2048
	;; [unrolled: 1-line block ×15, first 2 shown]
	s_mov_b32 s3, exec_lo
	s_wait_loadcnt 0xe
	v_add_nc_u32_e32 v1, v2, v1
	s_wait_loadcnt 0xc
	s_delay_alu instid0(VALU_DEP_1) | instskip(SKIP_1) | instid1(VALU_DEP_1)
	v_add3_u32 v1, v1, v3, v4
	s_wait_loadcnt 0xa
	v_add3_u32 v1, v1, v5, v6
	s_wait_loadcnt 0x8
	s_delay_alu instid0(VALU_DEP_1) | instskip(SKIP_1) | instid1(VALU_DEP_1)
	v_add3_u32 v1, v1, v7, v8
	s_wait_loadcnt 0x6
	v_add3_u32 v1, v1, v9, v10
	s_wait_loadcnt 0x4
	s_delay_alu instid0(VALU_DEP_1) | instskip(SKIP_1) | instid1(VALU_DEP_1)
	v_add3_u32 v1, v1, v11, v12
	s_wait_loadcnt 0x2
	v_add3_u32 v1, v1, v13, v14
	s_wait_loadcnt 0x0
	s_delay_alu instid0(VALU_DEP_1) | instskip(NEXT) | instid1(VALU_DEP_1)
	v_add3_u32 v1, v1, v15, v16
	v_mov_b32_dpp v2, v1 quad_perm:[1,0,3,2] row_mask:0xf bank_mask:0xf
	s_delay_alu instid0(VALU_DEP_1) | instskip(NEXT) | instid1(VALU_DEP_1)
	v_add_nc_u32_e32 v1, v2, v1
	v_mov_b32_dpp v2, v1 quad_perm:[2,3,0,1] row_mask:0xf bank_mask:0xf
	s_delay_alu instid0(VALU_DEP_1) | instskip(NEXT) | instid1(VALU_DEP_1)
	v_add_nc_u32_e32 v1, v1, v2
	v_mov_b32_dpp v2, v1 row_ror:4 row_mask:0xf bank_mask:0xf
	s_delay_alu instid0(VALU_DEP_1) | instskip(NEXT) | instid1(VALU_DEP_1)
	v_add_nc_u32_e32 v1, v1, v2
	v_mov_b32_dpp v2, v1 row_ror:8 row_mask:0xf bank_mask:0xf
	s_delay_alu instid0(VALU_DEP_1)
	v_add_nc_u32_e32 v1, v1, v2
	ds_swizzle_b32 v2, v1 offset:swizzle(BROADCAST,32,15)
	s_wait_dscnt 0x0
	v_dual_mov_b32 v2, 0 :: v_dual_add_nc_u32 v1, v1, v2
	ds_bpermute_b32 v1, v2, v1 offset:124
	v_cmpx_eq_u32_e32 0, v18
	s_cbranch_execz .LBB835_3
; %bb.2:
	v_lshrrev_b32_e32 v2, 3, v0
	s_delay_alu instid0(VALU_DEP_1)
	v_and_b32_e32 v2, 28, v2
	s_wait_dscnt 0x0
	ds_store_b32 v2, v1
.LBB835_3:
	s_or_b32 exec_lo, exec_lo, s3
	s_delay_alu instid0(SALU_CYCLE_1)
	s_mov_b32 s3, exec_lo
	s_wait_dscnt 0x0
	s_barrier_signal -1
	s_barrier_wait -1
	global_inv scope:SCOPE_SE
	v_cmpx_gt_u32_e32 32, v0
	s_cbranch_execz .LBB835_5
; %bb.4:
	v_and_b32_e32 v1, 7, v18
	s_delay_alu instid0(VALU_DEP_1) | instskip(SKIP_4) | instid1(VALU_DEP_2)
	v_lshlrev_b32_e32 v2, 2, v1
	v_cmp_ne_u32_e32 vcc_lo, 7, v1
	ds_load_b32 v2, v2
	v_add_co_ci_u32_e64 v3, null, 0, v18, vcc_lo
	v_cmp_gt_u32_e32 vcc_lo, 6, v1
	v_lshlrev_b32_e32 v3, 2, v3
	s_wait_alu 0xfffd
	v_cndmask_b32_e64 v1, 0, 2, vcc_lo
	s_delay_alu instid0(VALU_DEP_1)
	v_add_lshl_u32 v1, v1, v18, 2
	s_wait_dscnt 0x0
	ds_bpermute_b32 v3, v3, v2
	s_wait_dscnt 0x0
	v_add_nc_u32_e32 v2, v3, v2
	v_lshlrev_b32_e32 v3, 2, v18
	ds_bpermute_b32 v1, v1, v2
	s_wait_dscnt 0x0
	v_add_nc_u32_e32 v1, v1, v2
	v_or_b32_e32 v2, 16, v3
	ds_bpermute_b32 v2, v2, v1
	s_wait_dscnt 0x0
	v_add_nc_u32_e32 v1, v2, v1
.LBB835_5:
	s_or_b32 exec_lo, exec_lo, s3
	s_branch .LBB835_44
.LBB835_6:
                                        ; implicit-def: $vgpr1
	s_cbranch_execz .LBB835_44
; %bb.7:
	v_mov_b32_e32 v1, 0
	s_sub_co_i32 s28, s16, s2
	s_mov_b32 s2, exec_lo
	s_delay_alu instid0(VALU_DEP_1)
	v_dual_mov_b32 v2, v1 :: v_dual_mov_b32 v3, v1
	v_dual_mov_b32 v4, v1 :: v_dual_mov_b32 v5, v1
	;; [unrolled: 1-line block ×7, first 2 shown]
	v_mov_b32_e32 v16, v1
	v_cmpx_gt_u32_e64 s28, v0
	s_cbranch_execz .LBB835_9
; %bb.8:
	global_load_b32 v2, v19, s[26:27]
	v_mov_b32_e32 v17, v1
	v_dual_mov_b32 v3, v1 :: v_dual_mov_b32 v4, v1
	v_dual_mov_b32 v5, v1 :: v_dual_mov_b32 v6, v1
	;; [unrolled: 1-line block ×7, first 2 shown]
	s_wait_loadcnt 0x0
	v_mov_b32_e32 v1, v2
	v_mov_b32_e32 v2, v3
	v_mov_b32_e32 v3, v4
	v_mov_b32_e32 v4, v5
	v_mov_b32_e32 v5, v6
	v_mov_b32_e32 v6, v7
	v_mov_b32_e32 v7, v8
	v_mov_b32_e32 v8, v9
	v_mov_b32_e32 v9, v10
	v_mov_b32_e32 v10, v11
	v_mov_b32_e32 v11, v12
	v_mov_b32_e32 v12, v13
	v_mov_b32_e32 v13, v14
	v_mov_b32_e32 v14, v15
	v_mov_b32_e32 v15, v16
	v_mov_b32_e32 v16, v17
.LBB835_9:
	s_or_b32 exec_lo, exec_lo, s2
	v_or_b32_e32 v17, 0x100, v0
	s_delay_alu instid0(VALU_DEP_1)
	v_cmp_gt_u32_e32 vcc_lo, s28, v17
	s_and_saveexec_b32 s2, vcc_lo
	s_cbranch_execz .LBB835_11
; %bb.10:
	global_load_b32 v2, v19, s[26:27] offset:1024
.LBB835_11:
	s_or_b32 exec_lo, exec_lo, s2
	v_or_b32_e32 v17, 0x200, v0
	s_delay_alu instid0(VALU_DEP_1)
	v_cmp_gt_u32_e64 s2, s28, v17
	s_and_saveexec_b32 s3, s2
	s_cbranch_execz .LBB835_13
; %bb.12:
	global_load_b32 v3, v19, s[26:27] offset:2048
.LBB835_13:
	s_or_b32 exec_lo, exec_lo, s3
	v_or_b32_e32 v17, 0x300, v0
	s_delay_alu instid0(VALU_DEP_1)
	v_cmp_gt_u32_e64 s3, s28, v17
	s_and_saveexec_b32 s4, s3
	;; [unrolled: 9-line block ×14, first 2 shown]
	s_cbranch_execz .LBB835_39
; %bb.38:
	global_load_b32 v16, v19, s[26:27] offset:15360
.LBB835_39:
	s_wait_alu 0xfffe
	s_or_b32 exec_lo, exec_lo, s29
	s_wait_loadcnt 0x0
	v_cndmask_b32_e32 v2, 0, v2, vcc_lo
	v_cndmask_b32_e64 v3, 0, v3, s2
	v_cndmask_b32_e64 v4, 0, v4, s3
	v_cmp_ne_u32_e32 vcc_lo, 31, v18
	s_min_u32 s2, s28, 0x100
	v_add_nc_u32_e32 v1, v2, v1
	v_cndmask_b32_e64 v2, 0, v5, s4
	v_cndmask_b32_e64 v5, 0, v6, s5
	;; [unrolled: 1-line block ×3, first 2 shown]
	s_mov_b32 s3, exec_lo
	v_add3_u32 v1, v1, v3, v4
	v_cndmask_b32_e64 v3, 0, v7, s6
	v_cndmask_b32_e64 v4, 0, v8, s7
	s_delay_alu instid0(VALU_DEP_3) | instskip(SKIP_2) | instid1(VALU_DEP_3)
	v_add3_u32 v1, v1, v2, v5
	v_cndmask_b32_e64 v2, 0, v9, s8
	v_cndmask_b32_e64 v5, 0, v10, s9
	v_add3_u32 v1, v1, v3, v4
	v_cndmask_b32_e64 v3, 0, v11, s10
	v_cndmask_b32_e64 v4, 0, v12, s11
	s_delay_alu instid0(VALU_DEP_3) | instskip(SKIP_2) | instid1(VALU_DEP_3)
	v_add3_u32 v1, v1, v2, v5
	v_cndmask_b32_e64 v2, 0, v13, s12
	v_cndmask_b32_e64 v5, 0, v14, s13
	v_add3_u32 v1, v1, v3, v4
	v_cndmask_b32_e64 v3, 0, v16, s15
	s_wait_alu 0xfffd
	v_add_co_ci_u32_e64 v4, null, 0, v18, vcc_lo
	v_cmp_gt_u32_e32 vcc_lo, 30, v18
	v_add3_u32 v1, v1, v2, v5
	s_delay_alu instid0(VALU_DEP_3)
	v_lshlrev_b32_e32 v2, 2, v4
	v_add_nc_u32_e32 v4, 1, v18
	s_wait_alu 0xfffd
	v_cndmask_b32_e64 v5, 0, 2, vcc_lo
	v_add3_u32 v1, v1, v6, v3
	v_and_b32_e32 v3, 0xe0, v0
	ds_bpermute_b32 v2, v2, v1
	s_wait_alu 0xfffe
	v_sub_nc_u32_e64 v3, s2, v3 clamp
	s_delay_alu instid0(VALU_DEP_1)
	v_cmp_lt_u32_e32 vcc_lo, v4, v3
	v_add_lshl_u32 v4, v5, v18, 2
	s_wait_dscnt 0x0
	s_wait_alu 0xfffd
	v_cndmask_b32_e32 v2, 0, v2, vcc_lo
	v_cmp_gt_u32_e32 vcc_lo, 28, v18
	s_delay_alu instid0(VALU_DEP_2) | instskip(SKIP_4) | instid1(VALU_DEP_1)
	v_add_nc_u32_e32 v1, v1, v2
	s_wait_alu 0xfffd
	v_cndmask_b32_e64 v5, 0, 4, vcc_lo
	ds_bpermute_b32 v2, v4, v1
	v_add_nc_u32_e32 v4, 2, v18
	v_cmp_lt_u32_e32 vcc_lo, v4, v3
	v_add_lshl_u32 v4, v5, v18, 2
	s_wait_dscnt 0x0
	s_wait_alu 0xfffd
	v_cndmask_b32_e32 v2, 0, v2, vcc_lo
	v_cmp_gt_u32_e32 vcc_lo, 24, v18
	s_delay_alu instid0(VALU_DEP_2) | instskip(SKIP_4) | instid1(VALU_DEP_1)
	v_add_nc_u32_e32 v1, v1, v2
	s_wait_alu 0xfffd
	v_cndmask_b32_e64 v5, 0, 8, vcc_lo
	ds_bpermute_b32 v2, v4, v1
	v_add_nc_u32_e32 v4, 4, v18
	v_cmp_lt_u32_e32 vcc_lo, v4, v3
	v_add_lshl_u32 v4, v5, v18, 2
	v_add_nc_u32_e32 v5, 8, v18
	s_wait_dscnt 0x0
	s_wait_alu 0xfffd
	v_cndmask_b32_e32 v2, 0, v2, vcc_lo
	s_delay_alu instid0(VALU_DEP_2) | instskip(NEXT) | instid1(VALU_DEP_2)
	v_cmp_lt_u32_e32 vcc_lo, v5, v3
	v_add_nc_u32_e32 v1, v1, v2
	v_lshlrev_b32_e32 v2, 2, v18
	ds_bpermute_b32 v4, v4, v1
	v_or_b32_e32 v5, 64, v2
	s_wait_dscnt 0x0
	s_wait_alu 0xfffd
	v_cndmask_b32_e32 v4, 0, v4, vcc_lo
	s_delay_alu instid0(VALU_DEP_1) | instskip(SKIP_2) | instid1(VALU_DEP_1)
	v_add_nc_u32_e32 v1, v1, v4
	ds_bpermute_b32 v4, v5, v1
	v_add_nc_u32_e32 v5, 16, v18
	v_cmp_lt_u32_e32 vcc_lo, v5, v3
	s_wait_dscnt 0x0
	s_wait_alu 0xfffd
	v_cndmask_b32_e32 v3, 0, v4, vcc_lo
	s_delay_alu instid0(VALU_DEP_1)
	v_add_nc_u32_e32 v1, v1, v3
	v_cmpx_eq_u32_e32 0, v18
; %bb.40:
	v_lshrrev_b32_e32 v3, 3, v0
	s_delay_alu instid0(VALU_DEP_1)
	v_and_b32_e32 v3, 28, v3
	ds_store_b32 v3, v1 offset:32
; %bb.41:
	s_or_b32 exec_lo, exec_lo, s3
	s_delay_alu instid0(SALU_CYCLE_1)
	s_mov_b32 s3, exec_lo
	s_wait_dscnt 0x0
	s_barrier_signal -1
	s_barrier_wait -1
	global_inv scope:SCOPE_SE
	v_cmpx_gt_u32_e32 8, v0
	s_cbranch_execz .LBB835_43
; %bb.42:
	ds_load_b32 v1, v2 offset:32
	v_and_b32_e32 v3, 7, v18
	s_add_co_i32 s2, s2, 31
	v_or_b32_e32 v2, 16, v2
	s_wait_alu 0xfffe
	s_lshr_b32 s2, s2, 5
	v_cmp_ne_u32_e32 vcc_lo, 7, v3
	v_add_nc_u32_e32 v5, 1, v3
	s_wait_alu 0xfffd
	v_add_co_ci_u32_e64 v4, null, 0, v18, vcc_lo
	v_cmp_gt_u32_e32 vcc_lo, 6, v3
	s_delay_alu instid0(VALU_DEP_2)
	v_lshlrev_b32_e32 v4, 2, v4
	s_wait_alu 0xfffd
	v_cndmask_b32_e64 v6, 0, 2, vcc_lo
	s_wait_alu 0xfffe
	v_cmp_gt_u32_e32 vcc_lo, s2, v5
	s_wait_dscnt 0x0
	ds_bpermute_b32 v4, v4, v1
	v_add_lshl_u32 v5, v6, v18, 2
	s_wait_dscnt 0x0
	s_wait_alu 0xfffd
	v_cndmask_b32_e32 v4, 0, v4, vcc_lo
	s_delay_alu instid0(VALU_DEP_1) | instskip(SKIP_3) | instid1(VALU_DEP_2)
	v_add_nc_u32_e32 v1, v4, v1
	ds_bpermute_b32 v4, v5, v1
	v_add_nc_u32_e32 v5, 2, v3
	v_add_nc_u32_e32 v3, 4, v3
	v_cmp_gt_u32_e32 vcc_lo, s2, v5
	s_wait_dscnt 0x0
	s_wait_alu 0xfffd
	v_cndmask_b32_e32 v4, 0, v4, vcc_lo
	v_cmp_gt_u32_e32 vcc_lo, s2, v3
	s_delay_alu instid0(VALU_DEP_2) | instskip(SKIP_4) | instid1(VALU_DEP_1)
	v_add_nc_u32_e32 v1, v1, v4
	ds_bpermute_b32 v2, v2, v1
	s_wait_dscnt 0x0
	s_wait_alu 0xfffd
	v_cndmask_b32_e32 v2, 0, v2, vcc_lo
	v_add_nc_u32_e32 v1, v1, v2
.LBB835_43:
	s_wait_alu 0xfffe
	s_or_b32 exec_lo, exec_lo, s3
.LBB835_44:
	s_load_b32 s0, s[0:1], 0x30
	s_mov_b32 s1, exec_lo
	v_cmpx_eq_u32_e32 0, v0
	s_cbranch_execz .LBB835_46
; %bb.45:
	s_mul_u64 s[2:3], s[22:23], s[20:21]
	s_wait_alu 0xfffe
	s_lshl_b64 s[2:3], s[2:3], 2
	s_cmp_eq_u64 s[16:17], 0
	s_wait_alu 0xfffe
	s_add_nc_u64 s[2:3], s[18:19], s[2:3]
	s_cselect_b32 s1, -1, 0
	s_wait_kmcnt 0x0
	v_cndmask_b32_e64 v0, v1, s0, s1
	v_mov_b32_e32 v1, 0
	s_lshl_b64 s[0:1], s[24:25], 2
	s_wait_alu 0xfffe
	s_add_nc_u64 s[0:1], s[2:3], s[0:1]
	global_store_b32 v1, v0, s[0:1]
.LBB835_46:
	s_endpgm
	.section	.rodata,"a",@progbits
	.p2align	6, 0x0
	.amdhsa_kernel _ZN7rocprim17ROCPRIM_400000_NS6detail17trampoline_kernelINS0_14default_configENS1_22reduce_config_selectorIiEEZNS1_11reduce_implILb1ES3_PiS7_iN6hipcub16HIPCUB_304000_NS6detail34convert_binary_result_type_wrapperINS9_3SumENS9_22TransformInputIteratorIbN2at6native12_GLOBAL__N_19NonZeroOpIN3c104HalfEEEPKSJ_lEEiEEEE10hipError_tPvRmT1_T2_T3_mT4_P12ihipStream_tbEUlT_E0_NS1_11comp_targetILNS1_3genE10ELNS1_11target_archE1201ELNS1_3gpuE5ELNS1_3repE0EEENS1_30default_config_static_selectorELNS0_4arch9wavefront6targetE0EEEvSS_
		.amdhsa_group_segment_fixed_size 64
		.amdhsa_private_segment_fixed_size 0
		.amdhsa_kernarg_size 56
		.amdhsa_user_sgpr_count 2
		.amdhsa_user_sgpr_dispatch_ptr 0
		.amdhsa_user_sgpr_queue_ptr 0
		.amdhsa_user_sgpr_kernarg_segment_ptr 1
		.amdhsa_user_sgpr_dispatch_id 0
		.amdhsa_user_sgpr_private_segment_size 0
		.amdhsa_wavefront_size32 1
		.amdhsa_uses_dynamic_stack 0
		.amdhsa_enable_private_segment 0
		.amdhsa_system_sgpr_workgroup_id_x 1
		.amdhsa_system_sgpr_workgroup_id_y 0
		.amdhsa_system_sgpr_workgroup_id_z 0
		.amdhsa_system_sgpr_workgroup_info 0
		.amdhsa_system_vgpr_workitem_id 0
		.amdhsa_next_free_vgpr 20
		.amdhsa_next_free_sgpr 30
		.amdhsa_reserve_vcc 1
		.amdhsa_float_round_mode_32 0
		.amdhsa_float_round_mode_16_64 0
		.amdhsa_float_denorm_mode_32 3
		.amdhsa_float_denorm_mode_16_64 3
		.amdhsa_fp16_overflow 0
		.amdhsa_workgroup_processor_mode 1
		.amdhsa_memory_ordered 1
		.amdhsa_forward_progress 1
		.amdhsa_inst_pref_size 20
		.amdhsa_round_robin_scheduling 0
		.amdhsa_exception_fp_ieee_invalid_op 0
		.amdhsa_exception_fp_denorm_src 0
		.amdhsa_exception_fp_ieee_div_zero 0
		.amdhsa_exception_fp_ieee_overflow 0
		.amdhsa_exception_fp_ieee_underflow 0
		.amdhsa_exception_fp_ieee_inexact 0
		.amdhsa_exception_int_div_zero 0
	.end_amdhsa_kernel
	.section	.text._ZN7rocprim17ROCPRIM_400000_NS6detail17trampoline_kernelINS0_14default_configENS1_22reduce_config_selectorIiEEZNS1_11reduce_implILb1ES3_PiS7_iN6hipcub16HIPCUB_304000_NS6detail34convert_binary_result_type_wrapperINS9_3SumENS9_22TransformInputIteratorIbN2at6native12_GLOBAL__N_19NonZeroOpIN3c104HalfEEEPKSJ_lEEiEEEE10hipError_tPvRmT1_T2_T3_mT4_P12ihipStream_tbEUlT_E0_NS1_11comp_targetILNS1_3genE10ELNS1_11target_archE1201ELNS1_3gpuE5ELNS1_3repE0EEENS1_30default_config_static_selectorELNS0_4arch9wavefront6targetE0EEEvSS_,"axG",@progbits,_ZN7rocprim17ROCPRIM_400000_NS6detail17trampoline_kernelINS0_14default_configENS1_22reduce_config_selectorIiEEZNS1_11reduce_implILb1ES3_PiS7_iN6hipcub16HIPCUB_304000_NS6detail34convert_binary_result_type_wrapperINS9_3SumENS9_22TransformInputIteratorIbN2at6native12_GLOBAL__N_19NonZeroOpIN3c104HalfEEEPKSJ_lEEiEEEE10hipError_tPvRmT1_T2_T3_mT4_P12ihipStream_tbEUlT_E0_NS1_11comp_targetILNS1_3genE10ELNS1_11target_archE1201ELNS1_3gpuE5ELNS1_3repE0EEENS1_30default_config_static_selectorELNS0_4arch9wavefront6targetE0EEEvSS_,comdat
.Lfunc_end835:
	.size	_ZN7rocprim17ROCPRIM_400000_NS6detail17trampoline_kernelINS0_14default_configENS1_22reduce_config_selectorIiEEZNS1_11reduce_implILb1ES3_PiS7_iN6hipcub16HIPCUB_304000_NS6detail34convert_binary_result_type_wrapperINS9_3SumENS9_22TransformInputIteratorIbN2at6native12_GLOBAL__N_19NonZeroOpIN3c104HalfEEEPKSJ_lEEiEEEE10hipError_tPvRmT1_T2_T3_mT4_P12ihipStream_tbEUlT_E0_NS1_11comp_targetILNS1_3genE10ELNS1_11target_archE1201ELNS1_3gpuE5ELNS1_3repE0EEENS1_30default_config_static_selectorELNS0_4arch9wavefront6targetE0EEEvSS_, .Lfunc_end835-_ZN7rocprim17ROCPRIM_400000_NS6detail17trampoline_kernelINS0_14default_configENS1_22reduce_config_selectorIiEEZNS1_11reduce_implILb1ES3_PiS7_iN6hipcub16HIPCUB_304000_NS6detail34convert_binary_result_type_wrapperINS9_3SumENS9_22TransformInputIteratorIbN2at6native12_GLOBAL__N_19NonZeroOpIN3c104HalfEEEPKSJ_lEEiEEEE10hipError_tPvRmT1_T2_T3_mT4_P12ihipStream_tbEUlT_E0_NS1_11comp_targetILNS1_3genE10ELNS1_11target_archE1201ELNS1_3gpuE5ELNS1_3repE0EEENS1_30default_config_static_selectorELNS0_4arch9wavefront6targetE0EEEvSS_
                                        ; -- End function
	.set _ZN7rocprim17ROCPRIM_400000_NS6detail17trampoline_kernelINS0_14default_configENS1_22reduce_config_selectorIiEEZNS1_11reduce_implILb1ES3_PiS7_iN6hipcub16HIPCUB_304000_NS6detail34convert_binary_result_type_wrapperINS9_3SumENS9_22TransformInputIteratorIbN2at6native12_GLOBAL__N_19NonZeroOpIN3c104HalfEEEPKSJ_lEEiEEEE10hipError_tPvRmT1_T2_T3_mT4_P12ihipStream_tbEUlT_E0_NS1_11comp_targetILNS1_3genE10ELNS1_11target_archE1201ELNS1_3gpuE5ELNS1_3repE0EEENS1_30default_config_static_selectorELNS0_4arch9wavefront6targetE0EEEvSS_.num_vgpr, 20
	.set _ZN7rocprim17ROCPRIM_400000_NS6detail17trampoline_kernelINS0_14default_configENS1_22reduce_config_selectorIiEEZNS1_11reduce_implILb1ES3_PiS7_iN6hipcub16HIPCUB_304000_NS6detail34convert_binary_result_type_wrapperINS9_3SumENS9_22TransformInputIteratorIbN2at6native12_GLOBAL__N_19NonZeroOpIN3c104HalfEEEPKSJ_lEEiEEEE10hipError_tPvRmT1_T2_T3_mT4_P12ihipStream_tbEUlT_E0_NS1_11comp_targetILNS1_3genE10ELNS1_11target_archE1201ELNS1_3gpuE5ELNS1_3repE0EEENS1_30default_config_static_selectorELNS0_4arch9wavefront6targetE0EEEvSS_.num_agpr, 0
	.set _ZN7rocprim17ROCPRIM_400000_NS6detail17trampoline_kernelINS0_14default_configENS1_22reduce_config_selectorIiEEZNS1_11reduce_implILb1ES3_PiS7_iN6hipcub16HIPCUB_304000_NS6detail34convert_binary_result_type_wrapperINS9_3SumENS9_22TransformInputIteratorIbN2at6native12_GLOBAL__N_19NonZeroOpIN3c104HalfEEEPKSJ_lEEiEEEE10hipError_tPvRmT1_T2_T3_mT4_P12ihipStream_tbEUlT_E0_NS1_11comp_targetILNS1_3genE10ELNS1_11target_archE1201ELNS1_3gpuE5ELNS1_3repE0EEENS1_30default_config_static_selectorELNS0_4arch9wavefront6targetE0EEEvSS_.numbered_sgpr, 30
	.set _ZN7rocprim17ROCPRIM_400000_NS6detail17trampoline_kernelINS0_14default_configENS1_22reduce_config_selectorIiEEZNS1_11reduce_implILb1ES3_PiS7_iN6hipcub16HIPCUB_304000_NS6detail34convert_binary_result_type_wrapperINS9_3SumENS9_22TransformInputIteratorIbN2at6native12_GLOBAL__N_19NonZeroOpIN3c104HalfEEEPKSJ_lEEiEEEE10hipError_tPvRmT1_T2_T3_mT4_P12ihipStream_tbEUlT_E0_NS1_11comp_targetILNS1_3genE10ELNS1_11target_archE1201ELNS1_3gpuE5ELNS1_3repE0EEENS1_30default_config_static_selectorELNS0_4arch9wavefront6targetE0EEEvSS_.num_named_barrier, 0
	.set _ZN7rocprim17ROCPRIM_400000_NS6detail17trampoline_kernelINS0_14default_configENS1_22reduce_config_selectorIiEEZNS1_11reduce_implILb1ES3_PiS7_iN6hipcub16HIPCUB_304000_NS6detail34convert_binary_result_type_wrapperINS9_3SumENS9_22TransformInputIteratorIbN2at6native12_GLOBAL__N_19NonZeroOpIN3c104HalfEEEPKSJ_lEEiEEEE10hipError_tPvRmT1_T2_T3_mT4_P12ihipStream_tbEUlT_E0_NS1_11comp_targetILNS1_3genE10ELNS1_11target_archE1201ELNS1_3gpuE5ELNS1_3repE0EEENS1_30default_config_static_selectorELNS0_4arch9wavefront6targetE0EEEvSS_.private_seg_size, 0
	.set _ZN7rocprim17ROCPRIM_400000_NS6detail17trampoline_kernelINS0_14default_configENS1_22reduce_config_selectorIiEEZNS1_11reduce_implILb1ES3_PiS7_iN6hipcub16HIPCUB_304000_NS6detail34convert_binary_result_type_wrapperINS9_3SumENS9_22TransformInputIteratorIbN2at6native12_GLOBAL__N_19NonZeroOpIN3c104HalfEEEPKSJ_lEEiEEEE10hipError_tPvRmT1_T2_T3_mT4_P12ihipStream_tbEUlT_E0_NS1_11comp_targetILNS1_3genE10ELNS1_11target_archE1201ELNS1_3gpuE5ELNS1_3repE0EEENS1_30default_config_static_selectorELNS0_4arch9wavefront6targetE0EEEvSS_.uses_vcc, 1
	.set _ZN7rocprim17ROCPRIM_400000_NS6detail17trampoline_kernelINS0_14default_configENS1_22reduce_config_selectorIiEEZNS1_11reduce_implILb1ES3_PiS7_iN6hipcub16HIPCUB_304000_NS6detail34convert_binary_result_type_wrapperINS9_3SumENS9_22TransformInputIteratorIbN2at6native12_GLOBAL__N_19NonZeroOpIN3c104HalfEEEPKSJ_lEEiEEEE10hipError_tPvRmT1_T2_T3_mT4_P12ihipStream_tbEUlT_E0_NS1_11comp_targetILNS1_3genE10ELNS1_11target_archE1201ELNS1_3gpuE5ELNS1_3repE0EEENS1_30default_config_static_selectorELNS0_4arch9wavefront6targetE0EEEvSS_.uses_flat_scratch, 0
	.set _ZN7rocprim17ROCPRIM_400000_NS6detail17trampoline_kernelINS0_14default_configENS1_22reduce_config_selectorIiEEZNS1_11reduce_implILb1ES3_PiS7_iN6hipcub16HIPCUB_304000_NS6detail34convert_binary_result_type_wrapperINS9_3SumENS9_22TransformInputIteratorIbN2at6native12_GLOBAL__N_19NonZeroOpIN3c104HalfEEEPKSJ_lEEiEEEE10hipError_tPvRmT1_T2_T3_mT4_P12ihipStream_tbEUlT_E0_NS1_11comp_targetILNS1_3genE10ELNS1_11target_archE1201ELNS1_3gpuE5ELNS1_3repE0EEENS1_30default_config_static_selectorELNS0_4arch9wavefront6targetE0EEEvSS_.has_dyn_sized_stack, 0
	.set _ZN7rocprim17ROCPRIM_400000_NS6detail17trampoline_kernelINS0_14default_configENS1_22reduce_config_selectorIiEEZNS1_11reduce_implILb1ES3_PiS7_iN6hipcub16HIPCUB_304000_NS6detail34convert_binary_result_type_wrapperINS9_3SumENS9_22TransformInputIteratorIbN2at6native12_GLOBAL__N_19NonZeroOpIN3c104HalfEEEPKSJ_lEEiEEEE10hipError_tPvRmT1_T2_T3_mT4_P12ihipStream_tbEUlT_E0_NS1_11comp_targetILNS1_3genE10ELNS1_11target_archE1201ELNS1_3gpuE5ELNS1_3repE0EEENS1_30default_config_static_selectorELNS0_4arch9wavefront6targetE0EEEvSS_.has_recursion, 0
	.set _ZN7rocprim17ROCPRIM_400000_NS6detail17trampoline_kernelINS0_14default_configENS1_22reduce_config_selectorIiEEZNS1_11reduce_implILb1ES3_PiS7_iN6hipcub16HIPCUB_304000_NS6detail34convert_binary_result_type_wrapperINS9_3SumENS9_22TransformInputIteratorIbN2at6native12_GLOBAL__N_19NonZeroOpIN3c104HalfEEEPKSJ_lEEiEEEE10hipError_tPvRmT1_T2_T3_mT4_P12ihipStream_tbEUlT_E0_NS1_11comp_targetILNS1_3genE10ELNS1_11target_archE1201ELNS1_3gpuE5ELNS1_3repE0EEENS1_30default_config_static_selectorELNS0_4arch9wavefront6targetE0EEEvSS_.has_indirect_call, 0
	.section	.AMDGPU.csdata,"",@progbits
; Kernel info:
; codeLenInByte = 2448
; TotalNumSgprs: 32
; NumVgprs: 20
; ScratchSize: 0
; MemoryBound: 0
; FloatMode: 240
; IeeeMode: 1
; LDSByteSize: 64 bytes/workgroup (compile time only)
; SGPRBlocks: 0
; VGPRBlocks: 2
; NumSGPRsForWavesPerEU: 32
; NumVGPRsForWavesPerEU: 20
; Occupancy: 16
; WaveLimiterHint : 1
; COMPUTE_PGM_RSRC2:SCRATCH_EN: 0
; COMPUTE_PGM_RSRC2:USER_SGPR: 2
; COMPUTE_PGM_RSRC2:TRAP_HANDLER: 0
; COMPUTE_PGM_RSRC2:TGID_X_EN: 1
; COMPUTE_PGM_RSRC2:TGID_Y_EN: 0
; COMPUTE_PGM_RSRC2:TGID_Z_EN: 0
; COMPUTE_PGM_RSRC2:TIDIG_COMP_CNT: 0
	.section	.text._ZN7rocprim17ROCPRIM_400000_NS6detail17trampoline_kernelINS0_14default_configENS1_22reduce_config_selectorIiEEZNS1_11reduce_implILb1ES3_PiS7_iN6hipcub16HIPCUB_304000_NS6detail34convert_binary_result_type_wrapperINS9_3SumENS9_22TransformInputIteratorIbN2at6native12_GLOBAL__N_19NonZeroOpIN3c104HalfEEEPKSJ_lEEiEEEE10hipError_tPvRmT1_T2_T3_mT4_P12ihipStream_tbEUlT_E0_NS1_11comp_targetILNS1_3genE10ELNS1_11target_archE1200ELNS1_3gpuE4ELNS1_3repE0EEENS1_30default_config_static_selectorELNS0_4arch9wavefront6targetE0EEEvSS_,"axG",@progbits,_ZN7rocprim17ROCPRIM_400000_NS6detail17trampoline_kernelINS0_14default_configENS1_22reduce_config_selectorIiEEZNS1_11reduce_implILb1ES3_PiS7_iN6hipcub16HIPCUB_304000_NS6detail34convert_binary_result_type_wrapperINS9_3SumENS9_22TransformInputIteratorIbN2at6native12_GLOBAL__N_19NonZeroOpIN3c104HalfEEEPKSJ_lEEiEEEE10hipError_tPvRmT1_T2_T3_mT4_P12ihipStream_tbEUlT_E0_NS1_11comp_targetILNS1_3genE10ELNS1_11target_archE1200ELNS1_3gpuE4ELNS1_3repE0EEENS1_30default_config_static_selectorELNS0_4arch9wavefront6targetE0EEEvSS_,comdat
	.globl	_ZN7rocprim17ROCPRIM_400000_NS6detail17trampoline_kernelINS0_14default_configENS1_22reduce_config_selectorIiEEZNS1_11reduce_implILb1ES3_PiS7_iN6hipcub16HIPCUB_304000_NS6detail34convert_binary_result_type_wrapperINS9_3SumENS9_22TransformInputIteratorIbN2at6native12_GLOBAL__N_19NonZeroOpIN3c104HalfEEEPKSJ_lEEiEEEE10hipError_tPvRmT1_T2_T3_mT4_P12ihipStream_tbEUlT_E0_NS1_11comp_targetILNS1_3genE10ELNS1_11target_archE1200ELNS1_3gpuE4ELNS1_3repE0EEENS1_30default_config_static_selectorELNS0_4arch9wavefront6targetE0EEEvSS_ ; -- Begin function _ZN7rocprim17ROCPRIM_400000_NS6detail17trampoline_kernelINS0_14default_configENS1_22reduce_config_selectorIiEEZNS1_11reduce_implILb1ES3_PiS7_iN6hipcub16HIPCUB_304000_NS6detail34convert_binary_result_type_wrapperINS9_3SumENS9_22TransformInputIteratorIbN2at6native12_GLOBAL__N_19NonZeroOpIN3c104HalfEEEPKSJ_lEEiEEEE10hipError_tPvRmT1_T2_T3_mT4_P12ihipStream_tbEUlT_E0_NS1_11comp_targetILNS1_3genE10ELNS1_11target_archE1200ELNS1_3gpuE4ELNS1_3repE0EEENS1_30default_config_static_selectorELNS0_4arch9wavefront6targetE0EEEvSS_
	.p2align	8
	.type	_ZN7rocprim17ROCPRIM_400000_NS6detail17trampoline_kernelINS0_14default_configENS1_22reduce_config_selectorIiEEZNS1_11reduce_implILb1ES3_PiS7_iN6hipcub16HIPCUB_304000_NS6detail34convert_binary_result_type_wrapperINS9_3SumENS9_22TransformInputIteratorIbN2at6native12_GLOBAL__N_19NonZeroOpIN3c104HalfEEEPKSJ_lEEiEEEE10hipError_tPvRmT1_T2_T3_mT4_P12ihipStream_tbEUlT_E0_NS1_11comp_targetILNS1_3genE10ELNS1_11target_archE1200ELNS1_3gpuE4ELNS1_3repE0EEENS1_30default_config_static_selectorELNS0_4arch9wavefront6targetE0EEEvSS_,@function
_ZN7rocprim17ROCPRIM_400000_NS6detail17trampoline_kernelINS0_14default_configENS1_22reduce_config_selectorIiEEZNS1_11reduce_implILb1ES3_PiS7_iN6hipcub16HIPCUB_304000_NS6detail34convert_binary_result_type_wrapperINS9_3SumENS9_22TransformInputIteratorIbN2at6native12_GLOBAL__N_19NonZeroOpIN3c104HalfEEEPKSJ_lEEiEEEE10hipError_tPvRmT1_T2_T3_mT4_P12ihipStream_tbEUlT_E0_NS1_11comp_targetILNS1_3genE10ELNS1_11target_archE1200ELNS1_3gpuE4ELNS1_3repE0EEENS1_30default_config_static_selectorELNS0_4arch9wavefront6targetE0EEEvSS_: ; @_ZN7rocprim17ROCPRIM_400000_NS6detail17trampoline_kernelINS0_14default_configENS1_22reduce_config_selectorIiEEZNS1_11reduce_implILb1ES3_PiS7_iN6hipcub16HIPCUB_304000_NS6detail34convert_binary_result_type_wrapperINS9_3SumENS9_22TransformInputIteratorIbN2at6native12_GLOBAL__N_19NonZeroOpIN3c104HalfEEEPKSJ_lEEiEEEE10hipError_tPvRmT1_T2_T3_mT4_P12ihipStream_tbEUlT_E0_NS1_11comp_targetILNS1_3genE10ELNS1_11target_archE1200ELNS1_3gpuE4ELNS1_3repE0EEENS1_30default_config_static_selectorELNS0_4arch9wavefront6targetE0EEEvSS_
; %bb.0:
	.section	.rodata,"a",@progbits
	.p2align	6, 0x0
	.amdhsa_kernel _ZN7rocprim17ROCPRIM_400000_NS6detail17trampoline_kernelINS0_14default_configENS1_22reduce_config_selectorIiEEZNS1_11reduce_implILb1ES3_PiS7_iN6hipcub16HIPCUB_304000_NS6detail34convert_binary_result_type_wrapperINS9_3SumENS9_22TransformInputIteratorIbN2at6native12_GLOBAL__N_19NonZeroOpIN3c104HalfEEEPKSJ_lEEiEEEE10hipError_tPvRmT1_T2_T3_mT4_P12ihipStream_tbEUlT_E0_NS1_11comp_targetILNS1_3genE10ELNS1_11target_archE1200ELNS1_3gpuE4ELNS1_3repE0EEENS1_30default_config_static_selectorELNS0_4arch9wavefront6targetE0EEEvSS_
		.amdhsa_group_segment_fixed_size 0
		.amdhsa_private_segment_fixed_size 0
		.amdhsa_kernarg_size 56
		.amdhsa_user_sgpr_count 2
		.amdhsa_user_sgpr_dispatch_ptr 0
		.amdhsa_user_sgpr_queue_ptr 0
		.amdhsa_user_sgpr_kernarg_segment_ptr 1
		.amdhsa_user_sgpr_dispatch_id 0
		.amdhsa_user_sgpr_private_segment_size 0
		.amdhsa_wavefront_size32 1
		.amdhsa_uses_dynamic_stack 0
		.amdhsa_enable_private_segment 0
		.amdhsa_system_sgpr_workgroup_id_x 1
		.amdhsa_system_sgpr_workgroup_id_y 0
		.amdhsa_system_sgpr_workgroup_id_z 0
		.amdhsa_system_sgpr_workgroup_info 0
		.amdhsa_system_vgpr_workitem_id 0
		.amdhsa_next_free_vgpr 1
		.amdhsa_next_free_sgpr 1
		.amdhsa_reserve_vcc 0
		.amdhsa_float_round_mode_32 0
		.amdhsa_float_round_mode_16_64 0
		.amdhsa_float_denorm_mode_32 3
		.amdhsa_float_denorm_mode_16_64 3
		.amdhsa_fp16_overflow 0
		.amdhsa_workgroup_processor_mode 1
		.amdhsa_memory_ordered 1
		.amdhsa_forward_progress 1
		.amdhsa_inst_pref_size 0
		.amdhsa_round_robin_scheduling 0
		.amdhsa_exception_fp_ieee_invalid_op 0
		.amdhsa_exception_fp_denorm_src 0
		.amdhsa_exception_fp_ieee_div_zero 0
		.amdhsa_exception_fp_ieee_overflow 0
		.amdhsa_exception_fp_ieee_underflow 0
		.amdhsa_exception_fp_ieee_inexact 0
		.amdhsa_exception_int_div_zero 0
	.end_amdhsa_kernel
	.section	.text._ZN7rocprim17ROCPRIM_400000_NS6detail17trampoline_kernelINS0_14default_configENS1_22reduce_config_selectorIiEEZNS1_11reduce_implILb1ES3_PiS7_iN6hipcub16HIPCUB_304000_NS6detail34convert_binary_result_type_wrapperINS9_3SumENS9_22TransformInputIteratorIbN2at6native12_GLOBAL__N_19NonZeroOpIN3c104HalfEEEPKSJ_lEEiEEEE10hipError_tPvRmT1_T2_T3_mT4_P12ihipStream_tbEUlT_E0_NS1_11comp_targetILNS1_3genE10ELNS1_11target_archE1200ELNS1_3gpuE4ELNS1_3repE0EEENS1_30default_config_static_selectorELNS0_4arch9wavefront6targetE0EEEvSS_,"axG",@progbits,_ZN7rocprim17ROCPRIM_400000_NS6detail17trampoline_kernelINS0_14default_configENS1_22reduce_config_selectorIiEEZNS1_11reduce_implILb1ES3_PiS7_iN6hipcub16HIPCUB_304000_NS6detail34convert_binary_result_type_wrapperINS9_3SumENS9_22TransformInputIteratorIbN2at6native12_GLOBAL__N_19NonZeroOpIN3c104HalfEEEPKSJ_lEEiEEEE10hipError_tPvRmT1_T2_T3_mT4_P12ihipStream_tbEUlT_E0_NS1_11comp_targetILNS1_3genE10ELNS1_11target_archE1200ELNS1_3gpuE4ELNS1_3repE0EEENS1_30default_config_static_selectorELNS0_4arch9wavefront6targetE0EEEvSS_,comdat
.Lfunc_end836:
	.size	_ZN7rocprim17ROCPRIM_400000_NS6detail17trampoline_kernelINS0_14default_configENS1_22reduce_config_selectorIiEEZNS1_11reduce_implILb1ES3_PiS7_iN6hipcub16HIPCUB_304000_NS6detail34convert_binary_result_type_wrapperINS9_3SumENS9_22TransformInputIteratorIbN2at6native12_GLOBAL__N_19NonZeroOpIN3c104HalfEEEPKSJ_lEEiEEEE10hipError_tPvRmT1_T2_T3_mT4_P12ihipStream_tbEUlT_E0_NS1_11comp_targetILNS1_3genE10ELNS1_11target_archE1200ELNS1_3gpuE4ELNS1_3repE0EEENS1_30default_config_static_selectorELNS0_4arch9wavefront6targetE0EEEvSS_, .Lfunc_end836-_ZN7rocprim17ROCPRIM_400000_NS6detail17trampoline_kernelINS0_14default_configENS1_22reduce_config_selectorIiEEZNS1_11reduce_implILb1ES3_PiS7_iN6hipcub16HIPCUB_304000_NS6detail34convert_binary_result_type_wrapperINS9_3SumENS9_22TransformInputIteratorIbN2at6native12_GLOBAL__N_19NonZeroOpIN3c104HalfEEEPKSJ_lEEiEEEE10hipError_tPvRmT1_T2_T3_mT4_P12ihipStream_tbEUlT_E0_NS1_11comp_targetILNS1_3genE10ELNS1_11target_archE1200ELNS1_3gpuE4ELNS1_3repE0EEENS1_30default_config_static_selectorELNS0_4arch9wavefront6targetE0EEEvSS_
                                        ; -- End function
	.set _ZN7rocprim17ROCPRIM_400000_NS6detail17trampoline_kernelINS0_14default_configENS1_22reduce_config_selectorIiEEZNS1_11reduce_implILb1ES3_PiS7_iN6hipcub16HIPCUB_304000_NS6detail34convert_binary_result_type_wrapperINS9_3SumENS9_22TransformInputIteratorIbN2at6native12_GLOBAL__N_19NonZeroOpIN3c104HalfEEEPKSJ_lEEiEEEE10hipError_tPvRmT1_T2_T3_mT4_P12ihipStream_tbEUlT_E0_NS1_11comp_targetILNS1_3genE10ELNS1_11target_archE1200ELNS1_3gpuE4ELNS1_3repE0EEENS1_30default_config_static_selectorELNS0_4arch9wavefront6targetE0EEEvSS_.num_vgpr, 0
	.set _ZN7rocprim17ROCPRIM_400000_NS6detail17trampoline_kernelINS0_14default_configENS1_22reduce_config_selectorIiEEZNS1_11reduce_implILb1ES3_PiS7_iN6hipcub16HIPCUB_304000_NS6detail34convert_binary_result_type_wrapperINS9_3SumENS9_22TransformInputIteratorIbN2at6native12_GLOBAL__N_19NonZeroOpIN3c104HalfEEEPKSJ_lEEiEEEE10hipError_tPvRmT1_T2_T3_mT4_P12ihipStream_tbEUlT_E0_NS1_11comp_targetILNS1_3genE10ELNS1_11target_archE1200ELNS1_3gpuE4ELNS1_3repE0EEENS1_30default_config_static_selectorELNS0_4arch9wavefront6targetE0EEEvSS_.num_agpr, 0
	.set _ZN7rocprim17ROCPRIM_400000_NS6detail17trampoline_kernelINS0_14default_configENS1_22reduce_config_selectorIiEEZNS1_11reduce_implILb1ES3_PiS7_iN6hipcub16HIPCUB_304000_NS6detail34convert_binary_result_type_wrapperINS9_3SumENS9_22TransformInputIteratorIbN2at6native12_GLOBAL__N_19NonZeroOpIN3c104HalfEEEPKSJ_lEEiEEEE10hipError_tPvRmT1_T2_T3_mT4_P12ihipStream_tbEUlT_E0_NS1_11comp_targetILNS1_3genE10ELNS1_11target_archE1200ELNS1_3gpuE4ELNS1_3repE0EEENS1_30default_config_static_selectorELNS0_4arch9wavefront6targetE0EEEvSS_.numbered_sgpr, 0
	.set _ZN7rocprim17ROCPRIM_400000_NS6detail17trampoline_kernelINS0_14default_configENS1_22reduce_config_selectorIiEEZNS1_11reduce_implILb1ES3_PiS7_iN6hipcub16HIPCUB_304000_NS6detail34convert_binary_result_type_wrapperINS9_3SumENS9_22TransformInputIteratorIbN2at6native12_GLOBAL__N_19NonZeroOpIN3c104HalfEEEPKSJ_lEEiEEEE10hipError_tPvRmT1_T2_T3_mT4_P12ihipStream_tbEUlT_E0_NS1_11comp_targetILNS1_3genE10ELNS1_11target_archE1200ELNS1_3gpuE4ELNS1_3repE0EEENS1_30default_config_static_selectorELNS0_4arch9wavefront6targetE0EEEvSS_.num_named_barrier, 0
	.set _ZN7rocprim17ROCPRIM_400000_NS6detail17trampoline_kernelINS0_14default_configENS1_22reduce_config_selectorIiEEZNS1_11reduce_implILb1ES3_PiS7_iN6hipcub16HIPCUB_304000_NS6detail34convert_binary_result_type_wrapperINS9_3SumENS9_22TransformInputIteratorIbN2at6native12_GLOBAL__N_19NonZeroOpIN3c104HalfEEEPKSJ_lEEiEEEE10hipError_tPvRmT1_T2_T3_mT4_P12ihipStream_tbEUlT_E0_NS1_11comp_targetILNS1_3genE10ELNS1_11target_archE1200ELNS1_3gpuE4ELNS1_3repE0EEENS1_30default_config_static_selectorELNS0_4arch9wavefront6targetE0EEEvSS_.private_seg_size, 0
	.set _ZN7rocprim17ROCPRIM_400000_NS6detail17trampoline_kernelINS0_14default_configENS1_22reduce_config_selectorIiEEZNS1_11reduce_implILb1ES3_PiS7_iN6hipcub16HIPCUB_304000_NS6detail34convert_binary_result_type_wrapperINS9_3SumENS9_22TransformInputIteratorIbN2at6native12_GLOBAL__N_19NonZeroOpIN3c104HalfEEEPKSJ_lEEiEEEE10hipError_tPvRmT1_T2_T3_mT4_P12ihipStream_tbEUlT_E0_NS1_11comp_targetILNS1_3genE10ELNS1_11target_archE1200ELNS1_3gpuE4ELNS1_3repE0EEENS1_30default_config_static_selectorELNS0_4arch9wavefront6targetE0EEEvSS_.uses_vcc, 0
	.set _ZN7rocprim17ROCPRIM_400000_NS6detail17trampoline_kernelINS0_14default_configENS1_22reduce_config_selectorIiEEZNS1_11reduce_implILb1ES3_PiS7_iN6hipcub16HIPCUB_304000_NS6detail34convert_binary_result_type_wrapperINS9_3SumENS9_22TransformInputIteratorIbN2at6native12_GLOBAL__N_19NonZeroOpIN3c104HalfEEEPKSJ_lEEiEEEE10hipError_tPvRmT1_T2_T3_mT4_P12ihipStream_tbEUlT_E0_NS1_11comp_targetILNS1_3genE10ELNS1_11target_archE1200ELNS1_3gpuE4ELNS1_3repE0EEENS1_30default_config_static_selectorELNS0_4arch9wavefront6targetE0EEEvSS_.uses_flat_scratch, 0
	.set _ZN7rocprim17ROCPRIM_400000_NS6detail17trampoline_kernelINS0_14default_configENS1_22reduce_config_selectorIiEEZNS1_11reduce_implILb1ES3_PiS7_iN6hipcub16HIPCUB_304000_NS6detail34convert_binary_result_type_wrapperINS9_3SumENS9_22TransformInputIteratorIbN2at6native12_GLOBAL__N_19NonZeroOpIN3c104HalfEEEPKSJ_lEEiEEEE10hipError_tPvRmT1_T2_T3_mT4_P12ihipStream_tbEUlT_E0_NS1_11comp_targetILNS1_3genE10ELNS1_11target_archE1200ELNS1_3gpuE4ELNS1_3repE0EEENS1_30default_config_static_selectorELNS0_4arch9wavefront6targetE0EEEvSS_.has_dyn_sized_stack, 0
	.set _ZN7rocprim17ROCPRIM_400000_NS6detail17trampoline_kernelINS0_14default_configENS1_22reduce_config_selectorIiEEZNS1_11reduce_implILb1ES3_PiS7_iN6hipcub16HIPCUB_304000_NS6detail34convert_binary_result_type_wrapperINS9_3SumENS9_22TransformInputIteratorIbN2at6native12_GLOBAL__N_19NonZeroOpIN3c104HalfEEEPKSJ_lEEiEEEE10hipError_tPvRmT1_T2_T3_mT4_P12ihipStream_tbEUlT_E0_NS1_11comp_targetILNS1_3genE10ELNS1_11target_archE1200ELNS1_3gpuE4ELNS1_3repE0EEENS1_30default_config_static_selectorELNS0_4arch9wavefront6targetE0EEEvSS_.has_recursion, 0
	.set _ZN7rocprim17ROCPRIM_400000_NS6detail17trampoline_kernelINS0_14default_configENS1_22reduce_config_selectorIiEEZNS1_11reduce_implILb1ES3_PiS7_iN6hipcub16HIPCUB_304000_NS6detail34convert_binary_result_type_wrapperINS9_3SumENS9_22TransformInputIteratorIbN2at6native12_GLOBAL__N_19NonZeroOpIN3c104HalfEEEPKSJ_lEEiEEEE10hipError_tPvRmT1_T2_T3_mT4_P12ihipStream_tbEUlT_E0_NS1_11comp_targetILNS1_3genE10ELNS1_11target_archE1200ELNS1_3gpuE4ELNS1_3repE0EEENS1_30default_config_static_selectorELNS0_4arch9wavefront6targetE0EEEvSS_.has_indirect_call, 0
	.section	.AMDGPU.csdata,"",@progbits
; Kernel info:
; codeLenInByte = 0
; TotalNumSgprs: 0
; NumVgprs: 0
; ScratchSize: 0
; MemoryBound: 0
; FloatMode: 240
; IeeeMode: 1
; LDSByteSize: 0 bytes/workgroup (compile time only)
; SGPRBlocks: 0
; VGPRBlocks: 0
; NumSGPRsForWavesPerEU: 1
; NumVGPRsForWavesPerEU: 1
; Occupancy: 16
; WaveLimiterHint : 0
; COMPUTE_PGM_RSRC2:SCRATCH_EN: 0
; COMPUTE_PGM_RSRC2:USER_SGPR: 2
; COMPUTE_PGM_RSRC2:TRAP_HANDLER: 0
; COMPUTE_PGM_RSRC2:TGID_X_EN: 1
; COMPUTE_PGM_RSRC2:TGID_Y_EN: 0
; COMPUTE_PGM_RSRC2:TGID_Z_EN: 0
; COMPUTE_PGM_RSRC2:TIDIG_COMP_CNT: 0
	.section	.text._ZN7rocprim17ROCPRIM_400000_NS6detail17trampoline_kernelINS0_14default_configENS1_22reduce_config_selectorIiEEZNS1_11reduce_implILb1ES3_PiS7_iN6hipcub16HIPCUB_304000_NS6detail34convert_binary_result_type_wrapperINS9_3SumENS9_22TransformInputIteratorIbN2at6native12_GLOBAL__N_19NonZeroOpIN3c104HalfEEEPKSJ_lEEiEEEE10hipError_tPvRmT1_T2_T3_mT4_P12ihipStream_tbEUlT_E0_NS1_11comp_targetILNS1_3genE9ELNS1_11target_archE1100ELNS1_3gpuE3ELNS1_3repE0EEENS1_30default_config_static_selectorELNS0_4arch9wavefront6targetE0EEEvSS_,"axG",@progbits,_ZN7rocprim17ROCPRIM_400000_NS6detail17trampoline_kernelINS0_14default_configENS1_22reduce_config_selectorIiEEZNS1_11reduce_implILb1ES3_PiS7_iN6hipcub16HIPCUB_304000_NS6detail34convert_binary_result_type_wrapperINS9_3SumENS9_22TransformInputIteratorIbN2at6native12_GLOBAL__N_19NonZeroOpIN3c104HalfEEEPKSJ_lEEiEEEE10hipError_tPvRmT1_T2_T3_mT4_P12ihipStream_tbEUlT_E0_NS1_11comp_targetILNS1_3genE9ELNS1_11target_archE1100ELNS1_3gpuE3ELNS1_3repE0EEENS1_30default_config_static_selectorELNS0_4arch9wavefront6targetE0EEEvSS_,comdat
	.globl	_ZN7rocprim17ROCPRIM_400000_NS6detail17trampoline_kernelINS0_14default_configENS1_22reduce_config_selectorIiEEZNS1_11reduce_implILb1ES3_PiS7_iN6hipcub16HIPCUB_304000_NS6detail34convert_binary_result_type_wrapperINS9_3SumENS9_22TransformInputIteratorIbN2at6native12_GLOBAL__N_19NonZeroOpIN3c104HalfEEEPKSJ_lEEiEEEE10hipError_tPvRmT1_T2_T3_mT4_P12ihipStream_tbEUlT_E0_NS1_11comp_targetILNS1_3genE9ELNS1_11target_archE1100ELNS1_3gpuE3ELNS1_3repE0EEENS1_30default_config_static_selectorELNS0_4arch9wavefront6targetE0EEEvSS_ ; -- Begin function _ZN7rocprim17ROCPRIM_400000_NS6detail17trampoline_kernelINS0_14default_configENS1_22reduce_config_selectorIiEEZNS1_11reduce_implILb1ES3_PiS7_iN6hipcub16HIPCUB_304000_NS6detail34convert_binary_result_type_wrapperINS9_3SumENS9_22TransformInputIteratorIbN2at6native12_GLOBAL__N_19NonZeroOpIN3c104HalfEEEPKSJ_lEEiEEEE10hipError_tPvRmT1_T2_T3_mT4_P12ihipStream_tbEUlT_E0_NS1_11comp_targetILNS1_3genE9ELNS1_11target_archE1100ELNS1_3gpuE3ELNS1_3repE0EEENS1_30default_config_static_selectorELNS0_4arch9wavefront6targetE0EEEvSS_
	.p2align	8
	.type	_ZN7rocprim17ROCPRIM_400000_NS6detail17trampoline_kernelINS0_14default_configENS1_22reduce_config_selectorIiEEZNS1_11reduce_implILb1ES3_PiS7_iN6hipcub16HIPCUB_304000_NS6detail34convert_binary_result_type_wrapperINS9_3SumENS9_22TransformInputIteratorIbN2at6native12_GLOBAL__N_19NonZeroOpIN3c104HalfEEEPKSJ_lEEiEEEE10hipError_tPvRmT1_T2_T3_mT4_P12ihipStream_tbEUlT_E0_NS1_11comp_targetILNS1_3genE9ELNS1_11target_archE1100ELNS1_3gpuE3ELNS1_3repE0EEENS1_30default_config_static_selectorELNS0_4arch9wavefront6targetE0EEEvSS_,@function
_ZN7rocprim17ROCPRIM_400000_NS6detail17trampoline_kernelINS0_14default_configENS1_22reduce_config_selectorIiEEZNS1_11reduce_implILb1ES3_PiS7_iN6hipcub16HIPCUB_304000_NS6detail34convert_binary_result_type_wrapperINS9_3SumENS9_22TransformInputIteratorIbN2at6native12_GLOBAL__N_19NonZeroOpIN3c104HalfEEEPKSJ_lEEiEEEE10hipError_tPvRmT1_T2_T3_mT4_P12ihipStream_tbEUlT_E0_NS1_11comp_targetILNS1_3genE9ELNS1_11target_archE1100ELNS1_3gpuE3ELNS1_3repE0EEENS1_30default_config_static_selectorELNS0_4arch9wavefront6targetE0EEEvSS_: ; @_ZN7rocprim17ROCPRIM_400000_NS6detail17trampoline_kernelINS0_14default_configENS1_22reduce_config_selectorIiEEZNS1_11reduce_implILb1ES3_PiS7_iN6hipcub16HIPCUB_304000_NS6detail34convert_binary_result_type_wrapperINS9_3SumENS9_22TransformInputIteratorIbN2at6native12_GLOBAL__N_19NonZeroOpIN3c104HalfEEEPKSJ_lEEiEEEE10hipError_tPvRmT1_T2_T3_mT4_P12ihipStream_tbEUlT_E0_NS1_11comp_targetILNS1_3genE9ELNS1_11target_archE1100ELNS1_3gpuE3ELNS1_3repE0EEENS1_30default_config_static_selectorELNS0_4arch9wavefront6targetE0EEEvSS_
; %bb.0:
	.section	.rodata,"a",@progbits
	.p2align	6, 0x0
	.amdhsa_kernel _ZN7rocprim17ROCPRIM_400000_NS6detail17trampoline_kernelINS0_14default_configENS1_22reduce_config_selectorIiEEZNS1_11reduce_implILb1ES3_PiS7_iN6hipcub16HIPCUB_304000_NS6detail34convert_binary_result_type_wrapperINS9_3SumENS9_22TransformInputIteratorIbN2at6native12_GLOBAL__N_19NonZeroOpIN3c104HalfEEEPKSJ_lEEiEEEE10hipError_tPvRmT1_T2_T3_mT4_P12ihipStream_tbEUlT_E0_NS1_11comp_targetILNS1_3genE9ELNS1_11target_archE1100ELNS1_3gpuE3ELNS1_3repE0EEENS1_30default_config_static_selectorELNS0_4arch9wavefront6targetE0EEEvSS_
		.amdhsa_group_segment_fixed_size 0
		.amdhsa_private_segment_fixed_size 0
		.amdhsa_kernarg_size 56
		.amdhsa_user_sgpr_count 2
		.amdhsa_user_sgpr_dispatch_ptr 0
		.amdhsa_user_sgpr_queue_ptr 0
		.amdhsa_user_sgpr_kernarg_segment_ptr 1
		.amdhsa_user_sgpr_dispatch_id 0
		.amdhsa_user_sgpr_private_segment_size 0
		.amdhsa_wavefront_size32 1
		.amdhsa_uses_dynamic_stack 0
		.amdhsa_enable_private_segment 0
		.amdhsa_system_sgpr_workgroup_id_x 1
		.amdhsa_system_sgpr_workgroup_id_y 0
		.amdhsa_system_sgpr_workgroup_id_z 0
		.amdhsa_system_sgpr_workgroup_info 0
		.amdhsa_system_vgpr_workitem_id 0
		.amdhsa_next_free_vgpr 1
		.amdhsa_next_free_sgpr 1
		.amdhsa_reserve_vcc 0
		.amdhsa_float_round_mode_32 0
		.amdhsa_float_round_mode_16_64 0
		.amdhsa_float_denorm_mode_32 3
		.amdhsa_float_denorm_mode_16_64 3
		.amdhsa_fp16_overflow 0
		.amdhsa_workgroup_processor_mode 1
		.amdhsa_memory_ordered 1
		.amdhsa_forward_progress 1
		.amdhsa_inst_pref_size 0
		.amdhsa_round_robin_scheduling 0
		.amdhsa_exception_fp_ieee_invalid_op 0
		.amdhsa_exception_fp_denorm_src 0
		.amdhsa_exception_fp_ieee_div_zero 0
		.amdhsa_exception_fp_ieee_overflow 0
		.amdhsa_exception_fp_ieee_underflow 0
		.amdhsa_exception_fp_ieee_inexact 0
		.amdhsa_exception_int_div_zero 0
	.end_amdhsa_kernel
	.section	.text._ZN7rocprim17ROCPRIM_400000_NS6detail17trampoline_kernelINS0_14default_configENS1_22reduce_config_selectorIiEEZNS1_11reduce_implILb1ES3_PiS7_iN6hipcub16HIPCUB_304000_NS6detail34convert_binary_result_type_wrapperINS9_3SumENS9_22TransformInputIteratorIbN2at6native12_GLOBAL__N_19NonZeroOpIN3c104HalfEEEPKSJ_lEEiEEEE10hipError_tPvRmT1_T2_T3_mT4_P12ihipStream_tbEUlT_E0_NS1_11comp_targetILNS1_3genE9ELNS1_11target_archE1100ELNS1_3gpuE3ELNS1_3repE0EEENS1_30default_config_static_selectorELNS0_4arch9wavefront6targetE0EEEvSS_,"axG",@progbits,_ZN7rocprim17ROCPRIM_400000_NS6detail17trampoline_kernelINS0_14default_configENS1_22reduce_config_selectorIiEEZNS1_11reduce_implILb1ES3_PiS7_iN6hipcub16HIPCUB_304000_NS6detail34convert_binary_result_type_wrapperINS9_3SumENS9_22TransformInputIteratorIbN2at6native12_GLOBAL__N_19NonZeroOpIN3c104HalfEEEPKSJ_lEEiEEEE10hipError_tPvRmT1_T2_T3_mT4_P12ihipStream_tbEUlT_E0_NS1_11comp_targetILNS1_3genE9ELNS1_11target_archE1100ELNS1_3gpuE3ELNS1_3repE0EEENS1_30default_config_static_selectorELNS0_4arch9wavefront6targetE0EEEvSS_,comdat
.Lfunc_end837:
	.size	_ZN7rocprim17ROCPRIM_400000_NS6detail17trampoline_kernelINS0_14default_configENS1_22reduce_config_selectorIiEEZNS1_11reduce_implILb1ES3_PiS7_iN6hipcub16HIPCUB_304000_NS6detail34convert_binary_result_type_wrapperINS9_3SumENS9_22TransformInputIteratorIbN2at6native12_GLOBAL__N_19NonZeroOpIN3c104HalfEEEPKSJ_lEEiEEEE10hipError_tPvRmT1_T2_T3_mT4_P12ihipStream_tbEUlT_E0_NS1_11comp_targetILNS1_3genE9ELNS1_11target_archE1100ELNS1_3gpuE3ELNS1_3repE0EEENS1_30default_config_static_selectorELNS0_4arch9wavefront6targetE0EEEvSS_, .Lfunc_end837-_ZN7rocprim17ROCPRIM_400000_NS6detail17trampoline_kernelINS0_14default_configENS1_22reduce_config_selectorIiEEZNS1_11reduce_implILb1ES3_PiS7_iN6hipcub16HIPCUB_304000_NS6detail34convert_binary_result_type_wrapperINS9_3SumENS9_22TransformInputIteratorIbN2at6native12_GLOBAL__N_19NonZeroOpIN3c104HalfEEEPKSJ_lEEiEEEE10hipError_tPvRmT1_T2_T3_mT4_P12ihipStream_tbEUlT_E0_NS1_11comp_targetILNS1_3genE9ELNS1_11target_archE1100ELNS1_3gpuE3ELNS1_3repE0EEENS1_30default_config_static_selectorELNS0_4arch9wavefront6targetE0EEEvSS_
                                        ; -- End function
	.set _ZN7rocprim17ROCPRIM_400000_NS6detail17trampoline_kernelINS0_14default_configENS1_22reduce_config_selectorIiEEZNS1_11reduce_implILb1ES3_PiS7_iN6hipcub16HIPCUB_304000_NS6detail34convert_binary_result_type_wrapperINS9_3SumENS9_22TransformInputIteratorIbN2at6native12_GLOBAL__N_19NonZeroOpIN3c104HalfEEEPKSJ_lEEiEEEE10hipError_tPvRmT1_T2_T3_mT4_P12ihipStream_tbEUlT_E0_NS1_11comp_targetILNS1_3genE9ELNS1_11target_archE1100ELNS1_3gpuE3ELNS1_3repE0EEENS1_30default_config_static_selectorELNS0_4arch9wavefront6targetE0EEEvSS_.num_vgpr, 0
	.set _ZN7rocprim17ROCPRIM_400000_NS6detail17trampoline_kernelINS0_14default_configENS1_22reduce_config_selectorIiEEZNS1_11reduce_implILb1ES3_PiS7_iN6hipcub16HIPCUB_304000_NS6detail34convert_binary_result_type_wrapperINS9_3SumENS9_22TransformInputIteratorIbN2at6native12_GLOBAL__N_19NonZeroOpIN3c104HalfEEEPKSJ_lEEiEEEE10hipError_tPvRmT1_T2_T3_mT4_P12ihipStream_tbEUlT_E0_NS1_11comp_targetILNS1_3genE9ELNS1_11target_archE1100ELNS1_3gpuE3ELNS1_3repE0EEENS1_30default_config_static_selectorELNS0_4arch9wavefront6targetE0EEEvSS_.num_agpr, 0
	.set _ZN7rocprim17ROCPRIM_400000_NS6detail17trampoline_kernelINS0_14default_configENS1_22reduce_config_selectorIiEEZNS1_11reduce_implILb1ES3_PiS7_iN6hipcub16HIPCUB_304000_NS6detail34convert_binary_result_type_wrapperINS9_3SumENS9_22TransformInputIteratorIbN2at6native12_GLOBAL__N_19NonZeroOpIN3c104HalfEEEPKSJ_lEEiEEEE10hipError_tPvRmT1_T2_T3_mT4_P12ihipStream_tbEUlT_E0_NS1_11comp_targetILNS1_3genE9ELNS1_11target_archE1100ELNS1_3gpuE3ELNS1_3repE0EEENS1_30default_config_static_selectorELNS0_4arch9wavefront6targetE0EEEvSS_.numbered_sgpr, 0
	.set _ZN7rocprim17ROCPRIM_400000_NS6detail17trampoline_kernelINS0_14default_configENS1_22reduce_config_selectorIiEEZNS1_11reduce_implILb1ES3_PiS7_iN6hipcub16HIPCUB_304000_NS6detail34convert_binary_result_type_wrapperINS9_3SumENS9_22TransformInputIteratorIbN2at6native12_GLOBAL__N_19NonZeroOpIN3c104HalfEEEPKSJ_lEEiEEEE10hipError_tPvRmT1_T2_T3_mT4_P12ihipStream_tbEUlT_E0_NS1_11comp_targetILNS1_3genE9ELNS1_11target_archE1100ELNS1_3gpuE3ELNS1_3repE0EEENS1_30default_config_static_selectorELNS0_4arch9wavefront6targetE0EEEvSS_.num_named_barrier, 0
	.set _ZN7rocprim17ROCPRIM_400000_NS6detail17trampoline_kernelINS0_14default_configENS1_22reduce_config_selectorIiEEZNS1_11reduce_implILb1ES3_PiS7_iN6hipcub16HIPCUB_304000_NS6detail34convert_binary_result_type_wrapperINS9_3SumENS9_22TransformInputIteratorIbN2at6native12_GLOBAL__N_19NonZeroOpIN3c104HalfEEEPKSJ_lEEiEEEE10hipError_tPvRmT1_T2_T3_mT4_P12ihipStream_tbEUlT_E0_NS1_11comp_targetILNS1_3genE9ELNS1_11target_archE1100ELNS1_3gpuE3ELNS1_3repE0EEENS1_30default_config_static_selectorELNS0_4arch9wavefront6targetE0EEEvSS_.private_seg_size, 0
	.set _ZN7rocprim17ROCPRIM_400000_NS6detail17trampoline_kernelINS0_14default_configENS1_22reduce_config_selectorIiEEZNS1_11reduce_implILb1ES3_PiS7_iN6hipcub16HIPCUB_304000_NS6detail34convert_binary_result_type_wrapperINS9_3SumENS9_22TransformInputIteratorIbN2at6native12_GLOBAL__N_19NonZeroOpIN3c104HalfEEEPKSJ_lEEiEEEE10hipError_tPvRmT1_T2_T3_mT4_P12ihipStream_tbEUlT_E0_NS1_11comp_targetILNS1_3genE9ELNS1_11target_archE1100ELNS1_3gpuE3ELNS1_3repE0EEENS1_30default_config_static_selectorELNS0_4arch9wavefront6targetE0EEEvSS_.uses_vcc, 0
	.set _ZN7rocprim17ROCPRIM_400000_NS6detail17trampoline_kernelINS0_14default_configENS1_22reduce_config_selectorIiEEZNS1_11reduce_implILb1ES3_PiS7_iN6hipcub16HIPCUB_304000_NS6detail34convert_binary_result_type_wrapperINS9_3SumENS9_22TransformInputIteratorIbN2at6native12_GLOBAL__N_19NonZeroOpIN3c104HalfEEEPKSJ_lEEiEEEE10hipError_tPvRmT1_T2_T3_mT4_P12ihipStream_tbEUlT_E0_NS1_11comp_targetILNS1_3genE9ELNS1_11target_archE1100ELNS1_3gpuE3ELNS1_3repE0EEENS1_30default_config_static_selectorELNS0_4arch9wavefront6targetE0EEEvSS_.uses_flat_scratch, 0
	.set _ZN7rocprim17ROCPRIM_400000_NS6detail17trampoline_kernelINS0_14default_configENS1_22reduce_config_selectorIiEEZNS1_11reduce_implILb1ES3_PiS7_iN6hipcub16HIPCUB_304000_NS6detail34convert_binary_result_type_wrapperINS9_3SumENS9_22TransformInputIteratorIbN2at6native12_GLOBAL__N_19NonZeroOpIN3c104HalfEEEPKSJ_lEEiEEEE10hipError_tPvRmT1_T2_T3_mT4_P12ihipStream_tbEUlT_E0_NS1_11comp_targetILNS1_3genE9ELNS1_11target_archE1100ELNS1_3gpuE3ELNS1_3repE0EEENS1_30default_config_static_selectorELNS0_4arch9wavefront6targetE0EEEvSS_.has_dyn_sized_stack, 0
	.set _ZN7rocprim17ROCPRIM_400000_NS6detail17trampoline_kernelINS0_14default_configENS1_22reduce_config_selectorIiEEZNS1_11reduce_implILb1ES3_PiS7_iN6hipcub16HIPCUB_304000_NS6detail34convert_binary_result_type_wrapperINS9_3SumENS9_22TransformInputIteratorIbN2at6native12_GLOBAL__N_19NonZeroOpIN3c104HalfEEEPKSJ_lEEiEEEE10hipError_tPvRmT1_T2_T3_mT4_P12ihipStream_tbEUlT_E0_NS1_11comp_targetILNS1_3genE9ELNS1_11target_archE1100ELNS1_3gpuE3ELNS1_3repE0EEENS1_30default_config_static_selectorELNS0_4arch9wavefront6targetE0EEEvSS_.has_recursion, 0
	.set _ZN7rocprim17ROCPRIM_400000_NS6detail17trampoline_kernelINS0_14default_configENS1_22reduce_config_selectorIiEEZNS1_11reduce_implILb1ES3_PiS7_iN6hipcub16HIPCUB_304000_NS6detail34convert_binary_result_type_wrapperINS9_3SumENS9_22TransformInputIteratorIbN2at6native12_GLOBAL__N_19NonZeroOpIN3c104HalfEEEPKSJ_lEEiEEEE10hipError_tPvRmT1_T2_T3_mT4_P12ihipStream_tbEUlT_E0_NS1_11comp_targetILNS1_3genE9ELNS1_11target_archE1100ELNS1_3gpuE3ELNS1_3repE0EEENS1_30default_config_static_selectorELNS0_4arch9wavefront6targetE0EEEvSS_.has_indirect_call, 0
	.section	.AMDGPU.csdata,"",@progbits
; Kernel info:
; codeLenInByte = 0
; TotalNumSgprs: 0
; NumVgprs: 0
; ScratchSize: 0
; MemoryBound: 0
; FloatMode: 240
; IeeeMode: 1
; LDSByteSize: 0 bytes/workgroup (compile time only)
; SGPRBlocks: 0
; VGPRBlocks: 0
; NumSGPRsForWavesPerEU: 1
; NumVGPRsForWavesPerEU: 1
; Occupancy: 16
; WaveLimiterHint : 0
; COMPUTE_PGM_RSRC2:SCRATCH_EN: 0
; COMPUTE_PGM_RSRC2:USER_SGPR: 2
; COMPUTE_PGM_RSRC2:TRAP_HANDLER: 0
; COMPUTE_PGM_RSRC2:TGID_X_EN: 1
; COMPUTE_PGM_RSRC2:TGID_Y_EN: 0
; COMPUTE_PGM_RSRC2:TGID_Z_EN: 0
; COMPUTE_PGM_RSRC2:TIDIG_COMP_CNT: 0
	.section	.text._ZN7rocprim17ROCPRIM_400000_NS6detail17trampoline_kernelINS0_14default_configENS1_22reduce_config_selectorIiEEZNS1_11reduce_implILb1ES3_PiS7_iN6hipcub16HIPCUB_304000_NS6detail34convert_binary_result_type_wrapperINS9_3SumENS9_22TransformInputIteratorIbN2at6native12_GLOBAL__N_19NonZeroOpIN3c104HalfEEEPKSJ_lEEiEEEE10hipError_tPvRmT1_T2_T3_mT4_P12ihipStream_tbEUlT_E0_NS1_11comp_targetILNS1_3genE8ELNS1_11target_archE1030ELNS1_3gpuE2ELNS1_3repE0EEENS1_30default_config_static_selectorELNS0_4arch9wavefront6targetE0EEEvSS_,"axG",@progbits,_ZN7rocprim17ROCPRIM_400000_NS6detail17trampoline_kernelINS0_14default_configENS1_22reduce_config_selectorIiEEZNS1_11reduce_implILb1ES3_PiS7_iN6hipcub16HIPCUB_304000_NS6detail34convert_binary_result_type_wrapperINS9_3SumENS9_22TransformInputIteratorIbN2at6native12_GLOBAL__N_19NonZeroOpIN3c104HalfEEEPKSJ_lEEiEEEE10hipError_tPvRmT1_T2_T3_mT4_P12ihipStream_tbEUlT_E0_NS1_11comp_targetILNS1_3genE8ELNS1_11target_archE1030ELNS1_3gpuE2ELNS1_3repE0EEENS1_30default_config_static_selectorELNS0_4arch9wavefront6targetE0EEEvSS_,comdat
	.globl	_ZN7rocprim17ROCPRIM_400000_NS6detail17trampoline_kernelINS0_14default_configENS1_22reduce_config_selectorIiEEZNS1_11reduce_implILb1ES3_PiS7_iN6hipcub16HIPCUB_304000_NS6detail34convert_binary_result_type_wrapperINS9_3SumENS9_22TransformInputIteratorIbN2at6native12_GLOBAL__N_19NonZeroOpIN3c104HalfEEEPKSJ_lEEiEEEE10hipError_tPvRmT1_T2_T3_mT4_P12ihipStream_tbEUlT_E0_NS1_11comp_targetILNS1_3genE8ELNS1_11target_archE1030ELNS1_3gpuE2ELNS1_3repE0EEENS1_30default_config_static_selectorELNS0_4arch9wavefront6targetE0EEEvSS_ ; -- Begin function _ZN7rocprim17ROCPRIM_400000_NS6detail17trampoline_kernelINS0_14default_configENS1_22reduce_config_selectorIiEEZNS1_11reduce_implILb1ES3_PiS7_iN6hipcub16HIPCUB_304000_NS6detail34convert_binary_result_type_wrapperINS9_3SumENS9_22TransformInputIteratorIbN2at6native12_GLOBAL__N_19NonZeroOpIN3c104HalfEEEPKSJ_lEEiEEEE10hipError_tPvRmT1_T2_T3_mT4_P12ihipStream_tbEUlT_E0_NS1_11comp_targetILNS1_3genE8ELNS1_11target_archE1030ELNS1_3gpuE2ELNS1_3repE0EEENS1_30default_config_static_selectorELNS0_4arch9wavefront6targetE0EEEvSS_
	.p2align	8
	.type	_ZN7rocprim17ROCPRIM_400000_NS6detail17trampoline_kernelINS0_14default_configENS1_22reduce_config_selectorIiEEZNS1_11reduce_implILb1ES3_PiS7_iN6hipcub16HIPCUB_304000_NS6detail34convert_binary_result_type_wrapperINS9_3SumENS9_22TransformInputIteratorIbN2at6native12_GLOBAL__N_19NonZeroOpIN3c104HalfEEEPKSJ_lEEiEEEE10hipError_tPvRmT1_T2_T3_mT4_P12ihipStream_tbEUlT_E0_NS1_11comp_targetILNS1_3genE8ELNS1_11target_archE1030ELNS1_3gpuE2ELNS1_3repE0EEENS1_30default_config_static_selectorELNS0_4arch9wavefront6targetE0EEEvSS_,@function
_ZN7rocprim17ROCPRIM_400000_NS6detail17trampoline_kernelINS0_14default_configENS1_22reduce_config_selectorIiEEZNS1_11reduce_implILb1ES3_PiS7_iN6hipcub16HIPCUB_304000_NS6detail34convert_binary_result_type_wrapperINS9_3SumENS9_22TransformInputIteratorIbN2at6native12_GLOBAL__N_19NonZeroOpIN3c104HalfEEEPKSJ_lEEiEEEE10hipError_tPvRmT1_T2_T3_mT4_P12ihipStream_tbEUlT_E0_NS1_11comp_targetILNS1_3genE8ELNS1_11target_archE1030ELNS1_3gpuE2ELNS1_3repE0EEENS1_30default_config_static_selectorELNS0_4arch9wavefront6targetE0EEEvSS_: ; @_ZN7rocprim17ROCPRIM_400000_NS6detail17trampoline_kernelINS0_14default_configENS1_22reduce_config_selectorIiEEZNS1_11reduce_implILb1ES3_PiS7_iN6hipcub16HIPCUB_304000_NS6detail34convert_binary_result_type_wrapperINS9_3SumENS9_22TransformInputIteratorIbN2at6native12_GLOBAL__N_19NonZeroOpIN3c104HalfEEEPKSJ_lEEiEEEE10hipError_tPvRmT1_T2_T3_mT4_P12ihipStream_tbEUlT_E0_NS1_11comp_targetILNS1_3genE8ELNS1_11target_archE1030ELNS1_3gpuE2ELNS1_3repE0EEENS1_30default_config_static_selectorELNS0_4arch9wavefront6targetE0EEEvSS_
; %bb.0:
	.section	.rodata,"a",@progbits
	.p2align	6, 0x0
	.amdhsa_kernel _ZN7rocprim17ROCPRIM_400000_NS6detail17trampoline_kernelINS0_14default_configENS1_22reduce_config_selectorIiEEZNS1_11reduce_implILb1ES3_PiS7_iN6hipcub16HIPCUB_304000_NS6detail34convert_binary_result_type_wrapperINS9_3SumENS9_22TransformInputIteratorIbN2at6native12_GLOBAL__N_19NonZeroOpIN3c104HalfEEEPKSJ_lEEiEEEE10hipError_tPvRmT1_T2_T3_mT4_P12ihipStream_tbEUlT_E0_NS1_11comp_targetILNS1_3genE8ELNS1_11target_archE1030ELNS1_3gpuE2ELNS1_3repE0EEENS1_30default_config_static_selectorELNS0_4arch9wavefront6targetE0EEEvSS_
		.amdhsa_group_segment_fixed_size 0
		.amdhsa_private_segment_fixed_size 0
		.amdhsa_kernarg_size 56
		.amdhsa_user_sgpr_count 2
		.amdhsa_user_sgpr_dispatch_ptr 0
		.amdhsa_user_sgpr_queue_ptr 0
		.amdhsa_user_sgpr_kernarg_segment_ptr 1
		.amdhsa_user_sgpr_dispatch_id 0
		.amdhsa_user_sgpr_private_segment_size 0
		.amdhsa_wavefront_size32 1
		.amdhsa_uses_dynamic_stack 0
		.amdhsa_enable_private_segment 0
		.amdhsa_system_sgpr_workgroup_id_x 1
		.amdhsa_system_sgpr_workgroup_id_y 0
		.amdhsa_system_sgpr_workgroup_id_z 0
		.amdhsa_system_sgpr_workgroup_info 0
		.amdhsa_system_vgpr_workitem_id 0
		.amdhsa_next_free_vgpr 1
		.amdhsa_next_free_sgpr 1
		.amdhsa_reserve_vcc 0
		.amdhsa_float_round_mode_32 0
		.amdhsa_float_round_mode_16_64 0
		.amdhsa_float_denorm_mode_32 3
		.amdhsa_float_denorm_mode_16_64 3
		.amdhsa_fp16_overflow 0
		.amdhsa_workgroup_processor_mode 1
		.amdhsa_memory_ordered 1
		.amdhsa_forward_progress 1
		.amdhsa_inst_pref_size 0
		.amdhsa_round_robin_scheduling 0
		.amdhsa_exception_fp_ieee_invalid_op 0
		.amdhsa_exception_fp_denorm_src 0
		.amdhsa_exception_fp_ieee_div_zero 0
		.amdhsa_exception_fp_ieee_overflow 0
		.amdhsa_exception_fp_ieee_underflow 0
		.amdhsa_exception_fp_ieee_inexact 0
		.amdhsa_exception_int_div_zero 0
	.end_amdhsa_kernel
	.section	.text._ZN7rocprim17ROCPRIM_400000_NS6detail17trampoline_kernelINS0_14default_configENS1_22reduce_config_selectorIiEEZNS1_11reduce_implILb1ES3_PiS7_iN6hipcub16HIPCUB_304000_NS6detail34convert_binary_result_type_wrapperINS9_3SumENS9_22TransformInputIteratorIbN2at6native12_GLOBAL__N_19NonZeroOpIN3c104HalfEEEPKSJ_lEEiEEEE10hipError_tPvRmT1_T2_T3_mT4_P12ihipStream_tbEUlT_E0_NS1_11comp_targetILNS1_3genE8ELNS1_11target_archE1030ELNS1_3gpuE2ELNS1_3repE0EEENS1_30default_config_static_selectorELNS0_4arch9wavefront6targetE0EEEvSS_,"axG",@progbits,_ZN7rocprim17ROCPRIM_400000_NS6detail17trampoline_kernelINS0_14default_configENS1_22reduce_config_selectorIiEEZNS1_11reduce_implILb1ES3_PiS7_iN6hipcub16HIPCUB_304000_NS6detail34convert_binary_result_type_wrapperINS9_3SumENS9_22TransformInputIteratorIbN2at6native12_GLOBAL__N_19NonZeroOpIN3c104HalfEEEPKSJ_lEEiEEEE10hipError_tPvRmT1_T2_T3_mT4_P12ihipStream_tbEUlT_E0_NS1_11comp_targetILNS1_3genE8ELNS1_11target_archE1030ELNS1_3gpuE2ELNS1_3repE0EEENS1_30default_config_static_selectorELNS0_4arch9wavefront6targetE0EEEvSS_,comdat
.Lfunc_end838:
	.size	_ZN7rocprim17ROCPRIM_400000_NS6detail17trampoline_kernelINS0_14default_configENS1_22reduce_config_selectorIiEEZNS1_11reduce_implILb1ES3_PiS7_iN6hipcub16HIPCUB_304000_NS6detail34convert_binary_result_type_wrapperINS9_3SumENS9_22TransformInputIteratorIbN2at6native12_GLOBAL__N_19NonZeroOpIN3c104HalfEEEPKSJ_lEEiEEEE10hipError_tPvRmT1_T2_T3_mT4_P12ihipStream_tbEUlT_E0_NS1_11comp_targetILNS1_3genE8ELNS1_11target_archE1030ELNS1_3gpuE2ELNS1_3repE0EEENS1_30default_config_static_selectorELNS0_4arch9wavefront6targetE0EEEvSS_, .Lfunc_end838-_ZN7rocprim17ROCPRIM_400000_NS6detail17trampoline_kernelINS0_14default_configENS1_22reduce_config_selectorIiEEZNS1_11reduce_implILb1ES3_PiS7_iN6hipcub16HIPCUB_304000_NS6detail34convert_binary_result_type_wrapperINS9_3SumENS9_22TransformInputIteratorIbN2at6native12_GLOBAL__N_19NonZeroOpIN3c104HalfEEEPKSJ_lEEiEEEE10hipError_tPvRmT1_T2_T3_mT4_P12ihipStream_tbEUlT_E0_NS1_11comp_targetILNS1_3genE8ELNS1_11target_archE1030ELNS1_3gpuE2ELNS1_3repE0EEENS1_30default_config_static_selectorELNS0_4arch9wavefront6targetE0EEEvSS_
                                        ; -- End function
	.set _ZN7rocprim17ROCPRIM_400000_NS6detail17trampoline_kernelINS0_14default_configENS1_22reduce_config_selectorIiEEZNS1_11reduce_implILb1ES3_PiS7_iN6hipcub16HIPCUB_304000_NS6detail34convert_binary_result_type_wrapperINS9_3SumENS9_22TransformInputIteratorIbN2at6native12_GLOBAL__N_19NonZeroOpIN3c104HalfEEEPKSJ_lEEiEEEE10hipError_tPvRmT1_T2_T3_mT4_P12ihipStream_tbEUlT_E0_NS1_11comp_targetILNS1_3genE8ELNS1_11target_archE1030ELNS1_3gpuE2ELNS1_3repE0EEENS1_30default_config_static_selectorELNS0_4arch9wavefront6targetE0EEEvSS_.num_vgpr, 0
	.set _ZN7rocprim17ROCPRIM_400000_NS6detail17trampoline_kernelINS0_14default_configENS1_22reduce_config_selectorIiEEZNS1_11reduce_implILb1ES3_PiS7_iN6hipcub16HIPCUB_304000_NS6detail34convert_binary_result_type_wrapperINS9_3SumENS9_22TransformInputIteratorIbN2at6native12_GLOBAL__N_19NonZeroOpIN3c104HalfEEEPKSJ_lEEiEEEE10hipError_tPvRmT1_T2_T3_mT4_P12ihipStream_tbEUlT_E0_NS1_11comp_targetILNS1_3genE8ELNS1_11target_archE1030ELNS1_3gpuE2ELNS1_3repE0EEENS1_30default_config_static_selectorELNS0_4arch9wavefront6targetE0EEEvSS_.num_agpr, 0
	.set _ZN7rocprim17ROCPRIM_400000_NS6detail17trampoline_kernelINS0_14default_configENS1_22reduce_config_selectorIiEEZNS1_11reduce_implILb1ES3_PiS7_iN6hipcub16HIPCUB_304000_NS6detail34convert_binary_result_type_wrapperINS9_3SumENS9_22TransformInputIteratorIbN2at6native12_GLOBAL__N_19NonZeroOpIN3c104HalfEEEPKSJ_lEEiEEEE10hipError_tPvRmT1_T2_T3_mT4_P12ihipStream_tbEUlT_E0_NS1_11comp_targetILNS1_3genE8ELNS1_11target_archE1030ELNS1_3gpuE2ELNS1_3repE0EEENS1_30default_config_static_selectorELNS0_4arch9wavefront6targetE0EEEvSS_.numbered_sgpr, 0
	.set _ZN7rocprim17ROCPRIM_400000_NS6detail17trampoline_kernelINS0_14default_configENS1_22reduce_config_selectorIiEEZNS1_11reduce_implILb1ES3_PiS7_iN6hipcub16HIPCUB_304000_NS6detail34convert_binary_result_type_wrapperINS9_3SumENS9_22TransformInputIteratorIbN2at6native12_GLOBAL__N_19NonZeroOpIN3c104HalfEEEPKSJ_lEEiEEEE10hipError_tPvRmT1_T2_T3_mT4_P12ihipStream_tbEUlT_E0_NS1_11comp_targetILNS1_3genE8ELNS1_11target_archE1030ELNS1_3gpuE2ELNS1_3repE0EEENS1_30default_config_static_selectorELNS0_4arch9wavefront6targetE0EEEvSS_.num_named_barrier, 0
	.set _ZN7rocprim17ROCPRIM_400000_NS6detail17trampoline_kernelINS0_14default_configENS1_22reduce_config_selectorIiEEZNS1_11reduce_implILb1ES3_PiS7_iN6hipcub16HIPCUB_304000_NS6detail34convert_binary_result_type_wrapperINS9_3SumENS9_22TransformInputIteratorIbN2at6native12_GLOBAL__N_19NonZeroOpIN3c104HalfEEEPKSJ_lEEiEEEE10hipError_tPvRmT1_T2_T3_mT4_P12ihipStream_tbEUlT_E0_NS1_11comp_targetILNS1_3genE8ELNS1_11target_archE1030ELNS1_3gpuE2ELNS1_3repE0EEENS1_30default_config_static_selectorELNS0_4arch9wavefront6targetE0EEEvSS_.private_seg_size, 0
	.set _ZN7rocprim17ROCPRIM_400000_NS6detail17trampoline_kernelINS0_14default_configENS1_22reduce_config_selectorIiEEZNS1_11reduce_implILb1ES3_PiS7_iN6hipcub16HIPCUB_304000_NS6detail34convert_binary_result_type_wrapperINS9_3SumENS9_22TransformInputIteratorIbN2at6native12_GLOBAL__N_19NonZeroOpIN3c104HalfEEEPKSJ_lEEiEEEE10hipError_tPvRmT1_T2_T3_mT4_P12ihipStream_tbEUlT_E0_NS1_11comp_targetILNS1_3genE8ELNS1_11target_archE1030ELNS1_3gpuE2ELNS1_3repE0EEENS1_30default_config_static_selectorELNS0_4arch9wavefront6targetE0EEEvSS_.uses_vcc, 0
	.set _ZN7rocprim17ROCPRIM_400000_NS6detail17trampoline_kernelINS0_14default_configENS1_22reduce_config_selectorIiEEZNS1_11reduce_implILb1ES3_PiS7_iN6hipcub16HIPCUB_304000_NS6detail34convert_binary_result_type_wrapperINS9_3SumENS9_22TransformInputIteratorIbN2at6native12_GLOBAL__N_19NonZeroOpIN3c104HalfEEEPKSJ_lEEiEEEE10hipError_tPvRmT1_T2_T3_mT4_P12ihipStream_tbEUlT_E0_NS1_11comp_targetILNS1_3genE8ELNS1_11target_archE1030ELNS1_3gpuE2ELNS1_3repE0EEENS1_30default_config_static_selectorELNS0_4arch9wavefront6targetE0EEEvSS_.uses_flat_scratch, 0
	.set _ZN7rocprim17ROCPRIM_400000_NS6detail17trampoline_kernelINS0_14default_configENS1_22reduce_config_selectorIiEEZNS1_11reduce_implILb1ES3_PiS7_iN6hipcub16HIPCUB_304000_NS6detail34convert_binary_result_type_wrapperINS9_3SumENS9_22TransformInputIteratorIbN2at6native12_GLOBAL__N_19NonZeroOpIN3c104HalfEEEPKSJ_lEEiEEEE10hipError_tPvRmT1_T2_T3_mT4_P12ihipStream_tbEUlT_E0_NS1_11comp_targetILNS1_3genE8ELNS1_11target_archE1030ELNS1_3gpuE2ELNS1_3repE0EEENS1_30default_config_static_selectorELNS0_4arch9wavefront6targetE0EEEvSS_.has_dyn_sized_stack, 0
	.set _ZN7rocprim17ROCPRIM_400000_NS6detail17trampoline_kernelINS0_14default_configENS1_22reduce_config_selectorIiEEZNS1_11reduce_implILb1ES3_PiS7_iN6hipcub16HIPCUB_304000_NS6detail34convert_binary_result_type_wrapperINS9_3SumENS9_22TransformInputIteratorIbN2at6native12_GLOBAL__N_19NonZeroOpIN3c104HalfEEEPKSJ_lEEiEEEE10hipError_tPvRmT1_T2_T3_mT4_P12ihipStream_tbEUlT_E0_NS1_11comp_targetILNS1_3genE8ELNS1_11target_archE1030ELNS1_3gpuE2ELNS1_3repE0EEENS1_30default_config_static_selectorELNS0_4arch9wavefront6targetE0EEEvSS_.has_recursion, 0
	.set _ZN7rocprim17ROCPRIM_400000_NS6detail17trampoline_kernelINS0_14default_configENS1_22reduce_config_selectorIiEEZNS1_11reduce_implILb1ES3_PiS7_iN6hipcub16HIPCUB_304000_NS6detail34convert_binary_result_type_wrapperINS9_3SumENS9_22TransformInputIteratorIbN2at6native12_GLOBAL__N_19NonZeroOpIN3c104HalfEEEPKSJ_lEEiEEEE10hipError_tPvRmT1_T2_T3_mT4_P12ihipStream_tbEUlT_E0_NS1_11comp_targetILNS1_3genE8ELNS1_11target_archE1030ELNS1_3gpuE2ELNS1_3repE0EEENS1_30default_config_static_selectorELNS0_4arch9wavefront6targetE0EEEvSS_.has_indirect_call, 0
	.section	.AMDGPU.csdata,"",@progbits
; Kernel info:
; codeLenInByte = 0
; TotalNumSgprs: 0
; NumVgprs: 0
; ScratchSize: 0
; MemoryBound: 0
; FloatMode: 240
; IeeeMode: 1
; LDSByteSize: 0 bytes/workgroup (compile time only)
; SGPRBlocks: 0
; VGPRBlocks: 0
; NumSGPRsForWavesPerEU: 1
; NumVGPRsForWavesPerEU: 1
; Occupancy: 16
; WaveLimiterHint : 0
; COMPUTE_PGM_RSRC2:SCRATCH_EN: 0
; COMPUTE_PGM_RSRC2:USER_SGPR: 2
; COMPUTE_PGM_RSRC2:TRAP_HANDLER: 0
; COMPUTE_PGM_RSRC2:TGID_X_EN: 1
; COMPUTE_PGM_RSRC2:TGID_Y_EN: 0
; COMPUTE_PGM_RSRC2:TGID_Z_EN: 0
; COMPUTE_PGM_RSRC2:TIDIG_COMP_CNT: 0
	.section	.text._ZN7rocprim17ROCPRIM_400000_NS6detail17trampoline_kernelINS0_14default_configENS1_22reduce_config_selectorIiEEZNS1_11reduce_implILb1ES3_PiS7_iN6hipcub16HIPCUB_304000_NS6detail34convert_binary_result_type_wrapperINS9_3SumENS9_22TransformInputIteratorIbN2at6native12_GLOBAL__N_19NonZeroOpIN3c104HalfEEEPKSJ_lEEiEEEE10hipError_tPvRmT1_T2_T3_mT4_P12ihipStream_tbEUlT_E1_NS1_11comp_targetILNS1_3genE0ELNS1_11target_archE4294967295ELNS1_3gpuE0ELNS1_3repE0EEENS1_30default_config_static_selectorELNS0_4arch9wavefront6targetE0EEEvSS_,"axG",@progbits,_ZN7rocprim17ROCPRIM_400000_NS6detail17trampoline_kernelINS0_14default_configENS1_22reduce_config_selectorIiEEZNS1_11reduce_implILb1ES3_PiS7_iN6hipcub16HIPCUB_304000_NS6detail34convert_binary_result_type_wrapperINS9_3SumENS9_22TransformInputIteratorIbN2at6native12_GLOBAL__N_19NonZeroOpIN3c104HalfEEEPKSJ_lEEiEEEE10hipError_tPvRmT1_T2_T3_mT4_P12ihipStream_tbEUlT_E1_NS1_11comp_targetILNS1_3genE0ELNS1_11target_archE4294967295ELNS1_3gpuE0ELNS1_3repE0EEENS1_30default_config_static_selectorELNS0_4arch9wavefront6targetE0EEEvSS_,comdat
	.globl	_ZN7rocprim17ROCPRIM_400000_NS6detail17trampoline_kernelINS0_14default_configENS1_22reduce_config_selectorIiEEZNS1_11reduce_implILb1ES3_PiS7_iN6hipcub16HIPCUB_304000_NS6detail34convert_binary_result_type_wrapperINS9_3SumENS9_22TransformInputIteratorIbN2at6native12_GLOBAL__N_19NonZeroOpIN3c104HalfEEEPKSJ_lEEiEEEE10hipError_tPvRmT1_T2_T3_mT4_P12ihipStream_tbEUlT_E1_NS1_11comp_targetILNS1_3genE0ELNS1_11target_archE4294967295ELNS1_3gpuE0ELNS1_3repE0EEENS1_30default_config_static_selectorELNS0_4arch9wavefront6targetE0EEEvSS_ ; -- Begin function _ZN7rocprim17ROCPRIM_400000_NS6detail17trampoline_kernelINS0_14default_configENS1_22reduce_config_selectorIiEEZNS1_11reduce_implILb1ES3_PiS7_iN6hipcub16HIPCUB_304000_NS6detail34convert_binary_result_type_wrapperINS9_3SumENS9_22TransformInputIteratorIbN2at6native12_GLOBAL__N_19NonZeroOpIN3c104HalfEEEPKSJ_lEEiEEEE10hipError_tPvRmT1_T2_T3_mT4_P12ihipStream_tbEUlT_E1_NS1_11comp_targetILNS1_3genE0ELNS1_11target_archE4294967295ELNS1_3gpuE0ELNS1_3repE0EEENS1_30default_config_static_selectorELNS0_4arch9wavefront6targetE0EEEvSS_
	.p2align	8
	.type	_ZN7rocprim17ROCPRIM_400000_NS6detail17trampoline_kernelINS0_14default_configENS1_22reduce_config_selectorIiEEZNS1_11reduce_implILb1ES3_PiS7_iN6hipcub16HIPCUB_304000_NS6detail34convert_binary_result_type_wrapperINS9_3SumENS9_22TransformInputIteratorIbN2at6native12_GLOBAL__N_19NonZeroOpIN3c104HalfEEEPKSJ_lEEiEEEE10hipError_tPvRmT1_T2_T3_mT4_P12ihipStream_tbEUlT_E1_NS1_11comp_targetILNS1_3genE0ELNS1_11target_archE4294967295ELNS1_3gpuE0ELNS1_3repE0EEENS1_30default_config_static_selectorELNS0_4arch9wavefront6targetE0EEEvSS_,@function
_ZN7rocprim17ROCPRIM_400000_NS6detail17trampoline_kernelINS0_14default_configENS1_22reduce_config_selectorIiEEZNS1_11reduce_implILb1ES3_PiS7_iN6hipcub16HIPCUB_304000_NS6detail34convert_binary_result_type_wrapperINS9_3SumENS9_22TransformInputIteratorIbN2at6native12_GLOBAL__N_19NonZeroOpIN3c104HalfEEEPKSJ_lEEiEEEE10hipError_tPvRmT1_T2_T3_mT4_P12ihipStream_tbEUlT_E1_NS1_11comp_targetILNS1_3genE0ELNS1_11target_archE4294967295ELNS1_3gpuE0ELNS1_3repE0EEENS1_30default_config_static_selectorELNS0_4arch9wavefront6targetE0EEEvSS_: ; @_ZN7rocprim17ROCPRIM_400000_NS6detail17trampoline_kernelINS0_14default_configENS1_22reduce_config_selectorIiEEZNS1_11reduce_implILb1ES3_PiS7_iN6hipcub16HIPCUB_304000_NS6detail34convert_binary_result_type_wrapperINS9_3SumENS9_22TransformInputIteratorIbN2at6native12_GLOBAL__N_19NonZeroOpIN3c104HalfEEEPKSJ_lEEiEEEE10hipError_tPvRmT1_T2_T3_mT4_P12ihipStream_tbEUlT_E1_NS1_11comp_targetILNS1_3genE0ELNS1_11target_archE4294967295ELNS1_3gpuE0ELNS1_3repE0EEENS1_30default_config_static_selectorELNS0_4arch9wavefront6targetE0EEEvSS_
; %bb.0:
	.section	.rodata,"a",@progbits
	.p2align	6, 0x0
	.amdhsa_kernel _ZN7rocprim17ROCPRIM_400000_NS6detail17trampoline_kernelINS0_14default_configENS1_22reduce_config_selectorIiEEZNS1_11reduce_implILb1ES3_PiS7_iN6hipcub16HIPCUB_304000_NS6detail34convert_binary_result_type_wrapperINS9_3SumENS9_22TransformInputIteratorIbN2at6native12_GLOBAL__N_19NonZeroOpIN3c104HalfEEEPKSJ_lEEiEEEE10hipError_tPvRmT1_T2_T3_mT4_P12ihipStream_tbEUlT_E1_NS1_11comp_targetILNS1_3genE0ELNS1_11target_archE4294967295ELNS1_3gpuE0ELNS1_3repE0EEENS1_30default_config_static_selectorELNS0_4arch9wavefront6targetE0EEEvSS_
		.amdhsa_group_segment_fixed_size 0
		.amdhsa_private_segment_fixed_size 0
		.amdhsa_kernarg_size 40
		.amdhsa_user_sgpr_count 2
		.amdhsa_user_sgpr_dispatch_ptr 0
		.amdhsa_user_sgpr_queue_ptr 0
		.amdhsa_user_sgpr_kernarg_segment_ptr 1
		.amdhsa_user_sgpr_dispatch_id 0
		.amdhsa_user_sgpr_private_segment_size 0
		.amdhsa_wavefront_size32 1
		.amdhsa_uses_dynamic_stack 0
		.amdhsa_enable_private_segment 0
		.amdhsa_system_sgpr_workgroup_id_x 1
		.amdhsa_system_sgpr_workgroup_id_y 0
		.amdhsa_system_sgpr_workgroup_id_z 0
		.amdhsa_system_sgpr_workgroup_info 0
		.amdhsa_system_vgpr_workitem_id 0
		.amdhsa_next_free_vgpr 1
		.amdhsa_next_free_sgpr 1
		.amdhsa_reserve_vcc 0
		.amdhsa_float_round_mode_32 0
		.amdhsa_float_round_mode_16_64 0
		.amdhsa_float_denorm_mode_32 3
		.amdhsa_float_denorm_mode_16_64 3
		.amdhsa_fp16_overflow 0
		.amdhsa_workgroup_processor_mode 1
		.amdhsa_memory_ordered 1
		.amdhsa_forward_progress 1
		.amdhsa_inst_pref_size 0
		.amdhsa_round_robin_scheduling 0
		.amdhsa_exception_fp_ieee_invalid_op 0
		.amdhsa_exception_fp_denorm_src 0
		.amdhsa_exception_fp_ieee_div_zero 0
		.amdhsa_exception_fp_ieee_overflow 0
		.amdhsa_exception_fp_ieee_underflow 0
		.amdhsa_exception_fp_ieee_inexact 0
		.amdhsa_exception_int_div_zero 0
	.end_amdhsa_kernel
	.section	.text._ZN7rocprim17ROCPRIM_400000_NS6detail17trampoline_kernelINS0_14default_configENS1_22reduce_config_selectorIiEEZNS1_11reduce_implILb1ES3_PiS7_iN6hipcub16HIPCUB_304000_NS6detail34convert_binary_result_type_wrapperINS9_3SumENS9_22TransformInputIteratorIbN2at6native12_GLOBAL__N_19NonZeroOpIN3c104HalfEEEPKSJ_lEEiEEEE10hipError_tPvRmT1_T2_T3_mT4_P12ihipStream_tbEUlT_E1_NS1_11comp_targetILNS1_3genE0ELNS1_11target_archE4294967295ELNS1_3gpuE0ELNS1_3repE0EEENS1_30default_config_static_selectorELNS0_4arch9wavefront6targetE0EEEvSS_,"axG",@progbits,_ZN7rocprim17ROCPRIM_400000_NS6detail17trampoline_kernelINS0_14default_configENS1_22reduce_config_selectorIiEEZNS1_11reduce_implILb1ES3_PiS7_iN6hipcub16HIPCUB_304000_NS6detail34convert_binary_result_type_wrapperINS9_3SumENS9_22TransformInputIteratorIbN2at6native12_GLOBAL__N_19NonZeroOpIN3c104HalfEEEPKSJ_lEEiEEEE10hipError_tPvRmT1_T2_T3_mT4_P12ihipStream_tbEUlT_E1_NS1_11comp_targetILNS1_3genE0ELNS1_11target_archE4294967295ELNS1_3gpuE0ELNS1_3repE0EEENS1_30default_config_static_selectorELNS0_4arch9wavefront6targetE0EEEvSS_,comdat
.Lfunc_end839:
	.size	_ZN7rocprim17ROCPRIM_400000_NS6detail17trampoline_kernelINS0_14default_configENS1_22reduce_config_selectorIiEEZNS1_11reduce_implILb1ES3_PiS7_iN6hipcub16HIPCUB_304000_NS6detail34convert_binary_result_type_wrapperINS9_3SumENS9_22TransformInputIteratorIbN2at6native12_GLOBAL__N_19NonZeroOpIN3c104HalfEEEPKSJ_lEEiEEEE10hipError_tPvRmT1_T2_T3_mT4_P12ihipStream_tbEUlT_E1_NS1_11comp_targetILNS1_3genE0ELNS1_11target_archE4294967295ELNS1_3gpuE0ELNS1_3repE0EEENS1_30default_config_static_selectorELNS0_4arch9wavefront6targetE0EEEvSS_, .Lfunc_end839-_ZN7rocprim17ROCPRIM_400000_NS6detail17trampoline_kernelINS0_14default_configENS1_22reduce_config_selectorIiEEZNS1_11reduce_implILb1ES3_PiS7_iN6hipcub16HIPCUB_304000_NS6detail34convert_binary_result_type_wrapperINS9_3SumENS9_22TransformInputIteratorIbN2at6native12_GLOBAL__N_19NonZeroOpIN3c104HalfEEEPKSJ_lEEiEEEE10hipError_tPvRmT1_T2_T3_mT4_P12ihipStream_tbEUlT_E1_NS1_11comp_targetILNS1_3genE0ELNS1_11target_archE4294967295ELNS1_3gpuE0ELNS1_3repE0EEENS1_30default_config_static_selectorELNS0_4arch9wavefront6targetE0EEEvSS_
                                        ; -- End function
	.set _ZN7rocprim17ROCPRIM_400000_NS6detail17trampoline_kernelINS0_14default_configENS1_22reduce_config_selectorIiEEZNS1_11reduce_implILb1ES3_PiS7_iN6hipcub16HIPCUB_304000_NS6detail34convert_binary_result_type_wrapperINS9_3SumENS9_22TransformInputIteratorIbN2at6native12_GLOBAL__N_19NonZeroOpIN3c104HalfEEEPKSJ_lEEiEEEE10hipError_tPvRmT1_T2_T3_mT4_P12ihipStream_tbEUlT_E1_NS1_11comp_targetILNS1_3genE0ELNS1_11target_archE4294967295ELNS1_3gpuE0ELNS1_3repE0EEENS1_30default_config_static_selectorELNS0_4arch9wavefront6targetE0EEEvSS_.num_vgpr, 0
	.set _ZN7rocprim17ROCPRIM_400000_NS6detail17trampoline_kernelINS0_14default_configENS1_22reduce_config_selectorIiEEZNS1_11reduce_implILb1ES3_PiS7_iN6hipcub16HIPCUB_304000_NS6detail34convert_binary_result_type_wrapperINS9_3SumENS9_22TransformInputIteratorIbN2at6native12_GLOBAL__N_19NonZeroOpIN3c104HalfEEEPKSJ_lEEiEEEE10hipError_tPvRmT1_T2_T3_mT4_P12ihipStream_tbEUlT_E1_NS1_11comp_targetILNS1_3genE0ELNS1_11target_archE4294967295ELNS1_3gpuE0ELNS1_3repE0EEENS1_30default_config_static_selectorELNS0_4arch9wavefront6targetE0EEEvSS_.num_agpr, 0
	.set _ZN7rocprim17ROCPRIM_400000_NS6detail17trampoline_kernelINS0_14default_configENS1_22reduce_config_selectorIiEEZNS1_11reduce_implILb1ES3_PiS7_iN6hipcub16HIPCUB_304000_NS6detail34convert_binary_result_type_wrapperINS9_3SumENS9_22TransformInputIteratorIbN2at6native12_GLOBAL__N_19NonZeroOpIN3c104HalfEEEPKSJ_lEEiEEEE10hipError_tPvRmT1_T2_T3_mT4_P12ihipStream_tbEUlT_E1_NS1_11comp_targetILNS1_3genE0ELNS1_11target_archE4294967295ELNS1_3gpuE0ELNS1_3repE0EEENS1_30default_config_static_selectorELNS0_4arch9wavefront6targetE0EEEvSS_.numbered_sgpr, 0
	.set _ZN7rocprim17ROCPRIM_400000_NS6detail17trampoline_kernelINS0_14default_configENS1_22reduce_config_selectorIiEEZNS1_11reduce_implILb1ES3_PiS7_iN6hipcub16HIPCUB_304000_NS6detail34convert_binary_result_type_wrapperINS9_3SumENS9_22TransformInputIteratorIbN2at6native12_GLOBAL__N_19NonZeroOpIN3c104HalfEEEPKSJ_lEEiEEEE10hipError_tPvRmT1_T2_T3_mT4_P12ihipStream_tbEUlT_E1_NS1_11comp_targetILNS1_3genE0ELNS1_11target_archE4294967295ELNS1_3gpuE0ELNS1_3repE0EEENS1_30default_config_static_selectorELNS0_4arch9wavefront6targetE0EEEvSS_.num_named_barrier, 0
	.set _ZN7rocprim17ROCPRIM_400000_NS6detail17trampoline_kernelINS0_14default_configENS1_22reduce_config_selectorIiEEZNS1_11reduce_implILb1ES3_PiS7_iN6hipcub16HIPCUB_304000_NS6detail34convert_binary_result_type_wrapperINS9_3SumENS9_22TransformInputIteratorIbN2at6native12_GLOBAL__N_19NonZeroOpIN3c104HalfEEEPKSJ_lEEiEEEE10hipError_tPvRmT1_T2_T3_mT4_P12ihipStream_tbEUlT_E1_NS1_11comp_targetILNS1_3genE0ELNS1_11target_archE4294967295ELNS1_3gpuE0ELNS1_3repE0EEENS1_30default_config_static_selectorELNS0_4arch9wavefront6targetE0EEEvSS_.private_seg_size, 0
	.set _ZN7rocprim17ROCPRIM_400000_NS6detail17trampoline_kernelINS0_14default_configENS1_22reduce_config_selectorIiEEZNS1_11reduce_implILb1ES3_PiS7_iN6hipcub16HIPCUB_304000_NS6detail34convert_binary_result_type_wrapperINS9_3SumENS9_22TransformInputIteratorIbN2at6native12_GLOBAL__N_19NonZeroOpIN3c104HalfEEEPKSJ_lEEiEEEE10hipError_tPvRmT1_T2_T3_mT4_P12ihipStream_tbEUlT_E1_NS1_11comp_targetILNS1_3genE0ELNS1_11target_archE4294967295ELNS1_3gpuE0ELNS1_3repE0EEENS1_30default_config_static_selectorELNS0_4arch9wavefront6targetE0EEEvSS_.uses_vcc, 0
	.set _ZN7rocprim17ROCPRIM_400000_NS6detail17trampoline_kernelINS0_14default_configENS1_22reduce_config_selectorIiEEZNS1_11reduce_implILb1ES3_PiS7_iN6hipcub16HIPCUB_304000_NS6detail34convert_binary_result_type_wrapperINS9_3SumENS9_22TransformInputIteratorIbN2at6native12_GLOBAL__N_19NonZeroOpIN3c104HalfEEEPKSJ_lEEiEEEE10hipError_tPvRmT1_T2_T3_mT4_P12ihipStream_tbEUlT_E1_NS1_11comp_targetILNS1_3genE0ELNS1_11target_archE4294967295ELNS1_3gpuE0ELNS1_3repE0EEENS1_30default_config_static_selectorELNS0_4arch9wavefront6targetE0EEEvSS_.uses_flat_scratch, 0
	.set _ZN7rocprim17ROCPRIM_400000_NS6detail17trampoline_kernelINS0_14default_configENS1_22reduce_config_selectorIiEEZNS1_11reduce_implILb1ES3_PiS7_iN6hipcub16HIPCUB_304000_NS6detail34convert_binary_result_type_wrapperINS9_3SumENS9_22TransformInputIteratorIbN2at6native12_GLOBAL__N_19NonZeroOpIN3c104HalfEEEPKSJ_lEEiEEEE10hipError_tPvRmT1_T2_T3_mT4_P12ihipStream_tbEUlT_E1_NS1_11comp_targetILNS1_3genE0ELNS1_11target_archE4294967295ELNS1_3gpuE0ELNS1_3repE0EEENS1_30default_config_static_selectorELNS0_4arch9wavefront6targetE0EEEvSS_.has_dyn_sized_stack, 0
	.set _ZN7rocprim17ROCPRIM_400000_NS6detail17trampoline_kernelINS0_14default_configENS1_22reduce_config_selectorIiEEZNS1_11reduce_implILb1ES3_PiS7_iN6hipcub16HIPCUB_304000_NS6detail34convert_binary_result_type_wrapperINS9_3SumENS9_22TransformInputIteratorIbN2at6native12_GLOBAL__N_19NonZeroOpIN3c104HalfEEEPKSJ_lEEiEEEE10hipError_tPvRmT1_T2_T3_mT4_P12ihipStream_tbEUlT_E1_NS1_11comp_targetILNS1_3genE0ELNS1_11target_archE4294967295ELNS1_3gpuE0ELNS1_3repE0EEENS1_30default_config_static_selectorELNS0_4arch9wavefront6targetE0EEEvSS_.has_recursion, 0
	.set _ZN7rocprim17ROCPRIM_400000_NS6detail17trampoline_kernelINS0_14default_configENS1_22reduce_config_selectorIiEEZNS1_11reduce_implILb1ES3_PiS7_iN6hipcub16HIPCUB_304000_NS6detail34convert_binary_result_type_wrapperINS9_3SumENS9_22TransformInputIteratorIbN2at6native12_GLOBAL__N_19NonZeroOpIN3c104HalfEEEPKSJ_lEEiEEEE10hipError_tPvRmT1_T2_T3_mT4_P12ihipStream_tbEUlT_E1_NS1_11comp_targetILNS1_3genE0ELNS1_11target_archE4294967295ELNS1_3gpuE0ELNS1_3repE0EEENS1_30default_config_static_selectorELNS0_4arch9wavefront6targetE0EEEvSS_.has_indirect_call, 0
	.section	.AMDGPU.csdata,"",@progbits
; Kernel info:
; codeLenInByte = 0
; TotalNumSgprs: 0
; NumVgprs: 0
; ScratchSize: 0
; MemoryBound: 0
; FloatMode: 240
; IeeeMode: 1
; LDSByteSize: 0 bytes/workgroup (compile time only)
; SGPRBlocks: 0
; VGPRBlocks: 0
; NumSGPRsForWavesPerEU: 1
; NumVGPRsForWavesPerEU: 1
; Occupancy: 16
; WaveLimiterHint : 0
; COMPUTE_PGM_RSRC2:SCRATCH_EN: 0
; COMPUTE_PGM_RSRC2:USER_SGPR: 2
; COMPUTE_PGM_RSRC2:TRAP_HANDLER: 0
; COMPUTE_PGM_RSRC2:TGID_X_EN: 1
; COMPUTE_PGM_RSRC2:TGID_Y_EN: 0
; COMPUTE_PGM_RSRC2:TGID_Z_EN: 0
; COMPUTE_PGM_RSRC2:TIDIG_COMP_CNT: 0
	.section	.text._ZN7rocprim17ROCPRIM_400000_NS6detail17trampoline_kernelINS0_14default_configENS1_22reduce_config_selectorIiEEZNS1_11reduce_implILb1ES3_PiS7_iN6hipcub16HIPCUB_304000_NS6detail34convert_binary_result_type_wrapperINS9_3SumENS9_22TransformInputIteratorIbN2at6native12_GLOBAL__N_19NonZeroOpIN3c104HalfEEEPKSJ_lEEiEEEE10hipError_tPvRmT1_T2_T3_mT4_P12ihipStream_tbEUlT_E1_NS1_11comp_targetILNS1_3genE5ELNS1_11target_archE942ELNS1_3gpuE9ELNS1_3repE0EEENS1_30default_config_static_selectorELNS0_4arch9wavefront6targetE0EEEvSS_,"axG",@progbits,_ZN7rocprim17ROCPRIM_400000_NS6detail17trampoline_kernelINS0_14default_configENS1_22reduce_config_selectorIiEEZNS1_11reduce_implILb1ES3_PiS7_iN6hipcub16HIPCUB_304000_NS6detail34convert_binary_result_type_wrapperINS9_3SumENS9_22TransformInputIteratorIbN2at6native12_GLOBAL__N_19NonZeroOpIN3c104HalfEEEPKSJ_lEEiEEEE10hipError_tPvRmT1_T2_T3_mT4_P12ihipStream_tbEUlT_E1_NS1_11comp_targetILNS1_3genE5ELNS1_11target_archE942ELNS1_3gpuE9ELNS1_3repE0EEENS1_30default_config_static_selectorELNS0_4arch9wavefront6targetE0EEEvSS_,comdat
	.globl	_ZN7rocprim17ROCPRIM_400000_NS6detail17trampoline_kernelINS0_14default_configENS1_22reduce_config_selectorIiEEZNS1_11reduce_implILb1ES3_PiS7_iN6hipcub16HIPCUB_304000_NS6detail34convert_binary_result_type_wrapperINS9_3SumENS9_22TransformInputIteratorIbN2at6native12_GLOBAL__N_19NonZeroOpIN3c104HalfEEEPKSJ_lEEiEEEE10hipError_tPvRmT1_T2_T3_mT4_P12ihipStream_tbEUlT_E1_NS1_11comp_targetILNS1_3genE5ELNS1_11target_archE942ELNS1_3gpuE9ELNS1_3repE0EEENS1_30default_config_static_selectorELNS0_4arch9wavefront6targetE0EEEvSS_ ; -- Begin function _ZN7rocprim17ROCPRIM_400000_NS6detail17trampoline_kernelINS0_14default_configENS1_22reduce_config_selectorIiEEZNS1_11reduce_implILb1ES3_PiS7_iN6hipcub16HIPCUB_304000_NS6detail34convert_binary_result_type_wrapperINS9_3SumENS9_22TransformInputIteratorIbN2at6native12_GLOBAL__N_19NonZeroOpIN3c104HalfEEEPKSJ_lEEiEEEE10hipError_tPvRmT1_T2_T3_mT4_P12ihipStream_tbEUlT_E1_NS1_11comp_targetILNS1_3genE5ELNS1_11target_archE942ELNS1_3gpuE9ELNS1_3repE0EEENS1_30default_config_static_selectorELNS0_4arch9wavefront6targetE0EEEvSS_
	.p2align	8
	.type	_ZN7rocprim17ROCPRIM_400000_NS6detail17trampoline_kernelINS0_14default_configENS1_22reduce_config_selectorIiEEZNS1_11reduce_implILb1ES3_PiS7_iN6hipcub16HIPCUB_304000_NS6detail34convert_binary_result_type_wrapperINS9_3SumENS9_22TransformInputIteratorIbN2at6native12_GLOBAL__N_19NonZeroOpIN3c104HalfEEEPKSJ_lEEiEEEE10hipError_tPvRmT1_T2_T3_mT4_P12ihipStream_tbEUlT_E1_NS1_11comp_targetILNS1_3genE5ELNS1_11target_archE942ELNS1_3gpuE9ELNS1_3repE0EEENS1_30default_config_static_selectorELNS0_4arch9wavefront6targetE0EEEvSS_,@function
_ZN7rocprim17ROCPRIM_400000_NS6detail17trampoline_kernelINS0_14default_configENS1_22reduce_config_selectorIiEEZNS1_11reduce_implILb1ES3_PiS7_iN6hipcub16HIPCUB_304000_NS6detail34convert_binary_result_type_wrapperINS9_3SumENS9_22TransformInputIteratorIbN2at6native12_GLOBAL__N_19NonZeroOpIN3c104HalfEEEPKSJ_lEEiEEEE10hipError_tPvRmT1_T2_T3_mT4_P12ihipStream_tbEUlT_E1_NS1_11comp_targetILNS1_3genE5ELNS1_11target_archE942ELNS1_3gpuE9ELNS1_3repE0EEENS1_30default_config_static_selectorELNS0_4arch9wavefront6targetE0EEEvSS_: ; @_ZN7rocprim17ROCPRIM_400000_NS6detail17trampoline_kernelINS0_14default_configENS1_22reduce_config_selectorIiEEZNS1_11reduce_implILb1ES3_PiS7_iN6hipcub16HIPCUB_304000_NS6detail34convert_binary_result_type_wrapperINS9_3SumENS9_22TransformInputIteratorIbN2at6native12_GLOBAL__N_19NonZeroOpIN3c104HalfEEEPKSJ_lEEiEEEE10hipError_tPvRmT1_T2_T3_mT4_P12ihipStream_tbEUlT_E1_NS1_11comp_targetILNS1_3genE5ELNS1_11target_archE942ELNS1_3gpuE9ELNS1_3repE0EEENS1_30default_config_static_selectorELNS0_4arch9wavefront6targetE0EEEvSS_
; %bb.0:
	.section	.rodata,"a",@progbits
	.p2align	6, 0x0
	.amdhsa_kernel _ZN7rocprim17ROCPRIM_400000_NS6detail17trampoline_kernelINS0_14default_configENS1_22reduce_config_selectorIiEEZNS1_11reduce_implILb1ES3_PiS7_iN6hipcub16HIPCUB_304000_NS6detail34convert_binary_result_type_wrapperINS9_3SumENS9_22TransformInputIteratorIbN2at6native12_GLOBAL__N_19NonZeroOpIN3c104HalfEEEPKSJ_lEEiEEEE10hipError_tPvRmT1_T2_T3_mT4_P12ihipStream_tbEUlT_E1_NS1_11comp_targetILNS1_3genE5ELNS1_11target_archE942ELNS1_3gpuE9ELNS1_3repE0EEENS1_30default_config_static_selectorELNS0_4arch9wavefront6targetE0EEEvSS_
		.amdhsa_group_segment_fixed_size 0
		.amdhsa_private_segment_fixed_size 0
		.amdhsa_kernarg_size 40
		.amdhsa_user_sgpr_count 2
		.amdhsa_user_sgpr_dispatch_ptr 0
		.amdhsa_user_sgpr_queue_ptr 0
		.amdhsa_user_sgpr_kernarg_segment_ptr 1
		.amdhsa_user_sgpr_dispatch_id 0
		.amdhsa_user_sgpr_private_segment_size 0
		.amdhsa_wavefront_size32 1
		.amdhsa_uses_dynamic_stack 0
		.amdhsa_enable_private_segment 0
		.amdhsa_system_sgpr_workgroup_id_x 1
		.amdhsa_system_sgpr_workgroup_id_y 0
		.amdhsa_system_sgpr_workgroup_id_z 0
		.amdhsa_system_sgpr_workgroup_info 0
		.amdhsa_system_vgpr_workitem_id 0
		.amdhsa_next_free_vgpr 1
		.amdhsa_next_free_sgpr 1
		.amdhsa_reserve_vcc 0
		.amdhsa_float_round_mode_32 0
		.amdhsa_float_round_mode_16_64 0
		.amdhsa_float_denorm_mode_32 3
		.amdhsa_float_denorm_mode_16_64 3
		.amdhsa_fp16_overflow 0
		.amdhsa_workgroup_processor_mode 1
		.amdhsa_memory_ordered 1
		.amdhsa_forward_progress 1
		.amdhsa_inst_pref_size 0
		.amdhsa_round_robin_scheduling 0
		.amdhsa_exception_fp_ieee_invalid_op 0
		.amdhsa_exception_fp_denorm_src 0
		.amdhsa_exception_fp_ieee_div_zero 0
		.amdhsa_exception_fp_ieee_overflow 0
		.amdhsa_exception_fp_ieee_underflow 0
		.amdhsa_exception_fp_ieee_inexact 0
		.amdhsa_exception_int_div_zero 0
	.end_amdhsa_kernel
	.section	.text._ZN7rocprim17ROCPRIM_400000_NS6detail17trampoline_kernelINS0_14default_configENS1_22reduce_config_selectorIiEEZNS1_11reduce_implILb1ES3_PiS7_iN6hipcub16HIPCUB_304000_NS6detail34convert_binary_result_type_wrapperINS9_3SumENS9_22TransformInputIteratorIbN2at6native12_GLOBAL__N_19NonZeroOpIN3c104HalfEEEPKSJ_lEEiEEEE10hipError_tPvRmT1_T2_T3_mT4_P12ihipStream_tbEUlT_E1_NS1_11comp_targetILNS1_3genE5ELNS1_11target_archE942ELNS1_3gpuE9ELNS1_3repE0EEENS1_30default_config_static_selectorELNS0_4arch9wavefront6targetE0EEEvSS_,"axG",@progbits,_ZN7rocprim17ROCPRIM_400000_NS6detail17trampoline_kernelINS0_14default_configENS1_22reduce_config_selectorIiEEZNS1_11reduce_implILb1ES3_PiS7_iN6hipcub16HIPCUB_304000_NS6detail34convert_binary_result_type_wrapperINS9_3SumENS9_22TransformInputIteratorIbN2at6native12_GLOBAL__N_19NonZeroOpIN3c104HalfEEEPKSJ_lEEiEEEE10hipError_tPvRmT1_T2_T3_mT4_P12ihipStream_tbEUlT_E1_NS1_11comp_targetILNS1_3genE5ELNS1_11target_archE942ELNS1_3gpuE9ELNS1_3repE0EEENS1_30default_config_static_selectorELNS0_4arch9wavefront6targetE0EEEvSS_,comdat
.Lfunc_end840:
	.size	_ZN7rocprim17ROCPRIM_400000_NS6detail17trampoline_kernelINS0_14default_configENS1_22reduce_config_selectorIiEEZNS1_11reduce_implILb1ES3_PiS7_iN6hipcub16HIPCUB_304000_NS6detail34convert_binary_result_type_wrapperINS9_3SumENS9_22TransformInputIteratorIbN2at6native12_GLOBAL__N_19NonZeroOpIN3c104HalfEEEPKSJ_lEEiEEEE10hipError_tPvRmT1_T2_T3_mT4_P12ihipStream_tbEUlT_E1_NS1_11comp_targetILNS1_3genE5ELNS1_11target_archE942ELNS1_3gpuE9ELNS1_3repE0EEENS1_30default_config_static_selectorELNS0_4arch9wavefront6targetE0EEEvSS_, .Lfunc_end840-_ZN7rocprim17ROCPRIM_400000_NS6detail17trampoline_kernelINS0_14default_configENS1_22reduce_config_selectorIiEEZNS1_11reduce_implILb1ES3_PiS7_iN6hipcub16HIPCUB_304000_NS6detail34convert_binary_result_type_wrapperINS9_3SumENS9_22TransformInputIteratorIbN2at6native12_GLOBAL__N_19NonZeroOpIN3c104HalfEEEPKSJ_lEEiEEEE10hipError_tPvRmT1_T2_T3_mT4_P12ihipStream_tbEUlT_E1_NS1_11comp_targetILNS1_3genE5ELNS1_11target_archE942ELNS1_3gpuE9ELNS1_3repE0EEENS1_30default_config_static_selectorELNS0_4arch9wavefront6targetE0EEEvSS_
                                        ; -- End function
	.set _ZN7rocprim17ROCPRIM_400000_NS6detail17trampoline_kernelINS0_14default_configENS1_22reduce_config_selectorIiEEZNS1_11reduce_implILb1ES3_PiS7_iN6hipcub16HIPCUB_304000_NS6detail34convert_binary_result_type_wrapperINS9_3SumENS9_22TransformInputIteratorIbN2at6native12_GLOBAL__N_19NonZeroOpIN3c104HalfEEEPKSJ_lEEiEEEE10hipError_tPvRmT1_T2_T3_mT4_P12ihipStream_tbEUlT_E1_NS1_11comp_targetILNS1_3genE5ELNS1_11target_archE942ELNS1_3gpuE9ELNS1_3repE0EEENS1_30default_config_static_selectorELNS0_4arch9wavefront6targetE0EEEvSS_.num_vgpr, 0
	.set _ZN7rocprim17ROCPRIM_400000_NS6detail17trampoline_kernelINS0_14default_configENS1_22reduce_config_selectorIiEEZNS1_11reduce_implILb1ES3_PiS7_iN6hipcub16HIPCUB_304000_NS6detail34convert_binary_result_type_wrapperINS9_3SumENS9_22TransformInputIteratorIbN2at6native12_GLOBAL__N_19NonZeroOpIN3c104HalfEEEPKSJ_lEEiEEEE10hipError_tPvRmT1_T2_T3_mT4_P12ihipStream_tbEUlT_E1_NS1_11comp_targetILNS1_3genE5ELNS1_11target_archE942ELNS1_3gpuE9ELNS1_3repE0EEENS1_30default_config_static_selectorELNS0_4arch9wavefront6targetE0EEEvSS_.num_agpr, 0
	.set _ZN7rocprim17ROCPRIM_400000_NS6detail17trampoline_kernelINS0_14default_configENS1_22reduce_config_selectorIiEEZNS1_11reduce_implILb1ES3_PiS7_iN6hipcub16HIPCUB_304000_NS6detail34convert_binary_result_type_wrapperINS9_3SumENS9_22TransformInputIteratorIbN2at6native12_GLOBAL__N_19NonZeroOpIN3c104HalfEEEPKSJ_lEEiEEEE10hipError_tPvRmT1_T2_T3_mT4_P12ihipStream_tbEUlT_E1_NS1_11comp_targetILNS1_3genE5ELNS1_11target_archE942ELNS1_3gpuE9ELNS1_3repE0EEENS1_30default_config_static_selectorELNS0_4arch9wavefront6targetE0EEEvSS_.numbered_sgpr, 0
	.set _ZN7rocprim17ROCPRIM_400000_NS6detail17trampoline_kernelINS0_14default_configENS1_22reduce_config_selectorIiEEZNS1_11reduce_implILb1ES3_PiS7_iN6hipcub16HIPCUB_304000_NS6detail34convert_binary_result_type_wrapperINS9_3SumENS9_22TransformInputIteratorIbN2at6native12_GLOBAL__N_19NonZeroOpIN3c104HalfEEEPKSJ_lEEiEEEE10hipError_tPvRmT1_T2_T3_mT4_P12ihipStream_tbEUlT_E1_NS1_11comp_targetILNS1_3genE5ELNS1_11target_archE942ELNS1_3gpuE9ELNS1_3repE0EEENS1_30default_config_static_selectorELNS0_4arch9wavefront6targetE0EEEvSS_.num_named_barrier, 0
	.set _ZN7rocprim17ROCPRIM_400000_NS6detail17trampoline_kernelINS0_14default_configENS1_22reduce_config_selectorIiEEZNS1_11reduce_implILb1ES3_PiS7_iN6hipcub16HIPCUB_304000_NS6detail34convert_binary_result_type_wrapperINS9_3SumENS9_22TransformInputIteratorIbN2at6native12_GLOBAL__N_19NonZeroOpIN3c104HalfEEEPKSJ_lEEiEEEE10hipError_tPvRmT1_T2_T3_mT4_P12ihipStream_tbEUlT_E1_NS1_11comp_targetILNS1_3genE5ELNS1_11target_archE942ELNS1_3gpuE9ELNS1_3repE0EEENS1_30default_config_static_selectorELNS0_4arch9wavefront6targetE0EEEvSS_.private_seg_size, 0
	.set _ZN7rocprim17ROCPRIM_400000_NS6detail17trampoline_kernelINS0_14default_configENS1_22reduce_config_selectorIiEEZNS1_11reduce_implILb1ES3_PiS7_iN6hipcub16HIPCUB_304000_NS6detail34convert_binary_result_type_wrapperINS9_3SumENS9_22TransformInputIteratorIbN2at6native12_GLOBAL__N_19NonZeroOpIN3c104HalfEEEPKSJ_lEEiEEEE10hipError_tPvRmT1_T2_T3_mT4_P12ihipStream_tbEUlT_E1_NS1_11comp_targetILNS1_3genE5ELNS1_11target_archE942ELNS1_3gpuE9ELNS1_3repE0EEENS1_30default_config_static_selectorELNS0_4arch9wavefront6targetE0EEEvSS_.uses_vcc, 0
	.set _ZN7rocprim17ROCPRIM_400000_NS6detail17trampoline_kernelINS0_14default_configENS1_22reduce_config_selectorIiEEZNS1_11reduce_implILb1ES3_PiS7_iN6hipcub16HIPCUB_304000_NS6detail34convert_binary_result_type_wrapperINS9_3SumENS9_22TransformInputIteratorIbN2at6native12_GLOBAL__N_19NonZeroOpIN3c104HalfEEEPKSJ_lEEiEEEE10hipError_tPvRmT1_T2_T3_mT4_P12ihipStream_tbEUlT_E1_NS1_11comp_targetILNS1_3genE5ELNS1_11target_archE942ELNS1_3gpuE9ELNS1_3repE0EEENS1_30default_config_static_selectorELNS0_4arch9wavefront6targetE0EEEvSS_.uses_flat_scratch, 0
	.set _ZN7rocprim17ROCPRIM_400000_NS6detail17trampoline_kernelINS0_14default_configENS1_22reduce_config_selectorIiEEZNS1_11reduce_implILb1ES3_PiS7_iN6hipcub16HIPCUB_304000_NS6detail34convert_binary_result_type_wrapperINS9_3SumENS9_22TransformInputIteratorIbN2at6native12_GLOBAL__N_19NonZeroOpIN3c104HalfEEEPKSJ_lEEiEEEE10hipError_tPvRmT1_T2_T3_mT4_P12ihipStream_tbEUlT_E1_NS1_11comp_targetILNS1_3genE5ELNS1_11target_archE942ELNS1_3gpuE9ELNS1_3repE0EEENS1_30default_config_static_selectorELNS0_4arch9wavefront6targetE0EEEvSS_.has_dyn_sized_stack, 0
	.set _ZN7rocprim17ROCPRIM_400000_NS6detail17trampoline_kernelINS0_14default_configENS1_22reduce_config_selectorIiEEZNS1_11reduce_implILb1ES3_PiS7_iN6hipcub16HIPCUB_304000_NS6detail34convert_binary_result_type_wrapperINS9_3SumENS9_22TransformInputIteratorIbN2at6native12_GLOBAL__N_19NonZeroOpIN3c104HalfEEEPKSJ_lEEiEEEE10hipError_tPvRmT1_T2_T3_mT4_P12ihipStream_tbEUlT_E1_NS1_11comp_targetILNS1_3genE5ELNS1_11target_archE942ELNS1_3gpuE9ELNS1_3repE0EEENS1_30default_config_static_selectorELNS0_4arch9wavefront6targetE0EEEvSS_.has_recursion, 0
	.set _ZN7rocprim17ROCPRIM_400000_NS6detail17trampoline_kernelINS0_14default_configENS1_22reduce_config_selectorIiEEZNS1_11reduce_implILb1ES3_PiS7_iN6hipcub16HIPCUB_304000_NS6detail34convert_binary_result_type_wrapperINS9_3SumENS9_22TransformInputIteratorIbN2at6native12_GLOBAL__N_19NonZeroOpIN3c104HalfEEEPKSJ_lEEiEEEE10hipError_tPvRmT1_T2_T3_mT4_P12ihipStream_tbEUlT_E1_NS1_11comp_targetILNS1_3genE5ELNS1_11target_archE942ELNS1_3gpuE9ELNS1_3repE0EEENS1_30default_config_static_selectorELNS0_4arch9wavefront6targetE0EEEvSS_.has_indirect_call, 0
	.section	.AMDGPU.csdata,"",@progbits
; Kernel info:
; codeLenInByte = 0
; TotalNumSgprs: 0
; NumVgprs: 0
; ScratchSize: 0
; MemoryBound: 0
; FloatMode: 240
; IeeeMode: 1
; LDSByteSize: 0 bytes/workgroup (compile time only)
; SGPRBlocks: 0
; VGPRBlocks: 0
; NumSGPRsForWavesPerEU: 1
; NumVGPRsForWavesPerEU: 1
; Occupancy: 16
; WaveLimiterHint : 0
; COMPUTE_PGM_RSRC2:SCRATCH_EN: 0
; COMPUTE_PGM_RSRC2:USER_SGPR: 2
; COMPUTE_PGM_RSRC2:TRAP_HANDLER: 0
; COMPUTE_PGM_RSRC2:TGID_X_EN: 1
; COMPUTE_PGM_RSRC2:TGID_Y_EN: 0
; COMPUTE_PGM_RSRC2:TGID_Z_EN: 0
; COMPUTE_PGM_RSRC2:TIDIG_COMP_CNT: 0
	.section	.text._ZN7rocprim17ROCPRIM_400000_NS6detail17trampoline_kernelINS0_14default_configENS1_22reduce_config_selectorIiEEZNS1_11reduce_implILb1ES3_PiS7_iN6hipcub16HIPCUB_304000_NS6detail34convert_binary_result_type_wrapperINS9_3SumENS9_22TransformInputIteratorIbN2at6native12_GLOBAL__N_19NonZeroOpIN3c104HalfEEEPKSJ_lEEiEEEE10hipError_tPvRmT1_T2_T3_mT4_P12ihipStream_tbEUlT_E1_NS1_11comp_targetILNS1_3genE4ELNS1_11target_archE910ELNS1_3gpuE8ELNS1_3repE0EEENS1_30default_config_static_selectorELNS0_4arch9wavefront6targetE0EEEvSS_,"axG",@progbits,_ZN7rocprim17ROCPRIM_400000_NS6detail17trampoline_kernelINS0_14default_configENS1_22reduce_config_selectorIiEEZNS1_11reduce_implILb1ES3_PiS7_iN6hipcub16HIPCUB_304000_NS6detail34convert_binary_result_type_wrapperINS9_3SumENS9_22TransformInputIteratorIbN2at6native12_GLOBAL__N_19NonZeroOpIN3c104HalfEEEPKSJ_lEEiEEEE10hipError_tPvRmT1_T2_T3_mT4_P12ihipStream_tbEUlT_E1_NS1_11comp_targetILNS1_3genE4ELNS1_11target_archE910ELNS1_3gpuE8ELNS1_3repE0EEENS1_30default_config_static_selectorELNS0_4arch9wavefront6targetE0EEEvSS_,comdat
	.globl	_ZN7rocprim17ROCPRIM_400000_NS6detail17trampoline_kernelINS0_14default_configENS1_22reduce_config_selectorIiEEZNS1_11reduce_implILb1ES3_PiS7_iN6hipcub16HIPCUB_304000_NS6detail34convert_binary_result_type_wrapperINS9_3SumENS9_22TransformInputIteratorIbN2at6native12_GLOBAL__N_19NonZeroOpIN3c104HalfEEEPKSJ_lEEiEEEE10hipError_tPvRmT1_T2_T3_mT4_P12ihipStream_tbEUlT_E1_NS1_11comp_targetILNS1_3genE4ELNS1_11target_archE910ELNS1_3gpuE8ELNS1_3repE0EEENS1_30default_config_static_selectorELNS0_4arch9wavefront6targetE0EEEvSS_ ; -- Begin function _ZN7rocprim17ROCPRIM_400000_NS6detail17trampoline_kernelINS0_14default_configENS1_22reduce_config_selectorIiEEZNS1_11reduce_implILb1ES3_PiS7_iN6hipcub16HIPCUB_304000_NS6detail34convert_binary_result_type_wrapperINS9_3SumENS9_22TransformInputIteratorIbN2at6native12_GLOBAL__N_19NonZeroOpIN3c104HalfEEEPKSJ_lEEiEEEE10hipError_tPvRmT1_T2_T3_mT4_P12ihipStream_tbEUlT_E1_NS1_11comp_targetILNS1_3genE4ELNS1_11target_archE910ELNS1_3gpuE8ELNS1_3repE0EEENS1_30default_config_static_selectorELNS0_4arch9wavefront6targetE0EEEvSS_
	.p2align	8
	.type	_ZN7rocprim17ROCPRIM_400000_NS6detail17trampoline_kernelINS0_14default_configENS1_22reduce_config_selectorIiEEZNS1_11reduce_implILb1ES3_PiS7_iN6hipcub16HIPCUB_304000_NS6detail34convert_binary_result_type_wrapperINS9_3SumENS9_22TransformInputIteratorIbN2at6native12_GLOBAL__N_19NonZeroOpIN3c104HalfEEEPKSJ_lEEiEEEE10hipError_tPvRmT1_T2_T3_mT4_P12ihipStream_tbEUlT_E1_NS1_11comp_targetILNS1_3genE4ELNS1_11target_archE910ELNS1_3gpuE8ELNS1_3repE0EEENS1_30default_config_static_selectorELNS0_4arch9wavefront6targetE0EEEvSS_,@function
_ZN7rocprim17ROCPRIM_400000_NS6detail17trampoline_kernelINS0_14default_configENS1_22reduce_config_selectorIiEEZNS1_11reduce_implILb1ES3_PiS7_iN6hipcub16HIPCUB_304000_NS6detail34convert_binary_result_type_wrapperINS9_3SumENS9_22TransformInputIteratorIbN2at6native12_GLOBAL__N_19NonZeroOpIN3c104HalfEEEPKSJ_lEEiEEEE10hipError_tPvRmT1_T2_T3_mT4_P12ihipStream_tbEUlT_E1_NS1_11comp_targetILNS1_3genE4ELNS1_11target_archE910ELNS1_3gpuE8ELNS1_3repE0EEENS1_30default_config_static_selectorELNS0_4arch9wavefront6targetE0EEEvSS_: ; @_ZN7rocprim17ROCPRIM_400000_NS6detail17trampoline_kernelINS0_14default_configENS1_22reduce_config_selectorIiEEZNS1_11reduce_implILb1ES3_PiS7_iN6hipcub16HIPCUB_304000_NS6detail34convert_binary_result_type_wrapperINS9_3SumENS9_22TransformInputIteratorIbN2at6native12_GLOBAL__N_19NonZeroOpIN3c104HalfEEEPKSJ_lEEiEEEE10hipError_tPvRmT1_T2_T3_mT4_P12ihipStream_tbEUlT_E1_NS1_11comp_targetILNS1_3genE4ELNS1_11target_archE910ELNS1_3gpuE8ELNS1_3repE0EEENS1_30default_config_static_selectorELNS0_4arch9wavefront6targetE0EEEvSS_
; %bb.0:
	.section	.rodata,"a",@progbits
	.p2align	6, 0x0
	.amdhsa_kernel _ZN7rocprim17ROCPRIM_400000_NS6detail17trampoline_kernelINS0_14default_configENS1_22reduce_config_selectorIiEEZNS1_11reduce_implILb1ES3_PiS7_iN6hipcub16HIPCUB_304000_NS6detail34convert_binary_result_type_wrapperINS9_3SumENS9_22TransformInputIteratorIbN2at6native12_GLOBAL__N_19NonZeroOpIN3c104HalfEEEPKSJ_lEEiEEEE10hipError_tPvRmT1_T2_T3_mT4_P12ihipStream_tbEUlT_E1_NS1_11comp_targetILNS1_3genE4ELNS1_11target_archE910ELNS1_3gpuE8ELNS1_3repE0EEENS1_30default_config_static_selectorELNS0_4arch9wavefront6targetE0EEEvSS_
		.amdhsa_group_segment_fixed_size 0
		.amdhsa_private_segment_fixed_size 0
		.amdhsa_kernarg_size 40
		.amdhsa_user_sgpr_count 2
		.amdhsa_user_sgpr_dispatch_ptr 0
		.amdhsa_user_sgpr_queue_ptr 0
		.amdhsa_user_sgpr_kernarg_segment_ptr 1
		.amdhsa_user_sgpr_dispatch_id 0
		.amdhsa_user_sgpr_private_segment_size 0
		.amdhsa_wavefront_size32 1
		.amdhsa_uses_dynamic_stack 0
		.amdhsa_enable_private_segment 0
		.amdhsa_system_sgpr_workgroup_id_x 1
		.amdhsa_system_sgpr_workgroup_id_y 0
		.amdhsa_system_sgpr_workgroup_id_z 0
		.amdhsa_system_sgpr_workgroup_info 0
		.amdhsa_system_vgpr_workitem_id 0
		.amdhsa_next_free_vgpr 1
		.amdhsa_next_free_sgpr 1
		.amdhsa_reserve_vcc 0
		.amdhsa_float_round_mode_32 0
		.amdhsa_float_round_mode_16_64 0
		.amdhsa_float_denorm_mode_32 3
		.amdhsa_float_denorm_mode_16_64 3
		.amdhsa_fp16_overflow 0
		.amdhsa_workgroup_processor_mode 1
		.amdhsa_memory_ordered 1
		.amdhsa_forward_progress 1
		.amdhsa_inst_pref_size 0
		.amdhsa_round_robin_scheduling 0
		.amdhsa_exception_fp_ieee_invalid_op 0
		.amdhsa_exception_fp_denorm_src 0
		.amdhsa_exception_fp_ieee_div_zero 0
		.amdhsa_exception_fp_ieee_overflow 0
		.amdhsa_exception_fp_ieee_underflow 0
		.amdhsa_exception_fp_ieee_inexact 0
		.amdhsa_exception_int_div_zero 0
	.end_amdhsa_kernel
	.section	.text._ZN7rocprim17ROCPRIM_400000_NS6detail17trampoline_kernelINS0_14default_configENS1_22reduce_config_selectorIiEEZNS1_11reduce_implILb1ES3_PiS7_iN6hipcub16HIPCUB_304000_NS6detail34convert_binary_result_type_wrapperINS9_3SumENS9_22TransformInputIteratorIbN2at6native12_GLOBAL__N_19NonZeroOpIN3c104HalfEEEPKSJ_lEEiEEEE10hipError_tPvRmT1_T2_T3_mT4_P12ihipStream_tbEUlT_E1_NS1_11comp_targetILNS1_3genE4ELNS1_11target_archE910ELNS1_3gpuE8ELNS1_3repE0EEENS1_30default_config_static_selectorELNS0_4arch9wavefront6targetE0EEEvSS_,"axG",@progbits,_ZN7rocprim17ROCPRIM_400000_NS6detail17trampoline_kernelINS0_14default_configENS1_22reduce_config_selectorIiEEZNS1_11reduce_implILb1ES3_PiS7_iN6hipcub16HIPCUB_304000_NS6detail34convert_binary_result_type_wrapperINS9_3SumENS9_22TransformInputIteratorIbN2at6native12_GLOBAL__N_19NonZeroOpIN3c104HalfEEEPKSJ_lEEiEEEE10hipError_tPvRmT1_T2_T3_mT4_P12ihipStream_tbEUlT_E1_NS1_11comp_targetILNS1_3genE4ELNS1_11target_archE910ELNS1_3gpuE8ELNS1_3repE0EEENS1_30default_config_static_selectorELNS0_4arch9wavefront6targetE0EEEvSS_,comdat
.Lfunc_end841:
	.size	_ZN7rocprim17ROCPRIM_400000_NS6detail17trampoline_kernelINS0_14default_configENS1_22reduce_config_selectorIiEEZNS1_11reduce_implILb1ES3_PiS7_iN6hipcub16HIPCUB_304000_NS6detail34convert_binary_result_type_wrapperINS9_3SumENS9_22TransformInputIteratorIbN2at6native12_GLOBAL__N_19NonZeroOpIN3c104HalfEEEPKSJ_lEEiEEEE10hipError_tPvRmT1_T2_T3_mT4_P12ihipStream_tbEUlT_E1_NS1_11comp_targetILNS1_3genE4ELNS1_11target_archE910ELNS1_3gpuE8ELNS1_3repE0EEENS1_30default_config_static_selectorELNS0_4arch9wavefront6targetE0EEEvSS_, .Lfunc_end841-_ZN7rocprim17ROCPRIM_400000_NS6detail17trampoline_kernelINS0_14default_configENS1_22reduce_config_selectorIiEEZNS1_11reduce_implILb1ES3_PiS7_iN6hipcub16HIPCUB_304000_NS6detail34convert_binary_result_type_wrapperINS9_3SumENS9_22TransformInputIteratorIbN2at6native12_GLOBAL__N_19NonZeroOpIN3c104HalfEEEPKSJ_lEEiEEEE10hipError_tPvRmT1_T2_T3_mT4_P12ihipStream_tbEUlT_E1_NS1_11comp_targetILNS1_3genE4ELNS1_11target_archE910ELNS1_3gpuE8ELNS1_3repE0EEENS1_30default_config_static_selectorELNS0_4arch9wavefront6targetE0EEEvSS_
                                        ; -- End function
	.set _ZN7rocprim17ROCPRIM_400000_NS6detail17trampoline_kernelINS0_14default_configENS1_22reduce_config_selectorIiEEZNS1_11reduce_implILb1ES3_PiS7_iN6hipcub16HIPCUB_304000_NS6detail34convert_binary_result_type_wrapperINS9_3SumENS9_22TransformInputIteratorIbN2at6native12_GLOBAL__N_19NonZeroOpIN3c104HalfEEEPKSJ_lEEiEEEE10hipError_tPvRmT1_T2_T3_mT4_P12ihipStream_tbEUlT_E1_NS1_11comp_targetILNS1_3genE4ELNS1_11target_archE910ELNS1_3gpuE8ELNS1_3repE0EEENS1_30default_config_static_selectorELNS0_4arch9wavefront6targetE0EEEvSS_.num_vgpr, 0
	.set _ZN7rocprim17ROCPRIM_400000_NS6detail17trampoline_kernelINS0_14default_configENS1_22reduce_config_selectorIiEEZNS1_11reduce_implILb1ES3_PiS7_iN6hipcub16HIPCUB_304000_NS6detail34convert_binary_result_type_wrapperINS9_3SumENS9_22TransformInputIteratorIbN2at6native12_GLOBAL__N_19NonZeroOpIN3c104HalfEEEPKSJ_lEEiEEEE10hipError_tPvRmT1_T2_T3_mT4_P12ihipStream_tbEUlT_E1_NS1_11comp_targetILNS1_3genE4ELNS1_11target_archE910ELNS1_3gpuE8ELNS1_3repE0EEENS1_30default_config_static_selectorELNS0_4arch9wavefront6targetE0EEEvSS_.num_agpr, 0
	.set _ZN7rocprim17ROCPRIM_400000_NS6detail17trampoline_kernelINS0_14default_configENS1_22reduce_config_selectorIiEEZNS1_11reduce_implILb1ES3_PiS7_iN6hipcub16HIPCUB_304000_NS6detail34convert_binary_result_type_wrapperINS9_3SumENS9_22TransformInputIteratorIbN2at6native12_GLOBAL__N_19NonZeroOpIN3c104HalfEEEPKSJ_lEEiEEEE10hipError_tPvRmT1_T2_T3_mT4_P12ihipStream_tbEUlT_E1_NS1_11comp_targetILNS1_3genE4ELNS1_11target_archE910ELNS1_3gpuE8ELNS1_3repE0EEENS1_30default_config_static_selectorELNS0_4arch9wavefront6targetE0EEEvSS_.numbered_sgpr, 0
	.set _ZN7rocprim17ROCPRIM_400000_NS6detail17trampoline_kernelINS0_14default_configENS1_22reduce_config_selectorIiEEZNS1_11reduce_implILb1ES3_PiS7_iN6hipcub16HIPCUB_304000_NS6detail34convert_binary_result_type_wrapperINS9_3SumENS9_22TransformInputIteratorIbN2at6native12_GLOBAL__N_19NonZeroOpIN3c104HalfEEEPKSJ_lEEiEEEE10hipError_tPvRmT1_T2_T3_mT4_P12ihipStream_tbEUlT_E1_NS1_11comp_targetILNS1_3genE4ELNS1_11target_archE910ELNS1_3gpuE8ELNS1_3repE0EEENS1_30default_config_static_selectorELNS0_4arch9wavefront6targetE0EEEvSS_.num_named_barrier, 0
	.set _ZN7rocprim17ROCPRIM_400000_NS6detail17trampoline_kernelINS0_14default_configENS1_22reduce_config_selectorIiEEZNS1_11reduce_implILb1ES3_PiS7_iN6hipcub16HIPCUB_304000_NS6detail34convert_binary_result_type_wrapperINS9_3SumENS9_22TransformInputIteratorIbN2at6native12_GLOBAL__N_19NonZeroOpIN3c104HalfEEEPKSJ_lEEiEEEE10hipError_tPvRmT1_T2_T3_mT4_P12ihipStream_tbEUlT_E1_NS1_11comp_targetILNS1_3genE4ELNS1_11target_archE910ELNS1_3gpuE8ELNS1_3repE0EEENS1_30default_config_static_selectorELNS0_4arch9wavefront6targetE0EEEvSS_.private_seg_size, 0
	.set _ZN7rocprim17ROCPRIM_400000_NS6detail17trampoline_kernelINS0_14default_configENS1_22reduce_config_selectorIiEEZNS1_11reduce_implILb1ES3_PiS7_iN6hipcub16HIPCUB_304000_NS6detail34convert_binary_result_type_wrapperINS9_3SumENS9_22TransformInputIteratorIbN2at6native12_GLOBAL__N_19NonZeroOpIN3c104HalfEEEPKSJ_lEEiEEEE10hipError_tPvRmT1_T2_T3_mT4_P12ihipStream_tbEUlT_E1_NS1_11comp_targetILNS1_3genE4ELNS1_11target_archE910ELNS1_3gpuE8ELNS1_3repE0EEENS1_30default_config_static_selectorELNS0_4arch9wavefront6targetE0EEEvSS_.uses_vcc, 0
	.set _ZN7rocprim17ROCPRIM_400000_NS6detail17trampoline_kernelINS0_14default_configENS1_22reduce_config_selectorIiEEZNS1_11reduce_implILb1ES3_PiS7_iN6hipcub16HIPCUB_304000_NS6detail34convert_binary_result_type_wrapperINS9_3SumENS9_22TransformInputIteratorIbN2at6native12_GLOBAL__N_19NonZeroOpIN3c104HalfEEEPKSJ_lEEiEEEE10hipError_tPvRmT1_T2_T3_mT4_P12ihipStream_tbEUlT_E1_NS1_11comp_targetILNS1_3genE4ELNS1_11target_archE910ELNS1_3gpuE8ELNS1_3repE0EEENS1_30default_config_static_selectorELNS0_4arch9wavefront6targetE0EEEvSS_.uses_flat_scratch, 0
	.set _ZN7rocprim17ROCPRIM_400000_NS6detail17trampoline_kernelINS0_14default_configENS1_22reduce_config_selectorIiEEZNS1_11reduce_implILb1ES3_PiS7_iN6hipcub16HIPCUB_304000_NS6detail34convert_binary_result_type_wrapperINS9_3SumENS9_22TransformInputIteratorIbN2at6native12_GLOBAL__N_19NonZeroOpIN3c104HalfEEEPKSJ_lEEiEEEE10hipError_tPvRmT1_T2_T3_mT4_P12ihipStream_tbEUlT_E1_NS1_11comp_targetILNS1_3genE4ELNS1_11target_archE910ELNS1_3gpuE8ELNS1_3repE0EEENS1_30default_config_static_selectorELNS0_4arch9wavefront6targetE0EEEvSS_.has_dyn_sized_stack, 0
	.set _ZN7rocprim17ROCPRIM_400000_NS6detail17trampoline_kernelINS0_14default_configENS1_22reduce_config_selectorIiEEZNS1_11reduce_implILb1ES3_PiS7_iN6hipcub16HIPCUB_304000_NS6detail34convert_binary_result_type_wrapperINS9_3SumENS9_22TransformInputIteratorIbN2at6native12_GLOBAL__N_19NonZeroOpIN3c104HalfEEEPKSJ_lEEiEEEE10hipError_tPvRmT1_T2_T3_mT4_P12ihipStream_tbEUlT_E1_NS1_11comp_targetILNS1_3genE4ELNS1_11target_archE910ELNS1_3gpuE8ELNS1_3repE0EEENS1_30default_config_static_selectorELNS0_4arch9wavefront6targetE0EEEvSS_.has_recursion, 0
	.set _ZN7rocprim17ROCPRIM_400000_NS6detail17trampoline_kernelINS0_14default_configENS1_22reduce_config_selectorIiEEZNS1_11reduce_implILb1ES3_PiS7_iN6hipcub16HIPCUB_304000_NS6detail34convert_binary_result_type_wrapperINS9_3SumENS9_22TransformInputIteratorIbN2at6native12_GLOBAL__N_19NonZeroOpIN3c104HalfEEEPKSJ_lEEiEEEE10hipError_tPvRmT1_T2_T3_mT4_P12ihipStream_tbEUlT_E1_NS1_11comp_targetILNS1_3genE4ELNS1_11target_archE910ELNS1_3gpuE8ELNS1_3repE0EEENS1_30default_config_static_selectorELNS0_4arch9wavefront6targetE0EEEvSS_.has_indirect_call, 0
	.section	.AMDGPU.csdata,"",@progbits
; Kernel info:
; codeLenInByte = 0
; TotalNumSgprs: 0
; NumVgprs: 0
; ScratchSize: 0
; MemoryBound: 0
; FloatMode: 240
; IeeeMode: 1
; LDSByteSize: 0 bytes/workgroup (compile time only)
; SGPRBlocks: 0
; VGPRBlocks: 0
; NumSGPRsForWavesPerEU: 1
; NumVGPRsForWavesPerEU: 1
; Occupancy: 16
; WaveLimiterHint : 0
; COMPUTE_PGM_RSRC2:SCRATCH_EN: 0
; COMPUTE_PGM_RSRC2:USER_SGPR: 2
; COMPUTE_PGM_RSRC2:TRAP_HANDLER: 0
; COMPUTE_PGM_RSRC2:TGID_X_EN: 1
; COMPUTE_PGM_RSRC2:TGID_Y_EN: 0
; COMPUTE_PGM_RSRC2:TGID_Z_EN: 0
; COMPUTE_PGM_RSRC2:TIDIG_COMP_CNT: 0
	.section	.text._ZN7rocprim17ROCPRIM_400000_NS6detail17trampoline_kernelINS0_14default_configENS1_22reduce_config_selectorIiEEZNS1_11reduce_implILb1ES3_PiS7_iN6hipcub16HIPCUB_304000_NS6detail34convert_binary_result_type_wrapperINS9_3SumENS9_22TransformInputIteratorIbN2at6native12_GLOBAL__N_19NonZeroOpIN3c104HalfEEEPKSJ_lEEiEEEE10hipError_tPvRmT1_T2_T3_mT4_P12ihipStream_tbEUlT_E1_NS1_11comp_targetILNS1_3genE3ELNS1_11target_archE908ELNS1_3gpuE7ELNS1_3repE0EEENS1_30default_config_static_selectorELNS0_4arch9wavefront6targetE0EEEvSS_,"axG",@progbits,_ZN7rocprim17ROCPRIM_400000_NS6detail17trampoline_kernelINS0_14default_configENS1_22reduce_config_selectorIiEEZNS1_11reduce_implILb1ES3_PiS7_iN6hipcub16HIPCUB_304000_NS6detail34convert_binary_result_type_wrapperINS9_3SumENS9_22TransformInputIteratorIbN2at6native12_GLOBAL__N_19NonZeroOpIN3c104HalfEEEPKSJ_lEEiEEEE10hipError_tPvRmT1_T2_T3_mT4_P12ihipStream_tbEUlT_E1_NS1_11comp_targetILNS1_3genE3ELNS1_11target_archE908ELNS1_3gpuE7ELNS1_3repE0EEENS1_30default_config_static_selectorELNS0_4arch9wavefront6targetE0EEEvSS_,comdat
	.globl	_ZN7rocprim17ROCPRIM_400000_NS6detail17trampoline_kernelINS0_14default_configENS1_22reduce_config_selectorIiEEZNS1_11reduce_implILb1ES3_PiS7_iN6hipcub16HIPCUB_304000_NS6detail34convert_binary_result_type_wrapperINS9_3SumENS9_22TransformInputIteratorIbN2at6native12_GLOBAL__N_19NonZeroOpIN3c104HalfEEEPKSJ_lEEiEEEE10hipError_tPvRmT1_T2_T3_mT4_P12ihipStream_tbEUlT_E1_NS1_11comp_targetILNS1_3genE3ELNS1_11target_archE908ELNS1_3gpuE7ELNS1_3repE0EEENS1_30default_config_static_selectorELNS0_4arch9wavefront6targetE0EEEvSS_ ; -- Begin function _ZN7rocprim17ROCPRIM_400000_NS6detail17trampoline_kernelINS0_14default_configENS1_22reduce_config_selectorIiEEZNS1_11reduce_implILb1ES3_PiS7_iN6hipcub16HIPCUB_304000_NS6detail34convert_binary_result_type_wrapperINS9_3SumENS9_22TransformInputIteratorIbN2at6native12_GLOBAL__N_19NonZeroOpIN3c104HalfEEEPKSJ_lEEiEEEE10hipError_tPvRmT1_T2_T3_mT4_P12ihipStream_tbEUlT_E1_NS1_11comp_targetILNS1_3genE3ELNS1_11target_archE908ELNS1_3gpuE7ELNS1_3repE0EEENS1_30default_config_static_selectorELNS0_4arch9wavefront6targetE0EEEvSS_
	.p2align	8
	.type	_ZN7rocprim17ROCPRIM_400000_NS6detail17trampoline_kernelINS0_14default_configENS1_22reduce_config_selectorIiEEZNS1_11reduce_implILb1ES3_PiS7_iN6hipcub16HIPCUB_304000_NS6detail34convert_binary_result_type_wrapperINS9_3SumENS9_22TransformInputIteratorIbN2at6native12_GLOBAL__N_19NonZeroOpIN3c104HalfEEEPKSJ_lEEiEEEE10hipError_tPvRmT1_T2_T3_mT4_P12ihipStream_tbEUlT_E1_NS1_11comp_targetILNS1_3genE3ELNS1_11target_archE908ELNS1_3gpuE7ELNS1_3repE0EEENS1_30default_config_static_selectorELNS0_4arch9wavefront6targetE0EEEvSS_,@function
_ZN7rocprim17ROCPRIM_400000_NS6detail17trampoline_kernelINS0_14default_configENS1_22reduce_config_selectorIiEEZNS1_11reduce_implILb1ES3_PiS7_iN6hipcub16HIPCUB_304000_NS6detail34convert_binary_result_type_wrapperINS9_3SumENS9_22TransformInputIteratorIbN2at6native12_GLOBAL__N_19NonZeroOpIN3c104HalfEEEPKSJ_lEEiEEEE10hipError_tPvRmT1_T2_T3_mT4_P12ihipStream_tbEUlT_E1_NS1_11comp_targetILNS1_3genE3ELNS1_11target_archE908ELNS1_3gpuE7ELNS1_3repE0EEENS1_30default_config_static_selectorELNS0_4arch9wavefront6targetE0EEEvSS_: ; @_ZN7rocprim17ROCPRIM_400000_NS6detail17trampoline_kernelINS0_14default_configENS1_22reduce_config_selectorIiEEZNS1_11reduce_implILb1ES3_PiS7_iN6hipcub16HIPCUB_304000_NS6detail34convert_binary_result_type_wrapperINS9_3SumENS9_22TransformInputIteratorIbN2at6native12_GLOBAL__N_19NonZeroOpIN3c104HalfEEEPKSJ_lEEiEEEE10hipError_tPvRmT1_T2_T3_mT4_P12ihipStream_tbEUlT_E1_NS1_11comp_targetILNS1_3genE3ELNS1_11target_archE908ELNS1_3gpuE7ELNS1_3repE0EEENS1_30default_config_static_selectorELNS0_4arch9wavefront6targetE0EEEvSS_
; %bb.0:
	.section	.rodata,"a",@progbits
	.p2align	6, 0x0
	.amdhsa_kernel _ZN7rocprim17ROCPRIM_400000_NS6detail17trampoline_kernelINS0_14default_configENS1_22reduce_config_selectorIiEEZNS1_11reduce_implILb1ES3_PiS7_iN6hipcub16HIPCUB_304000_NS6detail34convert_binary_result_type_wrapperINS9_3SumENS9_22TransformInputIteratorIbN2at6native12_GLOBAL__N_19NonZeroOpIN3c104HalfEEEPKSJ_lEEiEEEE10hipError_tPvRmT1_T2_T3_mT4_P12ihipStream_tbEUlT_E1_NS1_11comp_targetILNS1_3genE3ELNS1_11target_archE908ELNS1_3gpuE7ELNS1_3repE0EEENS1_30default_config_static_selectorELNS0_4arch9wavefront6targetE0EEEvSS_
		.amdhsa_group_segment_fixed_size 0
		.amdhsa_private_segment_fixed_size 0
		.amdhsa_kernarg_size 40
		.amdhsa_user_sgpr_count 2
		.amdhsa_user_sgpr_dispatch_ptr 0
		.amdhsa_user_sgpr_queue_ptr 0
		.amdhsa_user_sgpr_kernarg_segment_ptr 1
		.amdhsa_user_sgpr_dispatch_id 0
		.amdhsa_user_sgpr_private_segment_size 0
		.amdhsa_wavefront_size32 1
		.amdhsa_uses_dynamic_stack 0
		.amdhsa_enable_private_segment 0
		.amdhsa_system_sgpr_workgroup_id_x 1
		.amdhsa_system_sgpr_workgroup_id_y 0
		.amdhsa_system_sgpr_workgroup_id_z 0
		.amdhsa_system_sgpr_workgroup_info 0
		.amdhsa_system_vgpr_workitem_id 0
		.amdhsa_next_free_vgpr 1
		.amdhsa_next_free_sgpr 1
		.amdhsa_reserve_vcc 0
		.amdhsa_float_round_mode_32 0
		.amdhsa_float_round_mode_16_64 0
		.amdhsa_float_denorm_mode_32 3
		.amdhsa_float_denorm_mode_16_64 3
		.amdhsa_fp16_overflow 0
		.amdhsa_workgroup_processor_mode 1
		.amdhsa_memory_ordered 1
		.amdhsa_forward_progress 1
		.amdhsa_inst_pref_size 0
		.amdhsa_round_robin_scheduling 0
		.amdhsa_exception_fp_ieee_invalid_op 0
		.amdhsa_exception_fp_denorm_src 0
		.amdhsa_exception_fp_ieee_div_zero 0
		.amdhsa_exception_fp_ieee_overflow 0
		.amdhsa_exception_fp_ieee_underflow 0
		.amdhsa_exception_fp_ieee_inexact 0
		.amdhsa_exception_int_div_zero 0
	.end_amdhsa_kernel
	.section	.text._ZN7rocprim17ROCPRIM_400000_NS6detail17trampoline_kernelINS0_14default_configENS1_22reduce_config_selectorIiEEZNS1_11reduce_implILb1ES3_PiS7_iN6hipcub16HIPCUB_304000_NS6detail34convert_binary_result_type_wrapperINS9_3SumENS9_22TransformInputIteratorIbN2at6native12_GLOBAL__N_19NonZeroOpIN3c104HalfEEEPKSJ_lEEiEEEE10hipError_tPvRmT1_T2_T3_mT4_P12ihipStream_tbEUlT_E1_NS1_11comp_targetILNS1_3genE3ELNS1_11target_archE908ELNS1_3gpuE7ELNS1_3repE0EEENS1_30default_config_static_selectorELNS0_4arch9wavefront6targetE0EEEvSS_,"axG",@progbits,_ZN7rocprim17ROCPRIM_400000_NS6detail17trampoline_kernelINS0_14default_configENS1_22reduce_config_selectorIiEEZNS1_11reduce_implILb1ES3_PiS7_iN6hipcub16HIPCUB_304000_NS6detail34convert_binary_result_type_wrapperINS9_3SumENS9_22TransformInputIteratorIbN2at6native12_GLOBAL__N_19NonZeroOpIN3c104HalfEEEPKSJ_lEEiEEEE10hipError_tPvRmT1_T2_T3_mT4_P12ihipStream_tbEUlT_E1_NS1_11comp_targetILNS1_3genE3ELNS1_11target_archE908ELNS1_3gpuE7ELNS1_3repE0EEENS1_30default_config_static_selectorELNS0_4arch9wavefront6targetE0EEEvSS_,comdat
.Lfunc_end842:
	.size	_ZN7rocprim17ROCPRIM_400000_NS6detail17trampoline_kernelINS0_14default_configENS1_22reduce_config_selectorIiEEZNS1_11reduce_implILb1ES3_PiS7_iN6hipcub16HIPCUB_304000_NS6detail34convert_binary_result_type_wrapperINS9_3SumENS9_22TransformInputIteratorIbN2at6native12_GLOBAL__N_19NonZeroOpIN3c104HalfEEEPKSJ_lEEiEEEE10hipError_tPvRmT1_T2_T3_mT4_P12ihipStream_tbEUlT_E1_NS1_11comp_targetILNS1_3genE3ELNS1_11target_archE908ELNS1_3gpuE7ELNS1_3repE0EEENS1_30default_config_static_selectorELNS0_4arch9wavefront6targetE0EEEvSS_, .Lfunc_end842-_ZN7rocprim17ROCPRIM_400000_NS6detail17trampoline_kernelINS0_14default_configENS1_22reduce_config_selectorIiEEZNS1_11reduce_implILb1ES3_PiS7_iN6hipcub16HIPCUB_304000_NS6detail34convert_binary_result_type_wrapperINS9_3SumENS9_22TransformInputIteratorIbN2at6native12_GLOBAL__N_19NonZeroOpIN3c104HalfEEEPKSJ_lEEiEEEE10hipError_tPvRmT1_T2_T3_mT4_P12ihipStream_tbEUlT_E1_NS1_11comp_targetILNS1_3genE3ELNS1_11target_archE908ELNS1_3gpuE7ELNS1_3repE0EEENS1_30default_config_static_selectorELNS0_4arch9wavefront6targetE0EEEvSS_
                                        ; -- End function
	.set _ZN7rocprim17ROCPRIM_400000_NS6detail17trampoline_kernelINS0_14default_configENS1_22reduce_config_selectorIiEEZNS1_11reduce_implILb1ES3_PiS7_iN6hipcub16HIPCUB_304000_NS6detail34convert_binary_result_type_wrapperINS9_3SumENS9_22TransformInputIteratorIbN2at6native12_GLOBAL__N_19NonZeroOpIN3c104HalfEEEPKSJ_lEEiEEEE10hipError_tPvRmT1_T2_T3_mT4_P12ihipStream_tbEUlT_E1_NS1_11comp_targetILNS1_3genE3ELNS1_11target_archE908ELNS1_3gpuE7ELNS1_3repE0EEENS1_30default_config_static_selectorELNS0_4arch9wavefront6targetE0EEEvSS_.num_vgpr, 0
	.set _ZN7rocprim17ROCPRIM_400000_NS6detail17trampoline_kernelINS0_14default_configENS1_22reduce_config_selectorIiEEZNS1_11reduce_implILb1ES3_PiS7_iN6hipcub16HIPCUB_304000_NS6detail34convert_binary_result_type_wrapperINS9_3SumENS9_22TransformInputIteratorIbN2at6native12_GLOBAL__N_19NonZeroOpIN3c104HalfEEEPKSJ_lEEiEEEE10hipError_tPvRmT1_T2_T3_mT4_P12ihipStream_tbEUlT_E1_NS1_11comp_targetILNS1_3genE3ELNS1_11target_archE908ELNS1_3gpuE7ELNS1_3repE0EEENS1_30default_config_static_selectorELNS0_4arch9wavefront6targetE0EEEvSS_.num_agpr, 0
	.set _ZN7rocprim17ROCPRIM_400000_NS6detail17trampoline_kernelINS0_14default_configENS1_22reduce_config_selectorIiEEZNS1_11reduce_implILb1ES3_PiS7_iN6hipcub16HIPCUB_304000_NS6detail34convert_binary_result_type_wrapperINS9_3SumENS9_22TransformInputIteratorIbN2at6native12_GLOBAL__N_19NonZeroOpIN3c104HalfEEEPKSJ_lEEiEEEE10hipError_tPvRmT1_T2_T3_mT4_P12ihipStream_tbEUlT_E1_NS1_11comp_targetILNS1_3genE3ELNS1_11target_archE908ELNS1_3gpuE7ELNS1_3repE0EEENS1_30default_config_static_selectorELNS0_4arch9wavefront6targetE0EEEvSS_.numbered_sgpr, 0
	.set _ZN7rocprim17ROCPRIM_400000_NS6detail17trampoline_kernelINS0_14default_configENS1_22reduce_config_selectorIiEEZNS1_11reduce_implILb1ES3_PiS7_iN6hipcub16HIPCUB_304000_NS6detail34convert_binary_result_type_wrapperINS9_3SumENS9_22TransformInputIteratorIbN2at6native12_GLOBAL__N_19NonZeroOpIN3c104HalfEEEPKSJ_lEEiEEEE10hipError_tPvRmT1_T2_T3_mT4_P12ihipStream_tbEUlT_E1_NS1_11comp_targetILNS1_3genE3ELNS1_11target_archE908ELNS1_3gpuE7ELNS1_3repE0EEENS1_30default_config_static_selectorELNS0_4arch9wavefront6targetE0EEEvSS_.num_named_barrier, 0
	.set _ZN7rocprim17ROCPRIM_400000_NS6detail17trampoline_kernelINS0_14default_configENS1_22reduce_config_selectorIiEEZNS1_11reduce_implILb1ES3_PiS7_iN6hipcub16HIPCUB_304000_NS6detail34convert_binary_result_type_wrapperINS9_3SumENS9_22TransformInputIteratorIbN2at6native12_GLOBAL__N_19NonZeroOpIN3c104HalfEEEPKSJ_lEEiEEEE10hipError_tPvRmT1_T2_T3_mT4_P12ihipStream_tbEUlT_E1_NS1_11comp_targetILNS1_3genE3ELNS1_11target_archE908ELNS1_3gpuE7ELNS1_3repE0EEENS1_30default_config_static_selectorELNS0_4arch9wavefront6targetE0EEEvSS_.private_seg_size, 0
	.set _ZN7rocprim17ROCPRIM_400000_NS6detail17trampoline_kernelINS0_14default_configENS1_22reduce_config_selectorIiEEZNS1_11reduce_implILb1ES3_PiS7_iN6hipcub16HIPCUB_304000_NS6detail34convert_binary_result_type_wrapperINS9_3SumENS9_22TransformInputIteratorIbN2at6native12_GLOBAL__N_19NonZeroOpIN3c104HalfEEEPKSJ_lEEiEEEE10hipError_tPvRmT1_T2_T3_mT4_P12ihipStream_tbEUlT_E1_NS1_11comp_targetILNS1_3genE3ELNS1_11target_archE908ELNS1_3gpuE7ELNS1_3repE0EEENS1_30default_config_static_selectorELNS0_4arch9wavefront6targetE0EEEvSS_.uses_vcc, 0
	.set _ZN7rocprim17ROCPRIM_400000_NS6detail17trampoline_kernelINS0_14default_configENS1_22reduce_config_selectorIiEEZNS1_11reduce_implILb1ES3_PiS7_iN6hipcub16HIPCUB_304000_NS6detail34convert_binary_result_type_wrapperINS9_3SumENS9_22TransformInputIteratorIbN2at6native12_GLOBAL__N_19NonZeroOpIN3c104HalfEEEPKSJ_lEEiEEEE10hipError_tPvRmT1_T2_T3_mT4_P12ihipStream_tbEUlT_E1_NS1_11comp_targetILNS1_3genE3ELNS1_11target_archE908ELNS1_3gpuE7ELNS1_3repE0EEENS1_30default_config_static_selectorELNS0_4arch9wavefront6targetE0EEEvSS_.uses_flat_scratch, 0
	.set _ZN7rocprim17ROCPRIM_400000_NS6detail17trampoline_kernelINS0_14default_configENS1_22reduce_config_selectorIiEEZNS1_11reduce_implILb1ES3_PiS7_iN6hipcub16HIPCUB_304000_NS6detail34convert_binary_result_type_wrapperINS9_3SumENS9_22TransformInputIteratorIbN2at6native12_GLOBAL__N_19NonZeroOpIN3c104HalfEEEPKSJ_lEEiEEEE10hipError_tPvRmT1_T2_T3_mT4_P12ihipStream_tbEUlT_E1_NS1_11comp_targetILNS1_3genE3ELNS1_11target_archE908ELNS1_3gpuE7ELNS1_3repE0EEENS1_30default_config_static_selectorELNS0_4arch9wavefront6targetE0EEEvSS_.has_dyn_sized_stack, 0
	.set _ZN7rocprim17ROCPRIM_400000_NS6detail17trampoline_kernelINS0_14default_configENS1_22reduce_config_selectorIiEEZNS1_11reduce_implILb1ES3_PiS7_iN6hipcub16HIPCUB_304000_NS6detail34convert_binary_result_type_wrapperINS9_3SumENS9_22TransformInputIteratorIbN2at6native12_GLOBAL__N_19NonZeroOpIN3c104HalfEEEPKSJ_lEEiEEEE10hipError_tPvRmT1_T2_T3_mT4_P12ihipStream_tbEUlT_E1_NS1_11comp_targetILNS1_3genE3ELNS1_11target_archE908ELNS1_3gpuE7ELNS1_3repE0EEENS1_30default_config_static_selectorELNS0_4arch9wavefront6targetE0EEEvSS_.has_recursion, 0
	.set _ZN7rocprim17ROCPRIM_400000_NS6detail17trampoline_kernelINS0_14default_configENS1_22reduce_config_selectorIiEEZNS1_11reduce_implILb1ES3_PiS7_iN6hipcub16HIPCUB_304000_NS6detail34convert_binary_result_type_wrapperINS9_3SumENS9_22TransformInputIteratorIbN2at6native12_GLOBAL__N_19NonZeroOpIN3c104HalfEEEPKSJ_lEEiEEEE10hipError_tPvRmT1_T2_T3_mT4_P12ihipStream_tbEUlT_E1_NS1_11comp_targetILNS1_3genE3ELNS1_11target_archE908ELNS1_3gpuE7ELNS1_3repE0EEENS1_30default_config_static_selectorELNS0_4arch9wavefront6targetE0EEEvSS_.has_indirect_call, 0
	.section	.AMDGPU.csdata,"",@progbits
; Kernel info:
; codeLenInByte = 0
; TotalNumSgprs: 0
; NumVgprs: 0
; ScratchSize: 0
; MemoryBound: 0
; FloatMode: 240
; IeeeMode: 1
; LDSByteSize: 0 bytes/workgroup (compile time only)
; SGPRBlocks: 0
; VGPRBlocks: 0
; NumSGPRsForWavesPerEU: 1
; NumVGPRsForWavesPerEU: 1
; Occupancy: 16
; WaveLimiterHint : 0
; COMPUTE_PGM_RSRC2:SCRATCH_EN: 0
; COMPUTE_PGM_RSRC2:USER_SGPR: 2
; COMPUTE_PGM_RSRC2:TRAP_HANDLER: 0
; COMPUTE_PGM_RSRC2:TGID_X_EN: 1
; COMPUTE_PGM_RSRC2:TGID_Y_EN: 0
; COMPUTE_PGM_RSRC2:TGID_Z_EN: 0
; COMPUTE_PGM_RSRC2:TIDIG_COMP_CNT: 0
	.section	.text._ZN7rocprim17ROCPRIM_400000_NS6detail17trampoline_kernelINS0_14default_configENS1_22reduce_config_selectorIiEEZNS1_11reduce_implILb1ES3_PiS7_iN6hipcub16HIPCUB_304000_NS6detail34convert_binary_result_type_wrapperINS9_3SumENS9_22TransformInputIteratorIbN2at6native12_GLOBAL__N_19NonZeroOpIN3c104HalfEEEPKSJ_lEEiEEEE10hipError_tPvRmT1_T2_T3_mT4_P12ihipStream_tbEUlT_E1_NS1_11comp_targetILNS1_3genE2ELNS1_11target_archE906ELNS1_3gpuE6ELNS1_3repE0EEENS1_30default_config_static_selectorELNS0_4arch9wavefront6targetE0EEEvSS_,"axG",@progbits,_ZN7rocprim17ROCPRIM_400000_NS6detail17trampoline_kernelINS0_14default_configENS1_22reduce_config_selectorIiEEZNS1_11reduce_implILb1ES3_PiS7_iN6hipcub16HIPCUB_304000_NS6detail34convert_binary_result_type_wrapperINS9_3SumENS9_22TransformInputIteratorIbN2at6native12_GLOBAL__N_19NonZeroOpIN3c104HalfEEEPKSJ_lEEiEEEE10hipError_tPvRmT1_T2_T3_mT4_P12ihipStream_tbEUlT_E1_NS1_11comp_targetILNS1_3genE2ELNS1_11target_archE906ELNS1_3gpuE6ELNS1_3repE0EEENS1_30default_config_static_selectorELNS0_4arch9wavefront6targetE0EEEvSS_,comdat
	.globl	_ZN7rocprim17ROCPRIM_400000_NS6detail17trampoline_kernelINS0_14default_configENS1_22reduce_config_selectorIiEEZNS1_11reduce_implILb1ES3_PiS7_iN6hipcub16HIPCUB_304000_NS6detail34convert_binary_result_type_wrapperINS9_3SumENS9_22TransformInputIteratorIbN2at6native12_GLOBAL__N_19NonZeroOpIN3c104HalfEEEPKSJ_lEEiEEEE10hipError_tPvRmT1_T2_T3_mT4_P12ihipStream_tbEUlT_E1_NS1_11comp_targetILNS1_3genE2ELNS1_11target_archE906ELNS1_3gpuE6ELNS1_3repE0EEENS1_30default_config_static_selectorELNS0_4arch9wavefront6targetE0EEEvSS_ ; -- Begin function _ZN7rocprim17ROCPRIM_400000_NS6detail17trampoline_kernelINS0_14default_configENS1_22reduce_config_selectorIiEEZNS1_11reduce_implILb1ES3_PiS7_iN6hipcub16HIPCUB_304000_NS6detail34convert_binary_result_type_wrapperINS9_3SumENS9_22TransformInputIteratorIbN2at6native12_GLOBAL__N_19NonZeroOpIN3c104HalfEEEPKSJ_lEEiEEEE10hipError_tPvRmT1_T2_T3_mT4_P12ihipStream_tbEUlT_E1_NS1_11comp_targetILNS1_3genE2ELNS1_11target_archE906ELNS1_3gpuE6ELNS1_3repE0EEENS1_30default_config_static_selectorELNS0_4arch9wavefront6targetE0EEEvSS_
	.p2align	8
	.type	_ZN7rocprim17ROCPRIM_400000_NS6detail17trampoline_kernelINS0_14default_configENS1_22reduce_config_selectorIiEEZNS1_11reduce_implILb1ES3_PiS7_iN6hipcub16HIPCUB_304000_NS6detail34convert_binary_result_type_wrapperINS9_3SumENS9_22TransformInputIteratorIbN2at6native12_GLOBAL__N_19NonZeroOpIN3c104HalfEEEPKSJ_lEEiEEEE10hipError_tPvRmT1_T2_T3_mT4_P12ihipStream_tbEUlT_E1_NS1_11comp_targetILNS1_3genE2ELNS1_11target_archE906ELNS1_3gpuE6ELNS1_3repE0EEENS1_30default_config_static_selectorELNS0_4arch9wavefront6targetE0EEEvSS_,@function
_ZN7rocprim17ROCPRIM_400000_NS6detail17trampoline_kernelINS0_14default_configENS1_22reduce_config_selectorIiEEZNS1_11reduce_implILb1ES3_PiS7_iN6hipcub16HIPCUB_304000_NS6detail34convert_binary_result_type_wrapperINS9_3SumENS9_22TransformInputIteratorIbN2at6native12_GLOBAL__N_19NonZeroOpIN3c104HalfEEEPKSJ_lEEiEEEE10hipError_tPvRmT1_T2_T3_mT4_P12ihipStream_tbEUlT_E1_NS1_11comp_targetILNS1_3genE2ELNS1_11target_archE906ELNS1_3gpuE6ELNS1_3repE0EEENS1_30default_config_static_selectorELNS0_4arch9wavefront6targetE0EEEvSS_: ; @_ZN7rocprim17ROCPRIM_400000_NS6detail17trampoline_kernelINS0_14default_configENS1_22reduce_config_selectorIiEEZNS1_11reduce_implILb1ES3_PiS7_iN6hipcub16HIPCUB_304000_NS6detail34convert_binary_result_type_wrapperINS9_3SumENS9_22TransformInputIteratorIbN2at6native12_GLOBAL__N_19NonZeroOpIN3c104HalfEEEPKSJ_lEEiEEEE10hipError_tPvRmT1_T2_T3_mT4_P12ihipStream_tbEUlT_E1_NS1_11comp_targetILNS1_3genE2ELNS1_11target_archE906ELNS1_3gpuE6ELNS1_3repE0EEENS1_30default_config_static_selectorELNS0_4arch9wavefront6targetE0EEEvSS_
; %bb.0:
	.section	.rodata,"a",@progbits
	.p2align	6, 0x0
	.amdhsa_kernel _ZN7rocprim17ROCPRIM_400000_NS6detail17trampoline_kernelINS0_14default_configENS1_22reduce_config_selectorIiEEZNS1_11reduce_implILb1ES3_PiS7_iN6hipcub16HIPCUB_304000_NS6detail34convert_binary_result_type_wrapperINS9_3SumENS9_22TransformInputIteratorIbN2at6native12_GLOBAL__N_19NonZeroOpIN3c104HalfEEEPKSJ_lEEiEEEE10hipError_tPvRmT1_T2_T3_mT4_P12ihipStream_tbEUlT_E1_NS1_11comp_targetILNS1_3genE2ELNS1_11target_archE906ELNS1_3gpuE6ELNS1_3repE0EEENS1_30default_config_static_selectorELNS0_4arch9wavefront6targetE0EEEvSS_
		.amdhsa_group_segment_fixed_size 0
		.amdhsa_private_segment_fixed_size 0
		.amdhsa_kernarg_size 40
		.amdhsa_user_sgpr_count 2
		.amdhsa_user_sgpr_dispatch_ptr 0
		.amdhsa_user_sgpr_queue_ptr 0
		.amdhsa_user_sgpr_kernarg_segment_ptr 1
		.amdhsa_user_sgpr_dispatch_id 0
		.amdhsa_user_sgpr_private_segment_size 0
		.amdhsa_wavefront_size32 1
		.amdhsa_uses_dynamic_stack 0
		.amdhsa_enable_private_segment 0
		.amdhsa_system_sgpr_workgroup_id_x 1
		.amdhsa_system_sgpr_workgroup_id_y 0
		.amdhsa_system_sgpr_workgroup_id_z 0
		.amdhsa_system_sgpr_workgroup_info 0
		.amdhsa_system_vgpr_workitem_id 0
		.amdhsa_next_free_vgpr 1
		.amdhsa_next_free_sgpr 1
		.amdhsa_reserve_vcc 0
		.amdhsa_float_round_mode_32 0
		.amdhsa_float_round_mode_16_64 0
		.amdhsa_float_denorm_mode_32 3
		.amdhsa_float_denorm_mode_16_64 3
		.amdhsa_fp16_overflow 0
		.amdhsa_workgroup_processor_mode 1
		.amdhsa_memory_ordered 1
		.amdhsa_forward_progress 1
		.amdhsa_inst_pref_size 0
		.amdhsa_round_robin_scheduling 0
		.amdhsa_exception_fp_ieee_invalid_op 0
		.amdhsa_exception_fp_denorm_src 0
		.amdhsa_exception_fp_ieee_div_zero 0
		.amdhsa_exception_fp_ieee_overflow 0
		.amdhsa_exception_fp_ieee_underflow 0
		.amdhsa_exception_fp_ieee_inexact 0
		.amdhsa_exception_int_div_zero 0
	.end_amdhsa_kernel
	.section	.text._ZN7rocprim17ROCPRIM_400000_NS6detail17trampoline_kernelINS0_14default_configENS1_22reduce_config_selectorIiEEZNS1_11reduce_implILb1ES3_PiS7_iN6hipcub16HIPCUB_304000_NS6detail34convert_binary_result_type_wrapperINS9_3SumENS9_22TransformInputIteratorIbN2at6native12_GLOBAL__N_19NonZeroOpIN3c104HalfEEEPKSJ_lEEiEEEE10hipError_tPvRmT1_T2_T3_mT4_P12ihipStream_tbEUlT_E1_NS1_11comp_targetILNS1_3genE2ELNS1_11target_archE906ELNS1_3gpuE6ELNS1_3repE0EEENS1_30default_config_static_selectorELNS0_4arch9wavefront6targetE0EEEvSS_,"axG",@progbits,_ZN7rocprim17ROCPRIM_400000_NS6detail17trampoline_kernelINS0_14default_configENS1_22reduce_config_selectorIiEEZNS1_11reduce_implILb1ES3_PiS7_iN6hipcub16HIPCUB_304000_NS6detail34convert_binary_result_type_wrapperINS9_3SumENS9_22TransformInputIteratorIbN2at6native12_GLOBAL__N_19NonZeroOpIN3c104HalfEEEPKSJ_lEEiEEEE10hipError_tPvRmT1_T2_T3_mT4_P12ihipStream_tbEUlT_E1_NS1_11comp_targetILNS1_3genE2ELNS1_11target_archE906ELNS1_3gpuE6ELNS1_3repE0EEENS1_30default_config_static_selectorELNS0_4arch9wavefront6targetE0EEEvSS_,comdat
.Lfunc_end843:
	.size	_ZN7rocprim17ROCPRIM_400000_NS6detail17trampoline_kernelINS0_14default_configENS1_22reduce_config_selectorIiEEZNS1_11reduce_implILb1ES3_PiS7_iN6hipcub16HIPCUB_304000_NS6detail34convert_binary_result_type_wrapperINS9_3SumENS9_22TransformInputIteratorIbN2at6native12_GLOBAL__N_19NonZeroOpIN3c104HalfEEEPKSJ_lEEiEEEE10hipError_tPvRmT1_T2_T3_mT4_P12ihipStream_tbEUlT_E1_NS1_11comp_targetILNS1_3genE2ELNS1_11target_archE906ELNS1_3gpuE6ELNS1_3repE0EEENS1_30default_config_static_selectorELNS0_4arch9wavefront6targetE0EEEvSS_, .Lfunc_end843-_ZN7rocprim17ROCPRIM_400000_NS6detail17trampoline_kernelINS0_14default_configENS1_22reduce_config_selectorIiEEZNS1_11reduce_implILb1ES3_PiS7_iN6hipcub16HIPCUB_304000_NS6detail34convert_binary_result_type_wrapperINS9_3SumENS9_22TransformInputIteratorIbN2at6native12_GLOBAL__N_19NonZeroOpIN3c104HalfEEEPKSJ_lEEiEEEE10hipError_tPvRmT1_T2_T3_mT4_P12ihipStream_tbEUlT_E1_NS1_11comp_targetILNS1_3genE2ELNS1_11target_archE906ELNS1_3gpuE6ELNS1_3repE0EEENS1_30default_config_static_selectorELNS0_4arch9wavefront6targetE0EEEvSS_
                                        ; -- End function
	.set _ZN7rocprim17ROCPRIM_400000_NS6detail17trampoline_kernelINS0_14default_configENS1_22reduce_config_selectorIiEEZNS1_11reduce_implILb1ES3_PiS7_iN6hipcub16HIPCUB_304000_NS6detail34convert_binary_result_type_wrapperINS9_3SumENS9_22TransformInputIteratorIbN2at6native12_GLOBAL__N_19NonZeroOpIN3c104HalfEEEPKSJ_lEEiEEEE10hipError_tPvRmT1_T2_T3_mT4_P12ihipStream_tbEUlT_E1_NS1_11comp_targetILNS1_3genE2ELNS1_11target_archE906ELNS1_3gpuE6ELNS1_3repE0EEENS1_30default_config_static_selectorELNS0_4arch9wavefront6targetE0EEEvSS_.num_vgpr, 0
	.set _ZN7rocprim17ROCPRIM_400000_NS6detail17trampoline_kernelINS0_14default_configENS1_22reduce_config_selectorIiEEZNS1_11reduce_implILb1ES3_PiS7_iN6hipcub16HIPCUB_304000_NS6detail34convert_binary_result_type_wrapperINS9_3SumENS9_22TransformInputIteratorIbN2at6native12_GLOBAL__N_19NonZeroOpIN3c104HalfEEEPKSJ_lEEiEEEE10hipError_tPvRmT1_T2_T3_mT4_P12ihipStream_tbEUlT_E1_NS1_11comp_targetILNS1_3genE2ELNS1_11target_archE906ELNS1_3gpuE6ELNS1_3repE0EEENS1_30default_config_static_selectorELNS0_4arch9wavefront6targetE0EEEvSS_.num_agpr, 0
	.set _ZN7rocprim17ROCPRIM_400000_NS6detail17trampoline_kernelINS0_14default_configENS1_22reduce_config_selectorIiEEZNS1_11reduce_implILb1ES3_PiS7_iN6hipcub16HIPCUB_304000_NS6detail34convert_binary_result_type_wrapperINS9_3SumENS9_22TransformInputIteratorIbN2at6native12_GLOBAL__N_19NonZeroOpIN3c104HalfEEEPKSJ_lEEiEEEE10hipError_tPvRmT1_T2_T3_mT4_P12ihipStream_tbEUlT_E1_NS1_11comp_targetILNS1_3genE2ELNS1_11target_archE906ELNS1_3gpuE6ELNS1_3repE0EEENS1_30default_config_static_selectorELNS0_4arch9wavefront6targetE0EEEvSS_.numbered_sgpr, 0
	.set _ZN7rocprim17ROCPRIM_400000_NS6detail17trampoline_kernelINS0_14default_configENS1_22reduce_config_selectorIiEEZNS1_11reduce_implILb1ES3_PiS7_iN6hipcub16HIPCUB_304000_NS6detail34convert_binary_result_type_wrapperINS9_3SumENS9_22TransformInputIteratorIbN2at6native12_GLOBAL__N_19NonZeroOpIN3c104HalfEEEPKSJ_lEEiEEEE10hipError_tPvRmT1_T2_T3_mT4_P12ihipStream_tbEUlT_E1_NS1_11comp_targetILNS1_3genE2ELNS1_11target_archE906ELNS1_3gpuE6ELNS1_3repE0EEENS1_30default_config_static_selectorELNS0_4arch9wavefront6targetE0EEEvSS_.num_named_barrier, 0
	.set _ZN7rocprim17ROCPRIM_400000_NS6detail17trampoline_kernelINS0_14default_configENS1_22reduce_config_selectorIiEEZNS1_11reduce_implILb1ES3_PiS7_iN6hipcub16HIPCUB_304000_NS6detail34convert_binary_result_type_wrapperINS9_3SumENS9_22TransformInputIteratorIbN2at6native12_GLOBAL__N_19NonZeroOpIN3c104HalfEEEPKSJ_lEEiEEEE10hipError_tPvRmT1_T2_T3_mT4_P12ihipStream_tbEUlT_E1_NS1_11comp_targetILNS1_3genE2ELNS1_11target_archE906ELNS1_3gpuE6ELNS1_3repE0EEENS1_30default_config_static_selectorELNS0_4arch9wavefront6targetE0EEEvSS_.private_seg_size, 0
	.set _ZN7rocprim17ROCPRIM_400000_NS6detail17trampoline_kernelINS0_14default_configENS1_22reduce_config_selectorIiEEZNS1_11reduce_implILb1ES3_PiS7_iN6hipcub16HIPCUB_304000_NS6detail34convert_binary_result_type_wrapperINS9_3SumENS9_22TransformInputIteratorIbN2at6native12_GLOBAL__N_19NonZeroOpIN3c104HalfEEEPKSJ_lEEiEEEE10hipError_tPvRmT1_T2_T3_mT4_P12ihipStream_tbEUlT_E1_NS1_11comp_targetILNS1_3genE2ELNS1_11target_archE906ELNS1_3gpuE6ELNS1_3repE0EEENS1_30default_config_static_selectorELNS0_4arch9wavefront6targetE0EEEvSS_.uses_vcc, 0
	.set _ZN7rocprim17ROCPRIM_400000_NS6detail17trampoline_kernelINS0_14default_configENS1_22reduce_config_selectorIiEEZNS1_11reduce_implILb1ES3_PiS7_iN6hipcub16HIPCUB_304000_NS6detail34convert_binary_result_type_wrapperINS9_3SumENS9_22TransformInputIteratorIbN2at6native12_GLOBAL__N_19NonZeroOpIN3c104HalfEEEPKSJ_lEEiEEEE10hipError_tPvRmT1_T2_T3_mT4_P12ihipStream_tbEUlT_E1_NS1_11comp_targetILNS1_3genE2ELNS1_11target_archE906ELNS1_3gpuE6ELNS1_3repE0EEENS1_30default_config_static_selectorELNS0_4arch9wavefront6targetE0EEEvSS_.uses_flat_scratch, 0
	.set _ZN7rocprim17ROCPRIM_400000_NS6detail17trampoline_kernelINS0_14default_configENS1_22reduce_config_selectorIiEEZNS1_11reduce_implILb1ES3_PiS7_iN6hipcub16HIPCUB_304000_NS6detail34convert_binary_result_type_wrapperINS9_3SumENS9_22TransformInputIteratorIbN2at6native12_GLOBAL__N_19NonZeroOpIN3c104HalfEEEPKSJ_lEEiEEEE10hipError_tPvRmT1_T2_T3_mT4_P12ihipStream_tbEUlT_E1_NS1_11comp_targetILNS1_3genE2ELNS1_11target_archE906ELNS1_3gpuE6ELNS1_3repE0EEENS1_30default_config_static_selectorELNS0_4arch9wavefront6targetE0EEEvSS_.has_dyn_sized_stack, 0
	.set _ZN7rocprim17ROCPRIM_400000_NS6detail17trampoline_kernelINS0_14default_configENS1_22reduce_config_selectorIiEEZNS1_11reduce_implILb1ES3_PiS7_iN6hipcub16HIPCUB_304000_NS6detail34convert_binary_result_type_wrapperINS9_3SumENS9_22TransformInputIteratorIbN2at6native12_GLOBAL__N_19NonZeroOpIN3c104HalfEEEPKSJ_lEEiEEEE10hipError_tPvRmT1_T2_T3_mT4_P12ihipStream_tbEUlT_E1_NS1_11comp_targetILNS1_3genE2ELNS1_11target_archE906ELNS1_3gpuE6ELNS1_3repE0EEENS1_30default_config_static_selectorELNS0_4arch9wavefront6targetE0EEEvSS_.has_recursion, 0
	.set _ZN7rocprim17ROCPRIM_400000_NS6detail17trampoline_kernelINS0_14default_configENS1_22reduce_config_selectorIiEEZNS1_11reduce_implILb1ES3_PiS7_iN6hipcub16HIPCUB_304000_NS6detail34convert_binary_result_type_wrapperINS9_3SumENS9_22TransformInputIteratorIbN2at6native12_GLOBAL__N_19NonZeroOpIN3c104HalfEEEPKSJ_lEEiEEEE10hipError_tPvRmT1_T2_T3_mT4_P12ihipStream_tbEUlT_E1_NS1_11comp_targetILNS1_3genE2ELNS1_11target_archE906ELNS1_3gpuE6ELNS1_3repE0EEENS1_30default_config_static_selectorELNS0_4arch9wavefront6targetE0EEEvSS_.has_indirect_call, 0
	.section	.AMDGPU.csdata,"",@progbits
; Kernel info:
; codeLenInByte = 0
; TotalNumSgprs: 0
; NumVgprs: 0
; ScratchSize: 0
; MemoryBound: 0
; FloatMode: 240
; IeeeMode: 1
; LDSByteSize: 0 bytes/workgroup (compile time only)
; SGPRBlocks: 0
; VGPRBlocks: 0
; NumSGPRsForWavesPerEU: 1
; NumVGPRsForWavesPerEU: 1
; Occupancy: 16
; WaveLimiterHint : 0
; COMPUTE_PGM_RSRC2:SCRATCH_EN: 0
; COMPUTE_PGM_RSRC2:USER_SGPR: 2
; COMPUTE_PGM_RSRC2:TRAP_HANDLER: 0
; COMPUTE_PGM_RSRC2:TGID_X_EN: 1
; COMPUTE_PGM_RSRC2:TGID_Y_EN: 0
; COMPUTE_PGM_RSRC2:TGID_Z_EN: 0
; COMPUTE_PGM_RSRC2:TIDIG_COMP_CNT: 0
	.section	.text._ZN7rocprim17ROCPRIM_400000_NS6detail17trampoline_kernelINS0_14default_configENS1_22reduce_config_selectorIiEEZNS1_11reduce_implILb1ES3_PiS7_iN6hipcub16HIPCUB_304000_NS6detail34convert_binary_result_type_wrapperINS9_3SumENS9_22TransformInputIteratorIbN2at6native12_GLOBAL__N_19NonZeroOpIN3c104HalfEEEPKSJ_lEEiEEEE10hipError_tPvRmT1_T2_T3_mT4_P12ihipStream_tbEUlT_E1_NS1_11comp_targetILNS1_3genE10ELNS1_11target_archE1201ELNS1_3gpuE5ELNS1_3repE0EEENS1_30default_config_static_selectorELNS0_4arch9wavefront6targetE0EEEvSS_,"axG",@progbits,_ZN7rocprim17ROCPRIM_400000_NS6detail17trampoline_kernelINS0_14default_configENS1_22reduce_config_selectorIiEEZNS1_11reduce_implILb1ES3_PiS7_iN6hipcub16HIPCUB_304000_NS6detail34convert_binary_result_type_wrapperINS9_3SumENS9_22TransformInputIteratorIbN2at6native12_GLOBAL__N_19NonZeroOpIN3c104HalfEEEPKSJ_lEEiEEEE10hipError_tPvRmT1_T2_T3_mT4_P12ihipStream_tbEUlT_E1_NS1_11comp_targetILNS1_3genE10ELNS1_11target_archE1201ELNS1_3gpuE5ELNS1_3repE0EEENS1_30default_config_static_selectorELNS0_4arch9wavefront6targetE0EEEvSS_,comdat
	.globl	_ZN7rocprim17ROCPRIM_400000_NS6detail17trampoline_kernelINS0_14default_configENS1_22reduce_config_selectorIiEEZNS1_11reduce_implILb1ES3_PiS7_iN6hipcub16HIPCUB_304000_NS6detail34convert_binary_result_type_wrapperINS9_3SumENS9_22TransformInputIteratorIbN2at6native12_GLOBAL__N_19NonZeroOpIN3c104HalfEEEPKSJ_lEEiEEEE10hipError_tPvRmT1_T2_T3_mT4_P12ihipStream_tbEUlT_E1_NS1_11comp_targetILNS1_3genE10ELNS1_11target_archE1201ELNS1_3gpuE5ELNS1_3repE0EEENS1_30default_config_static_selectorELNS0_4arch9wavefront6targetE0EEEvSS_ ; -- Begin function _ZN7rocprim17ROCPRIM_400000_NS6detail17trampoline_kernelINS0_14default_configENS1_22reduce_config_selectorIiEEZNS1_11reduce_implILb1ES3_PiS7_iN6hipcub16HIPCUB_304000_NS6detail34convert_binary_result_type_wrapperINS9_3SumENS9_22TransformInputIteratorIbN2at6native12_GLOBAL__N_19NonZeroOpIN3c104HalfEEEPKSJ_lEEiEEEE10hipError_tPvRmT1_T2_T3_mT4_P12ihipStream_tbEUlT_E1_NS1_11comp_targetILNS1_3genE10ELNS1_11target_archE1201ELNS1_3gpuE5ELNS1_3repE0EEENS1_30default_config_static_selectorELNS0_4arch9wavefront6targetE0EEEvSS_
	.p2align	8
	.type	_ZN7rocprim17ROCPRIM_400000_NS6detail17trampoline_kernelINS0_14default_configENS1_22reduce_config_selectorIiEEZNS1_11reduce_implILb1ES3_PiS7_iN6hipcub16HIPCUB_304000_NS6detail34convert_binary_result_type_wrapperINS9_3SumENS9_22TransformInputIteratorIbN2at6native12_GLOBAL__N_19NonZeroOpIN3c104HalfEEEPKSJ_lEEiEEEE10hipError_tPvRmT1_T2_T3_mT4_P12ihipStream_tbEUlT_E1_NS1_11comp_targetILNS1_3genE10ELNS1_11target_archE1201ELNS1_3gpuE5ELNS1_3repE0EEENS1_30default_config_static_selectorELNS0_4arch9wavefront6targetE0EEEvSS_,@function
_ZN7rocprim17ROCPRIM_400000_NS6detail17trampoline_kernelINS0_14default_configENS1_22reduce_config_selectorIiEEZNS1_11reduce_implILb1ES3_PiS7_iN6hipcub16HIPCUB_304000_NS6detail34convert_binary_result_type_wrapperINS9_3SumENS9_22TransformInputIteratorIbN2at6native12_GLOBAL__N_19NonZeroOpIN3c104HalfEEEPKSJ_lEEiEEEE10hipError_tPvRmT1_T2_T3_mT4_P12ihipStream_tbEUlT_E1_NS1_11comp_targetILNS1_3genE10ELNS1_11target_archE1201ELNS1_3gpuE5ELNS1_3repE0EEENS1_30default_config_static_selectorELNS0_4arch9wavefront6targetE0EEEvSS_: ; @_ZN7rocprim17ROCPRIM_400000_NS6detail17trampoline_kernelINS0_14default_configENS1_22reduce_config_selectorIiEEZNS1_11reduce_implILb1ES3_PiS7_iN6hipcub16HIPCUB_304000_NS6detail34convert_binary_result_type_wrapperINS9_3SumENS9_22TransformInputIteratorIbN2at6native12_GLOBAL__N_19NonZeroOpIN3c104HalfEEEPKSJ_lEEiEEEE10hipError_tPvRmT1_T2_T3_mT4_P12ihipStream_tbEUlT_E1_NS1_11comp_targetILNS1_3genE10ELNS1_11target_archE1201ELNS1_3gpuE5ELNS1_3repE0EEENS1_30default_config_static_selectorELNS0_4arch9wavefront6targetE0EEEvSS_
; %bb.0:
	s_clause 0x1
	s_load_b32 s33, s[0:1], 0x4
	s_load_b128 s[36:39], s[0:1], 0x8
	s_mov_b32 s34, ttmp9
	s_wait_kmcnt 0x0
	s_cmp_lt_i32 s33, 8
	s_cbranch_scc1 .LBB844_11
; %bb.1:
	s_cmp_gt_i32 s33, 15
	s_cbranch_scc0 .LBB844_12
; %bb.2:
	s_cmp_gt_i32 s33, 31
	s_cbranch_scc0 .LBB844_13
; %bb.3:
	s_cmp_eq_u32 s33, 32
	s_mov_b32 s42, 0
	s_cbranch_scc0 .LBB844_14
; %bb.4:
	s_mov_b32 s35, 0
	s_lshl_b32 s2, s34, 13
	s_mov_b32 s3, s35
	s_lshr_b64 s[4:5], s[38:39], 13
	s_lshl_b64 s[6:7], s[2:3], 2
	s_cmp_lg_u64 s[4:5], s[34:35]
	s_add_nc_u64 s[40:41], s[36:37], s[6:7]
	s_cbranch_scc0 .LBB844_23
; %bb.5:
	v_lshlrev_b32_e32 v1, 2, v0
	s_mov_b32 s3, exec_lo
	s_clause 0x1f
	global_load_b32 v2, v1, s[40:41]
	global_load_b32 v3, v1, s[40:41] offset:1024
	global_load_b32 v4, v1, s[40:41] offset:2048
	;; [unrolled: 1-line block ×31, first 2 shown]
	s_wait_loadcnt 0x1e
	v_add_nc_u32_e32 v2, v3, v2
	s_wait_loadcnt 0x1c
	s_delay_alu instid0(VALU_DEP_1) | instskip(SKIP_1) | instid1(VALU_DEP_1)
	v_add3_u32 v2, v2, v4, v5
	s_wait_loadcnt 0x1a
	v_add3_u32 v2, v2, v6, v7
	s_wait_loadcnt 0x18
	s_delay_alu instid0(VALU_DEP_1) | instskip(SKIP_1) | instid1(VALU_DEP_1)
	v_add3_u32 v2, v2, v8, v9
	s_wait_loadcnt 0x16
	v_add3_u32 v2, v2, v10, v11
	;; [unrolled: 5-line block ×7, first 2 shown]
	s_wait_loadcnt 0x0
	s_delay_alu instid0(VALU_DEP_1) | instskip(NEXT) | instid1(VALU_DEP_1)
	v_add3_u32 v1, v2, v32, v1
	v_mov_b32_dpp v2, v1 quad_perm:[1,0,3,2] row_mask:0xf bank_mask:0xf
	s_delay_alu instid0(VALU_DEP_1) | instskip(NEXT) | instid1(VALU_DEP_1)
	v_add_nc_u32_e32 v1, v2, v1
	v_mov_b32_dpp v2, v1 quad_perm:[2,3,0,1] row_mask:0xf bank_mask:0xf
	s_delay_alu instid0(VALU_DEP_1) | instskip(NEXT) | instid1(VALU_DEP_1)
	v_add_nc_u32_e32 v1, v1, v2
	v_mov_b32_dpp v2, v1 row_ror:4 row_mask:0xf bank_mask:0xf
	s_delay_alu instid0(VALU_DEP_1) | instskip(NEXT) | instid1(VALU_DEP_1)
	v_add_nc_u32_e32 v1, v1, v2
	v_mov_b32_dpp v2, v1 row_ror:8 row_mask:0xf bank_mask:0xf
	s_delay_alu instid0(VALU_DEP_1)
	v_add_nc_u32_e32 v1, v1, v2
	ds_swizzle_b32 v2, v1 offset:swizzle(BROADCAST,32,15)
	s_wait_dscnt 0x0
	v_dual_mov_b32 v2, 0 :: v_dual_add_nc_u32 v1, v1, v2
	ds_bpermute_b32 v1, v2, v1 offset:124
	v_mbcnt_lo_u32_b32 v2, -1, 0
	s_delay_alu instid0(VALU_DEP_1)
	v_cmpx_eq_u32_e32 0, v2
	s_cbranch_execz .LBB844_7
; %bb.6:
	v_lshrrev_b32_e32 v3, 3, v0
	s_delay_alu instid0(VALU_DEP_1)
	v_and_b32_e32 v3, 28, v3
	s_wait_dscnt 0x0
	ds_store_b32 v3, v1 offset:96
.LBB844_7:
	s_or_b32 exec_lo, exec_lo, s3
	s_delay_alu instid0(SALU_CYCLE_1)
	s_mov_b32 s3, exec_lo
	s_wait_dscnt 0x0
	s_barrier_signal -1
	s_barrier_wait -1
	global_inv scope:SCOPE_SE
	v_cmpx_gt_u32_e32 32, v0
	s_cbranch_execz .LBB844_9
; %bb.8:
	v_lshl_or_b32 v1, v2, 2, 0x60
	v_and_b32_e32 v3, 7, v2
	ds_load_b32 v1, v1
	v_cmp_ne_u32_e32 vcc_lo, 7, v3
	v_add_co_ci_u32_e64 v4, null, 0, v2, vcc_lo
	v_cmp_gt_u32_e32 vcc_lo, 6, v3
	s_delay_alu instid0(VALU_DEP_2) | instskip(SKIP_2) | instid1(VALU_DEP_1)
	v_lshlrev_b32_e32 v4, 2, v4
	s_wait_alu 0xfffd
	v_cndmask_b32_e64 v3, 0, 2, vcc_lo
	v_add_lshl_u32 v3, v3, v2, 2
	v_lshlrev_b32_e32 v2, 2, v2
	s_wait_dscnt 0x0
	ds_bpermute_b32 v4, v4, v1
	v_or_b32_e32 v2, 16, v2
	s_wait_dscnt 0x0
	v_add_nc_u32_e32 v1, v4, v1
	ds_bpermute_b32 v3, v3, v1
	s_wait_dscnt 0x0
	v_add_nc_u32_e32 v1, v3, v1
	ds_bpermute_b32 v2, v2, v1
	s_wait_dscnt 0x0
	v_add_nc_u32_e32 v1, v2, v1
.LBB844_9:
	s_or_b32 exec_lo, exec_lo, s3
.LBB844_10:
	v_cmp_eq_u32_e64 s2, 0, v0
	s_and_b32 vcc_lo, exec_lo, s42
	s_wait_alu 0xfffe
	s_cbranch_vccnz .LBB844_15
	s_branch .LBB844_93
.LBB844_11:
	s_mov_b32 s2, 0
                                        ; implicit-def: $vgpr1
	s_cbranch_execnz .LBB844_166
	s_branch .LBB844_224
.LBB844_12:
	s_mov_b32 s2, 0
                                        ; implicit-def: $vgpr1
	s_cbranch_execnz .LBB844_134
	s_branch .LBB844_142
.LBB844_13:
	s_mov_b32 s42, -1
.LBB844_14:
	s_mov_b32 s2, 0
                                        ; implicit-def: $vgpr1
	s_and_b32 vcc_lo, exec_lo, s42
	s_cbranch_vccz .LBB844_93
.LBB844_15:
	s_cmp_eq_u32 s33, 16
	s_cbranch_scc0 .LBB844_22
; %bb.16:
	s_mov_b32 s35, 0
	s_lshl_b32 s2, s34, 12
	s_mov_b32 s3, s35
	s_lshr_b64 s[4:5], s[38:39], 12
	s_wait_alu 0xfffe
	s_lshl_b64 s[6:7], s[2:3], 2
	s_cmp_lg_u64 s[4:5], s[34:35]
	s_wait_alu 0xfffe
	s_add_nc_u64 s[16:17], s[36:37], s[6:7]
	s_cbranch_scc0 .LBB844_94
; %bb.17:
	v_lshlrev_b32_e32 v1, 2, v0
	s_mov_b32 s3, exec_lo
	s_clause 0xf
	global_load_b32 v2, v1, s[16:17]
	global_load_b32 v3, v1, s[16:17] offset:1024
	global_load_b32 v4, v1, s[16:17] offset:2048
	;; [unrolled: 1-line block ×15, first 2 shown]
	s_wait_loadcnt 0xe
	v_add_nc_u32_e32 v2, v3, v2
	s_wait_loadcnt 0xc
	s_delay_alu instid0(VALU_DEP_1) | instskip(SKIP_1) | instid1(VALU_DEP_1)
	v_add3_u32 v2, v2, v4, v5
	s_wait_loadcnt 0xa
	v_add3_u32 v2, v2, v6, v7
	s_wait_loadcnt 0x8
	s_delay_alu instid0(VALU_DEP_1) | instskip(SKIP_1) | instid1(VALU_DEP_1)
	v_add3_u32 v2, v2, v8, v9
	s_wait_loadcnt 0x6
	v_add3_u32 v2, v2, v10, v11
	;; [unrolled: 5-line block ×3, first 2 shown]
	s_wait_loadcnt 0x0
	s_delay_alu instid0(VALU_DEP_1) | instskip(NEXT) | instid1(VALU_DEP_1)
	v_add3_u32 v1, v2, v16, v1
	v_mov_b32_dpp v2, v1 quad_perm:[1,0,3,2] row_mask:0xf bank_mask:0xf
	s_delay_alu instid0(VALU_DEP_1) | instskip(NEXT) | instid1(VALU_DEP_1)
	v_add_nc_u32_e32 v1, v2, v1
	v_mov_b32_dpp v2, v1 quad_perm:[2,3,0,1] row_mask:0xf bank_mask:0xf
	s_delay_alu instid0(VALU_DEP_1) | instskip(NEXT) | instid1(VALU_DEP_1)
	v_add_nc_u32_e32 v1, v1, v2
	v_mov_b32_dpp v2, v1 row_ror:4 row_mask:0xf bank_mask:0xf
	s_delay_alu instid0(VALU_DEP_1) | instskip(NEXT) | instid1(VALU_DEP_1)
	v_add_nc_u32_e32 v1, v1, v2
	v_mov_b32_dpp v2, v1 row_ror:8 row_mask:0xf bank_mask:0xf
	s_delay_alu instid0(VALU_DEP_1)
	v_add_nc_u32_e32 v1, v1, v2
	ds_swizzle_b32 v2, v1 offset:swizzle(BROADCAST,32,15)
	s_wait_dscnt 0x0
	v_dual_mov_b32 v2, 0 :: v_dual_add_nc_u32 v1, v1, v2
	ds_bpermute_b32 v1, v2, v1 offset:124
	v_mbcnt_lo_u32_b32 v2, -1, 0
	s_delay_alu instid0(VALU_DEP_1)
	v_cmpx_eq_u32_e32 0, v2
	s_cbranch_execz .LBB844_19
; %bb.18:
	v_lshrrev_b32_e32 v3, 3, v0
	s_delay_alu instid0(VALU_DEP_1)
	v_and_b32_e32 v3, 28, v3
	s_wait_dscnt 0x0
	ds_store_b32 v3, v1
.LBB844_19:
	s_wait_alu 0xfffe
	s_or_b32 exec_lo, exec_lo, s3
	s_delay_alu instid0(SALU_CYCLE_1)
	s_mov_b32 s3, exec_lo
	s_wait_dscnt 0x0
	s_barrier_signal -1
	s_barrier_wait -1
	global_inv scope:SCOPE_SE
	v_cmpx_gt_u32_e32 32, v0
	s_cbranch_execz .LBB844_21
; %bb.20:
	v_and_b32_e32 v1, 7, v2
	s_delay_alu instid0(VALU_DEP_1)
	v_lshlrev_b32_e32 v3, 2, v1
	v_cmp_ne_u32_e32 vcc_lo, 7, v1
	ds_load_b32 v3, v3
	s_wait_alu 0xfffd
	v_add_co_ci_u32_e64 v4, null, 0, v2, vcc_lo
	v_cmp_gt_u32_e32 vcc_lo, 6, v1
	s_delay_alu instid0(VALU_DEP_2) | instskip(SKIP_2) | instid1(VALU_DEP_1)
	v_lshlrev_b32_e32 v4, 2, v4
	s_wait_alu 0xfffd
	v_cndmask_b32_e64 v1, 0, 2, vcc_lo
	v_add_lshl_u32 v1, v1, v2, 2
	v_lshlrev_b32_e32 v2, 2, v2
	s_delay_alu instid0(VALU_DEP_1)
	v_or_b32_e32 v2, 16, v2
	s_wait_dscnt 0x0
	ds_bpermute_b32 v4, v4, v3
	s_wait_dscnt 0x0
	v_add_nc_u32_e32 v3, v4, v3
	ds_bpermute_b32 v1, v1, v3
	s_wait_dscnt 0x0
	v_add_nc_u32_e32 v1, v1, v3
	;; [unrolled: 3-line block ×3, first 2 shown]
.LBB844_21:
	s_wait_alu 0xfffe
	s_or_b32 exec_lo, exec_lo, s3
	s_mov_b32 s3, 0
	s_branch .LBB844_95
.LBB844_22:
                                        ; implicit-def: $vgpr1
	s_branch .LBB844_142
.LBB844_23:
                                        ; implicit-def: $vgpr1
	s_cbranch_execz .LBB844_10
; %bb.24:
	v_mov_b32_e32 v1, 0
	s_sub_co_i32 s43, s38, s2
	s_delay_alu instid0(SALU_CYCLE_1) | instskip(NEXT) | instid1(VALU_DEP_2)
	v_cmp_gt_u32_e32 vcc_lo, s43, v0
	v_dual_mov_b32 v2, v1 :: v_dual_mov_b32 v3, v1
	v_dual_mov_b32 v4, v1 :: v_dual_mov_b32 v5, v1
	;; [unrolled: 1-line block ×15, first 2 shown]
	v_mov_b32_e32 v32, v1
	s_and_saveexec_b32 s2, vcc_lo
	s_cbranch_execz .LBB844_26
; %bb.25:
	v_dual_mov_b32 v3, v1 :: v_dual_lshlrev_b32 v2, 2, v0
	v_dual_mov_b32 v32, v1 :: v_dual_mov_b32 v33, v1
	v_dual_mov_b32 v4, v1 :: v_dual_mov_b32 v5, v1
	global_load_b32 v2, v2, s[40:41]
	v_dual_mov_b32 v6, v1 :: v_dual_mov_b32 v7, v1
	v_dual_mov_b32 v8, v1 :: v_dual_mov_b32 v9, v1
	;; [unrolled: 1-line block ×13, first 2 shown]
	s_wait_loadcnt 0x0
	v_mov_b32_e32 v1, v2
	v_mov_b32_e32 v2, v3
	;; [unrolled: 1-line block ×32, first 2 shown]
.LBB844_26:
	s_or_b32 exec_lo, exec_lo, s2
	v_or_b32_e32 v33, 0x100, v0
	s_delay_alu instid0(VALU_DEP_1)
	v_cmp_gt_u32_e32 vcc_lo, s43, v33
	s_and_saveexec_b32 s2, vcc_lo
	s_cbranch_execz .LBB844_28
; %bb.27:
	v_lshlrev_b32_e32 v2, 2, v0
	global_load_b32 v2, v2, s[40:41] offset:1024
.LBB844_28:
	s_or_b32 exec_lo, exec_lo, s2
	v_or_b32_e32 v33, 0x200, v0
	s_delay_alu instid0(VALU_DEP_1)
	v_cmp_gt_u32_e64 s2, s43, v33
	s_and_saveexec_b32 s3, s2
	s_cbranch_execz .LBB844_30
; %bb.29:
	v_lshlrev_b32_e32 v3, 2, v0
	global_load_b32 v3, v3, s[40:41] offset:2048
.LBB844_30:
	s_or_b32 exec_lo, exec_lo, s3
	v_or_b32_e32 v33, 0x300, v0
	s_delay_alu instid0(VALU_DEP_1)
	v_cmp_gt_u32_e64 s3, s43, v33
	s_and_saveexec_b32 s4, s3
	;; [unrolled: 10-line block ×30, first 2 shown]
	s_cbranch_execz .LBB844_88
; %bb.87:
	v_lshlrev_b32_e32 v32, 2, v0
	global_load_b32 v32, v32, s[40:41] offset:31744
.LBB844_88:
	s_or_b32 exec_lo, exec_lo, s44
	s_wait_loadcnt 0x0
	v_cndmask_b32_e32 v2, 0, v2, vcc_lo
	v_cndmask_b32_e64 v3, 0, v3, s2
	v_cndmask_b32_e64 v4, 0, v4, s3
	s_min_u32 s2, s43, 0x100
	s_mov_b32 s3, exec_lo
	v_add_nc_u32_e32 v1, v2, v1
	v_cndmask_b32_e64 v2, 0, v5, s4
	v_cndmask_b32_e64 v5, 0, v6, s5
	;; [unrolled: 1-line block ×3, first 2 shown]
	s_delay_alu instid0(VALU_DEP_4) | instskip(SKIP_3) | instid1(VALU_DEP_4)
	v_add3_u32 v1, v1, v3, v4
	v_cndmask_b32_e64 v3, 0, v7, s6
	v_cndmask_b32_e64 v4, 0, v8, s7
	;; [unrolled: 1-line block ×3, first 2 shown]
	v_add3_u32 v1, v1, v2, v5
	v_cndmask_b32_e64 v2, 0, v9, s8
	v_cndmask_b32_e64 v5, 0, v10, s9
	s_delay_alu instid0(VALU_DEP_3) | instskip(SKIP_2) | instid1(VALU_DEP_3)
	v_add3_u32 v1, v1, v3, v4
	v_cndmask_b32_e64 v3, 0, v11, s10
	v_cndmask_b32_e64 v4, 0, v12, s11
	v_add3_u32 v1, v1, v2, v5
	v_cndmask_b32_e64 v2, 0, v13, s12
	v_cndmask_b32_e64 v5, 0, v14, s13
	s_delay_alu instid0(VALU_DEP_3) | instskip(SKIP_2) | instid1(VALU_DEP_3)
	v_add3_u32 v1, v1, v3, v4
	v_cndmask_b32_e64 v3, 0, v15, s14
	v_cndmask_b32_e64 v4, 0, v16, s15
	;; [unrolled: 7-line block ×5, first 2 shown]
	v_add3_u32 v1, v1, v2, v5
	v_mbcnt_lo_u32_b32 v2, -1, 0
	v_cndmask_b32_e64 v5, 0, v29, s28
	s_delay_alu instid0(VALU_DEP_3) | instskip(NEXT) | instid1(VALU_DEP_3)
	v_add3_u32 v1, v1, v3, v4
	v_cmp_ne_u32_e32 vcc_lo, 31, v2
	v_cndmask_b32_e64 v3, 0, v32, s31
	s_delay_alu instid0(VALU_DEP_3)
	v_add3_u32 v1, v1, v5, v6
	s_wait_alu 0xfffd
	v_add_co_ci_u32_e64 v4, null, 0, v2, vcc_lo
	v_add_nc_u32_e32 v5, 1, v2
	v_cmp_gt_u32_e32 vcc_lo, 30, v2
	v_add3_u32 v1, v1, v7, v3
	s_delay_alu instid0(VALU_DEP_4)
	v_lshlrev_b32_e32 v4, 2, v4
	s_wait_alu 0xfffd
	v_cndmask_b32_e64 v6, 0, 2, vcc_lo
	ds_bpermute_b32 v3, v4, v1
	v_and_b32_e32 v4, 0xe0, v0
	s_wait_alu 0xfffe
	s_delay_alu instid0(VALU_DEP_1) | instskip(NEXT) | instid1(VALU_DEP_1)
	v_sub_nc_u32_e64 v4, s2, v4 clamp
	v_cmp_lt_u32_e32 vcc_lo, v5, v4
	v_add_lshl_u32 v5, v6, v2, 2
	s_wait_dscnt 0x0
	s_wait_alu 0xfffd
	v_cndmask_b32_e32 v3, 0, v3, vcc_lo
	v_cmp_gt_u32_e32 vcc_lo, 28, v2
	s_delay_alu instid0(VALU_DEP_2) | instskip(SKIP_4) | instid1(VALU_DEP_1)
	v_add_nc_u32_e32 v1, v1, v3
	s_wait_alu 0xfffd
	v_cndmask_b32_e64 v6, 0, 4, vcc_lo
	ds_bpermute_b32 v3, v5, v1
	v_add_nc_u32_e32 v5, 2, v2
	v_cmp_lt_u32_e32 vcc_lo, v5, v4
	v_add_lshl_u32 v5, v6, v2, 2
	s_wait_dscnt 0x0
	s_wait_alu 0xfffd
	v_cndmask_b32_e32 v3, 0, v3, vcc_lo
	v_cmp_gt_u32_e32 vcc_lo, 24, v2
	s_delay_alu instid0(VALU_DEP_2) | instskip(SKIP_4) | instid1(VALU_DEP_1)
	v_add_nc_u32_e32 v1, v1, v3
	s_wait_alu 0xfffd
	v_cndmask_b32_e64 v6, 0, 8, vcc_lo
	ds_bpermute_b32 v3, v5, v1
	v_add_nc_u32_e32 v5, 4, v2
	v_cmp_lt_u32_e32 vcc_lo, v5, v4
	v_add_lshl_u32 v5, v6, v2, 2
	s_wait_dscnt 0x0
	s_wait_alu 0xfffd
	v_cndmask_b32_e32 v3, 0, v3, vcc_lo
	s_delay_alu instid0(VALU_DEP_1) | instskip(SKIP_3) | instid1(VALU_DEP_1)
	v_add_nc_u32_e32 v1, v1, v3
	v_lshlrev_b32_e32 v3, 2, v2
	ds_bpermute_b32 v5, v5, v1
	v_add_nc_u32_e32 v6, 8, v2
	v_cmp_lt_u32_e32 vcc_lo, v6, v4
	v_or_b32_e32 v6, 64, v3
	s_wait_dscnt 0x0
	s_wait_alu 0xfffd
	v_cndmask_b32_e32 v5, 0, v5, vcc_lo
	s_delay_alu instid0(VALU_DEP_1) | instskip(SKIP_2) | instid1(VALU_DEP_1)
	v_add_nc_u32_e32 v1, v1, v5
	ds_bpermute_b32 v5, v6, v1
	v_add_nc_u32_e32 v6, 16, v2
	v_cmp_lt_u32_e32 vcc_lo, v6, v4
	s_wait_dscnt 0x0
	s_wait_alu 0xfffd
	v_cndmask_b32_e32 v4, 0, v5, vcc_lo
	s_delay_alu instid0(VALU_DEP_1)
	v_add_nc_u32_e32 v1, v1, v4
	v_cmpx_eq_u32_e32 0, v2
; %bb.89:
	v_lshrrev_b32_e32 v4, 3, v0
	s_delay_alu instid0(VALU_DEP_1)
	v_and_b32_e32 v4, 28, v4
	ds_store_b32 v4, v1 offset:192
; %bb.90:
	s_or_b32 exec_lo, exec_lo, s3
	s_delay_alu instid0(SALU_CYCLE_1)
	s_mov_b32 s3, exec_lo
	s_wait_dscnt 0x0
	s_barrier_signal -1
	s_barrier_wait -1
	global_inv scope:SCOPE_SE
	v_cmpx_gt_u32_e32 8, v0
	s_cbranch_execz .LBB844_92
; %bb.91:
	ds_load_b32 v1, v3 offset:192
	v_and_b32_e32 v4, 7, v2
	s_add_co_i32 s2, s2, 31
	s_wait_alu 0xfffe
	s_lshr_b32 s2, s2, 5
	s_delay_alu instid0(VALU_DEP_1) | instskip(SKIP_4) | instid1(VALU_DEP_2)
	v_cmp_ne_u32_e32 vcc_lo, 7, v4
	v_add_nc_u32_e32 v6, 1, v4
	s_wait_alu 0xfffd
	v_add_co_ci_u32_e64 v5, null, 0, v2, vcc_lo
	v_cmp_gt_u32_e32 vcc_lo, 6, v4
	v_lshlrev_b32_e32 v5, 2, v5
	s_wait_alu 0xfffd
	v_cndmask_b32_e64 v7, 0, 2, vcc_lo
	s_wait_alu 0xfffe
	v_cmp_gt_u32_e32 vcc_lo, s2, v6
	s_wait_dscnt 0x0
	ds_bpermute_b32 v5, v5, v1
	v_add_lshl_u32 v2, v7, v2, 2
	s_wait_dscnt 0x0
	s_wait_alu 0xfffd
	v_cndmask_b32_e32 v5, 0, v5, vcc_lo
	s_delay_alu instid0(VALU_DEP_1)
	v_add_nc_u32_e32 v1, v5, v1
	v_add_nc_u32_e32 v5, 2, v4
	ds_bpermute_b32 v2, v2, v1
	v_cmp_gt_u32_e32 vcc_lo, s2, v5
	s_wait_dscnt 0x0
	s_wait_alu 0xfffd
	v_cndmask_b32_e32 v2, 0, v2, vcc_lo
	s_delay_alu instid0(VALU_DEP_1)
	v_add_nc_u32_e32 v1, v1, v2
	v_or_b32_e32 v2, 16, v3
	v_add_nc_u32_e32 v3, 4, v4
	ds_bpermute_b32 v2, v2, v1
	v_cmp_gt_u32_e32 vcc_lo, s2, v3
	s_wait_dscnt 0x0
	s_wait_alu 0xfffd
	v_cndmask_b32_e32 v2, 0, v2, vcc_lo
	s_delay_alu instid0(VALU_DEP_1)
	v_add_nc_u32_e32 v1, v1, v2
.LBB844_92:
	s_wait_alu 0xfffe
	s_or_b32 exec_lo, exec_lo, s3
	v_cmp_eq_u32_e64 s2, 0, v0
	s_and_b32 vcc_lo, exec_lo, s42
	s_wait_alu 0xfffe
	s_cbranch_vccnz .LBB844_15
.LBB844_93:
	s_branch .LBB844_142
.LBB844_94:
	s_mov_b32 s3, -1
                                        ; implicit-def: $vgpr1
.LBB844_95:
	s_wait_alu 0xfffe
	s_and_b32 vcc_lo, exec_lo, s3
	s_wait_alu 0xfffe
	s_cbranch_vccz .LBB844_133
; %bb.96:
	v_mov_b32_e32 v1, 0
	s_sub_co_i32 s18, s38, s2
	s_mov_b32 s2, exec_lo
	s_delay_alu instid0(VALU_DEP_1)
	v_dual_mov_b32 v2, v1 :: v_dual_mov_b32 v3, v1
	v_dual_mov_b32 v4, v1 :: v_dual_mov_b32 v5, v1
	;; [unrolled: 1-line block ×7, first 2 shown]
	v_mov_b32_e32 v16, v1
	s_wait_alu 0xfffe
	v_cmpx_gt_u32_e64 s18, v0
	s_cbranch_execz .LBB844_98
; %bb.97:
	v_dual_mov_b32 v3, v1 :: v_dual_lshlrev_b32 v2, 2, v0
	v_dual_mov_b32 v16, v1 :: v_dual_mov_b32 v17, v1
	v_dual_mov_b32 v4, v1 :: v_dual_mov_b32 v5, v1
	global_load_b32 v2, v2, s[16:17]
	v_dual_mov_b32 v6, v1 :: v_dual_mov_b32 v7, v1
	v_dual_mov_b32 v8, v1 :: v_dual_mov_b32 v9, v1
	;; [unrolled: 1-line block ×5, first 2 shown]
	s_wait_loadcnt 0x0
	v_mov_b32_e32 v1, v2
	v_mov_b32_e32 v2, v3
	;; [unrolled: 1-line block ×16, first 2 shown]
.LBB844_98:
	s_or_b32 exec_lo, exec_lo, s2
	v_or_b32_e32 v17, 0x100, v0
	s_delay_alu instid0(VALU_DEP_1)
	v_cmp_gt_u32_e32 vcc_lo, s18, v17
	s_and_saveexec_b32 s2, vcc_lo
	s_cbranch_execz .LBB844_100
; %bb.99:
	v_lshlrev_b32_e32 v2, 2, v0
	global_load_b32 v2, v2, s[16:17] offset:1024
.LBB844_100:
	s_wait_alu 0xfffe
	s_or_b32 exec_lo, exec_lo, s2
	v_or_b32_e32 v17, 0x200, v0
	s_delay_alu instid0(VALU_DEP_1)
	v_cmp_gt_u32_e64 s2, s18, v17
	s_and_saveexec_b32 s3, s2
	s_cbranch_execz .LBB844_102
; %bb.101:
	v_lshlrev_b32_e32 v3, 2, v0
	global_load_b32 v3, v3, s[16:17] offset:2048
.LBB844_102:
	s_wait_alu 0xfffe
	s_or_b32 exec_lo, exec_lo, s3
	v_or_b32_e32 v17, 0x300, v0
	s_delay_alu instid0(VALU_DEP_1)
	v_cmp_gt_u32_e64 s3, s18, v17
	s_and_saveexec_b32 s4, s3
	;; [unrolled: 11-line block ×14, first 2 shown]
	s_cbranch_execz .LBB844_128
; %bb.127:
	v_lshlrev_b32_e32 v16, 2, v0
	global_load_b32 v16, v16, s[16:17] offset:15360
.LBB844_128:
	s_wait_alu 0xfffe
	s_or_b32 exec_lo, exec_lo, s19
	s_wait_loadcnt 0x0
	v_cndmask_b32_e32 v2, 0, v2, vcc_lo
	v_cndmask_b32_e64 v3, 0, v3, s2
	v_cndmask_b32_e64 v4, 0, v4, s3
	s_min_u32 s2, s18, 0x100
	s_mov_b32 s3, exec_lo
	v_add_nc_u32_e32 v1, v2, v1
	v_cndmask_b32_e64 v2, 0, v5, s4
	v_cndmask_b32_e64 v5, 0, v6, s5
	;; [unrolled: 1-line block ×3, first 2 shown]
	s_delay_alu instid0(VALU_DEP_4) | instskip(SKIP_3) | instid1(VALU_DEP_4)
	v_add3_u32 v1, v1, v3, v4
	v_cndmask_b32_e64 v3, 0, v7, s6
	v_cndmask_b32_e64 v4, 0, v8, s7
	;; [unrolled: 1-line block ×3, first 2 shown]
	v_add3_u32 v1, v1, v2, v5
	v_cndmask_b32_e64 v2, 0, v9, s8
	v_cndmask_b32_e64 v5, 0, v10, s9
	s_delay_alu instid0(VALU_DEP_3) | instskip(SKIP_2) | instid1(VALU_DEP_3)
	v_add3_u32 v1, v1, v3, v4
	v_cndmask_b32_e64 v3, 0, v11, s10
	v_cndmask_b32_e64 v4, 0, v12, s11
	v_add3_u32 v1, v1, v2, v5
	v_mbcnt_lo_u32_b32 v2, -1, 0
	v_cndmask_b32_e64 v5, 0, v13, s12
	s_delay_alu instid0(VALU_DEP_3) | instskip(NEXT) | instid1(VALU_DEP_3)
	v_add3_u32 v1, v1, v3, v4
	v_cmp_ne_u32_e32 vcc_lo, 31, v2
	v_cndmask_b32_e64 v3, 0, v16, s15
	s_delay_alu instid0(VALU_DEP_3)
	v_add3_u32 v1, v1, v5, v6
	s_wait_alu 0xfffd
	v_add_co_ci_u32_e64 v4, null, 0, v2, vcc_lo
	v_add_nc_u32_e32 v5, 1, v2
	v_cmp_gt_u32_e32 vcc_lo, 30, v2
	v_add3_u32 v1, v1, v7, v3
	s_delay_alu instid0(VALU_DEP_4)
	v_lshlrev_b32_e32 v4, 2, v4
	s_wait_alu 0xfffd
	v_cndmask_b32_e64 v6, 0, 2, vcc_lo
	ds_bpermute_b32 v3, v4, v1
	v_and_b32_e32 v4, 0xe0, v0
	s_wait_alu 0xfffe
	s_delay_alu instid0(VALU_DEP_1) | instskip(NEXT) | instid1(VALU_DEP_1)
	v_sub_nc_u32_e64 v4, s2, v4 clamp
	v_cmp_lt_u32_e32 vcc_lo, v5, v4
	v_add_lshl_u32 v5, v6, v2, 2
	s_wait_dscnt 0x0
	s_wait_alu 0xfffd
	v_cndmask_b32_e32 v3, 0, v3, vcc_lo
	v_cmp_gt_u32_e32 vcc_lo, 28, v2
	s_delay_alu instid0(VALU_DEP_2) | instskip(SKIP_4) | instid1(VALU_DEP_1)
	v_add_nc_u32_e32 v1, v1, v3
	s_wait_alu 0xfffd
	v_cndmask_b32_e64 v6, 0, 4, vcc_lo
	ds_bpermute_b32 v3, v5, v1
	v_add_nc_u32_e32 v5, 2, v2
	v_cmp_lt_u32_e32 vcc_lo, v5, v4
	v_add_lshl_u32 v5, v6, v2, 2
	s_wait_dscnt 0x0
	s_wait_alu 0xfffd
	v_cndmask_b32_e32 v3, 0, v3, vcc_lo
	v_cmp_gt_u32_e32 vcc_lo, 24, v2
	s_delay_alu instid0(VALU_DEP_2) | instskip(SKIP_4) | instid1(VALU_DEP_1)
	v_add_nc_u32_e32 v1, v1, v3
	s_wait_alu 0xfffd
	v_cndmask_b32_e64 v6, 0, 8, vcc_lo
	ds_bpermute_b32 v3, v5, v1
	v_add_nc_u32_e32 v5, 4, v2
	v_cmp_lt_u32_e32 vcc_lo, v5, v4
	v_add_lshl_u32 v5, v6, v2, 2
	s_wait_dscnt 0x0
	s_wait_alu 0xfffd
	v_cndmask_b32_e32 v3, 0, v3, vcc_lo
	s_delay_alu instid0(VALU_DEP_1) | instskip(SKIP_3) | instid1(VALU_DEP_1)
	v_add_nc_u32_e32 v1, v1, v3
	v_lshlrev_b32_e32 v3, 2, v2
	ds_bpermute_b32 v5, v5, v1
	v_add_nc_u32_e32 v6, 8, v2
	v_cmp_lt_u32_e32 vcc_lo, v6, v4
	v_or_b32_e32 v6, 64, v3
	s_wait_dscnt 0x0
	s_wait_alu 0xfffd
	v_cndmask_b32_e32 v5, 0, v5, vcc_lo
	s_delay_alu instid0(VALU_DEP_1) | instskip(SKIP_2) | instid1(VALU_DEP_1)
	v_add_nc_u32_e32 v1, v1, v5
	ds_bpermute_b32 v5, v6, v1
	v_add_nc_u32_e32 v6, 16, v2
	v_cmp_lt_u32_e32 vcc_lo, v6, v4
	s_wait_dscnt 0x0
	s_wait_alu 0xfffd
	v_cndmask_b32_e32 v4, 0, v5, vcc_lo
	s_delay_alu instid0(VALU_DEP_1)
	v_add_nc_u32_e32 v1, v1, v4
	v_cmpx_eq_u32_e32 0, v2
; %bb.129:
	v_lshrrev_b32_e32 v4, 3, v0
	s_delay_alu instid0(VALU_DEP_1)
	v_and_b32_e32 v4, 28, v4
	ds_store_b32 v4, v1 offset:192
; %bb.130:
	s_or_b32 exec_lo, exec_lo, s3
	s_delay_alu instid0(SALU_CYCLE_1)
	s_mov_b32 s3, exec_lo
	s_wait_dscnt 0x0
	s_barrier_signal -1
	s_barrier_wait -1
	global_inv scope:SCOPE_SE
	v_cmpx_gt_u32_e32 8, v0
	s_cbranch_execz .LBB844_132
; %bb.131:
	ds_load_b32 v1, v3 offset:192
	v_and_b32_e32 v4, 7, v2
	s_add_co_i32 s2, s2, 31
	s_wait_alu 0xfffe
	s_lshr_b32 s2, s2, 5
	s_delay_alu instid0(VALU_DEP_1) | instskip(SKIP_4) | instid1(VALU_DEP_2)
	v_cmp_ne_u32_e32 vcc_lo, 7, v4
	v_add_nc_u32_e32 v6, 1, v4
	s_wait_alu 0xfffd
	v_add_co_ci_u32_e64 v5, null, 0, v2, vcc_lo
	v_cmp_gt_u32_e32 vcc_lo, 6, v4
	v_lshlrev_b32_e32 v5, 2, v5
	s_wait_alu 0xfffd
	v_cndmask_b32_e64 v7, 0, 2, vcc_lo
	s_wait_alu 0xfffe
	v_cmp_gt_u32_e32 vcc_lo, s2, v6
	s_wait_dscnt 0x0
	ds_bpermute_b32 v5, v5, v1
	v_add_lshl_u32 v2, v7, v2, 2
	s_wait_dscnt 0x0
	s_wait_alu 0xfffd
	v_cndmask_b32_e32 v5, 0, v5, vcc_lo
	s_delay_alu instid0(VALU_DEP_1)
	v_add_nc_u32_e32 v1, v5, v1
	v_add_nc_u32_e32 v5, 2, v4
	ds_bpermute_b32 v2, v2, v1
	v_cmp_gt_u32_e32 vcc_lo, s2, v5
	s_wait_dscnt 0x0
	s_wait_alu 0xfffd
	v_cndmask_b32_e32 v2, 0, v2, vcc_lo
	s_delay_alu instid0(VALU_DEP_1)
	v_add_nc_u32_e32 v1, v1, v2
	v_or_b32_e32 v2, 16, v3
	v_add_nc_u32_e32 v3, 4, v4
	ds_bpermute_b32 v2, v2, v1
	v_cmp_gt_u32_e32 vcc_lo, s2, v3
	s_wait_dscnt 0x0
	s_wait_alu 0xfffd
	v_cndmask_b32_e32 v2, 0, v2, vcc_lo
	s_delay_alu instid0(VALU_DEP_1)
	v_add_nc_u32_e32 v1, v1, v2
.LBB844_132:
	s_wait_alu 0xfffe
	s_or_b32 exec_lo, exec_lo, s3
.LBB844_133:
	v_cmp_eq_u32_e64 s2, 0, v0
	s_branch .LBB844_142
.LBB844_134:
	s_cmp_eq_u32 s33, 8
	s_cbranch_scc0 .LBB844_141
; %bb.135:
	s_mov_b32 s35, 0
	s_lshl_b32 s2, s34, 11
	s_mov_b32 s3, s35
	s_lshr_b64 s[4:5], s[38:39], 11
	s_lshl_b64 s[6:7], s[2:3], 2
	s_cmp_lg_u64 s[4:5], s[34:35]
	s_add_nc_u64 s[8:9], s[36:37], s[6:7]
	s_cbranch_scc0 .LBB844_143
; %bb.136:
	v_lshlrev_b32_e32 v1, 2, v0
	s_mov_b32 s3, exec_lo
	s_clause 0x7
	global_load_b32 v2, v1, s[8:9]
	global_load_b32 v3, v1, s[8:9] offset:1024
	global_load_b32 v4, v1, s[8:9] offset:2048
	;; [unrolled: 1-line block ×7, first 2 shown]
	s_wait_loadcnt 0x6
	v_add_nc_u32_e32 v2, v3, v2
	s_wait_loadcnt 0x4
	s_delay_alu instid0(VALU_DEP_1) | instskip(SKIP_1) | instid1(VALU_DEP_1)
	v_add3_u32 v2, v2, v4, v5
	s_wait_loadcnt 0x2
	v_add3_u32 v2, v2, v6, v7
	s_wait_loadcnt 0x0
	s_delay_alu instid0(VALU_DEP_1) | instskip(NEXT) | instid1(VALU_DEP_1)
	v_add3_u32 v1, v2, v8, v1
	v_mov_b32_dpp v2, v1 quad_perm:[1,0,3,2] row_mask:0xf bank_mask:0xf
	s_delay_alu instid0(VALU_DEP_1) | instskip(NEXT) | instid1(VALU_DEP_1)
	v_add_nc_u32_e32 v1, v2, v1
	v_mov_b32_dpp v2, v1 quad_perm:[2,3,0,1] row_mask:0xf bank_mask:0xf
	s_delay_alu instid0(VALU_DEP_1) | instskip(NEXT) | instid1(VALU_DEP_1)
	v_add_nc_u32_e32 v1, v1, v2
	v_mov_b32_dpp v2, v1 row_ror:4 row_mask:0xf bank_mask:0xf
	s_delay_alu instid0(VALU_DEP_1) | instskip(NEXT) | instid1(VALU_DEP_1)
	v_add_nc_u32_e32 v1, v1, v2
	v_mov_b32_dpp v2, v1 row_ror:8 row_mask:0xf bank_mask:0xf
	s_delay_alu instid0(VALU_DEP_1)
	v_add_nc_u32_e32 v1, v1, v2
	ds_swizzle_b32 v2, v1 offset:swizzle(BROADCAST,32,15)
	s_wait_dscnt 0x0
	v_dual_mov_b32 v2, 0 :: v_dual_add_nc_u32 v1, v1, v2
	ds_bpermute_b32 v1, v2, v1 offset:124
	v_mbcnt_lo_u32_b32 v2, -1, 0
	s_delay_alu instid0(VALU_DEP_1)
	v_cmpx_eq_u32_e32 0, v2
	s_cbranch_execz .LBB844_138
; %bb.137:
	v_lshrrev_b32_e32 v3, 3, v0
	s_delay_alu instid0(VALU_DEP_1)
	v_and_b32_e32 v3, 28, v3
	s_wait_dscnt 0x0
	ds_store_b32 v3, v1 offset:160
.LBB844_138:
	s_or_b32 exec_lo, exec_lo, s3
	s_delay_alu instid0(SALU_CYCLE_1)
	s_mov_b32 s3, exec_lo
	s_wait_dscnt 0x0
	s_barrier_signal -1
	s_barrier_wait -1
	global_inv scope:SCOPE_SE
	v_cmpx_gt_u32_e32 32, v0
	s_cbranch_execz .LBB844_140
; %bb.139:
	v_and_b32_e32 v1, 7, v2
	s_delay_alu instid0(VALU_DEP_1) | instskip(SKIP_4) | instid1(VALU_DEP_2)
	v_lshlrev_b32_e32 v3, 2, v1
	v_cmp_ne_u32_e32 vcc_lo, 7, v1
	ds_load_b32 v3, v3 offset:160
	v_add_co_ci_u32_e64 v4, null, 0, v2, vcc_lo
	v_cmp_gt_u32_e32 vcc_lo, 6, v1
	v_lshlrev_b32_e32 v4, 2, v4
	s_wait_alu 0xfffd
	v_cndmask_b32_e64 v1, 0, 2, vcc_lo
	s_delay_alu instid0(VALU_DEP_1) | instskip(SKIP_1) | instid1(VALU_DEP_1)
	v_add_lshl_u32 v1, v1, v2, 2
	v_lshlrev_b32_e32 v2, 2, v2
	v_or_b32_e32 v2, 16, v2
	s_wait_dscnt 0x0
	ds_bpermute_b32 v4, v4, v3
	s_wait_dscnt 0x0
	v_add_nc_u32_e32 v3, v4, v3
	ds_bpermute_b32 v1, v1, v3
	s_wait_dscnt 0x0
	v_add_nc_u32_e32 v1, v1, v3
	;; [unrolled: 3-line block ×3, first 2 shown]
.LBB844_140:
	s_or_b32 exec_lo, exec_lo, s3
	s_branch .LBB844_165
.LBB844_141:
                                        ; implicit-def: $vgpr1
.LBB844_142:
	s_branch .LBB844_224
.LBB844_143:
                                        ; implicit-def: $vgpr1
	s_cbranch_execz .LBB844_165
; %bb.144:
	v_mov_b32_e32 v1, 0
	s_sub_co_i32 s10, s38, s2
	s_mov_b32 s2, exec_lo
	s_delay_alu instid0(VALU_DEP_1)
	v_dual_mov_b32 v2, v1 :: v_dual_mov_b32 v3, v1
	v_dual_mov_b32 v4, v1 :: v_dual_mov_b32 v5, v1
	;; [unrolled: 1-line block ×3, first 2 shown]
	v_mov_b32_e32 v8, v1
	v_cmpx_gt_u32_e64 s10, v0
	s_cbranch_execz .LBB844_146
; %bb.145:
	v_dual_mov_b32 v3, v1 :: v_dual_lshlrev_b32 v2, 2, v0
	v_dual_mov_b32 v8, v1 :: v_dual_mov_b32 v9, v1
	v_dual_mov_b32 v4, v1 :: v_dual_mov_b32 v5, v1
	global_load_b32 v2, v2, s[8:9]
	v_dual_mov_b32 v6, v1 :: v_dual_mov_b32 v7, v1
	s_wait_loadcnt 0x0
	v_mov_b32_e32 v1, v2
	v_mov_b32_e32 v2, v3
	;; [unrolled: 1-line block ×8, first 2 shown]
.LBB844_146:
	s_or_b32 exec_lo, exec_lo, s2
	v_or_b32_e32 v9, 0x100, v0
	s_delay_alu instid0(VALU_DEP_1)
	v_cmp_gt_u32_e32 vcc_lo, s10, v9
	s_and_saveexec_b32 s2, vcc_lo
	s_cbranch_execz .LBB844_148
; %bb.147:
	v_lshlrev_b32_e32 v2, 2, v0
	global_load_b32 v2, v2, s[8:9] offset:1024
.LBB844_148:
	s_or_b32 exec_lo, exec_lo, s2
	v_or_b32_e32 v9, 0x200, v0
	s_delay_alu instid0(VALU_DEP_1)
	v_cmp_gt_u32_e64 s2, s10, v9
	s_and_saveexec_b32 s3, s2
	s_cbranch_execz .LBB844_150
; %bb.149:
	v_lshlrev_b32_e32 v3, 2, v0
	global_load_b32 v3, v3, s[8:9] offset:2048
.LBB844_150:
	s_or_b32 exec_lo, exec_lo, s3
	v_or_b32_e32 v9, 0x300, v0
	s_delay_alu instid0(VALU_DEP_1)
	v_cmp_gt_u32_e64 s3, s10, v9
	s_and_saveexec_b32 s4, s3
	;; [unrolled: 10-line block ×6, first 2 shown]
	s_cbranch_execz .LBB844_160
; %bb.159:
	v_lshlrev_b32_e32 v8, 2, v0
	global_load_b32 v8, v8, s[8:9] offset:7168
.LBB844_160:
	s_wait_alu 0xfffe
	s_or_b32 exec_lo, exec_lo, s11
	s_wait_loadcnt 0x0
	v_cndmask_b32_e32 v2, 0, v2, vcc_lo
	v_cndmask_b32_e64 v3, 0, v3, s2
	v_cndmask_b32_e64 v4, 0, v4, s3
	;; [unrolled: 1-line block ×4, first 2 shown]
	v_add_nc_u32_e32 v1, v2, v1
	v_mbcnt_lo_u32_b32 v2, -1, 0
	v_cndmask_b32_e64 v7, 0, v7, s6
	s_min_u32 s2, s10, 0x100
	s_mov_b32 s3, exec_lo
	v_add3_u32 v1, v1, v3, v4
	v_cmp_ne_u32_e32 vcc_lo, 31, v2
	v_cndmask_b32_e64 v3, 0, v8, s7
	s_delay_alu instid0(VALU_DEP_3)
	v_add3_u32 v1, v1, v5, v6
	s_wait_alu 0xfffd
	v_add_co_ci_u32_e64 v4, null, 0, v2, vcc_lo
	v_add_nc_u32_e32 v5, 1, v2
	v_cmp_gt_u32_e32 vcc_lo, 30, v2
	v_add3_u32 v1, v1, v7, v3
	s_delay_alu instid0(VALU_DEP_4)
	v_lshlrev_b32_e32 v4, 2, v4
	s_wait_alu 0xfffd
	v_cndmask_b32_e64 v6, 0, 2, vcc_lo
	ds_bpermute_b32 v3, v4, v1
	v_and_b32_e32 v4, 0xe0, v0
	s_wait_alu 0xfffe
	s_delay_alu instid0(VALU_DEP_1) | instskip(NEXT) | instid1(VALU_DEP_1)
	v_sub_nc_u32_e64 v4, s2, v4 clamp
	v_cmp_lt_u32_e32 vcc_lo, v5, v4
	v_add_lshl_u32 v5, v6, v2, 2
	s_wait_dscnt 0x0
	s_wait_alu 0xfffd
	v_cndmask_b32_e32 v3, 0, v3, vcc_lo
	v_cmp_gt_u32_e32 vcc_lo, 28, v2
	s_delay_alu instid0(VALU_DEP_2) | instskip(SKIP_4) | instid1(VALU_DEP_1)
	v_add_nc_u32_e32 v1, v1, v3
	s_wait_alu 0xfffd
	v_cndmask_b32_e64 v6, 0, 4, vcc_lo
	ds_bpermute_b32 v3, v5, v1
	v_add_nc_u32_e32 v5, 2, v2
	v_cmp_lt_u32_e32 vcc_lo, v5, v4
	v_add_lshl_u32 v5, v6, v2, 2
	s_wait_dscnt 0x0
	s_wait_alu 0xfffd
	v_cndmask_b32_e32 v3, 0, v3, vcc_lo
	v_cmp_gt_u32_e32 vcc_lo, 24, v2
	s_delay_alu instid0(VALU_DEP_2) | instskip(SKIP_4) | instid1(VALU_DEP_1)
	v_add_nc_u32_e32 v1, v1, v3
	s_wait_alu 0xfffd
	v_cndmask_b32_e64 v6, 0, 8, vcc_lo
	ds_bpermute_b32 v3, v5, v1
	v_add_nc_u32_e32 v5, 4, v2
	v_cmp_lt_u32_e32 vcc_lo, v5, v4
	v_add_lshl_u32 v5, v6, v2, 2
	s_wait_dscnt 0x0
	s_wait_alu 0xfffd
	v_cndmask_b32_e32 v3, 0, v3, vcc_lo
	s_delay_alu instid0(VALU_DEP_1) | instskip(SKIP_3) | instid1(VALU_DEP_1)
	v_add_nc_u32_e32 v1, v1, v3
	v_lshlrev_b32_e32 v3, 2, v2
	ds_bpermute_b32 v5, v5, v1
	v_add_nc_u32_e32 v6, 8, v2
	v_cmp_lt_u32_e32 vcc_lo, v6, v4
	v_or_b32_e32 v6, 64, v3
	s_wait_dscnt 0x0
	s_wait_alu 0xfffd
	v_cndmask_b32_e32 v5, 0, v5, vcc_lo
	s_delay_alu instid0(VALU_DEP_1) | instskip(SKIP_2) | instid1(VALU_DEP_1)
	v_add_nc_u32_e32 v1, v1, v5
	ds_bpermute_b32 v5, v6, v1
	v_add_nc_u32_e32 v6, 16, v2
	v_cmp_lt_u32_e32 vcc_lo, v6, v4
	s_wait_dscnt 0x0
	s_wait_alu 0xfffd
	v_cndmask_b32_e32 v4, 0, v5, vcc_lo
	s_delay_alu instid0(VALU_DEP_1)
	v_add_nc_u32_e32 v1, v1, v4
	v_cmpx_eq_u32_e32 0, v2
; %bb.161:
	v_lshrrev_b32_e32 v4, 3, v0
	s_delay_alu instid0(VALU_DEP_1)
	v_and_b32_e32 v4, 28, v4
	ds_store_b32 v4, v1 offset:192
; %bb.162:
	s_or_b32 exec_lo, exec_lo, s3
	s_delay_alu instid0(SALU_CYCLE_1)
	s_mov_b32 s3, exec_lo
	s_wait_dscnt 0x0
	s_barrier_signal -1
	s_barrier_wait -1
	global_inv scope:SCOPE_SE
	v_cmpx_gt_u32_e32 8, v0
	s_cbranch_execz .LBB844_164
; %bb.163:
	ds_load_b32 v1, v3 offset:192
	v_and_b32_e32 v4, 7, v2
	s_add_co_i32 s2, s2, 31
	s_wait_alu 0xfffe
	s_lshr_b32 s2, s2, 5
	s_delay_alu instid0(VALU_DEP_1) | instskip(SKIP_4) | instid1(VALU_DEP_2)
	v_cmp_ne_u32_e32 vcc_lo, 7, v4
	v_add_nc_u32_e32 v6, 1, v4
	s_wait_alu 0xfffd
	v_add_co_ci_u32_e64 v5, null, 0, v2, vcc_lo
	v_cmp_gt_u32_e32 vcc_lo, 6, v4
	v_lshlrev_b32_e32 v5, 2, v5
	s_wait_alu 0xfffd
	v_cndmask_b32_e64 v7, 0, 2, vcc_lo
	s_wait_alu 0xfffe
	v_cmp_gt_u32_e32 vcc_lo, s2, v6
	s_wait_dscnt 0x0
	ds_bpermute_b32 v5, v5, v1
	v_add_lshl_u32 v2, v7, v2, 2
	s_wait_dscnt 0x0
	s_wait_alu 0xfffd
	v_cndmask_b32_e32 v5, 0, v5, vcc_lo
	s_delay_alu instid0(VALU_DEP_1)
	v_add_nc_u32_e32 v1, v5, v1
	v_add_nc_u32_e32 v5, 2, v4
	ds_bpermute_b32 v2, v2, v1
	v_cmp_gt_u32_e32 vcc_lo, s2, v5
	s_wait_dscnt 0x0
	s_wait_alu 0xfffd
	v_cndmask_b32_e32 v2, 0, v2, vcc_lo
	s_delay_alu instid0(VALU_DEP_1)
	v_add_nc_u32_e32 v1, v1, v2
	v_or_b32_e32 v2, 16, v3
	v_add_nc_u32_e32 v3, 4, v4
	ds_bpermute_b32 v2, v2, v1
	v_cmp_gt_u32_e32 vcc_lo, s2, v3
	s_wait_dscnt 0x0
	s_wait_alu 0xfffd
	v_cndmask_b32_e32 v2, 0, v2, vcc_lo
	s_delay_alu instid0(VALU_DEP_1)
	v_add_nc_u32_e32 v1, v1, v2
.LBB844_164:
	s_wait_alu 0xfffe
	s_or_b32 exec_lo, exec_lo, s3
.LBB844_165:
	v_cmp_eq_u32_e64 s2, 0, v0
	s_branch .LBB844_224
.LBB844_166:
	s_cmp_gt_i32 s33, 1
	s_cbranch_scc0 .LBB844_175
; %bb.167:
	s_cmp_gt_i32 s33, 3
	s_cbranch_scc0 .LBB844_176
; %bb.168:
	s_cmp_eq_u32 s33, 4
	s_cbranch_scc0 .LBB844_177
; %bb.169:
	s_mov_b32 s35, 0
	s_lshl_b32 s2, s34, 10
	s_mov_b32 s3, s35
	s_lshr_b64 s[4:5], s[38:39], 10
	s_lshl_b64 s[6:7], s[2:3], 2
	s_cmp_lg_u64 s[4:5], s[34:35]
	s_add_nc_u64 s[4:5], s[36:37], s[6:7]
	s_cbranch_scc0 .LBB844_179
; %bb.170:
	v_lshlrev_b32_e32 v1, 2, v0
	s_mov_b32 s3, exec_lo
	s_clause 0x3
	global_load_b32 v2, v1, s[4:5]
	global_load_b32 v3, v1, s[4:5] offset:1024
	global_load_b32 v4, v1, s[4:5] offset:2048
	;; [unrolled: 1-line block ×3, first 2 shown]
	s_wait_loadcnt 0x2
	v_add_nc_u32_e32 v2, v3, v2
	s_wait_loadcnt 0x0
	s_delay_alu instid0(VALU_DEP_1) | instskip(NEXT) | instid1(VALU_DEP_1)
	v_add3_u32 v1, v2, v4, v1
	v_mov_b32_dpp v2, v1 quad_perm:[1,0,3,2] row_mask:0xf bank_mask:0xf
	s_delay_alu instid0(VALU_DEP_1) | instskip(NEXT) | instid1(VALU_DEP_1)
	v_add_nc_u32_e32 v1, v2, v1
	v_mov_b32_dpp v2, v1 quad_perm:[2,3,0,1] row_mask:0xf bank_mask:0xf
	s_delay_alu instid0(VALU_DEP_1) | instskip(NEXT) | instid1(VALU_DEP_1)
	v_add_nc_u32_e32 v1, v1, v2
	v_mov_b32_dpp v2, v1 row_ror:4 row_mask:0xf bank_mask:0xf
	s_delay_alu instid0(VALU_DEP_1) | instskip(NEXT) | instid1(VALU_DEP_1)
	v_add_nc_u32_e32 v1, v1, v2
	v_mov_b32_dpp v2, v1 row_ror:8 row_mask:0xf bank_mask:0xf
	s_delay_alu instid0(VALU_DEP_1)
	v_add_nc_u32_e32 v1, v1, v2
	ds_swizzle_b32 v2, v1 offset:swizzle(BROADCAST,32,15)
	s_wait_dscnt 0x0
	v_dual_mov_b32 v2, 0 :: v_dual_add_nc_u32 v1, v1, v2
	ds_bpermute_b32 v1, v2, v1 offset:124
	v_mbcnt_lo_u32_b32 v2, -1, 0
	s_delay_alu instid0(VALU_DEP_1)
	v_cmpx_eq_u32_e32 0, v2
	s_cbranch_execz .LBB844_172
; %bb.171:
	v_lshrrev_b32_e32 v3, 3, v0
	s_delay_alu instid0(VALU_DEP_1)
	v_and_b32_e32 v3, 28, v3
	s_wait_dscnt 0x0
	ds_store_b32 v3, v1 offset:128
.LBB844_172:
	s_or_b32 exec_lo, exec_lo, s3
	s_delay_alu instid0(SALU_CYCLE_1)
	s_mov_b32 s3, exec_lo
	s_wait_dscnt 0x0
	s_barrier_signal -1
	s_barrier_wait -1
	global_inv scope:SCOPE_SE
	v_cmpx_gt_u32_e32 32, v0
	s_cbranch_execz .LBB844_174
; %bb.173:
	v_and_b32_e32 v1, 7, v2
	s_delay_alu instid0(VALU_DEP_1) | instskip(SKIP_4) | instid1(VALU_DEP_2)
	v_lshlrev_b32_e32 v3, 2, v1
	v_cmp_ne_u32_e32 vcc_lo, 7, v1
	ds_load_b32 v3, v3 offset:128
	v_add_co_ci_u32_e64 v4, null, 0, v2, vcc_lo
	v_cmp_gt_u32_e32 vcc_lo, 6, v1
	v_lshlrev_b32_e32 v4, 2, v4
	s_wait_alu 0xfffd
	v_cndmask_b32_e64 v1, 0, 2, vcc_lo
	s_delay_alu instid0(VALU_DEP_1) | instskip(SKIP_1) | instid1(VALU_DEP_1)
	v_add_lshl_u32 v1, v1, v2, 2
	v_lshlrev_b32_e32 v2, 2, v2
	v_or_b32_e32 v2, 16, v2
	s_wait_dscnt 0x0
	ds_bpermute_b32 v4, v4, v3
	s_wait_dscnt 0x0
	v_add_nc_u32_e32 v3, v4, v3
	ds_bpermute_b32 v1, v1, v3
	s_wait_dscnt 0x0
	v_add_nc_u32_e32 v1, v1, v3
	;; [unrolled: 3-line block ×3, first 2 shown]
.LBB844_174:
	s_or_b32 exec_lo, exec_lo, s3
	s_mov_b32 s3, 0
	s_branch .LBB844_180
.LBB844_175:
                                        ; implicit-def: $vgpr1
	s_cbranch_execnz .LBB844_215
	s_branch .LBB844_224
.LBB844_176:
                                        ; implicit-def: $vgpr1
	s_cbranch_execz .LBB844_178
	s_branch .LBB844_195
.LBB844_177:
                                        ; implicit-def: $vgpr1
.LBB844_178:
	s_branch .LBB844_224
.LBB844_179:
	s_mov_b32 s3, -1
                                        ; implicit-def: $vgpr1
.LBB844_180:
	s_delay_alu instid0(SALU_CYCLE_1)
	s_and_b32 vcc_lo, exec_lo, s3
	s_wait_alu 0xfffe
	s_cbranch_vccz .LBB844_194
; %bb.181:
	v_mov_b32_e32 v1, 0
	s_sub_co_i32 s6, s38, s2
	s_mov_b32 s2, exec_lo
	s_delay_alu instid0(VALU_DEP_1)
	v_dual_mov_b32 v2, v1 :: v_dual_mov_b32 v3, v1
	v_mov_b32_e32 v4, v1
	v_cmpx_gt_u32_e64 s6, v0
	s_cbranch_execz .LBB844_183
; %bb.182:
	v_dual_mov_b32 v3, v1 :: v_dual_lshlrev_b32 v2, 2, v0
	v_dual_mov_b32 v4, v1 :: v_dual_mov_b32 v5, v1
	global_load_b32 v2, v2, s[4:5]
	s_wait_loadcnt 0x0
	v_mov_b32_e32 v1, v2
	v_mov_b32_e32 v2, v3
	;; [unrolled: 1-line block ×4, first 2 shown]
.LBB844_183:
	s_or_b32 exec_lo, exec_lo, s2
	v_or_b32_e32 v5, 0x100, v0
	s_delay_alu instid0(VALU_DEP_1)
	v_cmp_gt_u32_e32 vcc_lo, s6, v5
	s_and_saveexec_b32 s2, vcc_lo
	s_cbranch_execz .LBB844_185
; %bb.184:
	v_lshlrev_b32_e32 v2, 2, v0
	global_load_b32 v2, v2, s[4:5] offset:1024
.LBB844_185:
	s_or_b32 exec_lo, exec_lo, s2
	v_or_b32_e32 v5, 0x200, v0
	s_delay_alu instid0(VALU_DEP_1)
	v_cmp_gt_u32_e64 s2, s6, v5
	s_and_saveexec_b32 s3, s2
	s_cbranch_execz .LBB844_187
; %bb.186:
	v_lshlrev_b32_e32 v3, 2, v0
	global_load_b32 v3, v3, s[4:5] offset:2048
.LBB844_187:
	s_or_b32 exec_lo, exec_lo, s3
	v_or_b32_e32 v5, 0x300, v0
	s_delay_alu instid0(VALU_DEP_1)
	v_cmp_gt_u32_e64 s3, s6, v5
	s_and_saveexec_b32 s7, s3
	s_cbranch_execz .LBB844_189
; %bb.188:
	v_lshlrev_b32_e32 v4, 2, v0
	global_load_b32 v4, v4, s[4:5] offset:3072
.LBB844_189:
	s_wait_alu 0xfffe
	s_or_b32 exec_lo, exec_lo, s7
	s_wait_loadcnt 0x0
	v_cndmask_b32_e32 v5, 0, v2, vcc_lo
	v_mbcnt_lo_u32_b32 v2, -1, 0
	v_cndmask_b32_e64 v3, 0, v3, s2
	v_cndmask_b32_e64 v4, 0, v4, s3
	s_min_u32 s2, s6, 0x100
	v_add_nc_u32_e32 v1, v5, v1
	v_cmp_ne_u32_e32 vcc_lo, 31, v2
	s_mov_b32 s3, exec_lo
	s_delay_alu instid0(VALU_DEP_2) | instskip(SKIP_4) | instid1(VALU_DEP_3)
	v_add3_u32 v1, v1, v3, v4
	s_wait_alu 0xfffd
	v_add_co_ci_u32_e64 v5, null, 0, v2, vcc_lo
	v_and_b32_e32 v4, 0xe0, v0
	v_cmp_gt_u32_e32 vcc_lo, 30, v2
	v_lshlrev_b32_e32 v3, 2, v5
	v_add_nc_u32_e32 v5, 1, v2
	s_wait_alu 0xfffe
	v_sub_nc_u32_e64 v4, s2, v4 clamp
	s_wait_alu 0xfffd
	v_cndmask_b32_e64 v6, 0, 2, vcc_lo
	ds_bpermute_b32 v3, v3, v1
	v_cmp_lt_u32_e32 vcc_lo, v5, v4
	v_add_lshl_u32 v5, v6, v2, 2
	s_wait_dscnt 0x0
	s_wait_alu 0xfffd
	v_cndmask_b32_e32 v3, 0, v3, vcc_lo
	v_cmp_gt_u32_e32 vcc_lo, 28, v2
	s_delay_alu instid0(VALU_DEP_2) | instskip(SKIP_4) | instid1(VALU_DEP_1)
	v_add_nc_u32_e32 v1, v3, v1
	s_wait_alu 0xfffd
	v_cndmask_b32_e64 v6, 0, 4, vcc_lo
	ds_bpermute_b32 v3, v5, v1
	v_add_nc_u32_e32 v5, 2, v2
	v_cmp_lt_u32_e32 vcc_lo, v5, v4
	v_add_lshl_u32 v5, v6, v2, 2
	s_wait_dscnt 0x0
	s_wait_alu 0xfffd
	v_cndmask_b32_e32 v3, 0, v3, vcc_lo
	v_cmp_gt_u32_e32 vcc_lo, 24, v2
	s_delay_alu instid0(VALU_DEP_2) | instskip(SKIP_4) | instid1(VALU_DEP_1)
	v_add_nc_u32_e32 v1, v1, v3
	s_wait_alu 0xfffd
	v_cndmask_b32_e64 v6, 0, 8, vcc_lo
	ds_bpermute_b32 v3, v5, v1
	v_add_nc_u32_e32 v5, 4, v2
	v_cmp_lt_u32_e32 vcc_lo, v5, v4
	v_add_lshl_u32 v5, v6, v2, 2
	s_wait_dscnt 0x0
	s_wait_alu 0xfffd
	v_dual_cndmask_b32 v3, 0, v3 :: v_dual_add_nc_u32 v6, 8, v2
	s_delay_alu instid0(VALU_DEP_1) | instskip(NEXT) | instid1(VALU_DEP_2)
	v_cmp_lt_u32_e32 vcc_lo, v6, v4
	v_add_nc_u32_e32 v1, v1, v3
	v_lshlrev_b32_e32 v3, 2, v2
	ds_bpermute_b32 v5, v5, v1
	v_or_b32_e32 v6, 64, v3
	s_wait_dscnt 0x0
	s_wait_alu 0xfffd
	v_cndmask_b32_e32 v5, 0, v5, vcc_lo
	s_delay_alu instid0(VALU_DEP_1) | instskip(SKIP_2) | instid1(VALU_DEP_1)
	v_add_nc_u32_e32 v1, v1, v5
	ds_bpermute_b32 v5, v6, v1
	v_add_nc_u32_e32 v6, 16, v2
	v_cmp_lt_u32_e32 vcc_lo, v6, v4
	s_wait_dscnt 0x0
	s_wait_alu 0xfffd
	v_cndmask_b32_e32 v4, 0, v5, vcc_lo
	s_delay_alu instid0(VALU_DEP_1)
	v_add_nc_u32_e32 v1, v1, v4
	v_cmpx_eq_u32_e32 0, v2
; %bb.190:
	v_lshrrev_b32_e32 v4, 3, v0
	s_delay_alu instid0(VALU_DEP_1)
	v_and_b32_e32 v4, 28, v4
	ds_store_b32 v4, v1 offset:192
; %bb.191:
	s_or_b32 exec_lo, exec_lo, s3
	s_delay_alu instid0(SALU_CYCLE_1)
	s_mov_b32 s3, exec_lo
	s_wait_dscnt 0x0
	s_barrier_signal -1
	s_barrier_wait -1
	global_inv scope:SCOPE_SE
	v_cmpx_gt_u32_e32 8, v0
	s_cbranch_execz .LBB844_193
; %bb.192:
	ds_load_b32 v1, v3 offset:192
	v_and_b32_e32 v4, 7, v2
	s_add_co_i32 s2, s2, 31
	s_wait_alu 0xfffe
	s_lshr_b32 s2, s2, 5
	s_delay_alu instid0(VALU_DEP_1) | instskip(SKIP_4) | instid1(VALU_DEP_2)
	v_cmp_ne_u32_e32 vcc_lo, 7, v4
	v_add_nc_u32_e32 v6, 1, v4
	s_wait_alu 0xfffd
	v_add_co_ci_u32_e64 v5, null, 0, v2, vcc_lo
	v_cmp_gt_u32_e32 vcc_lo, 6, v4
	v_lshlrev_b32_e32 v5, 2, v5
	s_wait_alu 0xfffd
	v_cndmask_b32_e64 v7, 0, 2, vcc_lo
	s_wait_alu 0xfffe
	v_cmp_gt_u32_e32 vcc_lo, s2, v6
	s_wait_dscnt 0x0
	ds_bpermute_b32 v5, v5, v1
	v_add_lshl_u32 v2, v7, v2, 2
	s_wait_dscnt 0x0
	s_wait_alu 0xfffd
	v_cndmask_b32_e32 v5, 0, v5, vcc_lo
	s_delay_alu instid0(VALU_DEP_1)
	v_add_nc_u32_e32 v1, v5, v1
	v_add_nc_u32_e32 v5, 2, v4
	ds_bpermute_b32 v2, v2, v1
	v_cmp_gt_u32_e32 vcc_lo, s2, v5
	s_wait_dscnt 0x0
	s_wait_alu 0xfffd
	v_cndmask_b32_e32 v2, 0, v2, vcc_lo
	s_delay_alu instid0(VALU_DEP_1)
	v_add_nc_u32_e32 v1, v1, v2
	v_or_b32_e32 v2, 16, v3
	v_add_nc_u32_e32 v3, 4, v4
	ds_bpermute_b32 v2, v2, v1
	v_cmp_gt_u32_e32 vcc_lo, s2, v3
	s_wait_dscnt 0x0
	s_wait_alu 0xfffd
	v_cndmask_b32_e32 v2, 0, v2, vcc_lo
	s_delay_alu instid0(VALU_DEP_1)
	v_add_nc_u32_e32 v1, v1, v2
.LBB844_193:
	s_wait_alu 0xfffe
	s_or_b32 exec_lo, exec_lo, s3
.LBB844_194:
	v_cmp_eq_u32_e64 s2, 0, v0
	s_branch .LBB844_178
.LBB844_195:
	s_cmp_eq_u32 s33, 2
	s_cbranch_scc0 .LBB844_202
; %bb.196:
	s_mov_b32 s35, 0
	s_lshl_b32 s4, s34, 9
	s_mov_b32 s5, s35
	s_lshr_b64 s[2:3], s[38:39], 9
	s_lshl_b64 s[6:7], s[4:5], 2
	s_cmp_lg_u64 s[2:3], s[34:35]
	s_add_nc_u64 s[2:3], s[36:37], s[6:7]
	s_cbranch_scc0 .LBB844_203
; %bb.197:
	v_lshlrev_b32_e32 v1, 2, v0
	s_mov_b32 s5, exec_lo
	s_clause 0x1
	global_load_b32 v2, v1, s[2:3]
	global_load_b32 v1, v1, s[2:3] offset:1024
	s_wait_loadcnt 0x0
	v_add_nc_u32_e32 v1, v1, v2
	s_delay_alu instid0(VALU_DEP_1) | instskip(NEXT) | instid1(VALU_DEP_1)
	v_mov_b32_dpp v2, v1 quad_perm:[1,0,3,2] row_mask:0xf bank_mask:0xf
	v_add_nc_u32_e32 v1, v2, v1
	s_delay_alu instid0(VALU_DEP_1) | instskip(NEXT) | instid1(VALU_DEP_1)
	v_mov_b32_dpp v2, v1 quad_perm:[2,3,0,1] row_mask:0xf bank_mask:0xf
	v_add_nc_u32_e32 v1, v1, v2
	s_delay_alu instid0(VALU_DEP_1) | instskip(NEXT) | instid1(VALU_DEP_1)
	v_mov_b32_dpp v2, v1 row_ror:4 row_mask:0xf bank_mask:0xf
	v_add_nc_u32_e32 v1, v1, v2
	s_delay_alu instid0(VALU_DEP_1) | instskip(NEXT) | instid1(VALU_DEP_1)
	v_mov_b32_dpp v2, v1 row_ror:8 row_mask:0xf bank_mask:0xf
	v_add_nc_u32_e32 v1, v1, v2
	ds_swizzle_b32 v2, v1 offset:swizzle(BROADCAST,32,15)
	s_wait_dscnt 0x0
	v_dual_mov_b32 v2, 0 :: v_dual_add_nc_u32 v1, v1, v2
	ds_bpermute_b32 v1, v2, v1 offset:124
	v_mbcnt_lo_u32_b32 v2, -1, 0
	s_delay_alu instid0(VALU_DEP_1)
	v_cmpx_eq_u32_e32 0, v2
	s_cbranch_execz .LBB844_199
; %bb.198:
	v_lshrrev_b32_e32 v3, 3, v0
	s_delay_alu instid0(VALU_DEP_1)
	v_and_b32_e32 v3, 28, v3
	s_wait_dscnt 0x0
	ds_store_b32 v3, v1 offset:64
.LBB844_199:
	s_or_b32 exec_lo, exec_lo, s5
	s_delay_alu instid0(SALU_CYCLE_1)
	s_mov_b32 s5, exec_lo
	s_wait_dscnt 0x0
	s_barrier_signal -1
	s_barrier_wait -1
	global_inv scope:SCOPE_SE
	v_cmpx_gt_u32_e32 32, v0
	s_cbranch_execz .LBB844_201
; %bb.200:
	v_and_b32_e32 v1, 7, v2
	s_delay_alu instid0(VALU_DEP_1) | instskip(SKIP_4) | instid1(VALU_DEP_2)
	v_lshlrev_b32_e32 v3, 2, v1
	v_cmp_ne_u32_e32 vcc_lo, 7, v1
	ds_load_b32 v3, v3 offset:64
	v_add_co_ci_u32_e64 v4, null, 0, v2, vcc_lo
	v_cmp_gt_u32_e32 vcc_lo, 6, v1
	v_lshlrev_b32_e32 v4, 2, v4
	s_wait_alu 0xfffd
	v_cndmask_b32_e64 v1, 0, 2, vcc_lo
	s_delay_alu instid0(VALU_DEP_1) | instskip(SKIP_1) | instid1(VALU_DEP_1)
	v_add_lshl_u32 v1, v1, v2, 2
	v_lshlrev_b32_e32 v2, 2, v2
	v_or_b32_e32 v2, 16, v2
	s_wait_dscnt 0x0
	ds_bpermute_b32 v4, v4, v3
	s_wait_dscnt 0x0
	v_add_nc_u32_e32 v3, v4, v3
	ds_bpermute_b32 v1, v1, v3
	s_wait_dscnt 0x0
	v_add_nc_u32_e32 v1, v1, v3
	;; [unrolled: 3-line block ×3, first 2 shown]
.LBB844_201:
	s_or_b32 exec_lo, exec_lo, s5
	s_mov_b32 s5, 0
	s_branch .LBB844_204
.LBB844_202:
                                        ; implicit-def: $vgpr1
	s_branch .LBB844_224
.LBB844_203:
	s_mov_b32 s5, -1
                                        ; implicit-def: $vgpr1
.LBB844_204:
	s_delay_alu instid0(SALU_CYCLE_1)
	s_and_b32 vcc_lo, exec_lo, s5
	s_wait_alu 0xfffe
	s_cbranch_vccz .LBB844_214
; %bb.205:
	v_mov_b32_e32 v1, 0
	s_sub_co_i32 s4, s38, s4
	s_mov_b32 s5, exec_lo
	s_delay_alu instid0(VALU_DEP_1)
	v_mov_b32_e32 v2, v1
	v_cmpx_gt_u32_e64 s4, v0
	s_cbranch_execz .LBB844_207
; %bb.206:
	v_dual_mov_b32 v3, v1 :: v_dual_lshlrev_b32 v2, 2, v0
	global_load_b32 v2, v2, s[2:3]
	s_wait_loadcnt 0x0
	v_mov_b32_e32 v1, v2
	v_mov_b32_e32 v2, v3
.LBB844_207:
	s_or_b32 exec_lo, exec_lo, s5
	v_or_b32_e32 v3, 0x100, v0
	s_delay_alu instid0(VALU_DEP_1)
	v_cmp_gt_u32_e32 vcc_lo, s4, v3
	s_and_saveexec_b32 s5, vcc_lo
	s_cbranch_execz .LBB844_209
; %bb.208:
	v_lshlrev_b32_e32 v2, 2, v0
	global_load_b32 v2, v2, s[2:3] offset:1024
.LBB844_209:
	s_wait_alu 0xfffe
	s_or_b32 exec_lo, exec_lo, s5
	v_mbcnt_lo_u32_b32 v3, -1, 0
	s_wait_loadcnt 0x0
	v_cndmask_b32_e32 v2, 0, v2, vcc_lo
	s_min_u32 s2, s4, 0x100
	s_mov_b32 s3, exec_lo
	v_cmp_ne_u32_e32 vcc_lo, 31, v3
	v_add_nc_u32_e32 v5, 1, v3
	v_add_nc_u32_e32 v1, v2, v1
	s_wait_alu 0xfffd
	v_add_co_ci_u32_e64 v4, null, 0, v3, vcc_lo
	v_cmp_gt_u32_e32 vcc_lo, 30, v3
	s_delay_alu instid0(VALU_DEP_2)
	v_lshlrev_b32_e32 v2, 2, v4
	v_and_b32_e32 v4, 0xe0, v0
	s_wait_alu 0xfffd
	v_cndmask_b32_e64 v6, 0, 2, vcc_lo
	ds_bpermute_b32 v2, v2, v1
	v_sub_nc_u32_e64 v4, s2, v4 clamp
	s_delay_alu instid0(VALU_DEP_1)
	v_cmp_lt_u32_e32 vcc_lo, v5, v4
	v_add_lshl_u32 v5, v6, v3, 2
	s_wait_dscnt 0x0
	s_wait_alu 0xfffd
	v_cndmask_b32_e32 v2, 0, v2, vcc_lo
	v_cmp_gt_u32_e32 vcc_lo, 28, v3
	s_delay_alu instid0(VALU_DEP_2) | instskip(SKIP_4) | instid1(VALU_DEP_1)
	v_add_nc_u32_e32 v1, v2, v1
	s_wait_alu 0xfffd
	v_cndmask_b32_e64 v6, 0, 4, vcc_lo
	ds_bpermute_b32 v2, v5, v1
	v_add_nc_u32_e32 v5, 2, v3
	v_cmp_lt_u32_e32 vcc_lo, v5, v4
	v_add_lshl_u32 v5, v6, v3, 2
	s_wait_dscnt 0x0
	s_wait_alu 0xfffd
	v_cndmask_b32_e32 v2, 0, v2, vcc_lo
	v_cmp_gt_u32_e32 vcc_lo, 24, v3
	s_delay_alu instid0(VALU_DEP_2) | instskip(SKIP_4) | instid1(VALU_DEP_1)
	v_add_nc_u32_e32 v1, v1, v2
	s_wait_alu 0xfffd
	v_cndmask_b32_e64 v6, 0, 8, vcc_lo
	ds_bpermute_b32 v2, v5, v1
	v_add_nc_u32_e32 v5, 4, v3
	v_cmp_lt_u32_e32 vcc_lo, v5, v4
	v_add_lshl_u32 v5, v6, v3, 2
	v_add_nc_u32_e32 v6, 8, v3
	s_wait_dscnt 0x0
	s_wait_alu 0xfffd
	v_cndmask_b32_e32 v2, 0, v2, vcc_lo
	s_delay_alu instid0(VALU_DEP_2) | instskip(NEXT) | instid1(VALU_DEP_2)
	v_cmp_lt_u32_e32 vcc_lo, v6, v4
	v_add_nc_u32_e32 v1, v1, v2
	v_lshlrev_b32_e32 v2, 2, v3
	ds_bpermute_b32 v5, v5, v1
	v_or_b32_e32 v6, 64, v2
	s_wait_dscnt 0x0
	s_wait_alu 0xfffd
	v_cndmask_b32_e32 v5, 0, v5, vcc_lo
	s_delay_alu instid0(VALU_DEP_1) | instskip(SKIP_2) | instid1(VALU_DEP_1)
	v_add_nc_u32_e32 v1, v1, v5
	ds_bpermute_b32 v5, v6, v1
	v_add_nc_u32_e32 v6, 16, v3
	v_cmp_lt_u32_e32 vcc_lo, v6, v4
	s_wait_dscnt 0x0
	s_wait_alu 0xfffd
	v_cndmask_b32_e32 v4, 0, v5, vcc_lo
	s_delay_alu instid0(VALU_DEP_1)
	v_add_nc_u32_e32 v1, v1, v4
	v_cmpx_eq_u32_e32 0, v3
; %bb.210:
	v_lshrrev_b32_e32 v4, 3, v0
	s_delay_alu instid0(VALU_DEP_1)
	v_and_b32_e32 v4, 28, v4
	ds_store_b32 v4, v1 offset:192
; %bb.211:
	s_or_b32 exec_lo, exec_lo, s3
	s_delay_alu instid0(SALU_CYCLE_1)
	s_mov_b32 s3, exec_lo
	s_wait_dscnt 0x0
	s_barrier_signal -1
	s_barrier_wait -1
	global_inv scope:SCOPE_SE
	v_cmpx_gt_u32_e32 8, v0
	s_cbranch_execz .LBB844_213
; %bb.212:
	ds_load_b32 v1, v2 offset:192
	v_and_b32_e32 v4, 7, v3
	s_add_co_i32 s2, s2, 31
	v_or_b32_e32 v2, 16, v2
	s_wait_alu 0xfffe
	s_lshr_b32 s2, s2, 5
	v_cmp_ne_u32_e32 vcc_lo, 7, v4
	v_add_nc_u32_e32 v6, 1, v4
	s_wait_alu 0xfffd
	v_add_co_ci_u32_e64 v5, null, 0, v3, vcc_lo
	v_cmp_gt_u32_e32 vcc_lo, 6, v4
	s_delay_alu instid0(VALU_DEP_2)
	v_lshlrev_b32_e32 v5, 2, v5
	s_wait_alu 0xfffd
	v_cndmask_b32_e64 v7, 0, 2, vcc_lo
	s_wait_alu 0xfffe
	v_cmp_gt_u32_e32 vcc_lo, s2, v6
	s_wait_dscnt 0x0
	ds_bpermute_b32 v5, v5, v1
	v_add_lshl_u32 v3, v7, v3, 2
	s_wait_dscnt 0x0
	s_wait_alu 0xfffd
	v_cndmask_b32_e32 v5, 0, v5, vcc_lo
	s_delay_alu instid0(VALU_DEP_1)
	v_add_nc_u32_e32 v1, v5, v1
	v_add_nc_u32_e32 v5, 2, v4
	ds_bpermute_b32 v3, v3, v1
	v_cmp_gt_u32_e32 vcc_lo, s2, v5
	s_wait_dscnt 0x0
	s_wait_alu 0xfffd
	v_cndmask_b32_e32 v3, 0, v3, vcc_lo
	s_delay_alu instid0(VALU_DEP_1)
	v_add_nc_u32_e32 v1, v1, v3
	v_add_nc_u32_e32 v3, 4, v4
	ds_bpermute_b32 v2, v2, v1
	v_cmp_gt_u32_e32 vcc_lo, s2, v3
	s_wait_dscnt 0x0
	s_wait_alu 0xfffd
	v_cndmask_b32_e32 v2, 0, v2, vcc_lo
	s_delay_alu instid0(VALU_DEP_1)
	v_add_nc_u32_e32 v1, v1, v2
.LBB844_213:
	s_wait_alu 0xfffe
	s_or_b32 exec_lo, exec_lo, s3
.LBB844_214:
	v_cmp_eq_u32_e64 s2, 0, v0
	s_branch .LBB844_224
.LBB844_215:
	s_cmp_eq_u32 s33, 1
	s_cbranch_scc0 .LBB844_223
; %bb.216:
	s_mov_b32 s3, 0
	v_mbcnt_lo_u32_b32 v2, -1, 0
	s_lshr_b64 s[4:5], s[38:39], 8
	s_mov_b32 s35, s3
	s_lshl_b32 s2, s34, 8
	s_cmp_lg_u64 s[4:5], s[34:35]
	s_cbranch_scc0 .LBB844_227
; %bb.217:
	v_lshlrev_b32_e32 v1, 2, v0
	s_lshl_b64 s[4:5], s[2:3], 2
	s_delay_alu instid0(SALU_CYCLE_1) | instskip(SKIP_4) | instid1(VALU_DEP_1)
	s_add_nc_u64 s[4:5], s[36:37], s[4:5]
	global_load_b32 v1, v1, s[4:5]
	s_mov_b32 s4, exec_lo
	s_wait_loadcnt 0x0
	v_mov_b32_dpp v3, v1 quad_perm:[1,0,3,2] row_mask:0xf bank_mask:0xf
	v_add_nc_u32_e32 v1, v3, v1
	s_delay_alu instid0(VALU_DEP_1) | instskip(NEXT) | instid1(VALU_DEP_1)
	v_mov_b32_dpp v3, v1 quad_perm:[2,3,0,1] row_mask:0xf bank_mask:0xf
	v_add_nc_u32_e32 v1, v1, v3
	s_delay_alu instid0(VALU_DEP_1) | instskip(NEXT) | instid1(VALU_DEP_1)
	v_mov_b32_dpp v3, v1 row_ror:4 row_mask:0xf bank_mask:0xf
	v_add_nc_u32_e32 v1, v1, v3
	s_delay_alu instid0(VALU_DEP_1) | instskip(NEXT) | instid1(VALU_DEP_1)
	v_mov_b32_dpp v3, v1 row_ror:8 row_mask:0xf bank_mask:0xf
	v_add_nc_u32_e32 v1, v1, v3
	ds_swizzle_b32 v3, v1 offset:swizzle(BROADCAST,32,15)
	s_wait_dscnt 0x0
	v_add_nc_u32_e32 v1, v1, v3
	v_mov_b32_e32 v3, 0
	ds_bpermute_b32 v1, v3, v1 offset:124
	v_cmpx_eq_u32_e32 0, v2
	s_cbranch_execz .LBB844_219
; %bb.218:
	v_lshrrev_b32_e32 v3, 3, v0
	s_delay_alu instid0(VALU_DEP_1)
	v_and_b32_e32 v3, 28, v3
	s_wait_dscnt 0x0
	ds_store_b32 v3, v1 offset:32
.LBB844_219:
	s_or_b32 exec_lo, exec_lo, s4
	s_delay_alu instid0(SALU_CYCLE_1)
	s_mov_b32 s4, exec_lo
	s_wait_dscnt 0x0
	s_barrier_signal -1
	s_barrier_wait -1
	global_inv scope:SCOPE_SE
	v_cmpx_gt_u32_e32 32, v0
	s_cbranch_execz .LBB844_221
; %bb.220:
	v_and_b32_e32 v1, 7, v2
	s_delay_alu instid0(VALU_DEP_1) | instskip(SKIP_4) | instid1(VALU_DEP_2)
	v_lshlrev_b32_e32 v3, 2, v1
	v_cmp_ne_u32_e32 vcc_lo, 7, v1
	ds_load_b32 v3, v3 offset:32
	v_add_co_ci_u32_e64 v4, null, 0, v2, vcc_lo
	v_cmp_gt_u32_e32 vcc_lo, 6, v1
	v_lshlrev_b32_e32 v4, 2, v4
	s_wait_alu 0xfffd
	v_cndmask_b32_e64 v1, 0, 2, vcc_lo
	s_delay_alu instid0(VALU_DEP_1)
	v_add_lshl_u32 v1, v1, v2, 2
	s_wait_dscnt 0x0
	ds_bpermute_b32 v4, v4, v3
	s_wait_dscnt 0x0
	v_add_nc_u32_e32 v3, v4, v3
	v_lshlrev_b32_e32 v4, 2, v2
	ds_bpermute_b32 v1, v1, v3
	s_wait_dscnt 0x0
	v_add_nc_u32_e32 v1, v1, v3
	v_or_b32_e32 v3, 16, v4
	ds_bpermute_b32 v3, v3, v1
	s_wait_dscnt 0x0
	v_add_nc_u32_e32 v1, v3, v1
.LBB844_221:
	s_or_b32 exec_lo, exec_lo, s4
.LBB844_222:
	v_cmp_eq_u32_e64 s2, 0, v0
	s_and_saveexec_b32 s3, s2
	s_cbranch_execnz .LBB844_225
	s_branch .LBB844_226
.LBB844_223:
                                        ; implicit-def: $vgpr1
                                        ; implicit-def: $sgpr34_sgpr35
.LBB844_224:
	s_delay_alu instid0(VALU_DEP_1)
	s_and_saveexec_b32 s3, s2
	s_cbranch_execz .LBB844_226
.LBB844_225:
	s_load_b96 s[0:2], s[0:1], 0x18
	s_lshl_b64 s[4:5], s[34:35], 2
	s_cmp_lg_u64 s[38:39], 0
	s_cselect_b32 vcc_lo, -1, 0
	s_wait_alu 0xfffe
	v_dual_cndmask_b32 v0, 0, v1 :: v_dual_mov_b32 v1, 0
	s_wait_kmcnt 0x0
	s_delay_alu instid0(VALU_DEP_1)
	v_add_nc_u32_e32 v0, s2, v0
	s_add_nc_u64 s[0:1], s[0:1], s[4:5]
	global_store_b32 v1, v0, s[0:1]
.LBB844_226:
	s_endpgm
.LBB844_227:
                                        ; implicit-def: $vgpr1
	s_cbranch_execz .LBB844_222
; %bb.228:
	s_sub_co_i32 s4, s38, s2
	s_mov_b32 s5, exec_lo
                                        ; implicit-def: $vgpr1
	v_cmpx_gt_u32_e64 s4, v0
	s_cbranch_execz .LBB844_230
; %bb.229:
	v_lshlrev_b32_e32 v1, 2, v0
	s_lshl_b64 s[2:3], s[2:3], 2
	s_delay_alu instid0(SALU_CYCLE_1)
	s_add_nc_u64 s[2:3], s[36:37], s[2:3]
	global_load_b32 v1, v1, s[2:3]
.LBB844_230:
	s_or_b32 exec_lo, exec_lo, s5
	v_cmp_ne_u32_e32 vcc_lo, 31, v2
	s_min_u32 s2, s4, 0x100
	v_add_nc_u32_e32 v5, 1, v2
	s_mov_b32 s3, exec_lo
	v_add_co_ci_u32_e64 v3, null, 0, v2, vcc_lo
	v_cmp_gt_u32_e32 vcc_lo, 30, v2
	s_delay_alu instid0(VALU_DEP_2)
	v_lshlrev_b32_e32 v3, 2, v3
	s_wait_alu 0xfffd
	v_cndmask_b32_e64 v6, 0, 2, vcc_lo
	s_wait_loadcnt 0x0
	ds_bpermute_b32 v3, v3, v1
	v_and_b32_e32 v4, 0xe0, v0
	s_delay_alu instid0(VALU_DEP_1) | instskip(NEXT) | instid1(VALU_DEP_1)
	v_sub_nc_u32_e64 v4, s2, v4 clamp
	v_cmp_lt_u32_e32 vcc_lo, v5, v4
	v_add_lshl_u32 v5, v6, v2, 2
	s_wait_dscnt 0x0
	s_wait_alu 0xfffd
	v_cndmask_b32_e32 v3, 0, v3, vcc_lo
	v_cmp_gt_u32_e32 vcc_lo, 28, v2
	s_delay_alu instid0(VALU_DEP_2) | instskip(SKIP_4) | instid1(VALU_DEP_1)
	v_add_nc_u32_e32 v1, v3, v1
	s_wait_alu 0xfffd
	v_cndmask_b32_e64 v6, 0, 4, vcc_lo
	ds_bpermute_b32 v3, v5, v1
	v_add_nc_u32_e32 v5, 2, v2
	v_cmp_lt_u32_e32 vcc_lo, v5, v4
	v_add_lshl_u32 v5, v6, v2, 2
	s_wait_dscnt 0x0
	s_wait_alu 0xfffd
	v_cndmask_b32_e32 v3, 0, v3, vcc_lo
	v_cmp_gt_u32_e32 vcc_lo, 24, v2
	s_delay_alu instid0(VALU_DEP_2) | instskip(SKIP_4) | instid1(VALU_DEP_1)
	v_add_nc_u32_e32 v1, v1, v3
	s_wait_alu 0xfffd
	v_cndmask_b32_e64 v6, 0, 8, vcc_lo
	ds_bpermute_b32 v3, v5, v1
	v_add_nc_u32_e32 v5, 4, v2
	v_cmp_lt_u32_e32 vcc_lo, v5, v4
	v_add_lshl_u32 v5, v6, v2, 2
	s_wait_dscnt 0x0
	s_wait_alu 0xfffd
	v_dual_cndmask_b32 v3, 0, v3 :: v_dual_add_nc_u32 v6, 8, v2
	s_delay_alu instid0(VALU_DEP_1) | instskip(NEXT) | instid1(VALU_DEP_2)
	v_cmp_lt_u32_e32 vcc_lo, v6, v4
	v_add_nc_u32_e32 v1, v1, v3
	v_lshlrev_b32_e32 v3, 2, v2
	ds_bpermute_b32 v5, v5, v1
	v_or_b32_e32 v6, 64, v3
	s_wait_dscnt 0x0
	s_wait_alu 0xfffd
	v_cndmask_b32_e32 v5, 0, v5, vcc_lo
	s_delay_alu instid0(VALU_DEP_1) | instskip(SKIP_2) | instid1(VALU_DEP_1)
	v_add_nc_u32_e32 v1, v1, v5
	ds_bpermute_b32 v5, v6, v1
	v_add_nc_u32_e32 v6, 16, v2
	v_cmp_lt_u32_e32 vcc_lo, v6, v4
	s_wait_dscnt 0x0
	s_wait_alu 0xfffd
	v_cndmask_b32_e32 v4, 0, v5, vcc_lo
	s_delay_alu instid0(VALU_DEP_1)
	v_add_nc_u32_e32 v1, v1, v4
	v_cmpx_eq_u32_e32 0, v2
; %bb.231:
	v_lshrrev_b32_e32 v4, 3, v0
	s_delay_alu instid0(VALU_DEP_1)
	v_and_b32_e32 v4, 28, v4
	ds_store_b32 v4, v1 offset:192
; %bb.232:
	s_or_b32 exec_lo, exec_lo, s3
	s_delay_alu instid0(SALU_CYCLE_1)
	s_mov_b32 s3, exec_lo
	s_wait_dscnt 0x0
	s_barrier_signal -1
	s_barrier_wait -1
	global_inv scope:SCOPE_SE
	v_cmpx_gt_u32_e32 8, v0
	s_cbranch_execz .LBB844_234
; %bb.233:
	ds_load_b32 v1, v3 offset:192
	v_and_b32_e32 v4, 7, v2
	s_add_co_i32 s2, s2, 31
	s_wait_alu 0xfffe
	s_lshr_b32 s2, s2, 5
	s_delay_alu instid0(VALU_DEP_1) | instskip(SKIP_4) | instid1(VALU_DEP_2)
	v_cmp_ne_u32_e32 vcc_lo, 7, v4
	v_add_nc_u32_e32 v6, 1, v4
	s_wait_alu 0xfffd
	v_add_co_ci_u32_e64 v5, null, 0, v2, vcc_lo
	v_cmp_gt_u32_e32 vcc_lo, 6, v4
	v_lshlrev_b32_e32 v5, 2, v5
	s_wait_alu 0xfffd
	v_cndmask_b32_e64 v7, 0, 2, vcc_lo
	s_wait_alu 0xfffe
	v_cmp_gt_u32_e32 vcc_lo, s2, v6
	s_wait_dscnt 0x0
	ds_bpermute_b32 v5, v5, v1
	v_add_lshl_u32 v2, v7, v2, 2
	s_wait_dscnt 0x0
	s_wait_alu 0xfffd
	v_cndmask_b32_e32 v5, 0, v5, vcc_lo
	s_delay_alu instid0(VALU_DEP_1)
	v_add_nc_u32_e32 v1, v5, v1
	v_add_nc_u32_e32 v5, 2, v4
	ds_bpermute_b32 v2, v2, v1
	v_cmp_gt_u32_e32 vcc_lo, s2, v5
	s_wait_dscnt 0x0
	s_wait_alu 0xfffd
	v_cndmask_b32_e32 v2, 0, v2, vcc_lo
	s_delay_alu instid0(VALU_DEP_1)
	v_add_nc_u32_e32 v1, v1, v2
	v_or_b32_e32 v2, 16, v3
	v_add_nc_u32_e32 v3, 4, v4
	ds_bpermute_b32 v2, v2, v1
	v_cmp_gt_u32_e32 vcc_lo, s2, v3
	s_wait_dscnt 0x0
	s_wait_alu 0xfffd
	v_cndmask_b32_e32 v2, 0, v2, vcc_lo
	s_delay_alu instid0(VALU_DEP_1)
	v_add_nc_u32_e32 v1, v1, v2
.LBB844_234:
	s_wait_alu 0xfffe
	s_or_b32 exec_lo, exec_lo, s3
	v_cmp_eq_u32_e64 s2, 0, v0
	s_and_saveexec_b32 s3, s2
	s_cbranch_execnz .LBB844_225
	s_branch .LBB844_226
	.section	.rodata,"a",@progbits
	.p2align	6, 0x0
	.amdhsa_kernel _ZN7rocprim17ROCPRIM_400000_NS6detail17trampoline_kernelINS0_14default_configENS1_22reduce_config_selectorIiEEZNS1_11reduce_implILb1ES3_PiS7_iN6hipcub16HIPCUB_304000_NS6detail34convert_binary_result_type_wrapperINS9_3SumENS9_22TransformInputIteratorIbN2at6native12_GLOBAL__N_19NonZeroOpIN3c104HalfEEEPKSJ_lEEiEEEE10hipError_tPvRmT1_T2_T3_mT4_P12ihipStream_tbEUlT_E1_NS1_11comp_targetILNS1_3genE10ELNS1_11target_archE1201ELNS1_3gpuE5ELNS1_3repE0EEENS1_30default_config_static_selectorELNS0_4arch9wavefront6targetE0EEEvSS_
		.amdhsa_group_segment_fixed_size 224
		.amdhsa_private_segment_fixed_size 0
		.amdhsa_kernarg_size 40
		.amdhsa_user_sgpr_count 2
		.amdhsa_user_sgpr_dispatch_ptr 0
		.amdhsa_user_sgpr_queue_ptr 0
		.amdhsa_user_sgpr_kernarg_segment_ptr 1
		.amdhsa_user_sgpr_dispatch_id 0
		.amdhsa_user_sgpr_private_segment_size 0
		.amdhsa_wavefront_size32 1
		.amdhsa_uses_dynamic_stack 0
		.amdhsa_enable_private_segment 0
		.amdhsa_system_sgpr_workgroup_id_x 1
		.amdhsa_system_sgpr_workgroup_id_y 0
		.amdhsa_system_sgpr_workgroup_id_z 0
		.amdhsa_system_sgpr_workgroup_info 0
		.amdhsa_system_vgpr_workitem_id 0
		.amdhsa_next_free_vgpr 34
		.amdhsa_next_free_sgpr 45
		.amdhsa_reserve_vcc 1
		.amdhsa_float_round_mode_32 0
		.amdhsa_float_round_mode_16_64 0
		.amdhsa_float_denorm_mode_32 3
		.amdhsa_float_denorm_mode_16_64 3
		.amdhsa_fp16_overflow 0
		.amdhsa_workgroup_processor_mode 1
		.amdhsa_memory_ordered 1
		.amdhsa_forward_progress 1
		.amdhsa_inst_pref_size 93
		.amdhsa_round_robin_scheduling 0
		.amdhsa_exception_fp_ieee_invalid_op 0
		.amdhsa_exception_fp_denorm_src 0
		.amdhsa_exception_fp_ieee_div_zero 0
		.amdhsa_exception_fp_ieee_overflow 0
		.amdhsa_exception_fp_ieee_underflow 0
		.amdhsa_exception_fp_ieee_inexact 0
		.amdhsa_exception_int_div_zero 0
	.end_amdhsa_kernel
	.section	.text._ZN7rocprim17ROCPRIM_400000_NS6detail17trampoline_kernelINS0_14default_configENS1_22reduce_config_selectorIiEEZNS1_11reduce_implILb1ES3_PiS7_iN6hipcub16HIPCUB_304000_NS6detail34convert_binary_result_type_wrapperINS9_3SumENS9_22TransformInputIteratorIbN2at6native12_GLOBAL__N_19NonZeroOpIN3c104HalfEEEPKSJ_lEEiEEEE10hipError_tPvRmT1_T2_T3_mT4_P12ihipStream_tbEUlT_E1_NS1_11comp_targetILNS1_3genE10ELNS1_11target_archE1201ELNS1_3gpuE5ELNS1_3repE0EEENS1_30default_config_static_selectorELNS0_4arch9wavefront6targetE0EEEvSS_,"axG",@progbits,_ZN7rocprim17ROCPRIM_400000_NS6detail17trampoline_kernelINS0_14default_configENS1_22reduce_config_selectorIiEEZNS1_11reduce_implILb1ES3_PiS7_iN6hipcub16HIPCUB_304000_NS6detail34convert_binary_result_type_wrapperINS9_3SumENS9_22TransformInputIteratorIbN2at6native12_GLOBAL__N_19NonZeroOpIN3c104HalfEEEPKSJ_lEEiEEEE10hipError_tPvRmT1_T2_T3_mT4_P12ihipStream_tbEUlT_E1_NS1_11comp_targetILNS1_3genE10ELNS1_11target_archE1201ELNS1_3gpuE5ELNS1_3repE0EEENS1_30default_config_static_selectorELNS0_4arch9wavefront6targetE0EEEvSS_,comdat
.Lfunc_end844:
	.size	_ZN7rocprim17ROCPRIM_400000_NS6detail17trampoline_kernelINS0_14default_configENS1_22reduce_config_selectorIiEEZNS1_11reduce_implILb1ES3_PiS7_iN6hipcub16HIPCUB_304000_NS6detail34convert_binary_result_type_wrapperINS9_3SumENS9_22TransformInputIteratorIbN2at6native12_GLOBAL__N_19NonZeroOpIN3c104HalfEEEPKSJ_lEEiEEEE10hipError_tPvRmT1_T2_T3_mT4_P12ihipStream_tbEUlT_E1_NS1_11comp_targetILNS1_3genE10ELNS1_11target_archE1201ELNS1_3gpuE5ELNS1_3repE0EEENS1_30default_config_static_selectorELNS0_4arch9wavefront6targetE0EEEvSS_, .Lfunc_end844-_ZN7rocprim17ROCPRIM_400000_NS6detail17trampoline_kernelINS0_14default_configENS1_22reduce_config_selectorIiEEZNS1_11reduce_implILb1ES3_PiS7_iN6hipcub16HIPCUB_304000_NS6detail34convert_binary_result_type_wrapperINS9_3SumENS9_22TransformInputIteratorIbN2at6native12_GLOBAL__N_19NonZeroOpIN3c104HalfEEEPKSJ_lEEiEEEE10hipError_tPvRmT1_T2_T3_mT4_P12ihipStream_tbEUlT_E1_NS1_11comp_targetILNS1_3genE10ELNS1_11target_archE1201ELNS1_3gpuE5ELNS1_3repE0EEENS1_30default_config_static_selectorELNS0_4arch9wavefront6targetE0EEEvSS_
                                        ; -- End function
	.set _ZN7rocprim17ROCPRIM_400000_NS6detail17trampoline_kernelINS0_14default_configENS1_22reduce_config_selectorIiEEZNS1_11reduce_implILb1ES3_PiS7_iN6hipcub16HIPCUB_304000_NS6detail34convert_binary_result_type_wrapperINS9_3SumENS9_22TransformInputIteratorIbN2at6native12_GLOBAL__N_19NonZeroOpIN3c104HalfEEEPKSJ_lEEiEEEE10hipError_tPvRmT1_T2_T3_mT4_P12ihipStream_tbEUlT_E1_NS1_11comp_targetILNS1_3genE10ELNS1_11target_archE1201ELNS1_3gpuE5ELNS1_3repE0EEENS1_30default_config_static_selectorELNS0_4arch9wavefront6targetE0EEEvSS_.num_vgpr, 34
	.set _ZN7rocprim17ROCPRIM_400000_NS6detail17trampoline_kernelINS0_14default_configENS1_22reduce_config_selectorIiEEZNS1_11reduce_implILb1ES3_PiS7_iN6hipcub16HIPCUB_304000_NS6detail34convert_binary_result_type_wrapperINS9_3SumENS9_22TransformInputIteratorIbN2at6native12_GLOBAL__N_19NonZeroOpIN3c104HalfEEEPKSJ_lEEiEEEE10hipError_tPvRmT1_T2_T3_mT4_P12ihipStream_tbEUlT_E1_NS1_11comp_targetILNS1_3genE10ELNS1_11target_archE1201ELNS1_3gpuE5ELNS1_3repE0EEENS1_30default_config_static_selectorELNS0_4arch9wavefront6targetE0EEEvSS_.num_agpr, 0
	.set _ZN7rocprim17ROCPRIM_400000_NS6detail17trampoline_kernelINS0_14default_configENS1_22reduce_config_selectorIiEEZNS1_11reduce_implILb1ES3_PiS7_iN6hipcub16HIPCUB_304000_NS6detail34convert_binary_result_type_wrapperINS9_3SumENS9_22TransformInputIteratorIbN2at6native12_GLOBAL__N_19NonZeroOpIN3c104HalfEEEPKSJ_lEEiEEEE10hipError_tPvRmT1_T2_T3_mT4_P12ihipStream_tbEUlT_E1_NS1_11comp_targetILNS1_3genE10ELNS1_11target_archE1201ELNS1_3gpuE5ELNS1_3repE0EEENS1_30default_config_static_selectorELNS0_4arch9wavefront6targetE0EEEvSS_.numbered_sgpr, 45
	.set _ZN7rocprim17ROCPRIM_400000_NS6detail17trampoline_kernelINS0_14default_configENS1_22reduce_config_selectorIiEEZNS1_11reduce_implILb1ES3_PiS7_iN6hipcub16HIPCUB_304000_NS6detail34convert_binary_result_type_wrapperINS9_3SumENS9_22TransformInputIteratorIbN2at6native12_GLOBAL__N_19NonZeroOpIN3c104HalfEEEPKSJ_lEEiEEEE10hipError_tPvRmT1_T2_T3_mT4_P12ihipStream_tbEUlT_E1_NS1_11comp_targetILNS1_3genE10ELNS1_11target_archE1201ELNS1_3gpuE5ELNS1_3repE0EEENS1_30default_config_static_selectorELNS0_4arch9wavefront6targetE0EEEvSS_.num_named_barrier, 0
	.set _ZN7rocprim17ROCPRIM_400000_NS6detail17trampoline_kernelINS0_14default_configENS1_22reduce_config_selectorIiEEZNS1_11reduce_implILb1ES3_PiS7_iN6hipcub16HIPCUB_304000_NS6detail34convert_binary_result_type_wrapperINS9_3SumENS9_22TransformInputIteratorIbN2at6native12_GLOBAL__N_19NonZeroOpIN3c104HalfEEEPKSJ_lEEiEEEE10hipError_tPvRmT1_T2_T3_mT4_P12ihipStream_tbEUlT_E1_NS1_11comp_targetILNS1_3genE10ELNS1_11target_archE1201ELNS1_3gpuE5ELNS1_3repE0EEENS1_30default_config_static_selectorELNS0_4arch9wavefront6targetE0EEEvSS_.private_seg_size, 0
	.set _ZN7rocprim17ROCPRIM_400000_NS6detail17trampoline_kernelINS0_14default_configENS1_22reduce_config_selectorIiEEZNS1_11reduce_implILb1ES3_PiS7_iN6hipcub16HIPCUB_304000_NS6detail34convert_binary_result_type_wrapperINS9_3SumENS9_22TransformInputIteratorIbN2at6native12_GLOBAL__N_19NonZeroOpIN3c104HalfEEEPKSJ_lEEiEEEE10hipError_tPvRmT1_T2_T3_mT4_P12ihipStream_tbEUlT_E1_NS1_11comp_targetILNS1_3genE10ELNS1_11target_archE1201ELNS1_3gpuE5ELNS1_3repE0EEENS1_30default_config_static_selectorELNS0_4arch9wavefront6targetE0EEEvSS_.uses_vcc, 1
	.set _ZN7rocprim17ROCPRIM_400000_NS6detail17trampoline_kernelINS0_14default_configENS1_22reduce_config_selectorIiEEZNS1_11reduce_implILb1ES3_PiS7_iN6hipcub16HIPCUB_304000_NS6detail34convert_binary_result_type_wrapperINS9_3SumENS9_22TransformInputIteratorIbN2at6native12_GLOBAL__N_19NonZeroOpIN3c104HalfEEEPKSJ_lEEiEEEE10hipError_tPvRmT1_T2_T3_mT4_P12ihipStream_tbEUlT_E1_NS1_11comp_targetILNS1_3genE10ELNS1_11target_archE1201ELNS1_3gpuE5ELNS1_3repE0EEENS1_30default_config_static_selectorELNS0_4arch9wavefront6targetE0EEEvSS_.uses_flat_scratch, 0
	.set _ZN7rocprim17ROCPRIM_400000_NS6detail17trampoline_kernelINS0_14default_configENS1_22reduce_config_selectorIiEEZNS1_11reduce_implILb1ES3_PiS7_iN6hipcub16HIPCUB_304000_NS6detail34convert_binary_result_type_wrapperINS9_3SumENS9_22TransformInputIteratorIbN2at6native12_GLOBAL__N_19NonZeroOpIN3c104HalfEEEPKSJ_lEEiEEEE10hipError_tPvRmT1_T2_T3_mT4_P12ihipStream_tbEUlT_E1_NS1_11comp_targetILNS1_3genE10ELNS1_11target_archE1201ELNS1_3gpuE5ELNS1_3repE0EEENS1_30default_config_static_selectorELNS0_4arch9wavefront6targetE0EEEvSS_.has_dyn_sized_stack, 0
	.set _ZN7rocprim17ROCPRIM_400000_NS6detail17trampoline_kernelINS0_14default_configENS1_22reduce_config_selectorIiEEZNS1_11reduce_implILb1ES3_PiS7_iN6hipcub16HIPCUB_304000_NS6detail34convert_binary_result_type_wrapperINS9_3SumENS9_22TransformInputIteratorIbN2at6native12_GLOBAL__N_19NonZeroOpIN3c104HalfEEEPKSJ_lEEiEEEE10hipError_tPvRmT1_T2_T3_mT4_P12ihipStream_tbEUlT_E1_NS1_11comp_targetILNS1_3genE10ELNS1_11target_archE1201ELNS1_3gpuE5ELNS1_3repE0EEENS1_30default_config_static_selectorELNS0_4arch9wavefront6targetE0EEEvSS_.has_recursion, 0
	.set _ZN7rocprim17ROCPRIM_400000_NS6detail17trampoline_kernelINS0_14default_configENS1_22reduce_config_selectorIiEEZNS1_11reduce_implILb1ES3_PiS7_iN6hipcub16HIPCUB_304000_NS6detail34convert_binary_result_type_wrapperINS9_3SumENS9_22TransformInputIteratorIbN2at6native12_GLOBAL__N_19NonZeroOpIN3c104HalfEEEPKSJ_lEEiEEEE10hipError_tPvRmT1_T2_T3_mT4_P12ihipStream_tbEUlT_E1_NS1_11comp_targetILNS1_3genE10ELNS1_11target_archE1201ELNS1_3gpuE5ELNS1_3repE0EEENS1_30default_config_static_selectorELNS0_4arch9wavefront6targetE0EEEvSS_.has_indirect_call, 0
	.section	.AMDGPU.csdata,"",@progbits
; Kernel info:
; codeLenInByte = 11904
; TotalNumSgprs: 47
; NumVgprs: 34
; ScratchSize: 0
; MemoryBound: 0
; FloatMode: 240
; IeeeMode: 1
; LDSByteSize: 224 bytes/workgroup (compile time only)
; SGPRBlocks: 0
; VGPRBlocks: 4
; NumSGPRsForWavesPerEU: 47
; NumVGPRsForWavesPerEU: 34
; Occupancy: 16
; WaveLimiterHint : 1
; COMPUTE_PGM_RSRC2:SCRATCH_EN: 0
; COMPUTE_PGM_RSRC2:USER_SGPR: 2
; COMPUTE_PGM_RSRC2:TRAP_HANDLER: 0
; COMPUTE_PGM_RSRC2:TGID_X_EN: 1
; COMPUTE_PGM_RSRC2:TGID_Y_EN: 0
; COMPUTE_PGM_RSRC2:TGID_Z_EN: 0
; COMPUTE_PGM_RSRC2:TIDIG_COMP_CNT: 0
	.section	.text._ZN7rocprim17ROCPRIM_400000_NS6detail17trampoline_kernelINS0_14default_configENS1_22reduce_config_selectorIiEEZNS1_11reduce_implILb1ES3_PiS7_iN6hipcub16HIPCUB_304000_NS6detail34convert_binary_result_type_wrapperINS9_3SumENS9_22TransformInputIteratorIbN2at6native12_GLOBAL__N_19NonZeroOpIN3c104HalfEEEPKSJ_lEEiEEEE10hipError_tPvRmT1_T2_T3_mT4_P12ihipStream_tbEUlT_E1_NS1_11comp_targetILNS1_3genE10ELNS1_11target_archE1200ELNS1_3gpuE4ELNS1_3repE0EEENS1_30default_config_static_selectorELNS0_4arch9wavefront6targetE0EEEvSS_,"axG",@progbits,_ZN7rocprim17ROCPRIM_400000_NS6detail17trampoline_kernelINS0_14default_configENS1_22reduce_config_selectorIiEEZNS1_11reduce_implILb1ES3_PiS7_iN6hipcub16HIPCUB_304000_NS6detail34convert_binary_result_type_wrapperINS9_3SumENS9_22TransformInputIteratorIbN2at6native12_GLOBAL__N_19NonZeroOpIN3c104HalfEEEPKSJ_lEEiEEEE10hipError_tPvRmT1_T2_T3_mT4_P12ihipStream_tbEUlT_E1_NS1_11comp_targetILNS1_3genE10ELNS1_11target_archE1200ELNS1_3gpuE4ELNS1_3repE0EEENS1_30default_config_static_selectorELNS0_4arch9wavefront6targetE0EEEvSS_,comdat
	.globl	_ZN7rocprim17ROCPRIM_400000_NS6detail17trampoline_kernelINS0_14default_configENS1_22reduce_config_selectorIiEEZNS1_11reduce_implILb1ES3_PiS7_iN6hipcub16HIPCUB_304000_NS6detail34convert_binary_result_type_wrapperINS9_3SumENS9_22TransformInputIteratorIbN2at6native12_GLOBAL__N_19NonZeroOpIN3c104HalfEEEPKSJ_lEEiEEEE10hipError_tPvRmT1_T2_T3_mT4_P12ihipStream_tbEUlT_E1_NS1_11comp_targetILNS1_3genE10ELNS1_11target_archE1200ELNS1_3gpuE4ELNS1_3repE0EEENS1_30default_config_static_selectorELNS0_4arch9wavefront6targetE0EEEvSS_ ; -- Begin function _ZN7rocprim17ROCPRIM_400000_NS6detail17trampoline_kernelINS0_14default_configENS1_22reduce_config_selectorIiEEZNS1_11reduce_implILb1ES3_PiS7_iN6hipcub16HIPCUB_304000_NS6detail34convert_binary_result_type_wrapperINS9_3SumENS9_22TransformInputIteratorIbN2at6native12_GLOBAL__N_19NonZeroOpIN3c104HalfEEEPKSJ_lEEiEEEE10hipError_tPvRmT1_T2_T3_mT4_P12ihipStream_tbEUlT_E1_NS1_11comp_targetILNS1_3genE10ELNS1_11target_archE1200ELNS1_3gpuE4ELNS1_3repE0EEENS1_30default_config_static_selectorELNS0_4arch9wavefront6targetE0EEEvSS_
	.p2align	8
	.type	_ZN7rocprim17ROCPRIM_400000_NS6detail17trampoline_kernelINS0_14default_configENS1_22reduce_config_selectorIiEEZNS1_11reduce_implILb1ES3_PiS7_iN6hipcub16HIPCUB_304000_NS6detail34convert_binary_result_type_wrapperINS9_3SumENS9_22TransformInputIteratorIbN2at6native12_GLOBAL__N_19NonZeroOpIN3c104HalfEEEPKSJ_lEEiEEEE10hipError_tPvRmT1_T2_T3_mT4_P12ihipStream_tbEUlT_E1_NS1_11comp_targetILNS1_3genE10ELNS1_11target_archE1200ELNS1_3gpuE4ELNS1_3repE0EEENS1_30default_config_static_selectorELNS0_4arch9wavefront6targetE0EEEvSS_,@function
_ZN7rocprim17ROCPRIM_400000_NS6detail17trampoline_kernelINS0_14default_configENS1_22reduce_config_selectorIiEEZNS1_11reduce_implILb1ES3_PiS7_iN6hipcub16HIPCUB_304000_NS6detail34convert_binary_result_type_wrapperINS9_3SumENS9_22TransformInputIteratorIbN2at6native12_GLOBAL__N_19NonZeroOpIN3c104HalfEEEPKSJ_lEEiEEEE10hipError_tPvRmT1_T2_T3_mT4_P12ihipStream_tbEUlT_E1_NS1_11comp_targetILNS1_3genE10ELNS1_11target_archE1200ELNS1_3gpuE4ELNS1_3repE0EEENS1_30default_config_static_selectorELNS0_4arch9wavefront6targetE0EEEvSS_: ; @_ZN7rocprim17ROCPRIM_400000_NS6detail17trampoline_kernelINS0_14default_configENS1_22reduce_config_selectorIiEEZNS1_11reduce_implILb1ES3_PiS7_iN6hipcub16HIPCUB_304000_NS6detail34convert_binary_result_type_wrapperINS9_3SumENS9_22TransformInputIteratorIbN2at6native12_GLOBAL__N_19NonZeroOpIN3c104HalfEEEPKSJ_lEEiEEEE10hipError_tPvRmT1_T2_T3_mT4_P12ihipStream_tbEUlT_E1_NS1_11comp_targetILNS1_3genE10ELNS1_11target_archE1200ELNS1_3gpuE4ELNS1_3repE0EEENS1_30default_config_static_selectorELNS0_4arch9wavefront6targetE0EEEvSS_
; %bb.0:
	.section	.rodata,"a",@progbits
	.p2align	6, 0x0
	.amdhsa_kernel _ZN7rocprim17ROCPRIM_400000_NS6detail17trampoline_kernelINS0_14default_configENS1_22reduce_config_selectorIiEEZNS1_11reduce_implILb1ES3_PiS7_iN6hipcub16HIPCUB_304000_NS6detail34convert_binary_result_type_wrapperINS9_3SumENS9_22TransformInputIteratorIbN2at6native12_GLOBAL__N_19NonZeroOpIN3c104HalfEEEPKSJ_lEEiEEEE10hipError_tPvRmT1_T2_T3_mT4_P12ihipStream_tbEUlT_E1_NS1_11comp_targetILNS1_3genE10ELNS1_11target_archE1200ELNS1_3gpuE4ELNS1_3repE0EEENS1_30default_config_static_selectorELNS0_4arch9wavefront6targetE0EEEvSS_
		.amdhsa_group_segment_fixed_size 0
		.amdhsa_private_segment_fixed_size 0
		.amdhsa_kernarg_size 40
		.amdhsa_user_sgpr_count 2
		.amdhsa_user_sgpr_dispatch_ptr 0
		.amdhsa_user_sgpr_queue_ptr 0
		.amdhsa_user_sgpr_kernarg_segment_ptr 1
		.amdhsa_user_sgpr_dispatch_id 0
		.amdhsa_user_sgpr_private_segment_size 0
		.amdhsa_wavefront_size32 1
		.amdhsa_uses_dynamic_stack 0
		.amdhsa_enable_private_segment 0
		.amdhsa_system_sgpr_workgroup_id_x 1
		.amdhsa_system_sgpr_workgroup_id_y 0
		.amdhsa_system_sgpr_workgroup_id_z 0
		.amdhsa_system_sgpr_workgroup_info 0
		.amdhsa_system_vgpr_workitem_id 0
		.amdhsa_next_free_vgpr 1
		.amdhsa_next_free_sgpr 1
		.amdhsa_reserve_vcc 0
		.amdhsa_float_round_mode_32 0
		.amdhsa_float_round_mode_16_64 0
		.amdhsa_float_denorm_mode_32 3
		.amdhsa_float_denorm_mode_16_64 3
		.amdhsa_fp16_overflow 0
		.amdhsa_workgroup_processor_mode 1
		.amdhsa_memory_ordered 1
		.amdhsa_forward_progress 1
		.amdhsa_inst_pref_size 0
		.amdhsa_round_robin_scheduling 0
		.amdhsa_exception_fp_ieee_invalid_op 0
		.amdhsa_exception_fp_denorm_src 0
		.amdhsa_exception_fp_ieee_div_zero 0
		.amdhsa_exception_fp_ieee_overflow 0
		.amdhsa_exception_fp_ieee_underflow 0
		.amdhsa_exception_fp_ieee_inexact 0
		.amdhsa_exception_int_div_zero 0
	.end_amdhsa_kernel
	.section	.text._ZN7rocprim17ROCPRIM_400000_NS6detail17trampoline_kernelINS0_14default_configENS1_22reduce_config_selectorIiEEZNS1_11reduce_implILb1ES3_PiS7_iN6hipcub16HIPCUB_304000_NS6detail34convert_binary_result_type_wrapperINS9_3SumENS9_22TransformInputIteratorIbN2at6native12_GLOBAL__N_19NonZeroOpIN3c104HalfEEEPKSJ_lEEiEEEE10hipError_tPvRmT1_T2_T3_mT4_P12ihipStream_tbEUlT_E1_NS1_11comp_targetILNS1_3genE10ELNS1_11target_archE1200ELNS1_3gpuE4ELNS1_3repE0EEENS1_30default_config_static_selectorELNS0_4arch9wavefront6targetE0EEEvSS_,"axG",@progbits,_ZN7rocprim17ROCPRIM_400000_NS6detail17trampoline_kernelINS0_14default_configENS1_22reduce_config_selectorIiEEZNS1_11reduce_implILb1ES3_PiS7_iN6hipcub16HIPCUB_304000_NS6detail34convert_binary_result_type_wrapperINS9_3SumENS9_22TransformInputIteratorIbN2at6native12_GLOBAL__N_19NonZeroOpIN3c104HalfEEEPKSJ_lEEiEEEE10hipError_tPvRmT1_T2_T3_mT4_P12ihipStream_tbEUlT_E1_NS1_11comp_targetILNS1_3genE10ELNS1_11target_archE1200ELNS1_3gpuE4ELNS1_3repE0EEENS1_30default_config_static_selectorELNS0_4arch9wavefront6targetE0EEEvSS_,comdat
.Lfunc_end845:
	.size	_ZN7rocprim17ROCPRIM_400000_NS6detail17trampoline_kernelINS0_14default_configENS1_22reduce_config_selectorIiEEZNS1_11reduce_implILb1ES3_PiS7_iN6hipcub16HIPCUB_304000_NS6detail34convert_binary_result_type_wrapperINS9_3SumENS9_22TransformInputIteratorIbN2at6native12_GLOBAL__N_19NonZeroOpIN3c104HalfEEEPKSJ_lEEiEEEE10hipError_tPvRmT1_T2_T3_mT4_P12ihipStream_tbEUlT_E1_NS1_11comp_targetILNS1_3genE10ELNS1_11target_archE1200ELNS1_3gpuE4ELNS1_3repE0EEENS1_30default_config_static_selectorELNS0_4arch9wavefront6targetE0EEEvSS_, .Lfunc_end845-_ZN7rocprim17ROCPRIM_400000_NS6detail17trampoline_kernelINS0_14default_configENS1_22reduce_config_selectorIiEEZNS1_11reduce_implILb1ES3_PiS7_iN6hipcub16HIPCUB_304000_NS6detail34convert_binary_result_type_wrapperINS9_3SumENS9_22TransformInputIteratorIbN2at6native12_GLOBAL__N_19NonZeroOpIN3c104HalfEEEPKSJ_lEEiEEEE10hipError_tPvRmT1_T2_T3_mT4_P12ihipStream_tbEUlT_E1_NS1_11comp_targetILNS1_3genE10ELNS1_11target_archE1200ELNS1_3gpuE4ELNS1_3repE0EEENS1_30default_config_static_selectorELNS0_4arch9wavefront6targetE0EEEvSS_
                                        ; -- End function
	.set _ZN7rocprim17ROCPRIM_400000_NS6detail17trampoline_kernelINS0_14default_configENS1_22reduce_config_selectorIiEEZNS1_11reduce_implILb1ES3_PiS7_iN6hipcub16HIPCUB_304000_NS6detail34convert_binary_result_type_wrapperINS9_3SumENS9_22TransformInputIteratorIbN2at6native12_GLOBAL__N_19NonZeroOpIN3c104HalfEEEPKSJ_lEEiEEEE10hipError_tPvRmT1_T2_T3_mT4_P12ihipStream_tbEUlT_E1_NS1_11comp_targetILNS1_3genE10ELNS1_11target_archE1200ELNS1_3gpuE4ELNS1_3repE0EEENS1_30default_config_static_selectorELNS0_4arch9wavefront6targetE0EEEvSS_.num_vgpr, 0
	.set _ZN7rocprim17ROCPRIM_400000_NS6detail17trampoline_kernelINS0_14default_configENS1_22reduce_config_selectorIiEEZNS1_11reduce_implILb1ES3_PiS7_iN6hipcub16HIPCUB_304000_NS6detail34convert_binary_result_type_wrapperINS9_3SumENS9_22TransformInputIteratorIbN2at6native12_GLOBAL__N_19NonZeroOpIN3c104HalfEEEPKSJ_lEEiEEEE10hipError_tPvRmT1_T2_T3_mT4_P12ihipStream_tbEUlT_E1_NS1_11comp_targetILNS1_3genE10ELNS1_11target_archE1200ELNS1_3gpuE4ELNS1_3repE0EEENS1_30default_config_static_selectorELNS0_4arch9wavefront6targetE0EEEvSS_.num_agpr, 0
	.set _ZN7rocprim17ROCPRIM_400000_NS6detail17trampoline_kernelINS0_14default_configENS1_22reduce_config_selectorIiEEZNS1_11reduce_implILb1ES3_PiS7_iN6hipcub16HIPCUB_304000_NS6detail34convert_binary_result_type_wrapperINS9_3SumENS9_22TransformInputIteratorIbN2at6native12_GLOBAL__N_19NonZeroOpIN3c104HalfEEEPKSJ_lEEiEEEE10hipError_tPvRmT1_T2_T3_mT4_P12ihipStream_tbEUlT_E1_NS1_11comp_targetILNS1_3genE10ELNS1_11target_archE1200ELNS1_3gpuE4ELNS1_3repE0EEENS1_30default_config_static_selectorELNS0_4arch9wavefront6targetE0EEEvSS_.numbered_sgpr, 0
	.set _ZN7rocprim17ROCPRIM_400000_NS6detail17trampoline_kernelINS0_14default_configENS1_22reduce_config_selectorIiEEZNS1_11reduce_implILb1ES3_PiS7_iN6hipcub16HIPCUB_304000_NS6detail34convert_binary_result_type_wrapperINS9_3SumENS9_22TransformInputIteratorIbN2at6native12_GLOBAL__N_19NonZeroOpIN3c104HalfEEEPKSJ_lEEiEEEE10hipError_tPvRmT1_T2_T3_mT4_P12ihipStream_tbEUlT_E1_NS1_11comp_targetILNS1_3genE10ELNS1_11target_archE1200ELNS1_3gpuE4ELNS1_3repE0EEENS1_30default_config_static_selectorELNS0_4arch9wavefront6targetE0EEEvSS_.num_named_barrier, 0
	.set _ZN7rocprim17ROCPRIM_400000_NS6detail17trampoline_kernelINS0_14default_configENS1_22reduce_config_selectorIiEEZNS1_11reduce_implILb1ES3_PiS7_iN6hipcub16HIPCUB_304000_NS6detail34convert_binary_result_type_wrapperINS9_3SumENS9_22TransformInputIteratorIbN2at6native12_GLOBAL__N_19NonZeroOpIN3c104HalfEEEPKSJ_lEEiEEEE10hipError_tPvRmT1_T2_T3_mT4_P12ihipStream_tbEUlT_E1_NS1_11comp_targetILNS1_3genE10ELNS1_11target_archE1200ELNS1_3gpuE4ELNS1_3repE0EEENS1_30default_config_static_selectorELNS0_4arch9wavefront6targetE0EEEvSS_.private_seg_size, 0
	.set _ZN7rocprim17ROCPRIM_400000_NS6detail17trampoline_kernelINS0_14default_configENS1_22reduce_config_selectorIiEEZNS1_11reduce_implILb1ES3_PiS7_iN6hipcub16HIPCUB_304000_NS6detail34convert_binary_result_type_wrapperINS9_3SumENS9_22TransformInputIteratorIbN2at6native12_GLOBAL__N_19NonZeroOpIN3c104HalfEEEPKSJ_lEEiEEEE10hipError_tPvRmT1_T2_T3_mT4_P12ihipStream_tbEUlT_E1_NS1_11comp_targetILNS1_3genE10ELNS1_11target_archE1200ELNS1_3gpuE4ELNS1_3repE0EEENS1_30default_config_static_selectorELNS0_4arch9wavefront6targetE0EEEvSS_.uses_vcc, 0
	.set _ZN7rocprim17ROCPRIM_400000_NS6detail17trampoline_kernelINS0_14default_configENS1_22reduce_config_selectorIiEEZNS1_11reduce_implILb1ES3_PiS7_iN6hipcub16HIPCUB_304000_NS6detail34convert_binary_result_type_wrapperINS9_3SumENS9_22TransformInputIteratorIbN2at6native12_GLOBAL__N_19NonZeroOpIN3c104HalfEEEPKSJ_lEEiEEEE10hipError_tPvRmT1_T2_T3_mT4_P12ihipStream_tbEUlT_E1_NS1_11comp_targetILNS1_3genE10ELNS1_11target_archE1200ELNS1_3gpuE4ELNS1_3repE0EEENS1_30default_config_static_selectorELNS0_4arch9wavefront6targetE0EEEvSS_.uses_flat_scratch, 0
	.set _ZN7rocprim17ROCPRIM_400000_NS6detail17trampoline_kernelINS0_14default_configENS1_22reduce_config_selectorIiEEZNS1_11reduce_implILb1ES3_PiS7_iN6hipcub16HIPCUB_304000_NS6detail34convert_binary_result_type_wrapperINS9_3SumENS9_22TransformInputIteratorIbN2at6native12_GLOBAL__N_19NonZeroOpIN3c104HalfEEEPKSJ_lEEiEEEE10hipError_tPvRmT1_T2_T3_mT4_P12ihipStream_tbEUlT_E1_NS1_11comp_targetILNS1_3genE10ELNS1_11target_archE1200ELNS1_3gpuE4ELNS1_3repE0EEENS1_30default_config_static_selectorELNS0_4arch9wavefront6targetE0EEEvSS_.has_dyn_sized_stack, 0
	.set _ZN7rocprim17ROCPRIM_400000_NS6detail17trampoline_kernelINS0_14default_configENS1_22reduce_config_selectorIiEEZNS1_11reduce_implILb1ES3_PiS7_iN6hipcub16HIPCUB_304000_NS6detail34convert_binary_result_type_wrapperINS9_3SumENS9_22TransformInputIteratorIbN2at6native12_GLOBAL__N_19NonZeroOpIN3c104HalfEEEPKSJ_lEEiEEEE10hipError_tPvRmT1_T2_T3_mT4_P12ihipStream_tbEUlT_E1_NS1_11comp_targetILNS1_3genE10ELNS1_11target_archE1200ELNS1_3gpuE4ELNS1_3repE0EEENS1_30default_config_static_selectorELNS0_4arch9wavefront6targetE0EEEvSS_.has_recursion, 0
	.set _ZN7rocprim17ROCPRIM_400000_NS6detail17trampoline_kernelINS0_14default_configENS1_22reduce_config_selectorIiEEZNS1_11reduce_implILb1ES3_PiS7_iN6hipcub16HIPCUB_304000_NS6detail34convert_binary_result_type_wrapperINS9_3SumENS9_22TransformInputIteratorIbN2at6native12_GLOBAL__N_19NonZeroOpIN3c104HalfEEEPKSJ_lEEiEEEE10hipError_tPvRmT1_T2_T3_mT4_P12ihipStream_tbEUlT_E1_NS1_11comp_targetILNS1_3genE10ELNS1_11target_archE1200ELNS1_3gpuE4ELNS1_3repE0EEENS1_30default_config_static_selectorELNS0_4arch9wavefront6targetE0EEEvSS_.has_indirect_call, 0
	.section	.AMDGPU.csdata,"",@progbits
; Kernel info:
; codeLenInByte = 0
; TotalNumSgprs: 0
; NumVgprs: 0
; ScratchSize: 0
; MemoryBound: 0
; FloatMode: 240
; IeeeMode: 1
; LDSByteSize: 0 bytes/workgroup (compile time only)
; SGPRBlocks: 0
; VGPRBlocks: 0
; NumSGPRsForWavesPerEU: 1
; NumVGPRsForWavesPerEU: 1
; Occupancy: 16
; WaveLimiterHint : 0
; COMPUTE_PGM_RSRC2:SCRATCH_EN: 0
; COMPUTE_PGM_RSRC2:USER_SGPR: 2
; COMPUTE_PGM_RSRC2:TRAP_HANDLER: 0
; COMPUTE_PGM_RSRC2:TGID_X_EN: 1
; COMPUTE_PGM_RSRC2:TGID_Y_EN: 0
; COMPUTE_PGM_RSRC2:TGID_Z_EN: 0
; COMPUTE_PGM_RSRC2:TIDIG_COMP_CNT: 0
	.section	.text._ZN7rocprim17ROCPRIM_400000_NS6detail17trampoline_kernelINS0_14default_configENS1_22reduce_config_selectorIiEEZNS1_11reduce_implILb1ES3_PiS7_iN6hipcub16HIPCUB_304000_NS6detail34convert_binary_result_type_wrapperINS9_3SumENS9_22TransformInputIteratorIbN2at6native12_GLOBAL__N_19NonZeroOpIN3c104HalfEEEPKSJ_lEEiEEEE10hipError_tPvRmT1_T2_T3_mT4_P12ihipStream_tbEUlT_E1_NS1_11comp_targetILNS1_3genE9ELNS1_11target_archE1100ELNS1_3gpuE3ELNS1_3repE0EEENS1_30default_config_static_selectorELNS0_4arch9wavefront6targetE0EEEvSS_,"axG",@progbits,_ZN7rocprim17ROCPRIM_400000_NS6detail17trampoline_kernelINS0_14default_configENS1_22reduce_config_selectorIiEEZNS1_11reduce_implILb1ES3_PiS7_iN6hipcub16HIPCUB_304000_NS6detail34convert_binary_result_type_wrapperINS9_3SumENS9_22TransformInputIteratorIbN2at6native12_GLOBAL__N_19NonZeroOpIN3c104HalfEEEPKSJ_lEEiEEEE10hipError_tPvRmT1_T2_T3_mT4_P12ihipStream_tbEUlT_E1_NS1_11comp_targetILNS1_3genE9ELNS1_11target_archE1100ELNS1_3gpuE3ELNS1_3repE0EEENS1_30default_config_static_selectorELNS0_4arch9wavefront6targetE0EEEvSS_,comdat
	.globl	_ZN7rocprim17ROCPRIM_400000_NS6detail17trampoline_kernelINS0_14default_configENS1_22reduce_config_selectorIiEEZNS1_11reduce_implILb1ES3_PiS7_iN6hipcub16HIPCUB_304000_NS6detail34convert_binary_result_type_wrapperINS9_3SumENS9_22TransformInputIteratorIbN2at6native12_GLOBAL__N_19NonZeroOpIN3c104HalfEEEPKSJ_lEEiEEEE10hipError_tPvRmT1_T2_T3_mT4_P12ihipStream_tbEUlT_E1_NS1_11comp_targetILNS1_3genE9ELNS1_11target_archE1100ELNS1_3gpuE3ELNS1_3repE0EEENS1_30default_config_static_selectorELNS0_4arch9wavefront6targetE0EEEvSS_ ; -- Begin function _ZN7rocprim17ROCPRIM_400000_NS6detail17trampoline_kernelINS0_14default_configENS1_22reduce_config_selectorIiEEZNS1_11reduce_implILb1ES3_PiS7_iN6hipcub16HIPCUB_304000_NS6detail34convert_binary_result_type_wrapperINS9_3SumENS9_22TransformInputIteratorIbN2at6native12_GLOBAL__N_19NonZeroOpIN3c104HalfEEEPKSJ_lEEiEEEE10hipError_tPvRmT1_T2_T3_mT4_P12ihipStream_tbEUlT_E1_NS1_11comp_targetILNS1_3genE9ELNS1_11target_archE1100ELNS1_3gpuE3ELNS1_3repE0EEENS1_30default_config_static_selectorELNS0_4arch9wavefront6targetE0EEEvSS_
	.p2align	8
	.type	_ZN7rocprim17ROCPRIM_400000_NS6detail17trampoline_kernelINS0_14default_configENS1_22reduce_config_selectorIiEEZNS1_11reduce_implILb1ES3_PiS7_iN6hipcub16HIPCUB_304000_NS6detail34convert_binary_result_type_wrapperINS9_3SumENS9_22TransformInputIteratorIbN2at6native12_GLOBAL__N_19NonZeroOpIN3c104HalfEEEPKSJ_lEEiEEEE10hipError_tPvRmT1_T2_T3_mT4_P12ihipStream_tbEUlT_E1_NS1_11comp_targetILNS1_3genE9ELNS1_11target_archE1100ELNS1_3gpuE3ELNS1_3repE0EEENS1_30default_config_static_selectorELNS0_4arch9wavefront6targetE0EEEvSS_,@function
_ZN7rocprim17ROCPRIM_400000_NS6detail17trampoline_kernelINS0_14default_configENS1_22reduce_config_selectorIiEEZNS1_11reduce_implILb1ES3_PiS7_iN6hipcub16HIPCUB_304000_NS6detail34convert_binary_result_type_wrapperINS9_3SumENS9_22TransformInputIteratorIbN2at6native12_GLOBAL__N_19NonZeroOpIN3c104HalfEEEPKSJ_lEEiEEEE10hipError_tPvRmT1_T2_T3_mT4_P12ihipStream_tbEUlT_E1_NS1_11comp_targetILNS1_3genE9ELNS1_11target_archE1100ELNS1_3gpuE3ELNS1_3repE0EEENS1_30default_config_static_selectorELNS0_4arch9wavefront6targetE0EEEvSS_: ; @_ZN7rocprim17ROCPRIM_400000_NS6detail17trampoline_kernelINS0_14default_configENS1_22reduce_config_selectorIiEEZNS1_11reduce_implILb1ES3_PiS7_iN6hipcub16HIPCUB_304000_NS6detail34convert_binary_result_type_wrapperINS9_3SumENS9_22TransformInputIteratorIbN2at6native12_GLOBAL__N_19NonZeroOpIN3c104HalfEEEPKSJ_lEEiEEEE10hipError_tPvRmT1_T2_T3_mT4_P12ihipStream_tbEUlT_E1_NS1_11comp_targetILNS1_3genE9ELNS1_11target_archE1100ELNS1_3gpuE3ELNS1_3repE0EEENS1_30default_config_static_selectorELNS0_4arch9wavefront6targetE0EEEvSS_
; %bb.0:
	.section	.rodata,"a",@progbits
	.p2align	6, 0x0
	.amdhsa_kernel _ZN7rocprim17ROCPRIM_400000_NS6detail17trampoline_kernelINS0_14default_configENS1_22reduce_config_selectorIiEEZNS1_11reduce_implILb1ES3_PiS7_iN6hipcub16HIPCUB_304000_NS6detail34convert_binary_result_type_wrapperINS9_3SumENS9_22TransformInputIteratorIbN2at6native12_GLOBAL__N_19NonZeroOpIN3c104HalfEEEPKSJ_lEEiEEEE10hipError_tPvRmT1_T2_T3_mT4_P12ihipStream_tbEUlT_E1_NS1_11comp_targetILNS1_3genE9ELNS1_11target_archE1100ELNS1_3gpuE3ELNS1_3repE0EEENS1_30default_config_static_selectorELNS0_4arch9wavefront6targetE0EEEvSS_
		.amdhsa_group_segment_fixed_size 0
		.amdhsa_private_segment_fixed_size 0
		.amdhsa_kernarg_size 40
		.amdhsa_user_sgpr_count 2
		.amdhsa_user_sgpr_dispatch_ptr 0
		.amdhsa_user_sgpr_queue_ptr 0
		.amdhsa_user_sgpr_kernarg_segment_ptr 1
		.amdhsa_user_sgpr_dispatch_id 0
		.amdhsa_user_sgpr_private_segment_size 0
		.amdhsa_wavefront_size32 1
		.amdhsa_uses_dynamic_stack 0
		.amdhsa_enable_private_segment 0
		.amdhsa_system_sgpr_workgroup_id_x 1
		.amdhsa_system_sgpr_workgroup_id_y 0
		.amdhsa_system_sgpr_workgroup_id_z 0
		.amdhsa_system_sgpr_workgroup_info 0
		.amdhsa_system_vgpr_workitem_id 0
		.amdhsa_next_free_vgpr 1
		.amdhsa_next_free_sgpr 1
		.amdhsa_reserve_vcc 0
		.amdhsa_float_round_mode_32 0
		.amdhsa_float_round_mode_16_64 0
		.amdhsa_float_denorm_mode_32 3
		.amdhsa_float_denorm_mode_16_64 3
		.amdhsa_fp16_overflow 0
		.amdhsa_workgroup_processor_mode 1
		.amdhsa_memory_ordered 1
		.amdhsa_forward_progress 1
		.amdhsa_inst_pref_size 0
		.amdhsa_round_robin_scheduling 0
		.amdhsa_exception_fp_ieee_invalid_op 0
		.amdhsa_exception_fp_denorm_src 0
		.amdhsa_exception_fp_ieee_div_zero 0
		.amdhsa_exception_fp_ieee_overflow 0
		.amdhsa_exception_fp_ieee_underflow 0
		.amdhsa_exception_fp_ieee_inexact 0
		.amdhsa_exception_int_div_zero 0
	.end_amdhsa_kernel
	.section	.text._ZN7rocprim17ROCPRIM_400000_NS6detail17trampoline_kernelINS0_14default_configENS1_22reduce_config_selectorIiEEZNS1_11reduce_implILb1ES3_PiS7_iN6hipcub16HIPCUB_304000_NS6detail34convert_binary_result_type_wrapperINS9_3SumENS9_22TransformInputIteratorIbN2at6native12_GLOBAL__N_19NonZeroOpIN3c104HalfEEEPKSJ_lEEiEEEE10hipError_tPvRmT1_T2_T3_mT4_P12ihipStream_tbEUlT_E1_NS1_11comp_targetILNS1_3genE9ELNS1_11target_archE1100ELNS1_3gpuE3ELNS1_3repE0EEENS1_30default_config_static_selectorELNS0_4arch9wavefront6targetE0EEEvSS_,"axG",@progbits,_ZN7rocprim17ROCPRIM_400000_NS6detail17trampoline_kernelINS0_14default_configENS1_22reduce_config_selectorIiEEZNS1_11reduce_implILb1ES3_PiS7_iN6hipcub16HIPCUB_304000_NS6detail34convert_binary_result_type_wrapperINS9_3SumENS9_22TransformInputIteratorIbN2at6native12_GLOBAL__N_19NonZeroOpIN3c104HalfEEEPKSJ_lEEiEEEE10hipError_tPvRmT1_T2_T3_mT4_P12ihipStream_tbEUlT_E1_NS1_11comp_targetILNS1_3genE9ELNS1_11target_archE1100ELNS1_3gpuE3ELNS1_3repE0EEENS1_30default_config_static_selectorELNS0_4arch9wavefront6targetE0EEEvSS_,comdat
.Lfunc_end846:
	.size	_ZN7rocprim17ROCPRIM_400000_NS6detail17trampoline_kernelINS0_14default_configENS1_22reduce_config_selectorIiEEZNS1_11reduce_implILb1ES3_PiS7_iN6hipcub16HIPCUB_304000_NS6detail34convert_binary_result_type_wrapperINS9_3SumENS9_22TransformInputIteratorIbN2at6native12_GLOBAL__N_19NonZeroOpIN3c104HalfEEEPKSJ_lEEiEEEE10hipError_tPvRmT1_T2_T3_mT4_P12ihipStream_tbEUlT_E1_NS1_11comp_targetILNS1_3genE9ELNS1_11target_archE1100ELNS1_3gpuE3ELNS1_3repE0EEENS1_30default_config_static_selectorELNS0_4arch9wavefront6targetE0EEEvSS_, .Lfunc_end846-_ZN7rocprim17ROCPRIM_400000_NS6detail17trampoline_kernelINS0_14default_configENS1_22reduce_config_selectorIiEEZNS1_11reduce_implILb1ES3_PiS7_iN6hipcub16HIPCUB_304000_NS6detail34convert_binary_result_type_wrapperINS9_3SumENS9_22TransformInputIteratorIbN2at6native12_GLOBAL__N_19NonZeroOpIN3c104HalfEEEPKSJ_lEEiEEEE10hipError_tPvRmT1_T2_T3_mT4_P12ihipStream_tbEUlT_E1_NS1_11comp_targetILNS1_3genE9ELNS1_11target_archE1100ELNS1_3gpuE3ELNS1_3repE0EEENS1_30default_config_static_selectorELNS0_4arch9wavefront6targetE0EEEvSS_
                                        ; -- End function
	.set _ZN7rocprim17ROCPRIM_400000_NS6detail17trampoline_kernelINS0_14default_configENS1_22reduce_config_selectorIiEEZNS1_11reduce_implILb1ES3_PiS7_iN6hipcub16HIPCUB_304000_NS6detail34convert_binary_result_type_wrapperINS9_3SumENS9_22TransformInputIteratorIbN2at6native12_GLOBAL__N_19NonZeroOpIN3c104HalfEEEPKSJ_lEEiEEEE10hipError_tPvRmT1_T2_T3_mT4_P12ihipStream_tbEUlT_E1_NS1_11comp_targetILNS1_3genE9ELNS1_11target_archE1100ELNS1_3gpuE3ELNS1_3repE0EEENS1_30default_config_static_selectorELNS0_4arch9wavefront6targetE0EEEvSS_.num_vgpr, 0
	.set _ZN7rocprim17ROCPRIM_400000_NS6detail17trampoline_kernelINS0_14default_configENS1_22reduce_config_selectorIiEEZNS1_11reduce_implILb1ES3_PiS7_iN6hipcub16HIPCUB_304000_NS6detail34convert_binary_result_type_wrapperINS9_3SumENS9_22TransformInputIteratorIbN2at6native12_GLOBAL__N_19NonZeroOpIN3c104HalfEEEPKSJ_lEEiEEEE10hipError_tPvRmT1_T2_T3_mT4_P12ihipStream_tbEUlT_E1_NS1_11comp_targetILNS1_3genE9ELNS1_11target_archE1100ELNS1_3gpuE3ELNS1_3repE0EEENS1_30default_config_static_selectorELNS0_4arch9wavefront6targetE0EEEvSS_.num_agpr, 0
	.set _ZN7rocprim17ROCPRIM_400000_NS6detail17trampoline_kernelINS0_14default_configENS1_22reduce_config_selectorIiEEZNS1_11reduce_implILb1ES3_PiS7_iN6hipcub16HIPCUB_304000_NS6detail34convert_binary_result_type_wrapperINS9_3SumENS9_22TransformInputIteratorIbN2at6native12_GLOBAL__N_19NonZeroOpIN3c104HalfEEEPKSJ_lEEiEEEE10hipError_tPvRmT1_T2_T3_mT4_P12ihipStream_tbEUlT_E1_NS1_11comp_targetILNS1_3genE9ELNS1_11target_archE1100ELNS1_3gpuE3ELNS1_3repE0EEENS1_30default_config_static_selectorELNS0_4arch9wavefront6targetE0EEEvSS_.numbered_sgpr, 0
	.set _ZN7rocprim17ROCPRIM_400000_NS6detail17trampoline_kernelINS0_14default_configENS1_22reduce_config_selectorIiEEZNS1_11reduce_implILb1ES3_PiS7_iN6hipcub16HIPCUB_304000_NS6detail34convert_binary_result_type_wrapperINS9_3SumENS9_22TransformInputIteratorIbN2at6native12_GLOBAL__N_19NonZeroOpIN3c104HalfEEEPKSJ_lEEiEEEE10hipError_tPvRmT1_T2_T3_mT4_P12ihipStream_tbEUlT_E1_NS1_11comp_targetILNS1_3genE9ELNS1_11target_archE1100ELNS1_3gpuE3ELNS1_3repE0EEENS1_30default_config_static_selectorELNS0_4arch9wavefront6targetE0EEEvSS_.num_named_barrier, 0
	.set _ZN7rocprim17ROCPRIM_400000_NS6detail17trampoline_kernelINS0_14default_configENS1_22reduce_config_selectorIiEEZNS1_11reduce_implILb1ES3_PiS7_iN6hipcub16HIPCUB_304000_NS6detail34convert_binary_result_type_wrapperINS9_3SumENS9_22TransformInputIteratorIbN2at6native12_GLOBAL__N_19NonZeroOpIN3c104HalfEEEPKSJ_lEEiEEEE10hipError_tPvRmT1_T2_T3_mT4_P12ihipStream_tbEUlT_E1_NS1_11comp_targetILNS1_3genE9ELNS1_11target_archE1100ELNS1_3gpuE3ELNS1_3repE0EEENS1_30default_config_static_selectorELNS0_4arch9wavefront6targetE0EEEvSS_.private_seg_size, 0
	.set _ZN7rocprim17ROCPRIM_400000_NS6detail17trampoline_kernelINS0_14default_configENS1_22reduce_config_selectorIiEEZNS1_11reduce_implILb1ES3_PiS7_iN6hipcub16HIPCUB_304000_NS6detail34convert_binary_result_type_wrapperINS9_3SumENS9_22TransformInputIteratorIbN2at6native12_GLOBAL__N_19NonZeroOpIN3c104HalfEEEPKSJ_lEEiEEEE10hipError_tPvRmT1_T2_T3_mT4_P12ihipStream_tbEUlT_E1_NS1_11comp_targetILNS1_3genE9ELNS1_11target_archE1100ELNS1_3gpuE3ELNS1_3repE0EEENS1_30default_config_static_selectorELNS0_4arch9wavefront6targetE0EEEvSS_.uses_vcc, 0
	.set _ZN7rocprim17ROCPRIM_400000_NS6detail17trampoline_kernelINS0_14default_configENS1_22reduce_config_selectorIiEEZNS1_11reduce_implILb1ES3_PiS7_iN6hipcub16HIPCUB_304000_NS6detail34convert_binary_result_type_wrapperINS9_3SumENS9_22TransformInputIteratorIbN2at6native12_GLOBAL__N_19NonZeroOpIN3c104HalfEEEPKSJ_lEEiEEEE10hipError_tPvRmT1_T2_T3_mT4_P12ihipStream_tbEUlT_E1_NS1_11comp_targetILNS1_3genE9ELNS1_11target_archE1100ELNS1_3gpuE3ELNS1_3repE0EEENS1_30default_config_static_selectorELNS0_4arch9wavefront6targetE0EEEvSS_.uses_flat_scratch, 0
	.set _ZN7rocprim17ROCPRIM_400000_NS6detail17trampoline_kernelINS0_14default_configENS1_22reduce_config_selectorIiEEZNS1_11reduce_implILb1ES3_PiS7_iN6hipcub16HIPCUB_304000_NS6detail34convert_binary_result_type_wrapperINS9_3SumENS9_22TransformInputIteratorIbN2at6native12_GLOBAL__N_19NonZeroOpIN3c104HalfEEEPKSJ_lEEiEEEE10hipError_tPvRmT1_T2_T3_mT4_P12ihipStream_tbEUlT_E1_NS1_11comp_targetILNS1_3genE9ELNS1_11target_archE1100ELNS1_3gpuE3ELNS1_3repE0EEENS1_30default_config_static_selectorELNS0_4arch9wavefront6targetE0EEEvSS_.has_dyn_sized_stack, 0
	.set _ZN7rocprim17ROCPRIM_400000_NS6detail17trampoline_kernelINS0_14default_configENS1_22reduce_config_selectorIiEEZNS1_11reduce_implILb1ES3_PiS7_iN6hipcub16HIPCUB_304000_NS6detail34convert_binary_result_type_wrapperINS9_3SumENS9_22TransformInputIteratorIbN2at6native12_GLOBAL__N_19NonZeroOpIN3c104HalfEEEPKSJ_lEEiEEEE10hipError_tPvRmT1_T2_T3_mT4_P12ihipStream_tbEUlT_E1_NS1_11comp_targetILNS1_3genE9ELNS1_11target_archE1100ELNS1_3gpuE3ELNS1_3repE0EEENS1_30default_config_static_selectorELNS0_4arch9wavefront6targetE0EEEvSS_.has_recursion, 0
	.set _ZN7rocprim17ROCPRIM_400000_NS6detail17trampoline_kernelINS0_14default_configENS1_22reduce_config_selectorIiEEZNS1_11reduce_implILb1ES3_PiS7_iN6hipcub16HIPCUB_304000_NS6detail34convert_binary_result_type_wrapperINS9_3SumENS9_22TransformInputIteratorIbN2at6native12_GLOBAL__N_19NonZeroOpIN3c104HalfEEEPKSJ_lEEiEEEE10hipError_tPvRmT1_T2_T3_mT4_P12ihipStream_tbEUlT_E1_NS1_11comp_targetILNS1_3genE9ELNS1_11target_archE1100ELNS1_3gpuE3ELNS1_3repE0EEENS1_30default_config_static_selectorELNS0_4arch9wavefront6targetE0EEEvSS_.has_indirect_call, 0
	.section	.AMDGPU.csdata,"",@progbits
; Kernel info:
; codeLenInByte = 0
; TotalNumSgprs: 0
; NumVgprs: 0
; ScratchSize: 0
; MemoryBound: 0
; FloatMode: 240
; IeeeMode: 1
; LDSByteSize: 0 bytes/workgroup (compile time only)
; SGPRBlocks: 0
; VGPRBlocks: 0
; NumSGPRsForWavesPerEU: 1
; NumVGPRsForWavesPerEU: 1
; Occupancy: 16
; WaveLimiterHint : 0
; COMPUTE_PGM_RSRC2:SCRATCH_EN: 0
; COMPUTE_PGM_RSRC2:USER_SGPR: 2
; COMPUTE_PGM_RSRC2:TRAP_HANDLER: 0
; COMPUTE_PGM_RSRC2:TGID_X_EN: 1
; COMPUTE_PGM_RSRC2:TGID_Y_EN: 0
; COMPUTE_PGM_RSRC2:TGID_Z_EN: 0
; COMPUTE_PGM_RSRC2:TIDIG_COMP_CNT: 0
	.section	.text._ZN7rocprim17ROCPRIM_400000_NS6detail17trampoline_kernelINS0_14default_configENS1_22reduce_config_selectorIiEEZNS1_11reduce_implILb1ES3_PiS7_iN6hipcub16HIPCUB_304000_NS6detail34convert_binary_result_type_wrapperINS9_3SumENS9_22TransformInputIteratorIbN2at6native12_GLOBAL__N_19NonZeroOpIN3c104HalfEEEPKSJ_lEEiEEEE10hipError_tPvRmT1_T2_T3_mT4_P12ihipStream_tbEUlT_E1_NS1_11comp_targetILNS1_3genE8ELNS1_11target_archE1030ELNS1_3gpuE2ELNS1_3repE0EEENS1_30default_config_static_selectorELNS0_4arch9wavefront6targetE0EEEvSS_,"axG",@progbits,_ZN7rocprim17ROCPRIM_400000_NS6detail17trampoline_kernelINS0_14default_configENS1_22reduce_config_selectorIiEEZNS1_11reduce_implILb1ES3_PiS7_iN6hipcub16HIPCUB_304000_NS6detail34convert_binary_result_type_wrapperINS9_3SumENS9_22TransformInputIteratorIbN2at6native12_GLOBAL__N_19NonZeroOpIN3c104HalfEEEPKSJ_lEEiEEEE10hipError_tPvRmT1_T2_T3_mT4_P12ihipStream_tbEUlT_E1_NS1_11comp_targetILNS1_3genE8ELNS1_11target_archE1030ELNS1_3gpuE2ELNS1_3repE0EEENS1_30default_config_static_selectorELNS0_4arch9wavefront6targetE0EEEvSS_,comdat
	.globl	_ZN7rocprim17ROCPRIM_400000_NS6detail17trampoline_kernelINS0_14default_configENS1_22reduce_config_selectorIiEEZNS1_11reduce_implILb1ES3_PiS7_iN6hipcub16HIPCUB_304000_NS6detail34convert_binary_result_type_wrapperINS9_3SumENS9_22TransformInputIteratorIbN2at6native12_GLOBAL__N_19NonZeroOpIN3c104HalfEEEPKSJ_lEEiEEEE10hipError_tPvRmT1_T2_T3_mT4_P12ihipStream_tbEUlT_E1_NS1_11comp_targetILNS1_3genE8ELNS1_11target_archE1030ELNS1_3gpuE2ELNS1_3repE0EEENS1_30default_config_static_selectorELNS0_4arch9wavefront6targetE0EEEvSS_ ; -- Begin function _ZN7rocprim17ROCPRIM_400000_NS6detail17trampoline_kernelINS0_14default_configENS1_22reduce_config_selectorIiEEZNS1_11reduce_implILb1ES3_PiS7_iN6hipcub16HIPCUB_304000_NS6detail34convert_binary_result_type_wrapperINS9_3SumENS9_22TransformInputIteratorIbN2at6native12_GLOBAL__N_19NonZeroOpIN3c104HalfEEEPKSJ_lEEiEEEE10hipError_tPvRmT1_T2_T3_mT4_P12ihipStream_tbEUlT_E1_NS1_11comp_targetILNS1_3genE8ELNS1_11target_archE1030ELNS1_3gpuE2ELNS1_3repE0EEENS1_30default_config_static_selectorELNS0_4arch9wavefront6targetE0EEEvSS_
	.p2align	8
	.type	_ZN7rocprim17ROCPRIM_400000_NS6detail17trampoline_kernelINS0_14default_configENS1_22reduce_config_selectorIiEEZNS1_11reduce_implILb1ES3_PiS7_iN6hipcub16HIPCUB_304000_NS6detail34convert_binary_result_type_wrapperINS9_3SumENS9_22TransformInputIteratorIbN2at6native12_GLOBAL__N_19NonZeroOpIN3c104HalfEEEPKSJ_lEEiEEEE10hipError_tPvRmT1_T2_T3_mT4_P12ihipStream_tbEUlT_E1_NS1_11comp_targetILNS1_3genE8ELNS1_11target_archE1030ELNS1_3gpuE2ELNS1_3repE0EEENS1_30default_config_static_selectorELNS0_4arch9wavefront6targetE0EEEvSS_,@function
_ZN7rocprim17ROCPRIM_400000_NS6detail17trampoline_kernelINS0_14default_configENS1_22reduce_config_selectorIiEEZNS1_11reduce_implILb1ES3_PiS7_iN6hipcub16HIPCUB_304000_NS6detail34convert_binary_result_type_wrapperINS9_3SumENS9_22TransformInputIteratorIbN2at6native12_GLOBAL__N_19NonZeroOpIN3c104HalfEEEPKSJ_lEEiEEEE10hipError_tPvRmT1_T2_T3_mT4_P12ihipStream_tbEUlT_E1_NS1_11comp_targetILNS1_3genE8ELNS1_11target_archE1030ELNS1_3gpuE2ELNS1_3repE0EEENS1_30default_config_static_selectorELNS0_4arch9wavefront6targetE0EEEvSS_: ; @_ZN7rocprim17ROCPRIM_400000_NS6detail17trampoline_kernelINS0_14default_configENS1_22reduce_config_selectorIiEEZNS1_11reduce_implILb1ES3_PiS7_iN6hipcub16HIPCUB_304000_NS6detail34convert_binary_result_type_wrapperINS9_3SumENS9_22TransformInputIteratorIbN2at6native12_GLOBAL__N_19NonZeroOpIN3c104HalfEEEPKSJ_lEEiEEEE10hipError_tPvRmT1_T2_T3_mT4_P12ihipStream_tbEUlT_E1_NS1_11comp_targetILNS1_3genE8ELNS1_11target_archE1030ELNS1_3gpuE2ELNS1_3repE0EEENS1_30default_config_static_selectorELNS0_4arch9wavefront6targetE0EEEvSS_
; %bb.0:
	.section	.rodata,"a",@progbits
	.p2align	6, 0x0
	.amdhsa_kernel _ZN7rocprim17ROCPRIM_400000_NS6detail17trampoline_kernelINS0_14default_configENS1_22reduce_config_selectorIiEEZNS1_11reduce_implILb1ES3_PiS7_iN6hipcub16HIPCUB_304000_NS6detail34convert_binary_result_type_wrapperINS9_3SumENS9_22TransformInputIteratorIbN2at6native12_GLOBAL__N_19NonZeroOpIN3c104HalfEEEPKSJ_lEEiEEEE10hipError_tPvRmT1_T2_T3_mT4_P12ihipStream_tbEUlT_E1_NS1_11comp_targetILNS1_3genE8ELNS1_11target_archE1030ELNS1_3gpuE2ELNS1_3repE0EEENS1_30default_config_static_selectorELNS0_4arch9wavefront6targetE0EEEvSS_
		.amdhsa_group_segment_fixed_size 0
		.amdhsa_private_segment_fixed_size 0
		.amdhsa_kernarg_size 40
		.amdhsa_user_sgpr_count 2
		.amdhsa_user_sgpr_dispatch_ptr 0
		.amdhsa_user_sgpr_queue_ptr 0
		.amdhsa_user_sgpr_kernarg_segment_ptr 1
		.amdhsa_user_sgpr_dispatch_id 0
		.amdhsa_user_sgpr_private_segment_size 0
		.amdhsa_wavefront_size32 1
		.amdhsa_uses_dynamic_stack 0
		.amdhsa_enable_private_segment 0
		.amdhsa_system_sgpr_workgroup_id_x 1
		.amdhsa_system_sgpr_workgroup_id_y 0
		.amdhsa_system_sgpr_workgroup_id_z 0
		.amdhsa_system_sgpr_workgroup_info 0
		.amdhsa_system_vgpr_workitem_id 0
		.amdhsa_next_free_vgpr 1
		.amdhsa_next_free_sgpr 1
		.amdhsa_reserve_vcc 0
		.amdhsa_float_round_mode_32 0
		.amdhsa_float_round_mode_16_64 0
		.amdhsa_float_denorm_mode_32 3
		.amdhsa_float_denorm_mode_16_64 3
		.amdhsa_fp16_overflow 0
		.amdhsa_workgroup_processor_mode 1
		.amdhsa_memory_ordered 1
		.amdhsa_forward_progress 1
		.amdhsa_inst_pref_size 0
		.amdhsa_round_robin_scheduling 0
		.amdhsa_exception_fp_ieee_invalid_op 0
		.amdhsa_exception_fp_denorm_src 0
		.amdhsa_exception_fp_ieee_div_zero 0
		.amdhsa_exception_fp_ieee_overflow 0
		.amdhsa_exception_fp_ieee_underflow 0
		.amdhsa_exception_fp_ieee_inexact 0
		.amdhsa_exception_int_div_zero 0
	.end_amdhsa_kernel
	.section	.text._ZN7rocprim17ROCPRIM_400000_NS6detail17trampoline_kernelINS0_14default_configENS1_22reduce_config_selectorIiEEZNS1_11reduce_implILb1ES3_PiS7_iN6hipcub16HIPCUB_304000_NS6detail34convert_binary_result_type_wrapperINS9_3SumENS9_22TransformInputIteratorIbN2at6native12_GLOBAL__N_19NonZeroOpIN3c104HalfEEEPKSJ_lEEiEEEE10hipError_tPvRmT1_T2_T3_mT4_P12ihipStream_tbEUlT_E1_NS1_11comp_targetILNS1_3genE8ELNS1_11target_archE1030ELNS1_3gpuE2ELNS1_3repE0EEENS1_30default_config_static_selectorELNS0_4arch9wavefront6targetE0EEEvSS_,"axG",@progbits,_ZN7rocprim17ROCPRIM_400000_NS6detail17trampoline_kernelINS0_14default_configENS1_22reduce_config_selectorIiEEZNS1_11reduce_implILb1ES3_PiS7_iN6hipcub16HIPCUB_304000_NS6detail34convert_binary_result_type_wrapperINS9_3SumENS9_22TransformInputIteratorIbN2at6native12_GLOBAL__N_19NonZeroOpIN3c104HalfEEEPKSJ_lEEiEEEE10hipError_tPvRmT1_T2_T3_mT4_P12ihipStream_tbEUlT_E1_NS1_11comp_targetILNS1_3genE8ELNS1_11target_archE1030ELNS1_3gpuE2ELNS1_3repE0EEENS1_30default_config_static_selectorELNS0_4arch9wavefront6targetE0EEEvSS_,comdat
.Lfunc_end847:
	.size	_ZN7rocprim17ROCPRIM_400000_NS6detail17trampoline_kernelINS0_14default_configENS1_22reduce_config_selectorIiEEZNS1_11reduce_implILb1ES3_PiS7_iN6hipcub16HIPCUB_304000_NS6detail34convert_binary_result_type_wrapperINS9_3SumENS9_22TransformInputIteratorIbN2at6native12_GLOBAL__N_19NonZeroOpIN3c104HalfEEEPKSJ_lEEiEEEE10hipError_tPvRmT1_T2_T3_mT4_P12ihipStream_tbEUlT_E1_NS1_11comp_targetILNS1_3genE8ELNS1_11target_archE1030ELNS1_3gpuE2ELNS1_3repE0EEENS1_30default_config_static_selectorELNS0_4arch9wavefront6targetE0EEEvSS_, .Lfunc_end847-_ZN7rocprim17ROCPRIM_400000_NS6detail17trampoline_kernelINS0_14default_configENS1_22reduce_config_selectorIiEEZNS1_11reduce_implILb1ES3_PiS7_iN6hipcub16HIPCUB_304000_NS6detail34convert_binary_result_type_wrapperINS9_3SumENS9_22TransformInputIteratorIbN2at6native12_GLOBAL__N_19NonZeroOpIN3c104HalfEEEPKSJ_lEEiEEEE10hipError_tPvRmT1_T2_T3_mT4_P12ihipStream_tbEUlT_E1_NS1_11comp_targetILNS1_3genE8ELNS1_11target_archE1030ELNS1_3gpuE2ELNS1_3repE0EEENS1_30default_config_static_selectorELNS0_4arch9wavefront6targetE0EEEvSS_
                                        ; -- End function
	.set _ZN7rocprim17ROCPRIM_400000_NS6detail17trampoline_kernelINS0_14default_configENS1_22reduce_config_selectorIiEEZNS1_11reduce_implILb1ES3_PiS7_iN6hipcub16HIPCUB_304000_NS6detail34convert_binary_result_type_wrapperINS9_3SumENS9_22TransformInputIteratorIbN2at6native12_GLOBAL__N_19NonZeroOpIN3c104HalfEEEPKSJ_lEEiEEEE10hipError_tPvRmT1_T2_T3_mT4_P12ihipStream_tbEUlT_E1_NS1_11comp_targetILNS1_3genE8ELNS1_11target_archE1030ELNS1_3gpuE2ELNS1_3repE0EEENS1_30default_config_static_selectorELNS0_4arch9wavefront6targetE0EEEvSS_.num_vgpr, 0
	.set _ZN7rocprim17ROCPRIM_400000_NS6detail17trampoline_kernelINS0_14default_configENS1_22reduce_config_selectorIiEEZNS1_11reduce_implILb1ES3_PiS7_iN6hipcub16HIPCUB_304000_NS6detail34convert_binary_result_type_wrapperINS9_3SumENS9_22TransformInputIteratorIbN2at6native12_GLOBAL__N_19NonZeroOpIN3c104HalfEEEPKSJ_lEEiEEEE10hipError_tPvRmT1_T2_T3_mT4_P12ihipStream_tbEUlT_E1_NS1_11comp_targetILNS1_3genE8ELNS1_11target_archE1030ELNS1_3gpuE2ELNS1_3repE0EEENS1_30default_config_static_selectorELNS0_4arch9wavefront6targetE0EEEvSS_.num_agpr, 0
	.set _ZN7rocprim17ROCPRIM_400000_NS6detail17trampoline_kernelINS0_14default_configENS1_22reduce_config_selectorIiEEZNS1_11reduce_implILb1ES3_PiS7_iN6hipcub16HIPCUB_304000_NS6detail34convert_binary_result_type_wrapperINS9_3SumENS9_22TransformInputIteratorIbN2at6native12_GLOBAL__N_19NonZeroOpIN3c104HalfEEEPKSJ_lEEiEEEE10hipError_tPvRmT1_T2_T3_mT4_P12ihipStream_tbEUlT_E1_NS1_11comp_targetILNS1_3genE8ELNS1_11target_archE1030ELNS1_3gpuE2ELNS1_3repE0EEENS1_30default_config_static_selectorELNS0_4arch9wavefront6targetE0EEEvSS_.numbered_sgpr, 0
	.set _ZN7rocprim17ROCPRIM_400000_NS6detail17trampoline_kernelINS0_14default_configENS1_22reduce_config_selectorIiEEZNS1_11reduce_implILb1ES3_PiS7_iN6hipcub16HIPCUB_304000_NS6detail34convert_binary_result_type_wrapperINS9_3SumENS9_22TransformInputIteratorIbN2at6native12_GLOBAL__N_19NonZeroOpIN3c104HalfEEEPKSJ_lEEiEEEE10hipError_tPvRmT1_T2_T3_mT4_P12ihipStream_tbEUlT_E1_NS1_11comp_targetILNS1_3genE8ELNS1_11target_archE1030ELNS1_3gpuE2ELNS1_3repE0EEENS1_30default_config_static_selectorELNS0_4arch9wavefront6targetE0EEEvSS_.num_named_barrier, 0
	.set _ZN7rocprim17ROCPRIM_400000_NS6detail17trampoline_kernelINS0_14default_configENS1_22reduce_config_selectorIiEEZNS1_11reduce_implILb1ES3_PiS7_iN6hipcub16HIPCUB_304000_NS6detail34convert_binary_result_type_wrapperINS9_3SumENS9_22TransformInputIteratorIbN2at6native12_GLOBAL__N_19NonZeroOpIN3c104HalfEEEPKSJ_lEEiEEEE10hipError_tPvRmT1_T2_T3_mT4_P12ihipStream_tbEUlT_E1_NS1_11comp_targetILNS1_3genE8ELNS1_11target_archE1030ELNS1_3gpuE2ELNS1_3repE0EEENS1_30default_config_static_selectorELNS0_4arch9wavefront6targetE0EEEvSS_.private_seg_size, 0
	.set _ZN7rocprim17ROCPRIM_400000_NS6detail17trampoline_kernelINS0_14default_configENS1_22reduce_config_selectorIiEEZNS1_11reduce_implILb1ES3_PiS7_iN6hipcub16HIPCUB_304000_NS6detail34convert_binary_result_type_wrapperINS9_3SumENS9_22TransformInputIteratorIbN2at6native12_GLOBAL__N_19NonZeroOpIN3c104HalfEEEPKSJ_lEEiEEEE10hipError_tPvRmT1_T2_T3_mT4_P12ihipStream_tbEUlT_E1_NS1_11comp_targetILNS1_3genE8ELNS1_11target_archE1030ELNS1_3gpuE2ELNS1_3repE0EEENS1_30default_config_static_selectorELNS0_4arch9wavefront6targetE0EEEvSS_.uses_vcc, 0
	.set _ZN7rocprim17ROCPRIM_400000_NS6detail17trampoline_kernelINS0_14default_configENS1_22reduce_config_selectorIiEEZNS1_11reduce_implILb1ES3_PiS7_iN6hipcub16HIPCUB_304000_NS6detail34convert_binary_result_type_wrapperINS9_3SumENS9_22TransformInputIteratorIbN2at6native12_GLOBAL__N_19NonZeroOpIN3c104HalfEEEPKSJ_lEEiEEEE10hipError_tPvRmT1_T2_T3_mT4_P12ihipStream_tbEUlT_E1_NS1_11comp_targetILNS1_3genE8ELNS1_11target_archE1030ELNS1_3gpuE2ELNS1_3repE0EEENS1_30default_config_static_selectorELNS0_4arch9wavefront6targetE0EEEvSS_.uses_flat_scratch, 0
	.set _ZN7rocprim17ROCPRIM_400000_NS6detail17trampoline_kernelINS0_14default_configENS1_22reduce_config_selectorIiEEZNS1_11reduce_implILb1ES3_PiS7_iN6hipcub16HIPCUB_304000_NS6detail34convert_binary_result_type_wrapperINS9_3SumENS9_22TransformInputIteratorIbN2at6native12_GLOBAL__N_19NonZeroOpIN3c104HalfEEEPKSJ_lEEiEEEE10hipError_tPvRmT1_T2_T3_mT4_P12ihipStream_tbEUlT_E1_NS1_11comp_targetILNS1_3genE8ELNS1_11target_archE1030ELNS1_3gpuE2ELNS1_3repE0EEENS1_30default_config_static_selectorELNS0_4arch9wavefront6targetE0EEEvSS_.has_dyn_sized_stack, 0
	.set _ZN7rocprim17ROCPRIM_400000_NS6detail17trampoline_kernelINS0_14default_configENS1_22reduce_config_selectorIiEEZNS1_11reduce_implILb1ES3_PiS7_iN6hipcub16HIPCUB_304000_NS6detail34convert_binary_result_type_wrapperINS9_3SumENS9_22TransformInputIteratorIbN2at6native12_GLOBAL__N_19NonZeroOpIN3c104HalfEEEPKSJ_lEEiEEEE10hipError_tPvRmT1_T2_T3_mT4_P12ihipStream_tbEUlT_E1_NS1_11comp_targetILNS1_3genE8ELNS1_11target_archE1030ELNS1_3gpuE2ELNS1_3repE0EEENS1_30default_config_static_selectorELNS0_4arch9wavefront6targetE0EEEvSS_.has_recursion, 0
	.set _ZN7rocprim17ROCPRIM_400000_NS6detail17trampoline_kernelINS0_14default_configENS1_22reduce_config_selectorIiEEZNS1_11reduce_implILb1ES3_PiS7_iN6hipcub16HIPCUB_304000_NS6detail34convert_binary_result_type_wrapperINS9_3SumENS9_22TransformInputIteratorIbN2at6native12_GLOBAL__N_19NonZeroOpIN3c104HalfEEEPKSJ_lEEiEEEE10hipError_tPvRmT1_T2_T3_mT4_P12ihipStream_tbEUlT_E1_NS1_11comp_targetILNS1_3genE8ELNS1_11target_archE1030ELNS1_3gpuE2ELNS1_3repE0EEENS1_30default_config_static_selectorELNS0_4arch9wavefront6targetE0EEEvSS_.has_indirect_call, 0
	.section	.AMDGPU.csdata,"",@progbits
; Kernel info:
; codeLenInByte = 0
; TotalNumSgprs: 0
; NumVgprs: 0
; ScratchSize: 0
; MemoryBound: 0
; FloatMode: 240
; IeeeMode: 1
; LDSByteSize: 0 bytes/workgroup (compile time only)
; SGPRBlocks: 0
; VGPRBlocks: 0
; NumSGPRsForWavesPerEU: 1
; NumVGPRsForWavesPerEU: 1
; Occupancy: 16
; WaveLimiterHint : 0
; COMPUTE_PGM_RSRC2:SCRATCH_EN: 0
; COMPUTE_PGM_RSRC2:USER_SGPR: 2
; COMPUTE_PGM_RSRC2:TRAP_HANDLER: 0
; COMPUTE_PGM_RSRC2:TGID_X_EN: 1
; COMPUTE_PGM_RSRC2:TGID_Y_EN: 0
; COMPUTE_PGM_RSRC2:TGID_Z_EN: 0
; COMPUTE_PGM_RSRC2:TIDIG_COMP_CNT: 0
	.section	.text._ZN7rocprim17ROCPRIM_400000_NS6detail17trampoline_kernelINS0_14default_configENS1_22reduce_config_selectorIbEEZNS1_11reduce_implILb1ES3_N6hipcub16HIPCUB_304000_NS22TransformInputIteratorIbN2at6native12_GLOBAL__N_19NonZeroOpIN3c104HalfEEEPKSF_lEEPiiNS8_6detail34convert_binary_result_type_wrapperINS8_3SumESJ_iEEEE10hipError_tPvRmT1_T2_T3_mT4_P12ihipStream_tbEUlT_E0_NS1_11comp_targetILNS1_3genE0ELNS1_11target_archE4294967295ELNS1_3gpuE0ELNS1_3repE0EEENS1_30default_config_static_selectorELNS0_4arch9wavefront6targetE0EEEvSS_,"axG",@progbits,_ZN7rocprim17ROCPRIM_400000_NS6detail17trampoline_kernelINS0_14default_configENS1_22reduce_config_selectorIbEEZNS1_11reduce_implILb1ES3_N6hipcub16HIPCUB_304000_NS22TransformInputIteratorIbN2at6native12_GLOBAL__N_19NonZeroOpIN3c104HalfEEEPKSF_lEEPiiNS8_6detail34convert_binary_result_type_wrapperINS8_3SumESJ_iEEEE10hipError_tPvRmT1_T2_T3_mT4_P12ihipStream_tbEUlT_E0_NS1_11comp_targetILNS1_3genE0ELNS1_11target_archE4294967295ELNS1_3gpuE0ELNS1_3repE0EEENS1_30default_config_static_selectorELNS0_4arch9wavefront6targetE0EEEvSS_,comdat
	.globl	_ZN7rocprim17ROCPRIM_400000_NS6detail17trampoline_kernelINS0_14default_configENS1_22reduce_config_selectorIbEEZNS1_11reduce_implILb1ES3_N6hipcub16HIPCUB_304000_NS22TransformInputIteratorIbN2at6native12_GLOBAL__N_19NonZeroOpIN3c104HalfEEEPKSF_lEEPiiNS8_6detail34convert_binary_result_type_wrapperINS8_3SumESJ_iEEEE10hipError_tPvRmT1_T2_T3_mT4_P12ihipStream_tbEUlT_E0_NS1_11comp_targetILNS1_3genE0ELNS1_11target_archE4294967295ELNS1_3gpuE0ELNS1_3repE0EEENS1_30default_config_static_selectorELNS0_4arch9wavefront6targetE0EEEvSS_ ; -- Begin function _ZN7rocprim17ROCPRIM_400000_NS6detail17trampoline_kernelINS0_14default_configENS1_22reduce_config_selectorIbEEZNS1_11reduce_implILb1ES3_N6hipcub16HIPCUB_304000_NS22TransformInputIteratorIbN2at6native12_GLOBAL__N_19NonZeroOpIN3c104HalfEEEPKSF_lEEPiiNS8_6detail34convert_binary_result_type_wrapperINS8_3SumESJ_iEEEE10hipError_tPvRmT1_T2_T3_mT4_P12ihipStream_tbEUlT_E0_NS1_11comp_targetILNS1_3genE0ELNS1_11target_archE4294967295ELNS1_3gpuE0ELNS1_3repE0EEENS1_30default_config_static_selectorELNS0_4arch9wavefront6targetE0EEEvSS_
	.p2align	8
	.type	_ZN7rocprim17ROCPRIM_400000_NS6detail17trampoline_kernelINS0_14default_configENS1_22reduce_config_selectorIbEEZNS1_11reduce_implILb1ES3_N6hipcub16HIPCUB_304000_NS22TransformInputIteratorIbN2at6native12_GLOBAL__N_19NonZeroOpIN3c104HalfEEEPKSF_lEEPiiNS8_6detail34convert_binary_result_type_wrapperINS8_3SumESJ_iEEEE10hipError_tPvRmT1_T2_T3_mT4_P12ihipStream_tbEUlT_E0_NS1_11comp_targetILNS1_3genE0ELNS1_11target_archE4294967295ELNS1_3gpuE0ELNS1_3repE0EEENS1_30default_config_static_selectorELNS0_4arch9wavefront6targetE0EEEvSS_,@function
_ZN7rocprim17ROCPRIM_400000_NS6detail17trampoline_kernelINS0_14default_configENS1_22reduce_config_selectorIbEEZNS1_11reduce_implILb1ES3_N6hipcub16HIPCUB_304000_NS22TransformInputIteratorIbN2at6native12_GLOBAL__N_19NonZeroOpIN3c104HalfEEEPKSF_lEEPiiNS8_6detail34convert_binary_result_type_wrapperINS8_3SumESJ_iEEEE10hipError_tPvRmT1_T2_T3_mT4_P12ihipStream_tbEUlT_E0_NS1_11comp_targetILNS1_3genE0ELNS1_11target_archE4294967295ELNS1_3gpuE0ELNS1_3repE0EEENS1_30default_config_static_selectorELNS0_4arch9wavefront6targetE0EEEvSS_: ; @_ZN7rocprim17ROCPRIM_400000_NS6detail17trampoline_kernelINS0_14default_configENS1_22reduce_config_selectorIbEEZNS1_11reduce_implILb1ES3_N6hipcub16HIPCUB_304000_NS22TransformInputIteratorIbN2at6native12_GLOBAL__N_19NonZeroOpIN3c104HalfEEEPKSF_lEEPiiNS8_6detail34convert_binary_result_type_wrapperINS8_3SumESJ_iEEEE10hipError_tPvRmT1_T2_T3_mT4_P12ihipStream_tbEUlT_E0_NS1_11comp_targetILNS1_3genE0ELNS1_11target_archE4294967295ELNS1_3gpuE0ELNS1_3repE0EEENS1_30default_config_static_selectorELNS0_4arch9wavefront6targetE0EEEvSS_
; %bb.0:
	.section	.rodata,"a",@progbits
	.p2align	6, 0x0
	.amdhsa_kernel _ZN7rocprim17ROCPRIM_400000_NS6detail17trampoline_kernelINS0_14default_configENS1_22reduce_config_selectorIbEEZNS1_11reduce_implILb1ES3_N6hipcub16HIPCUB_304000_NS22TransformInputIteratorIbN2at6native12_GLOBAL__N_19NonZeroOpIN3c104HalfEEEPKSF_lEEPiiNS8_6detail34convert_binary_result_type_wrapperINS8_3SumESJ_iEEEE10hipError_tPvRmT1_T2_T3_mT4_P12ihipStream_tbEUlT_E0_NS1_11comp_targetILNS1_3genE0ELNS1_11target_archE4294967295ELNS1_3gpuE0ELNS1_3repE0EEENS1_30default_config_static_selectorELNS0_4arch9wavefront6targetE0EEEvSS_
		.amdhsa_group_segment_fixed_size 0
		.amdhsa_private_segment_fixed_size 0
		.amdhsa_kernarg_size 64
		.amdhsa_user_sgpr_count 2
		.amdhsa_user_sgpr_dispatch_ptr 0
		.amdhsa_user_sgpr_queue_ptr 0
		.amdhsa_user_sgpr_kernarg_segment_ptr 1
		.amdhsa_user_sgpr_dispatch_id 0
		.amdhsa_user_sgpr_private_segment_size 0
		.amdhsa_wavefront_size32 1
		.amdhsa_uses_dynamic_stack 0
		.amdhsa_enable_private_segment 0
		.amdhsa_system_sgpr_workgroup_id_x 1
		.amdhsa_system_sgpr_workgroup_id_y 0
		.amdhsa_system_sgpr_workgroup_id_z 0
		.amdhsa_system_sgpr_workgroup_info 0
		.amdhsa_system_vgpr_workitem_id 0
		.amdhsa_next_free_vgpr 1
		.amdhsa_next_free_sgpr 1
		.amdhsa_reserve_vcc 0
		.amdhsa_float_round_mode_32 0
		.amdhsa_float_round_mode_16_64 0
		.amdhsa_float_denorm_mode_32 3
		.amdhsa_float_denorm_mode_16_64 3
		.amdhsa_fp16_overflow 0
		.amdhsa_workgroup_processor_mode 1
		.amdhsa_memory_ordered 1
		.amdhsa_forward_progress 1
		.amdhsa_inst_pref_size 0
		.amdhsa_round_robin_scheduling 0
		.amdhsa_exception_fp_ieee_invalid_op 0
		.amdhsa_exception_fp_denorm_src 0
		.amdhsa_exception_fp_ieee_div_zero 0
		.amdhsa_exception_fp_ieee_overflow 0
		.amdhsa_exception_fp_ieee_underflow 0
		.amdhsa_exception_fp_ieee_inexact 0
		.amdhsa_exception_int_div_zero 0
	.end_amdhsa_kernel
	.section	.text._ZN7rocprim17ROCPRIM_400000_NS6detail17trampoline_kernelINS0_14default_configENS1_22reduce_config_selectorIbEEZNS1_11reduce_implILb1ES3_N6hipcub16HIPCUB_304000_NS22TransformInputIteratorIbN2at6native12_GLOBAL__N_19NonZeroOpIN3c104HalfEEEPKSF_lEEPiiNS8_6detail34convert_binary_result_type_wrapperINS8_3SumESJ_iEEEE10hipError_tPvRmT1_T2_T3_mT4_P12ihipStream_tbEUlT_E0_NS1_11comp_targetILNS1_3genE0ELNS1_11target_archE4294967295ELNS1_3gpuE0ELNS1_3repE0EEENS1_30default_config_static_selectorELNS0_4arch9wavefront6targetE0EEEvSS_,"axG",@progbits,_ZN7rocprim17ROCPRIM_400000_NS6detail17trampoline_kernelINS0_14default_configENS1_22reduce_config_selectorIbEEZNS1_11reduce_implILb1ES3_N6hipcub16HIPCUB_304000_NS22TransformInputIteratorIbN2at6native12_GLOBAL__N_19NonZeroOpIN3c104HalfEEEPKSF_lEEPiiNS8_6detail34convert_binary_result_type_wrapperINS8_3SumESJ_iEEEE10hipError_tPvRmT1_T2_T3_mT4_P12ihipStream_tbEUlT_E0_NS1_11comp_targetILNS1_3genE0ELNS1_11target_archE4294967295ELNS1_3gpuE0ELNS1_3repE0EEENS1_30default_config_static_selectorELNS0_4arch9wavefront6targetE0EEEvSS_,comdat
.Lfunc_end848:
	.size	_ZN7rocprim17ROCPRIM_400000_NS6detail17trampoline_kernelINS0_14default_configENS1_22reduce_config_selectorIbEEZNS1_11reduce_implILb1ES3_N6hipcub16HIPCUB_304000_NS22TransformInputIteratorIbN2at6native12_GLOBAL__N_19NonZeroOpIN3c104HalfEEEPKSF_lEEPiiNS8_6detail34convert_binary_result_type_wrapperINS8_3SumESJ_iEEEE10hipError_tPvRmT1_T2_T3_mT4_P12ihipStream_tbEUlT_E0_NS1_11comp_targetILNS1_3genE0ELNS1_11target_archE4294967295ELNS1_3gpuE0ELNS1_3repE0EEENS1_30default_config_static_selectorELNS0_4arch9wavefront6targetE0EEEvSS_, .Lfunc_end848-_ZN7rocprim17ROCPRIM_400000_NS6detail17trampoline_kernelINS0_14default_configENS1_22reduce_config_selectorIbEEZNS1_11reduce_implILb1ES3_N6hipcub16HIPCUB_304000_NS22TransformInputIteratorIbN2at6native12_GLOBAL__N_19NonZeroOpIN3c104HalfEEEPKSF_lEEPiiNS8_6detail34convert_binary_result_type_wrapperINS8_3SumESJ_iEEEE10hipError_tPvRmT1_T2_T3_mT4_P12ihipStream_tbEUlT_E0_NS1_11comp_targetILNS1_3genE0ELNS1_11target_archE4294967295ELNS1_3gpuE0ELNS1_3repE0EEENS1_30default_config_static_selectorELNS0_4arch9wavefront6targetE0EEEvSS_
                                        ; -- End function
	.set _ZN7rocprim17ROCPRIM_400000_NS6detail17trampoline_kernelINS0_14default_configENS1_22reduce_config_selectorIbEEZNS1_11reduce_implILb1ES3_N6hipcub16HIPCUB_304000_NS22TransformInputIteratorIbN2at6native12_GLOBAL__N_19NonZeroOpIN3c104HalfEEEPKSF_lEEPiiNS8_6detail34convert_binary_result_type_wrapperINS8_3SumESJ_iEEEE10hipError_tPvRmT1_T2_T3_mT4_P12ihipStream_tbEUlT_E0_NS1_11comp_targetILNS1_3genE0ELNS1_11target_archE4294967295ELNS1_3gpuE0ELNS1_3repE0EEENS1_30default_config_static_selectorELNS0_4arch9wavefront6targetE0EEEvSS_.num_vgpr, 0
	.set _ZN7rocprim17ROCPRIM_400000_NS6detail17trampoline_kernelINS0_14default_configENS1_22reduce_config_selectorIbEEZNS1_11reduce_implILb1ES3_N6hipcub16HIPCUB_304000_NS22TransformInputIteratorIbN2at6native12_GLOBAL__N_19NonZeroOpIN3c104HalfEEEPKSF_lEEPiiNS8_6detail34convert_binary_result_type_wrapperINS8_3SumESJ_iEEEE10hipError_tPvRmT1_T2_T3_mT4_P12ihipStream_tbEUlT_E0_NS1_11comp_targetILNS1_3genE0ELNS1_11target_archE4294967295ELNS1_3gpuE0ELNS1_3repE0EEENS1_30default_config_static_selectorELNS0_4arch9wavefront6targetE0EEEvSS_.num_agpr, 0
	.set _ZN7rocprim17ROCPRIM_400000_NS6detail17trampoline_kernelINS0_14default_configENS1_22reduce_config_selectorIbEEZNS1_11reduce_implILb1ES3_N6hipcub16HIPCUB_304000_NS22TransformInputIteratorIbN2at6native12_GLOBAL__N_19NonZeroOpIN3c104HalfEEEPKSF_lEEPiiNS8_6detail34convert_binary_result_type_wrapperINS8_3SumESJ_iEEEE10hipError_tPvRmT1_T2_T3_mT4_P12ihipStream_tbEUlT_E0_NS1_11comp_targetILNS1_3genE0ELNS1_11target_archE4294967295ELNS1_3gpuE0ELNS1_3repE0EEENS1_30default_config_static_selectorELNS0_4arch9wavefront6targetE0EEEvSS_.numbered_sgpr, 0
	.set _ZN7rocprim17ROCPRIM_400000_NS6detail17trampoline_kernelINS0_14default_configENS1_22reduce_config_selectorIbEEZNS1_11reduce_implILb1ES3_N6hipcub16HIPCUB_304000_NS22TransformInputIteratorIbN2at6native12_GLOBAL__N_19NonZeroOpIN3c104HalfEEEPKSF_lEEPiiNS8_6detail34convert_binary_result_type_wrapperINS8_3SumESJ_iEEEE10hipError_tPvRmT1_T2_T3_mT4_P12ihipStream_tbEUlT_E0_NS1_11comp_targetILNS1_3genE0ELNS1_11target_archE4294967295ELNS1_3gpuE0ELNS1_3repE0EEENS1_30default_config_static_selectorELNS0_4arch9wavefront6targetE0EEEvSS_.num_named_barrier, 0
	.set _ZN7rocprim17ROCPRIM_400000_NS6detail17trampoline_kernelINS0_14default_configENS1_22reduce_config_selectorIbEEZNS1_11reduce_implILb1ES3_N6hipcub16HIPCUB_304000_NS22TransformInputIteratorIbN2at6native12_GLOBAL__N_19NonZeroOpIN3c104HalfEEEPKSF_lEEPiiNS8_6detail34convert_binary_result_type_wrapperINS8_3SumESJ_iEEEE10hipError_tPvRmT1_T2_T3_mT4_P12ihipStream_tbEUlT_E0_NS1_11comp_targetILNS1_3genE0ELNS1_11target_archE4294967295ELNS1_3gpuE0ELNS1_3repE0EEENS1_30default_config_static_selectorELNS0_4arch9wavefront6targetE0EEEvSS_.private_seg_size, 0
	.set _ZN7rocprim17ROCPRIM_400000_NS6detail17trampoline_kernelINS0_14default_configENS1_22reduce_config_selectorIbEEZNS1_11reduce_implILb1ES3_N6hipcub16HIPCUB_304000_NS22TransformInputIteratorIbN2at6native12_GLOBAL__N_19NonZeroOpIN3c104HalfEEEPKSF_lEEPiiNS8_6detail34convert_binary_result_type_wrapperINS8_3SumESJ_iEEEE10hipError_tPvRmT1_T2_T3_mT4_P12ihipStream_tbEUlT_E0_NS1_11comp_targetILNS1_3genE0ELNS1_11target_archE4294967295ELNS1_3gpuE0ELNS1_3repE0EEENS1_30default_config_static_selectorELNS0_4arch9wavefront6targetE0EEEvSS_.uses_vcc, 0
	.set _ZN7rocprim17ROCPRIM_400000_NS6detail17trampoline_kernelINS0_14default_configENS1_22reduce_config_selectorIbEEZNS1_11reduce_implILb1ES3_N6hipcub16HIPCUB_304000_NS22TransformInputIteratorIbN2at6native12_GLOBAL__N_19NonZeroOpIN3c104HalfEEEPKSF_lEEPiiNS8_6detail34convert_binary_result_type_wrapperINS8_3SumESJ_iEEEE10hipError_tPvRmT1_T2_T3_mT4_P12ihipStream_tbEUlT_E0_NS1_11comp_targetILNS1_3genE0ELNS1_11target_archE4294967295ELNS1_3gpuE0ELNS1_3repE0EEENS1_30default_config_static_selectorELNS0_4arch9wavefront6targetE0EEEvSS_.uses_flat_scratch, 0
	.set _ZN7rocprim17ROCPRIM_400000_NS6detail17trampoline_kernelINS0_14default_configENS1_22reduce_config_selectorIbEEZNS1_11reduce_implILb1ES3_N6hipcub16HIPCUB_304000_NS22TransformInputIteratorIbN2at6native12_GLOBAL__N_19NonZeroOpIN3c104HalfEEEPKSF_lEEPiiNS8_6detail34convert_binary_result_type_wrapperINS8_3SumESJ_iEEEE10hipError_tPvRmT1_T2_T3_mT4_P12ihipStream_tbEUlT_E0_NS1_11comp_targetILNS1_3genE0ELNS1_11target_archE4294967295ELNS1_3gpuE0ELNS1_3repE0EEENS1_30default_config_static_selectorELNS0_4arch9wavefront6targetE0EEEvSS_.has_dyn_sized_stack, 0
	.set _ZN7rocprim17ROCPRIM_400000_NS6detail17trampoline_kernelINS0_14default_configENS1_22reduce_config_selectorIbEEZNS1_11reduce_implILb1ES3_N6hipcub16HIPCUB_304000_NS22TransformInputIteratorIbN2at6native12_GLOBAL__N_19NonZeroOpIN3c104HalfEEEPKSF_lEEPiiNS8_6detail34convert_binary_result_type_wrapperINS8_3SumESJ_iEEEE10hipError_tPvRmT1_T2_T3_mT4_P12ihipStream_tbEUlT_E0_NS1_11comp_targetILNS1_3genE0ELNS1_11target_archE4294967295ELNS1_3gpuE0ELNS1_3repE0EEENS1_30default_config_static_selectorELNS0_4arch9wavefront6targetE0EEEvSS_.has_recursion, 0
	.set _ZN7rocprim17ROCPRIM_400000_NS6detail17trampoline_kernelINS0_14default_configENS1_22reduce_config_selectorIbEEZNS1_11reduce_implILb1ES3_N6hipcub16HIPCUB_304000_NS22TransformInputIteratorIbN2at6native12_GLOBAL__N_19NonZeroOpIN3c104HalfEEEPKSF_lEEPiiNS8_6detail34convert_binary_result_type_wrapperINS8_3SumESJ_iEEEE10hipError_tPvRmT1_T2_T3_mT4_P12ihipStream_tbEUlT_E0_NS1_11comp_targetILNS1_3genE0ELNS1_11target_archE4294967295ELNS1_3gpuE0ELNS1_3repE0EEENS1_30default_config_static_selectorELNS0_4arch9wavefront6targetE0EEEvSS_.has_indirect_call, 0
	.section	.AMDGPU.csdata,"",@progbits
; Kernel info:
; codeLenInByte = 0
; TotalNumSgprs: 0
; NumVgprs: 0
; ScratchSize: 0
; MemoryBound: 0
; FloatMode: 240
; IeeeMode: 1
; LDSByteSize: 0 bytes/workgroup (compile time only)
; SGPRBlocks: 0
; VGPRBlocks: 0
; NumSGPRsForWavesPerEU: 1
; NumVGPRsForWavesPerEU: 1
; Occupancy: 16
; WaveLimiterHint : 0
; COMPUTE_PGM_RSRC2:SCRATCH_EN: 0
; COMPUTE_PGM_RSRC2:USER_SGPR: 2
; COMPUTE_PGM_RSRC2:TRAP_HANDLER: 0
; COMPUTE_PGM_RSRC2:TGID_X_EN: 1
; COMPUTE_PGM_RSRC2:TGID_Y_EN: 0
; COMPUTE_PGM_RSRC2:TGID_Z_EN: 0
; COMPUTE_PGM_RSRC2:TIDIG_COMP_CNT: 0
	.section	.text._ZN7rocprim17ROCPRIM_400000_NS6detail17trampoline_kernelINS0_14default_configENS1_22reduce_config_selectorIbEEZNS1_11reduce_implILb1ES3_N6hipcub16HIPCUB_304000_NS22TransformInputIteratorIbN2at6native12_GLOBAL__N_19NonZeroOpIN3c104HalfEEEPKSF_lEEPiiNS8_6detail34convert_binary_result_type_wrapperINS8_3SumESJ_iEEEE10hipError_tPvRmT1_T2_T3_mT4_P12ihipStream_tbEUlT_E0_NS1_11comp_targetILNS1_3genE5ELNS1_11target_archE942ELNS1_3gpuE9ELNS1_3repE0EEENS1_30default_config_static_selectorELNS0_4arch9wavefront6targetE0EEEvSS_,"axG",@progbits,_ZN7rocprim17ROCPRIM_400000_NS6detail17trampoline_kernelINS0_14default_configENS1_22reduce_config_selectorIbEEZNS1_11reduce_implILb1ES3_N6hipcub16HIPCUB_304000_NS22TransformInputIteratorIbN2at6native12_GLOBAL__N_19NonZeroOpIN3c104HalfEEEPKSF_lEEPiiNS8_6detail34convert_binary_result_type_wrapperINS8_3SumESJ_iEEEE10hipError_tPvRmT1_T2_T3_mT4_P12ihipStream_tbEUlT_E0_NS1_11comp_targetILNS1_3genE5ELNS1_11target_archE942ELNS1_3gpuE9ELNS1_3repE0EEENS1_30default_config_static_selectorELNS0_4arch9wavefront6targetE0EEEvSS_,comdat
	.globl	_ZN7rocprim17ROCPRIM_400000_NS6detail17trampoline_kernelINS0_14default_configENS1_22reduce_config_selectorIbEEZNS1_11reduce_implILb1ES3_N6hipcub16HIPCUB_304000_NS22TransformInputIteratorIbN2at6native12_GLOBAL__N_19NonZeroOpIN3c104HalfEEEPKSF_lEEPiiNS8_6detail34convert_binary_result_type_wrapperINS8_3SumESJ_iEEEE10hipError_tPvRmT1_T2_T3_mT4_P12ihipStream_tbEUlT_E0_NS1_11comp_targetILNS1_3genE5ELNS1_11target_archE942ELNS1_3gpuE9ELNS1_3repE0EEENS1_30default_config_static_selectorELNS0_4arch9wavefront6targetE0EEEvSS_ ; -- Begin function _ZN7rocprim17ROCPRIM_400000_NS6detail17trampoline_kernelINS0_14default_configENS1_22reduce_config_selectorIbEEZNS1_11reduce_implILb1ES3_N6hipcub16HIPCUB_304000_NS22TransformInputIteratorIbN2at6native12_GLOBAL__N_19NonZeroOpIN3c104HalfEEEPKSF_lEEPiiNS8_6detail34convert_binary_result_type_wrapperINS8_3SumESJ_iEEEE10hipError_tPvRmT1_T2_T3_mT4_P12ihipStream_tbEUlT_E0_NS1_11comp_targetILNS1_3genE5ELNS1_11target_archE942ELNS1_3gpuE9ELNS1_3repE0EEENS1_30default_config_static_selectorELNS0_4arch9wavefront6targetE0EEEvSS_
	.p2align	8
	.type	_ZN7rocprim17ROCPRIM_400000_NS6detail17trampoline_kernelINS0_14default_configENS1_22reduce_config_selectorIbEEZNS1_11reduce_implILb1ES3_N6hipcub16HIPCUB_304000_NS22TransformInputIteratorIbN2at6native12_GLOBAL__N_19NonZeroOpIN3c104HalfEEEPKSF_lEEPiiNS8_6detail34convert_binary_result_type_wrapperINS8_3SumESJ_iEEEE10hipError_tPvRmT1_T2_T3_mT4_P12ihipStream_tbEUlT_E0_NS1_11comp_targetILNS1_3genE5ELNS1_11target_archE942ELNS1_3gpuE9ELNS1_3repE0EEENS1_30default_config_static_selectorELNS0_4arch9wavefront6targetE0EEEvSS_,@function
_ZN7rocprim17ROCPRIM_400000_NS6detail17trampoline_kernelINS0_14default_configENS1_22reduce_config_selectorIbEEZNS1_11reduce_implILb1ES3_N6hipcub16HIPCUB_304000_NS22TransformInputIteratorIbN2at6native12_GLOBAL__N_19NonZeroOpIN3c104HalfEEEPKSF_lEEPiiNS8_6detail34convert_binary_result_type_wrapperINS8_3SumESJ_iEEEE10hipError_tPvRmT1_T2_T3_mT4_P12ihipStream_tbEUlT_E0_NS1_11comp_targetILNS1_3genE5ELNS1_11target_archE942ELNS1_3gpuE9ELNS1_3repE0EEENS1_30default_config_static_selectorELNS0_4arch9wavefront6targetE0EEEvSS_: ; @_ZN7rocprim17ROCPRIM_400000_NS6detail17trampoline_kernelINS0_14default_configENS1_22reduce_config_selectorIbEEZNS1_11reduce_implILb1ES3_N6hipcub16HIPCUB_304000_NS22TransformInputIteratorIbN2at6native12_GLOBAL__N_19NonZeroOpIN3c104HalfEEEPKSF_lEEPiiNS8_6detail34convert_binary_result_type_wrapperINS8_3SumESJ_iEEEE10hipError_tPvRmT1_T2_T3_mT4_P12ihipStream_tbEUlT_E0_NS1_11comp_targetILNS1_3genE5ELNS1_11target_archE942ELNS1_3gpuE9ELNS1_3repE0EEENS1_30default_config_static_selectorELNS0_4arch9wavefront6targetE0EEEvSS_
; %bb.0:
	.section	.rodata,"a",@progbits
	.p2align	6, 0x0
	.amdhsa_kernel _ZN7rocprim17ROCPRIM_400000_NS6detail17trampoline_kernelINS0_14default_configENS1_22reduce_config_selectorIbEEZNS1_11reduce_implILb1ES3_N6hipcub16HIPCUB_304000_NS22TransformInputIteratorIbN2at6native12_GLOBAL__N_19NonZeroOpIN3c104HalfEEEPKSF_lEEPiiNS8_6detail34convert_binary_result_type_wrapperINS8_3SumESJ_iEEEE10hipError_tPvRmT1_T2_T3_mT4_P12ihipStream_tbEUlT_E0_NS1_11comp_targetILNS1_3genE5ELNS1_11target_archE942ELNS1_3gpuE9ELNS1_3repE0EEENS1_30default_config_static_selectorELNS0_4arch9wavefront6targetE0EEEvSS_
		.amdhsa_group_segment_fixed_size 0
		.amdhsa_private_segment_fixed_size 0
		.amdhsa_kernarg_size 64
		.amdhsa_user_sgpr_count 2
		.amdhsa_user_sgpr_dispatch_ptr 0
		.amdhsa_user_sgpr_queue_ptr 0
		.amdhsa_user_sgpr_kernarg_segment_ptr 1
		.amdhsa_user_sgpr_dispatch_id 0
		.amdhsa_user_sgpr_private_segment_size 0
		.amdhsa_wavefront_size32 1
		.amdhsa_uses_dynamic_stack 0
		.amdhsa_enable_private_segment 0
		.amdhsa_system_sgpr_workgroup_id_x 1
		.amdhsa_system_sgpr_workgroup_id_y 0
		.amdhsa_system_sgpr_workgroup_id_z 0
		.amdhsa_system_sgpr_workgroup_info 0
		.amdhsa_system_vgpr_workitem_id 0
		.amdhsa_next_free_vgpr 1
		.amdhsa_next_free_sgpr 1
		.amdhsa_reserve_vcc 0
		.amdhsa_float_round_mode_32 0
		.amdhsa_float_round_mode_16_64 0
		.amdhsa_float_denorm_mode_32 3
		.amdhsa_float_denorm_mode_16_64 3
		.amdhsa_fp16_overflow 0
		.amdhsa_workgroup_processor_mode 1
		.amdhsa_memory_ordered 1
		.amdhsa_forward_progress 1
		.amdhsa_inst_pref_size 0
		.amdhsa_round_robin_scheduling 0
		.amdhsa_exception_fp_ieee_invalid_op 0
		.amdhsa_exception_fp_denorm_src 0
		.amdhsa_exception_fp_ieee_div_zero 0
		.amdhsa_exception_fp_ieee_overflow 0
		.amdhsa_exception_fp_ieee_underflow 0
		.amdhsa_exception_fp_ieee_inexact 0
		.amdhsa_exception_int_div_zero 0
	.end_amdhsa_kernel
	.section	.text._ZN7rocprim17ROCPRIM_400000_NS6detail17trampoline_kernelINS0_14default_configENS1_22reduce_config_selectorIbEEZNS1_11reduce_implILb1ES3_N6hipcub16HIPCUB_304000_NS22TransformInputIteratorIbN2at6native12_GLOBAL__N_19NonZeroOpIN3c104HalfEEEPKSF_lEEPiiNS8_6detail34convert_binary_result_type_wrapperINS8_3SumESJ_iEEEE10hipError_tPvRmT1_T2_T3_mT4_P12ihipStream_tbEUlT_E0_NS1_11comp_targetILNS1_3genE5ELNS1_11target_archE942ELNS1_3gpuE9ELNS1_3repE0EEENS1_30default_config_static_selectorELNS0_4arch9wavefront6targetE0EEEvSS_,"axG",@progbits,_ZN7rocprim17ROCPRIM_400000_NS6detail17trampoline_kernelINS0_14default_configENS1_22reduce_config_selectorIbEEZNS1_11reduce_implILb1ES3_N6hipcub16HIPCUB_304000_NS22TransformInputIteratorIbN2at6native12_GLOBAL__N_19NonZeroOpIN3c104HalfEEEPKSF_lEEPiiNS8_6detail34convert_binary_result_type_wrapperINS8_3SumESJ_iEEEE10hipError_tPvRmT1_T2_T3_mT4_P12ihipStream_tbEUlT_E0_NS1_11comp_targetILNS1_3genE5ELNS1_11target_archE942ELNS1_3gpuE9ELNS1_3repE0EEENS1_30default_config_static_selectorELNS0_4arch9wavefront6targetE0EEEvSS_,comdat
.Lfunc_end849:
	.size	_ZN7rocprim17ROCPRIM_400000_NS6detail17trampoline_kernelINS0_14default_configENS1_22reduce_config_selectorIbEEZNS1_11reduce_implILb1ES3_N6hipcub16HIPCUB_304000_NS22TransformInputIteratorIbN2at6native12_GLOBAL__N_19NonZeroOpIN3c104HalfEEEPKSF_lEEPiiNS8_6detail34convert_binary_result_type_wrapperINS8_3SumESJ_iEEEE10hipError_tPvRmT1_T2_T3_mT4_P12ihipStream_tbEUlT_E0_NS1_11comp_targetILNS1_3genE5ELNS1_11target_archE942ELNS1_3gpuE9ELNS1_3repE0EEENS1_30default_config_static_selectorELNS0_4arch9wavefront6targetE0EEEvSS_, .Lfunc_end849-_ZN7rocprim17ROCPRIM_400000_NS6detail17trampoline_kernelINS0_14default_configENS1_22reduce_config_selectorIbEEZNS1_11reduce_implILb1ES3_N6hipcub16HIPCUB_304000_NS22TransformInputIteratorIbN2at6native12_GLOBAL__N_19NonZeroOpIN3c104HalfEEEPKSF_lEEPiiNS8_6detail34convert_binary_result_type_wrapperINS8_3SumESJ_iEEEE10hipError_tPvRmT1_T2_T3_mT4_P12ihipStream_tbEUlT_E0_NS1_11comp_targetILNS1_3genE5ELNS1_11target_archE942ELNS1_3gpuE9ELNS1_3repE0EEENS1_30default_config_static_selectorELNS0_4arch9wavefront6targetE0EEEvSS_
                                        ; -- End function
	.set _ZN7rocprim17ROCPRIM_400000_NS6detail17trampoline_kernelINS0_14default_configENS1_22reduce_config_selectorIbEEZNS1_11reduce_implILb1ES3_N6hipcub16HIPCUB_304000_NS22TransformInputIteratorIbN2at6native12_GLOBAL__N_19NonZeroOpIN3c104HalfEEEPKSF_lEEPiiNS8_6detail34convert_binary_result_type_wrapperINS8_3SumESJ_iEEEE10hipError_tPvRmT1_T2_T3_mT4_P12ihipStream_tbEUlT_E0_NS1_11comp_targetILNS1_3genE5ELNS1_11target_archE942ELNS1_3gpuE9ELNS1_3repE0EEENS1_30default_config_static_selectorELNS0_4arch9wavefront6targetE0EEEvSS_.num_vgpr, 0
	.set _ZN7rocprim17ROCPRIM_400000_NS6detail17trampoline_kernelINS0_14default_configENS1_22reduce_config_selectorIbEEZNS1_11reduce_implILb1ES3_N6hipcub16HIPCUB_304000_NS22TransformInputIteratorIbN2at6native12_GLOBAL__N_19NonZeroOpIN3c104HalfEEEPKSF_lEEPiiNS8_6detail34convert_binary_result_type_wrapperINS8_3SumESJ_iEEEE10hipError_tPvRmT1_T2_T3_mT4_P12ihipStream_tbEUlT_E0_NS1_11comp_targetILNS1_3genE5ELNS1_11target_archE942ELNS1_3gpuE9ELNS1_3repE0EEENS1_30default_config_static_selectorELNS0_4arch9wavefront6targetE0EEEvSS_.num_agpr, 0
	.set _ZN7rocprim17ROCPRIM_400000_NS6detail17trampoline_kernelINS0_14default_configENS1_22reduce_config_selectorIbEEZNS1_11reduce_implILb1ES3_N6hipcub16HIPCUB_304000_NS22TransformInputIteratorIbN2at6native12_GLOBAL__N_19NonZeroOpIN3c104HalfEEEPKSF_lEEPiiNS8_6detail34convert_binary_result_type_wrapperINS8_3SumESJ_iEEEE10hipError_tPvRmT1_T2_T3_mT4_P12ihipStream_tbEUlT_E0_NS1_11comp_targetILNS1_3genE5ELNS1_11target_archE942ELNS1_3gpuE9ELNS1_3repE0EEENS1_30default_config_static_selectorELNS0_4arch9wavefront6targetE0EEEvSS_.numbered_sgpr, 0
	.set _ZN7rocprim17ROCPRIM_400000_NS6detail17trampoline_kernelINS0_14default_configENS1_22reduce_config_selectorIbEEZNS1_11reduce_implILb1ES3_N6hipcub16HIPCUB_304000_NS22TransformInputIteratorIbN2at6native12_GLOBAL__N_19NonZeroOpIN3c104HalfEEEPKSF_lEEPiiNS8_6detail34convert_binary_result_type_wrapperINS8_3SumESJ_iEEEE10hipError_tPvRmT1_T2_T3_mT4_P12ihipStream_tbEUlT_E0_NS1_11comp_targetILNS1_3genE5ELNS1_11target_archE942ELNS1_3gpuE9ELNS1_3repE0EEENS1_30default_config_static_selectorELNS0_4arch9wavefront6targetE0EEEvSS_.num_named_barrier, 0
	.set _ZN7rocprim17ROCPRIM_400000_NS6detail17trampoline_kernelINS0_14default_configENS1_22reduce_config_selectorIbEEZNS1_11reduce_implILb1ES3_N6hipcub16HIPCUB_304000_NS22TransformInputIteratorIbN2at6native12_GLOBAL__N_19NonZeroOpIN3c104HalfEEEPKSF_lEEPiiNS8_6detail34convert_binary_result_type_wrapperINS8_3SumESJ_iEEEE10hipError_tPvRmT1_T2_T3_mT4_P12ihipStream_tbEUlT_E0_NS1_11comp_targetILNS1_3genE5ELNS1_11target_archE942ELNS1_3gpuE9ELNS1_3repE0EEENS1_30default_config_static_selectorELNS0_4arch9wavefront6targetE0EEEvSS_.private_seg_size, 0
	.set _ZN7rocprim17ROCPRIM_400000_NS6detail17trampoline_kernelINS0_14default_configENS1_22reduce_config_selectorIbEEZNS1_11reduce_implILb1ES3_N6hipcub16HIPCUB_304000_NS22TransformInputIteratorIbN2at6native12_GLOBAL__N_19NonZeroOpIN3c104HalfEEEPKSF_lEEPiiNS8_6detail34convert_binary_result_type_wrapperINS8_3SumESJ_iEEEE10hipError_tPvRmT1_T2_T3_mT4_P12ihipStream_tbEUlT_E0_NS1_11comp_targetILNS1_3genE5ELNS1_11target_archE942ELNS1_3gpuE9ELNS1_3repE0EEENS1_30default_config_static_selectorELNS0_4arch9wavefront6targetE0EEEvSS_.uses_vcc, 0
	.set _ZN7rocprim17ROCPRIM_400000_NS6detail17trampoline_kernelINS0_14default_configENS1_22reduce_config_selectorIbEEZNS1_11reduce_implILb1ES3_N6hipcub16HIPCUB_304000_NS22TransformInputIteratorIbN2at6native12_GLOBAL__N_19NonZeroOpIN3c104HalfEEEPKSF_lEEPiiNS8_6detail34convert_binary_result_type_wrapperINS8_3SumESJ_iEEEE10hipError_tPvRmT1_T2_T3_mT4_P12ihipStream_tbEUlT_E0_NS1_11comp_targetILNS1_3genE5ELNS1_11target_archE942ELNS1_3gpuE9ELNS1_3repE0EEENS1_30default_config_static_selectorELNS0_4arch9wavefront6targetE0EEEvSS_.uses_flat_scratch, 0
	.set _ZN7rocprim17ROCPRIM_400000_NS6detail17trampoline_kernelINS0_14default_configENS1_22reduce_config_selectorIbEEZNS1_11reduce_implILb1ES3_N6hipcub16HIPCUB_304000_NS22TransformInputIteratorIbN2at6native12_GLOBAL__N_19NonZeroOpIN3c104HalfEEEPKSF_lEEPiiNS8_6detail34convert_binary_result_type_wrapperINS8_3SumESJ_iEEEE10hipError_tPvRmT1_T2_T3_mT4_P12ihipStream_tbEUlT_E0_NS1_11comp_targetILNS1_3genE5ELNS1_11target_archE942ELNS1_3gpuE9ELNS1_3repE0EEENS1_30default_config_static_selectorELNS0_4arch9wavefront6targetE0EEEvSS_.has_dyn_sized_stack, 0
	.set _ZN7rocprim17ROCPRIM_400000_NS6detail17trampoline_kernelINS0_14default_configENS1_22reduce_config_selectorIbEEZNS1_11reduce_implILb1ES3_N6hipcub16HIPCUB_304000_NS22TransformInputIteratorIbN2at6native12_GLOBAL__N_19NonZeroOpIN3c104HalfEEEPKSF_lEEPiiNS8_6detail34convert_binary_result_type_wrapperINS8_3SumESJ_iEEEE10hipError_tPvRmT1_T2_T3_mT4_P12ihipStream_tbEUlT_E0_NS1_11comp_targetILNS1_3genE5ELNS1_11target_archE942ELNS1_3gpuE9ELNS1_3repE0EEENS1_30default_config_static_selectorELNS0_4arch9wavefront6targetE0EEEvSS_.has_recursion, 0
	.set _ZN7rocprim17ROCPRIM_400000_NS6detail17trampoline_kernelINS0_14default_configENS1_22reduce_config_selectorIbEEZNS1_11reduce_implILb1ES3_N6hipcub16HIPCUB_304000_NS22TransformInputIteratorIbN2at6native12_GLOBAL__N_19NonZeroOpIN3c104HalfEEEPKSF_lEEPiiNS8_6detail34convert_binary_result_type_wrapperINS8_3SumESJ_iEEEE10hipError_tPvRmT1_T2_T3_mT4_P12ihipStream_tbEUlT_E0_NS1_11comp_targetILNS1_3genE5ELNS1_11target_archE942ELNS1_3gpuE9ELNS1_3repE0EEENS1_30default_config_static_selectorELNS0_4arch9wavefront6targetE0EEEvSS_.has_indirect_call, 0
	.section	.AMDGPU.csdata,"",@progbits
; Kernel info:
; codeLenInByte = 0
; TotalNumSgprs: 0
; NumVgprs: 0
; ScratchSize: 0
; MemoryBound: 0
; FloatMode: 240
; IeeeMode: 1
; LDSByteSize: 0 bytes/workgroup (compile time only)
; SGPRBlocks: 0
; VGPRBlocks: 0
; NumSGPRsForWavesPerEU: 1
; NumVGPRsForWavesPerEU: 1
; Occupancy: 16
; WaveLimiterHint : 0
; COMPUTE_PGM_RSRC2:SCRATCH_EN: 0
; COMPUTE_PGM_RSRC2:USER_SGPR: 2
; COMPUTE_PGM_RSRC2:TRAP_HANDLER: 0
; COMPUTE_PGM_RSRC2:TGID_X_EN: 1
; COMPUTE_PGM_RSRC2:TGID_Y_EN: 0
; COMPUTE_PGM_RSRC2:TGID_Z_EN: 0
; COMPUTE_PGM_RSRC2:TIDIG_COMP_CNT: 0
	.section	.text._ZN7rocprim17ROCPRIM_400000_NS6detail17trampoline_kernelINS0_14default_configENS1_22reduce_config_selectorIbEEZNS1_11reduce_implILb1ES3_N6hipcub16HIPCUB_304000_NS22TransformInputIteratorIbN2at6native12_GLOBAL__N_19NonZeroOpIN3c104HalfEEEPKSF_lEEPiiNS8_6detail34convert_binary_result_type_wrapperINS8_3SumESJ_iEEEE10hipError_tPvRmT1_T2_T3_mT4_P12ihipStream_tbEUlT_E0_NS1_11comp_targetILNS1_3genE4ELNS1_11target_archE910ELNS1_3gpuE8ELNS1_3repE0EEENS1_30default_config_static_selectorELNS0_4arch9wavefront6targetE0EEEvSS_,"axG",@progbits,_ZN7rocprim17ROCPRIM_400000_NS6detail17trampoline_kernelINS0_14default_configENS1_22reduce_config_selectorIbEEZNS1_11reduce_implILb1ES3_N6hipcub16HIPCUB_304000_NS22TransformInputIteratorIbN2at6native12_GLOBAL__N_19NonZeroOpIN3c104HalfEEEPKSF_lEEPiiNS8_6detail34convert_binary_result_type_wrapperINS8_3SumESJ_iEEEE10hipError_tPvRmT1_T2_T3_mT4_P12ihipStream_tbEUlT_E0_NS1_11comp_targetILNS1_3genE4ELNS1_11target_archE910ELNS1_3gpuE8ELNS1_3repE0EEENS1_30default_config_static_selectorELNS0_4arch9wavefront6targetE0EEEvSS_,comdat
	.globl	_ZN7rocprim17ROCPRIM_400000_NS6detail17trampoline_kernelINS0_14default_configENS1_22reduce_config_selectorIbEEZNS1_11reduce_implILb1ES3_N6hipcub16HIPCUB_304000_NS22TransformInputIteratorIbN2at6native12_GLOBAL__N_19NonZeroOpIN3c104HalfEEEPKSF_lEEPiiNS8_6detail34convert_binary_result_type_wrapperINS8_3SumESJ_iEEEE10hipError_tPvRmT1_T2_T3_mT4_P12ihipStream_tbEUlT_E0_NS1_11comp_targetILNS1_3genE4ELNS1_11target_archE910ELNS1_3gpuE8ELNS1_3repE0EEENS1_30default_config_static_selectorELNS0_4arch9wavefront6targetE0EEEvSS_ ; -- Begin function _ZN7rocprim17ROCPRIM_400000_NS6detail17trampoline_kernelINS0_14default_configENS1_22reduce_config_selectorIbEEZNS1_11reduce_implILb1ES3_N6hipcub16HIPCUB_304000_NS22TransformInputIteratorIbN2at6native12_GLOBAL__N_19NonZeroOpIN3c104HalfEEEPKSF_lEEPiiNS8_6detail34convert_binary_result_type_wrapperINS8_3SumESJ_iEEEE10hipError_tPvRmT1_T2_T3_mT4_P12ihipStream_tbEUlT_E0_NS1_11comp_targetILNS1_3genE4ELNS1_11target_archE910ELNS1_3gpuE8ELNS1_3repE0EEENS1_30default_config_static_selectorELNS0_4arch9wavefront6targetE0EEEvSS_
	.p2align	8
	.type	_ZN7rocprim17ROCPRIM_400000_NS6detail17trampoline_kernelINS0_14default_configENS1_22reduce_config_selectorIbEEZNS1_11reduce_implILb1ES3_N6hipcub16HIPCUB_304000_NS22TransformInputIteratorIbN2at6native12_GLOBAL__N_19NonZeroOpIN3c104HalfEEEPKSF_lEEPiiNS8_6detail34convert_binary_result_type_wrapperINS8_3SumESJ_iEEEE10hipError_tPvRmT1_T2_T3_mT4_P12ihipStream_tbEUlT_E0_NS1_11comp_targetILNS1_3genE4ELNS1_11target_archE910ELNS1_3gpuE8ELNS1_3repE0EEENS1_30default_config_static_selectorELNS0_4arch9wavefront6targetE0EEEvSS_,@function
_ZN7rocprim17ROCPRIM_400000_NS6detail17trampoline_kernelINS0_14default_configENS1_22reduce_config_selectorIbEEZNS1_11reduce_implILb1ES3_N6hipcub16HIPCUB_304000_NS22TransformInputIteratorIbN2at6native12_GLOBAL__N_19NonZeroOpIN3c104HalfEEEPKSF_lEEPiiNS8_6detail34convert_binary_result_type_wrapperINS8_3SumESJ_iEEEE10hipError_tPvRmT1_T2_T3_mT4_P12ihipStream_tbEUlT_E0_NS1_11comp_targetILNS1_3genE4ELNS1_11target_archE910ELNS1_3gpuE8ELNS1_3repE0EEENS1_30default_config_static_selectorELNS0_4arch9wavefront6targetE0EEEvSS_: ; @_ZN7rocprim17ROCPRIM_400000_NS6detail17trampoline_kernelINS0_14default_configENS1_22reduce_config_selectorIbEEZNS1_11reduce_implILb1ES3_N6hipcub16HIPCUB_304000_NS22TransformInputIteratorIbN2at6native12_GLOBAL__N_19NonZeroOpIN3c104HalfEEEPKSF_lEEPiiNS8_6detail34convert_binary_result_type_wrapperINS8_3SumESJ_iEEEE10hipError_tPvRmT1_T2_T3_mT4_P12ihipStream_tbEUlT_E0_NS1_11comp_targetILNS1_3genE4ELNS1_11target_archE910ELNS1_3gpuE8ELNS1_3repE0EEENS1_30default_config_static_selectorELNS0_4arch9wavefront6targetE0EEEvSS_
; %bb.0:
	.section	.rodata,"a",@progbits
	.p2align	6, 0x0
	.amdhsa_kernel _ZN7rocprim17ROCPRIM_400000_NS6detail17trampoline_kernelINS0_14default_configENS1_22reduce_config_selectorIbEEZNS1_11reduce_implILb1ES3_N6hipcub16HIPCUB_304000_NS22TransformInputIteratorIbN2at6native12_GLOBAL__N_19NonZeroOpIN3c104HalfEEEPKSF_lEEPiiNS8_6detail34convert_binary_result_type_wrapperINS8_3SumESJ_iEEEE10hipError_tPvRmT1_T2_T3_mT4_P12ihipStream_tbEUlT_E0_NS1_11comp_targetILNS1_3genE4ELNS1_11target_archE910ELNS1_3gpuE8ELNS1_3repE0EEENS1_30default_config_static_selectorELNS0_4arch9wavefront6targetE0EEEvSS_
		.amdhsa_group_segment_fixed_size 0
		.amdhsa_private_segment_fixed_size 0
		.amdhsa_kernarg_size 64
		.amdhsa_user_sgpr_count 2
		.amdhsa_user_sgpr_dispatch_ptr 0
		.amdhsa_user_sgpr_queue_ptr 0
		.amdhsa_user_sgpr_kernarg_segment_ptr 1
		.amdhsa_user_sgpr_dispatch_id 0
		.amdhsa_user_sgpr_private_segment_size 0
		.amdhsa_wavefront_size32 1
		.amdhsa_uses_dynamic_stack 0
		.amdhsa_enable_private_segment 0
		.amdhsa_system_sgpr_workgroup_id_x 1
		.amdhsa_system_sgpr_workgroup_id_y 0
		.amdhsa_system_sgpr_workgroup_id_z 0
		.amdhsa_system_sgpr_workgroup_info 0
		.amdhsa_system_vgpr_workitem_id 0
		.amdhsa_next_free_vgpr 1
		.amdhsa_next_free_sgpr 1
		.amdhsa_reserve_vcc 0
		.amdhsa_float_round_mode_32 0
		.amdhsa_float_round_mode_16_64 0
		.amdhsa_float_denorm_mode_32 3
		.amdhsa_float_denorm_mode_16_64 3
		.amdhsa_fp16_overflow 0
		.amdhsa_workgroup_processor_mode 1
		.amdhsa_memory_ordered 1
		.amdhsa_forward_progress 1
		.amdhsa_inst_pref_size 0
		.amdhsa_round_robin_scheduling 0
		.amdhsa_exception_fp_ieee_invalid_op 0
		.amdhsa_exception_fp_denorm_src 0
		.amdhsa_exception_fp_ieee_div_zero 0
		.amdhsa_exception_fp_ieee_overflow 0
		.amdhsa_exception_fp_ieee_underflow 0
		.amdhsa_exception_fp_ieee_inexact 0
		.amdhsa_exception_int_div_zero 0
	.end_amdhsa_kernel
	.section	.text._ZN7rocprim17ROCPRIM_400000_NS6detail17trampoline_kernelINS0_14default_configENS1_22reduce_config_selectorIbEEZNS1_11reduce_implILb1ES3_N6hipcub16HIPCUB_304000_NS22TransformInputIteratorIbN2at6native12_GLOBAL__N_19NonZeroOpIN3c104HalfEEEPKSF_lEEPiiNS8_6detail34convert_binary_result_type_wrapperINS8_3SumESJ_iEEEE10hipError_tPvRmT1_T2_T3_mT4_P12ihipStream_tbEUlT_E0_NS1_11comp_targetILNS1_3genE4ELNS1_11target_archE910ELNS1_3gpuE8ELNS1_3repE0EEENS1_30default_config_static_selectorELNS0_4arch9wavefront6targetE0EEEvSS_,"axG",@progbits,_ZN7rocprim17ROCPRIM_400000_NS6detail17trampoline_kernelINS0_14default_configENS1_22reduce_config_selectorIbEEZNS1_11reduce_implILb1ES3_N6hipcub16HIPCUB_304000_NS22TransformInputIteratorIbN2at6native12_GLOBAL__N_19NonZeroOpIN3c104HalfEEEPKSF_lEEPiiNS8_6detail34convert_binary_result_type_wrapperINS8_3SumESJ_iEEEE10hipError_tPvRmT1_T2_T3_mT4_P12ihipStream_tbEUlT_E0_NS1_11comp_targetILNS1_3genE4ELNS1_11target_archE910ELNS1_3gpuE8ELNS1_3repE0EEENS1_30default_config_static_selectorELNS0_4arch9wavefront6targetE0EEEvSS_,comdat
.Lfunc_end850:
	.size	_ZN7rocprim17ROCPRIM_400000_NS6detail17trampoline_kernelINS0_14default_configENS1_22reduce_config_selectorIbEEZNS1_11reduce_implILb1ES3_N6hipcub16HIPCUB_304000_NS22TransformInputIteratorIbN2at6native12_GLOBAL__N_19NonZeroOpIN3c104HalfEEEPKSF_lEEPiiNS8_6detail34convert_binary_result_type_wrapperINS8_3SumESJ_iEEEE10hipError_tPvRmT1_T2_T3_mT4_P12ihipStream_tbEUlT_E0_NS1_11comp_targetILNS1_3genE4ELNS1_11target_archE910ELNS1_3gpuE8ELNS1_3repE0EEENS1_30default_config_static_selectorELNS0_4arch9wavefront6targetE0EEEvSS_, .Lfunc_end850-_ZN7rocprim17ROCPRIM_400000_NS6detail17trampoline_kernelINS0_14default_configENS1_22reduce_config_selectorIbEEZNS1_11reduce_implILb1ES3_N6hipcub16HIPCUB_304000_NS22TransformInputIteratorIbN2at6native12_GLOBAL__N_19NonZeroOpIN3c104HalfEEEPKSF_lEEPiiNS8_6detail34convert_binary_result_type_wrapperINS8_3SumESJ_iEEEE10hipError_tPvRmT1_T2_T3_mT4_P12ihipStream_tbEUlT_E0_NS1_11comp_targetILNS1_3genE4ELNS1_11target_archE910ELNS1_3gpuE8ELNS1_3repE0EEENS1_30default_config_static_selectorELNS0_4arch9wavefront6targetE0EEEvSS_
                                        ; -- End function
	.set _ZN7rocprim17ROCPRIM_400000_NS6detail17trampoline_kernelINS0_14default_configENS1_22reduce_config_selectorIbEEZNS1_11reduce_implILb1ES3_N6hipcub16HIPCUB_304000_NS22TransformInputIteratorIbN2at6native12_GLOBAL__N_19NonZeroOpIN3c104HalfEEEPKSF_lEEPiiNS8_6detail34convert_binary_result_type_wrapperINS8_3SumESJ_iEEEE10hipError_tPvRmT1_T2_T3_mT4_P12ihipStream_tbEUlT_E0_NS1_11comp_targetILNS1_3genE4ELNS1_11target_archE910ELNS1_3gpuE8ELNS1_3repE0EEENS1_30default_config_static_selectorELNS0_4arch9wavefront6targetE0EEEvSS_.num_vgpr, 0
	.set _ZN7rocprim17ROCPRIM_400000_NS6detail17trampoline_kernelINS0_14default_configENS1_22reduce_config_selectorIbEEZNS1_11reduce_implILb1ES3_N6hipcub16HIPCUB_304000_NS22TransformInputIteratorIbN2at6native12_GLOBAL__N_19NonZeroOpIN3c104HalfEEEPKSF_lEEPiiNS8_6detail34convert_binary_result_type_wrapperINS8_3SumESJ_iEEEE10hipError_tPvRmT1_T2_T3_mT4_P12ihipStream_tbEUlT_E0_NS1_11comp_targetILNS1_3genE4ELNS1_11target_archE910ELNS1_3gpuE8ELNS1_3repE0EEENS1_30default_config_static_selectorELNS0_4arch9wavefront6targetE0EEEvSS_.num_agpr, 0
	.set _ZN7rocprim17ROCPRIM_400000_NS6detail17trampoline_kernelINS0_14default_configENS1_22reduce_config_selectorIbEEZNS1_11reduce_implILb1ES3_N6hipcub16HIPCUB_304000_NS22TransformInputIteratorIbN2at6native12_GLOBAL__N_19NonZeroOpIN3c104HalfEEEPKSF_lEEPiiNS8_6detail34convert_binary_result_type_wrapperINS8_3SumESJ_iEEEE10hipError_tPvRmT1_T2_T3_mT4_P12ihipStream_tbEUlT_E0_NS1_11comp_targetILNS1_3genE4ELNS1_11target_archE910ELNS1_3gpuE8ELNS1_3repE0EEENS1_30default_config_static_selectorELNS0_4arch9wavefront6targetE0EEEvSS_.numbered_sgpr, 0
	.set _ZN7rocprim17ROCPRIM_400000_NS6detail17trampoline_kernelINS0_14default_configENS1_22reduce_config_selectorIbEEZNS1_11reduce_implILb1ES3_N6hipcub16HIPCUB_304000_NS22TransformInputIteratorIbN2at6native12_GLOBAL__N_19NonZeroOpIN3c104HalfEEEPKSF_lEEPiiNS8_6detail34convert_binary_result_type_wrapperINS8_3SumESJ_iEEEE10hipError_tPvRmT1_T2_T3_mT4_P12ihipStream_tbEUlT_E0_NS1_11comp_targetILNS1_3genE4ELNS1_11target_archE910ELNS1_3gpuE8ELNS1_3repE0EEENS1_30default_config_static_selectorELNS0_4arch9wavefront6targetE0EEEvSS_.num_named_barrier, 0
	.set _ZN7rocprim17ROCPRIM_400000_NS6detail17trampoline_kernelINS0_14default_configENS1_22reduce_config_selectorIbEEZNS1_11reduce_implILb1ES3_N6hipcub16HIPCUB_304000_NS22TransformInputIteratorIbN2at6native12_GLOBAL__N_19NonZeroOpIN3c104HalfEEEPKSF_lEEPiiNS8_6detail34convert_binary_result_type_wrapperINS8_3SumESJ_iEEEE10hipError_tPvRmT1_T2_T3_mT4_P12ihipStream_tbEUlT_E0_NS1_11comp_targetILNS1_3genE4ELNS1_11target_archE910ELNS1_3gpuE8ELNS1_3repE0EEENS1_30default_config_static_selectorELNS0_4arch9wavefront6targetE0EEEvSS_.private_seg_size, 0
	.set _ZN7rocprim17ROCPRIM_400000_NS6detail17trampoline_kernelINS0_14default_configENS1_22reduce_config_selectorIbEEZNS1_11reduce_implILb1ES3_N6hipcub16HIPCUB_304000_NS22TransformInputIteratorIbN2at6native12_GLOBAL__N_19NonZeroOpIN3c104HalfEEEPKSF_lEEPiiNS8_6detail34convert_binary_result_type_wrapperINS8_3SumESJ_iEEEE10hipError_tPvRmT1_T2_T3_mT4_P12ihipStream_tbEUlT_E0_NS1_11comp_targetILNS1_3genE4ELNS1_11target_archE910ELNS1_3gpuE8ELNS1_3repE0EEENS1_30default_config_static_selectorELNS0_4arch9wavefront6targetE0EEEvSS_.uses_vcc, 0
	.set _ZN7rocprim17ROCPRIM_400000_NS6detail17trampoline_kernelINS0_14default_configENS1_22reduce_config_selectorIbEEZNS1_11reduce_implILb1ES3_N6hipcub16HIPCUB_304000_NS22TransformInputIteratorIbN2at6native12_GLOBAL__N_19NonZeroOpIN3c104HalfEEEPKSF_lEEPiiNS8_6detail34convert_binary_result_type_wrapperINS8_3SumESJ_iEEEE10hipError_tPvRmT1_T2_T3_mT4_P12ihipStream_tbEUlT_E0_NS1_11comp_targetILNS1_3genE4ELNS1_11target_archE910ELNS1_3gpuE8ELNS1_3repE0EEENS1_30default_config_static_selectorELNS0_4arch9wavefront6targetE0EEEvSS_.uses_flat_scratch, 0
	.set _ZN7rocprim17ROCPRIM_400000_NS6detail17trampoline_kernelINS0_14default_configENS1_22reduce_config_selectorIbEEZNS1_11reduce_implILb1ES3_N6hipcub16HIPCUB_304000_NS22TransformInputIteratorIbN2at6native12_GLOBAL__N_19NonZeroOpIN3c104HalfEEEPKSF_lEEPiiNS8_6detail34convert_binary_result_type_wrapperINS8_3SumESJ_iEEEE10hipError_tPvRmT1_T2_T3_mT4_P12ihipStream_tbEUlT_E0_NS1_11comp_targetILNS1_3genE4ELNS1_11target_archE910ELNS1_3gpuE8ELNS1_3repE0EEENS1_30default_config_static_selectorELNS0_4arch9wavefront6targetE0EEEvSS_.has_dyn_sized_stack, 0
	.set _ZN7rocprim17ROCPRIM_400000_NS6detail17trampoline_kernelINS0_14default_configENS1_22reduce_config_selectorIbEEZNS1_11reduce_implILb1ES3_N6hipcub16HIPCUB_304000_NS22TransformInputIteratorIbN2at6native12_GLOBAL__N_19NonZeroOpIN3c104HalfEEEPKSF_lEEPiiNS8_6detail34convert_binary_result_type_wrapperINS8_3SumESJ_iEEEE10hipError_tPvRmT1_T2_T3_mT4_P12ihipStream_tbEUlT_E0_NS1_11comp_targetILNS1_3genE4ELNS1_11target_archE910ELNS1_3gpuE8ELNS1_3repE0EEENS1_30default_config_static_selectorELNS0_4arch9wavefront6targetE0EEEvSS_.has_recursion, 0
	.set _ZN7rocprim17ROCPRIM_400000_NS6detail17trampoline_kernelINS0_14default_configENS1_22reduce_config_selectorIbEEZNS1_11reduce_implILb1ES3_N6hipcub16HIPCUB_304000_NS22TransformInputIteratorIbN2at6native12_GLOBAL__N_19NonZeroOpIN3c104HalfEEEPKSF_lEEPiiNS8_6detail34convert_binary_result_type_wrapperINS8_3SumESJ_iEEEE10hipError_tPvRmT1_T2_T3_mT4_P12ihipStream_tbEUlT_E0_NS1_11comp_targetILNS1_3genE4ELNS1_11target_archE910ELNS1_3gpuE8ELNS1_3repE0EEENS1_30default_config_static_selectorELNS0_4arch9wavefront6targetE0EEEvSS_.has_indirect_call, 0
	.section	.AMDGPU.csdata,"",@progbits
; Kernel info:
; codeLenInByte = 0
; TotalNumSgprs: 0
; NumVgprs: 0
; ScratchSize: 0
; MemoryBound: 0
; FloatMode: 240
; IeeeMode: 1
; LDSByteSize: 0 bytes/workgroup (compile time only)
; SGPRBlocks: 0
; VGPRBlocks: 0
; NumSGPRsForWavesPerEU: 1
; NumVGPRsForWavesPerEU: 1
; Occupancy: 16
; WaveLimiterHint : 0
; COMPUTE_PGM_RSRC2:SCRATCH_EN: 0
; COMPUTE_PGM_RSRC2:USER_SGPR: 2
; COMPUTE_PGM_RSRC2:TRAP_HANDLER: 0
; COMPUTE_PGM_RSRC2:TGID_X_EN: 1
; COMPUTE_PGM_RSRC2:TGID_Y_EN: 0
; COMPUTE_PGM_RSRC2:TGID_Z_EN: 0
; COMPUTE_PGM_RSRC2:TIDIG_COMP_CNT: 0
	.section	.text._ZN7rocprim17ROCPRIM_400000_NS6detail17trampoline_kernelINS0_14default_configENS1_22reduce_config_selectorIbEEZNS1_11reduce_implILb1ES3_N6hipcub16HIPCUB_304000_NS22TransformInputIteratorIbN2at6native12_GLOBAL__N_19NonZeroOpIN3c104HalfEEEPKSF_lEEPiiNS8_6detail34convert_binary_result_type_wrapperINS8_3SumESJ_iEEEE10hipError_tPvRmT1_T2_T3_mT4_P12ihipStream_tbEUlT_E0_NS1_11comp_targetILNS1_3genE3ELNS1_11target_archE908ELNS1_3gpuE7ELNS1_3repE0EEENS1_30default_config_static_selectorELNS0_4arch9wavefront6targetE0EEEvSS_,"axG",@progbits,_ZN7rocprim17ROCPRIM_400000_NS6detail17trampoline_kernelINS0_14default_configENS1_22reduce_config_selectorIbEEZNS1_11reduce_implILb1ES3_N6hipcub16HIPCUB_304000_NS22TransformInputIteratorIbN2at6native12_GLOBAL__N_19NonZeroOpIN3c104HalfEEEPKSF_lEEPiiNS8_6detail34convert_binary_result_type_wrapperINS8_3SumESJ_iEEEE10hipError_tPvRmT1_T2_T3_mT4_P12ihipStream_tbEUlT_E0_NS1_11comp_targetILNS1_3genE3ELNS1_11target_archE908ELNS1_3gpuE7ELNS1_3repE0EEENS1_30default_config_static_selectorELNS0_4arch9wavefront6targetE0EEEvSS_,comdat
	.globl	_ZN7rocprim17ROCPRIM_400000_NS6detail17trampoline_kernelINS0_14default_configENS1_22reduce_config_selectorIbEEZNS1_11reduce_implILb1ES3_N6hipcub16HIPCUB_304000_NS22TransformInputIteratorIbN2at6native12_GLOBAL__N_19NonZeroOpIN3c104HalfEEEPKSF_lEEPiiNS8_6detail34convert_binary_result_type_wrapperINS8_3SumESJ_iEEEE10hipError_tPvRmT1_T2_T3_mT4_P12ihipStream_tbEUlT_E0_NS1_11comp_targetILNS1_3genE3ELNS1_11target_archE908ELNS1_3gpuE7ELNS1_3repE0EEENS1_30default_config_static_selectorELNS0_4arch9wavefront6targetE0EEEvSS_ ; -- Begin function _ZN7rocprim17ROCPRIM_400000_NS6detail17trampoline_kernelINS0_14default_configENS1_22reduce_config_selectorIbEEZNS1_11reduce_implILb1ES3_N6hipcub16HIPCUB_304000_NS22TransformInputIteratorIbN2at6native12_GLOBAL__N_19NonZeroOpIN3c104HalfEEEPKSF_lEEPiiNS8_6detail34convert_binary_result_type_wrapperINS8_3SumESJ_iEEEE10hipError_tPvRmT1_T2_T3_mT4_P12ihipStream_tbEUlT_E0_NS1_11comp_targetILNS1_3genE3ELNS1_11target_archE908ELNS1_3gpuE7ELNS1_3repE0EEENS1_30default_config_static_selectorELNS0_4arch9wavefront6targetE0EEEvSS_
	.p2align	8
	.type	_ZN7rocprim17ROCPRIM_400000_NS6detail17trampoline_kernelINS0_14default_configENS1_22reduce_config_selectorIbEEZNS1_11reduce_implILb1ES3_N6hipcub16HIPCUB_304000_NS22TransformInputIteratorIbN2at6native12_GLOBAL__N_19NonZeroOpIN3c104HalfEEEPKSF_lEEPiiNS8_6detail34convert_binary_result_type_wrapperINS8_3SumESJ_iEEEE10hipError_tPvRmT1_T2_T3_mT4_P12ihipStream_tbEUlT_E0_NS1_11comp_targetILNS1_3genE3ELNS1_11target_archE908ELNS1_3gpuE7ELNS1_3repE0EEENS1_30default_config_static_selectorELNS0_4arch9wavefront6targetE0EEEvSS_,@function
_ZN7rocprim17ROCPRIM_400000_NS6detail17trampoline_kernelINS0_14default_configENS1_22reduce_config_selectorIbEEZNS1_11reduce_implILb1ES3_N6hipcub16HIPCUB_304000_NS22TransformInputIteratorIbN2at6native12_GLOBAL__N_19NonZeroOpIN3c104HalfEEEPKSF_lEEPiiNS8_6detail34convert_binary_result_type_wrapperINS8_3SumESJ_iEEEE10hipError_tPvRmT1_T2_T3_mT4_P12ihipStream_tbEUlT_E0_NS1_11comp_targetILNS1_3genE3ELNS1_11target_archE908ELNS1_3gpuE7ELNS1_3repE0EEENS1_30default_config_static_selectorELNS0_4arch9wavefront6targetE0EEEvSS_: ; @_ZN7rocprim17ROCPRIM_400000_NS6detail17trampoline_kernelINS0_14default_configENS1_22reduce_config_selectorIbEEZNS1_11reduce_implILb1ES3_N6hipcub16HIPCUB_304000_NS22TransformInputIteratorIbN2at6native12_GLOBAL__N_19NonZeroOpIN3c104HalfEEEPKSF_lEEPiiNS8_6detail34convert_binary_result_type_wrapperINS8_3SumESJ_iEEEE10hipError_tPvRmT1_T2_T3_mT4_P12ihipStream_tbEUlT_E0_NS1_11comp_targetILNS1_3genE3ELNS1_11target_archE908ELNS1_3gpuE7ELNS1_3repE0EEENS1_30default_config_static_selectorELNS0_4arch9wavefront6targetE0EEEvSS_
; %bb.0:
	.section	.rodata,"a",@progbits
	.p2align	6, 0x0
	.amdhsa_kernel _ZN7rocprim17ROCPRIM_400000_NS6detail17trampoline_kernelINS0_14default_configENS1_22reduce_config_selectorIbEEZNS1_11reduce_implILb1ES3_N6hipcub16HIPCUB_304000_NS22TransformInputIteratorIbN2at6native12_GLOBAL__N_19NonZeroOpIN3c104HalfEEEPKSF_lEEPiiNS8_6detail34convert_binary_result_type_wrapperINS8_3SumESJ_iEEEE10hipError_tPvRmT1_T2_T3_mT4_P12ihipStream_tbEUlT_E0_NS1_11comp_targetILNS1_3genE3ELNS1_11target_archE908ELNS1_3gpuE7ELNS1_3repE0EEENS1_30default_config_static_selectorELNS0_4arch9wavefront6targetE0EEEvSS_
		.amdhsa_group_segment_fixed_size 0
		.amdhsa_private_segment_fixed_size 0
		.amdhsa_kernarg_size 64
		.amdhsa_user_sgpr_count 2
		.amdhsa_user_sgpr_dispatch_ptr 0
		.amdhsa_user_sgpr_queue_ptr 0
		.amdhsa_user_sgpr_kernarg_segment_ptr 1
		.amdhsa_user_sgpr_dispatch_id 0
		.amdhsa_user_sgpr_private_segment_size 0
		.amdhsa_wavefront_size32 1
		.amdhsa_uses_dynamic_stack 0
		.amdhsa_enable_private_segment 0
		.amdhsa_system_sgpr_workgroup_id_x 1
		.amdhsa_system_sgpr_workgroup_id_y 0
		.amdhsa_system_sgpr_workgroup_id_z 0
		.amdhsa_system_sgpr_workgroup_info 0
		.amdhsa_system_vgpr_workitem_id 0
		.amdhsa_next_free_vgpr 1
		.amdhsa_next_free_sgpr 1
		.amdhsa_reserve_vcc 0
		.amdhsa_float_round_mode_32 0
		.amdhsa_float_round_mode_16_64 0
		.amdhsa_float_denorm_mode_32 3
		.amdhsa_float_denorm_mode_16_64 3
		.amdhsa_fp16_overflow 0
		.amdhsa_workgroup_processor_mode 1
		.amdhsa_memory_ordered 1
		.amdhsa_forward_progress 1
		.amdhsa_inst_pref_size 0
		.amdhsa_round_robin_scheduling 0
		.amdhsa_exception_fp_ieee_invalid_op 0
		.amdhsa_exception_fp_denorm_src 0
		.amdhsa_exception_fp_ieee_div_zero 0
		.amdhsa_exception_fp_ieee_overflow 0
		.amdhsa_exception_fp_ieee_underflow 0
		.amdhsa_exception_fp_ieee_inexact 0
		.amdhsa_exception_int_div_zero 0
	.end_amdhsa_kernel
	.section	.text._ZN7rocprim17ROCPRIM_400000_NS6detail17trampoline_kernelINS0_14default_configENS1_22reduce_config_selectorIbEEZNS1_11reduce_implILb1ES3_N6hipcub16HIPCUB_304000_NS22TransformInputIteratorIbN2at6native12_GLOBAL__N_19NonZeroOpIN3c104HalfEEEPKSF_lEEPiiNS8_6detail34convert_binary_result_type_wrapperINS8_3SumESJ_iEEEE10hipError_tPvRmT1_T2_T3_mT4_P12ihipStream_tbEUlT_E0_NS1_11comp_targetILNS1_3genE3ELNS1_11target_archE908ELNS1_3gpuE7ELNS1_3repE0EEENS1_30default_config_static_selectorELNS0_4arch9wavefront6targetE0EEEvSS_,"axG",@progbits,_ZN7rocprim17ROCPRIM_400000_NS6detail17trampoline_kernelINS0_14default_configENS1_22reduce_config_selectorIbEEZNS1_11reduce_implILb1ES3_N6hipcub16HIPCUB_304000_NS22TransformInputIteratorIbN2at6native12_GLOBAL__N_19NonZeroOpIN3c104HalfEEEPKSF_lEEPiiNS8_6detail34convert_binary_result_type_wrapperINS8_3SumESJ_iEEEE10hipError_tPvRmT1_T2_T3_mT4_P12ihipStream_tbEUlT_E0_NS1_11comp_targetILNS1_3genE3ELNS1_11target_archE908ELNS1_3gpuE7ELNS1_3repE0EEENS1_30default_config_static_selectorELNS0_4arch9wavefront6targetE0EEEvSS_,comdat
.Lfunc_end851:
	.size	_ZN7rocprim17ROCPRIM_400000_NS6detail17trampoline_kernelINS0_14default_configENS1_22reduce_config_selectorIbEEZNS1_11reduce_implILb1ES3_N6hipcub16HIPCUB_304000_NS22TransformInputIteratorIbN2at6native12_GLOBAL__N_19NonZeroOpIN3c104HalfEEEPKSF_lEEPiiNS8_6detail34convert_binary_result_type_wrapperINS8_3SumESJ_iEEEE10hipError_tPvRmT1_T2_T3_mT4_P12ihipStream_tbEUlT_E0_NS1_11comp_targetILNS1_3genE3ELNS1_11target_archE908ELNS1_3gpuE7ELNS1_3repE0EEENS1_30default_config_static_selectorELNS0_4arch9wavefront6targetE0EEEvSS_, .Lfunc_end851-_ZN7rocprim17ROCPRIM_400000_NS6detail17trampoline_kernelINS0_14default_configENS1_22reduce_config_selectorIbEEZNS1_11reduce_implILb1ES3_N6hipcub16HIPCUB_304000_NS22TransformInputIteratorIbN2at6native12_GLOBAL__N_19NonZeroOpIN3c104HalfEEEPKSF_lEEPiiNS8_6detail34convert_binary_result_type_wrapperINS8_3SumESJ_iEEEE10hipError_tPvRmT1_T2_T3_mT4_P12ihipStream_tbEUlT_E0_NS1_11comp_targetILNS1_3genE3ELNS1_11target_archE908ELNS1_3gpuE7ELNS1_3repE0EEENS1_30default_config_static_selectorELNS0_4arch9wavefront6targetE0EEEvSS_
                                        ; -- End function
	.set _ZN7rocprim17ROCPRIM_400000_NS6detail17trampoline_kernelINS0_14default_configENS1_22reduce_config_selectorIbEEZNS1_11reduce_implILb1ES3_N6hipcub16HIPCUB_304000_NS22TransformInputIteratorIbN2at6native12_GLOBAL__N_19NonZeroOpIN3c104HalfEEEPKSF_lEEPiiNS8_6detail34convert_binary_result_type_wrapperINS8_3SumESJ_iEEEE10hipError_tPvRmT1_T2_T3_mT4_P12ihipStream_tbEUlT_E0_NS1_11comp_targetILNS1_3genE3ELNS1_11target_archE908ELNS1_3gpuE7ELNS1_3repE0EEENS1_30default_config_static_selectorELNS0_4arch9wavefront6targetE0EEEvSS_.num_vgpr, 0
	.set _ZN7rocprim17ROCPRIM_400000_NS6detail17trampoline_kernelINS0_14default_configENS1_22reduce_config_selectorIbEEZNS1_11reduce_implILb1ES3_N6hipcub16HIPCUB_304000_NS22TransformInputIteratorIbN2at6native12_GLOBAL__N_19NonZeroOpIN3c104HalfEEEPKSF_lEEPiiNS8_6detail34convert_binary_result_type_wrapperINS8_3SumESJ_iEEEE10hipError_tPvRmT1_T2_T3_mT4_P12ihipStream_tbEUlT_E0_NS1_11comp_targetILNS1_3genE3ELNS1_11target_archE908ELNS1_3gpuE7ELNS1_3repE0EEENS1_30default_config_static_selectorELNS0_4arch9wavefront6targetE0EEEvSS_.num_agpr, 0
	.set _ZN7rocprim17ROCPRIM_400000_NS6detail17trampoline_kernelINS0_14default_configENS1_22reduce_config_selectorIbEEZNS1_11reduce_implILb1ES3_N6hipcub16HIPCUB_304000_NS22TransformInputIteratorIbN2at6native12_GLOBAL__N_19NonZeroOpIN3c104HalfEEEPKSF_lEEPiiNS8_6detail34convert_binary_result_type_wrapperINS8_3SumESJ_iEEEE10hipError_tPvRmT1_T2_T3_mT4_P12ihipStream_tbEUlT_E0_NS1_11comp_targetILNS1_3genE3ELNS1_11target_archE908ELNS1_3gpuE7ELNS1_3repE0EEENS1_30default_config_static_selectorELNS0_4arch9wavefront6targetE0EEEvSS_.numbered_sgpr, 0
	.set _ZN7rocprim17ROCPRIM_400000_NS6detail17trampoline_kernelINS0_14default_configENS1_22reduce_config_selectorIbEEZNS1_11reduce_implILb1ES3_N6hipcub16HIPCUB_304000_NS22TransformInputIteratorIbN2at6native12_GLOBAL__N_19NonZeroOpIN3c104HalfEEEPKSF_lEEPiiNS8_6detail34convert_binary_result_type_wrapperINS8_3SumESJ_iEEEE10hipError_tPvRmT1_T2_T3_mT4_P12ihipStream_tbEUlT_E0_NS1_11comp_targetILNS1_3genE3ELNS1_11target_archE908ELNS1_3gpuE7ELNS1_3repE0EEENS1_30default_config_static_selectorELNS0_4arch9wavefront6targetE0EEEvSS_.num_named_barrier, 0
	.set _ZN7rocprim17ROCPRIM_400000_NS6detail17trampoline_kernelINS0_14default_configENS1_22reduce_config_selectorIbEEZNS1_11reduce_implILb1ES3_N6hipcub16HIPCUB_304000_NS22TransformInputIteratorIbN2at6native12_GLOBAL__N_19NonZeroOpIN3c104HalfEEEPKSF_lEEPiiNS8_6detail34convert_binary_result_type_wrapperINS8_3SumESJ_iEEEE10hipError_tPvRmT1_T2_T3_mT4_P12ihipStream_tbEUlT_E0_NS1_11comp_targetILNS1_3genE3ELNS1_11target_archE908ELNS1_3gpuE7ELNS1_3repE0EEENS1_30default_config_static_selectorELNS0_4arch9wavefront6targetE0EEEvSS_.private_seg_size, 0
	.set _ZN7rocprim17ROCPRIM_400000_NS6detail17trampoline_kernelINS0_14default_configENS1_22reduce_config_selectorIbEEZNS1_11reduce_implILb1ES3_N6hipcub16HIPCUB_304000_NS22TransformInputIteratorIbN2at6native12_GLOBAL__N_19NonZeroOpIN3c104HalfEEEPKSF_lEEPiiNS8_6detail34convert_binary_result_type_wrapperINS8_3SumESJ_iEEEE10hipError_tPvRmT1_T2_T3_mT4_P12ihipStream_tbEUlT_E0_NS1_11comp_targetILNS1_3genE3ELNS1_11target_archE908ELNS1_3gpuE7ELNS1_3repE0EEENS1_30default_config_static_selectorELNS0_4arch9wavefront6targetE0EEEvSS_.uses_vcc, 0
	.set _ZN7rocprim17ROCPRIM_400000_NS6detail17trampoline_kernelINS0_14default_configENS1_22reduce_config_selectorIbEEZNS1_11reduce_implILb1ES3_N6hipcub16HIPCUB_304000_NS22TransformInputIteratorIbN2at6native12_GLOBAL__N_19NonZeroOpIN3c104HalfEEEPKSF_lEEPiiNS8_6detail34convert_binary_result_type_wrapperINS8_3SumESJ_iEEEE10hipError_tPvRmT1_T2_T3_mT4_P12ihipStream_tbEUlT_E0_NS1_11comp_targetILNS1_3genE3ELNS1_11target_archE908ELNS1_3gpuE7ELNS1_3repE0EEENS1_30default_config_static_selectorELNS0_4arch9wavefront6targetE0EEEvSS_.uses_flat_scratch, 0
	.set _ZN7rocprim17ROCPRIM_400000_NS6detail17trampoline_kernelINS0_14default_configENS1_22reduce_config_selectorIbEEZNS1_11reduce_implILb1ES3_N6hipcub16HIPCUB_304000_NS22TransformInputIteratorIbN2at6native12_GLOBAL__N_19NonZeroOpIN3c104HalfEEEPKSF_lEEPiiNS8_6detail34convert_binary_result_type_wrapperINS8_3SumESJ_iEEEE10hipError_tPvRmT1_T2_T3_mT4_P12ihipStream_tbEUlT_E0_NS1_11comp_targetILNS1_3genE3ELNS1_11target_archE908ELNS1_3gpuE7ELNS1_3repE0EEENS1_30default_config_static_selectorELNS0_4arch9wavefront6targetE0EEEvSS_.has_dyn_sized_stack, 0
	.set _ZN7rocprim17ROCPRIM_400000_NS6detail17trampoline_kernelINS0_14default_configENS1_22reduce_config_selectorIbEEZNS1_11reduce_implILb1ES3_N6hipcub16HIPCUB_304000_NS22TransformInputIteratorIbN2at6native12_GLOBAL__N_19NonZeroOpIN3c104HalfEEEPKSF_lEEPiiNS8_6detail34convert_binary_result_type_wrapperINS8_3SumESJ_iEEEE10hipError_tPvRmT1_T2_T3_mT4_P12ihipStream_tbEUlT_E0_NS1_11comp_targetILNS1_3genE3ELNS1_11target_archE908ELNS1_3gpuE7ELNS1_3repE0EEENS1_30default_config_static_selectorELNS0_4arch9wavefront6targetE0EEEvSS_.has_recursion, 0
	.set _ZN7rocprim17ROCPRIM_400000_NS6detail17trampoline_kernelINS0_14default_configENS1_22reduce_config_selectorIbEEZNS1_11reduce_implILb1ES3_N6hipcub16HIPCUB_304000_NS22TransformInputIteratorIbN2at6native12_GLOBAL__N_19NonZeroOpIN3c104HalfEEEPKSF_lEEPiiNS8_6detail34convert_binary_result_type_wrapperINS8_3SumESJ_iEEEE10hipError_tPvRmT1_T2_T3_mT4_P12ihipStream_tbEUlT_E0_NS1_11comp_targetILNS1_3genE3ELNS1_11target_archE908ELNS1_3gpuE7ELNS1_3repE0EEENS1_30default_config_static_selectorELNS0_4arch9wavefront6targetE0EEEvSS_.has_indirect_call, 0
	.section	.AMDGPU.csdata,"",@progbits
; Kernel info:
; codeLenInByte = 0
; TotalNumSgprs: 0
; NumVgprs: 0
; ScratchSize: 0
; MemoryBound: 0
; FloatMode: 240
; IeeeMode: 1
; LDSByteSize: 0 bytes/workgroup (compile time only)
; SGPRBlocks: 0
; VGPRBlocks: 0
; NumSGPRsForWavesPerEU: 1
; NumVGPRsForWavesPerEU: 1
; Occupancy: 16
; WaveLimiterHint : 0
; COMPUTE_PGM_RSRC2:SCRATCH_EN: 0
; COMPUTE_PGM_RSRC2:USER_SGPR: 2
; COMPUTE_PGM_RSRC2:TRAP_HANDLER: 0
; COMPUTE_PGM_RSRC2:TGID_X_EN: 1
; COMPUTE_PGM_RSRC2:TGID_Y_EN: 0
; COMPUTE_PGM_RSRC2:TGID_Z_EN: 0
; COMPUTE_PGM_RSRC2:TIDIG_COMP_CNT: 0
	.section	.text._ZN7rocprim17ROCPRIM_400000_NS6detail17trampoline_kernelINS0_14default_configENS1_22reduce_config_selectorIbEEZNS1_11reduce_implILb1ES3_N6hipcub16HIPCUB_304000_NS22TransformInputIteratorIbN2at6native12_GLOBAL__N_19NonZeroOpIN3c104HalfEEEPKSF_lEEPiiNS8_6detail34convert_binary_result_type_wrapperINS8_3SumESJ_iEEEE10hipError_tPvRmT1_T2_T3_mT4_P12ihipStream_tbEUlT_E0_NS1_11comp_targetILNS1_3genE2ELNS1_11target_archE906ELNS1_3gpuE6ELNS1_3repE0EEENS1_30default_config_static_selectorELNS0_4arch9wavefront6targetE0EEEvSS_,"axG",@progbits,_ZN7rocprim17ROCPRIM_400000_NS6detail17trampoline_kernelINS0_14default_configENS1_22reduce_config_selectorIbEEZNS1_11reduce_implILb1ES3_N6hipcub16HIPCUB_304000_NS22TransformInputIteratorIbN2at6native12_GLOBAL__N_19NonZeroOpIN3c104HalfEEEPKSF_lEEPiiNS8_6detail34convert_binary_result_type_wrapperINS8_3SumESJ_iEEEE10hipError_tPvRmT1_T2_T3_mT4_P12ihipStream_tbEUlT_E0_NS1_11comp_targetILNS1_3genE2ELNS1_11target_archE906ELNS1_3gpuE6ELNS1_3repE0EEENS1_30default_config_static_selectorELNS0_4arch9wavefront6targetE0EEEvSS_,comdat
	.globl	_ZN7rocprim17ROCPRIM_400000_NS6detail17trampoline_kernelINS0_14default_configENS1_22reduce_config_selectorIbEEZNS1_11reduce_implILb1ES3_N6hipcub16HIPCUB_304000_NS22TransformInputIteratorIbN2at6native12_GLOBAL__N_19NonZeroOpIN3c104HalfEEEPKSF_lEEPiiNS8_6detail34convert_binary_result_type_wrapperINS8_3SumESJ_iEEEE10hipError_tPvRmT1_T2_T3_mT4_P12ihipStream_tbEUlT_E0_NS1_11comp_targetILNS1_3genE2ELNS1_11target_archE906ELNS1_3gpuE6ELNS1_3repE0EEENS1_30default_config_static_selectorELNS0_4arch9wavefront6targetE0EEEvSS_ ; -- Begin function _ZN7rocprim17ROCPRIM_400000_NS6detail17trampoline_kernelINS0_14default_configENS1_22reduce_config_selectorIbEEZNS1_11reduce_implILb1ES3_N6hipcub16HIPCUB_304000_NS22TransformInputIteratorIbN2at6native12_GLOBAL__N_19NonZeroOpIN3c104HalfEEEPKSF_lEEPiiNS8_6detail34convert_binary_result_type_wrapperINS8_3SumESJ_iEEEE10hipError_tPvRmT1_T2_T3_mT4_P12ihipStream_tbEUlT_E0_NS1_11comp_targetILNS1_3genE2ELNS1_11target_archE906ELNS1_3gpuE6ELNS1_3repE0EEENS1_30default_config_static_selectorELNS0_4arch9wavefront6targetE0EEEvSS_
	.p2align	8
	.type	_ZN7rocprim17ROCPRIM_400000_NS6detail17trampoline_kernelINS0_14default_configENS1_22reduce_config_selectorIbEEZNS1_11reduce_implILb1ES3_N6hipcub16HIPCUB_304000_NS22TransformInputIteratorIbN2at6native12_GLOBAL__N_19NonZeroOpIN3c104HalfEEEPKSF_lEEPiiNS8_6detail34convert_binary_result_type_wrapperINS8_3SumESJ_iEEEE10hipError_tPvRmT1_T2_T3_mT4_P12ihipStream_tbEUlT_E0_NS1_11comp_targetILNS1_3genE2ELNS1_11target_archE906ELNS1_3gpuE6ELNS1_3repE0EEENS1_30default_config_static_selectorELNS0_4arch9wavefront6targetE0EEEvSS_,@function
_ZN7rocprim17ROCPRIM_400000_NS6detail17trampoline_kernelINS0_14default_configENS1_22reduce_config_selectorIbEEZNS1_11reduce_implILb1ES3_N6hipcub16HIPCUB_304000_NS22TransformInputIteratorIbN2at6native12_GLOBAL__N_19NonZeroOpIN3c104HalfEEEPKSF_lEEPiiNS8_6detail34convert_binary_result_type_wrapperINS8_3SumESJ_iEEEE10hipError_tPvRmT1_T2_T3_mT4_P12ihipStream_tbEUlT_E0_NS1_11comp_targetILNS1_3genE2ELNS1_11target_archE906ELNS1_3gpuE6ELNS1_3repE0EEENS1_30default_config_static_selectorELNS0_4arch9wavefront6targetE0EEEvSS_: ; @_ZN7rocprim17ROCPRIM_400000_NS6detail17trampoline_kernelINS0_14default_configENS1_22reduce_config_selectorIbEEZNS1_11reduce_implILb1ES3_N6hipcub16HIPCUB_304000_NS22TransformInputIteratorIbN2at6native12_GLOBAL__N_19NonZeroOpIN3c104HalfEEEPKSF_lEEPiiNS8_6detail34convert_binary_result_type_wrapperINS8_3SumESJ_iEEEE10hipError_tPvRmT1_T2_T3_mT4_P12ihipStream_tbEUlT_E0_NS1_11comp_targetILNS1_3genE2ELNS1_11target_archE906ELNS1_3gpuE6ELNS1_3repE0EEENS1_30default_config_static_selectorELNS0_4arch9wavefront6targetE0EEEvSS_
; %bb.0:
	.section	.rodata,"a",@progbits
	.p2align	6, 0x0
	.amdhsa_kernel _ZN7rocprim17ROCPRIM_400000_NS6detail17trampoline_kernelINS0_14default_configENS1_22reduce_config_selectorIbEEZNS1_11reduce_implILb1ES3_N6hipcub16HIPCUB_304000_NS22TransformInputIteratorIbN2at6native12_GLOBAL__N_19NonZeroOpIN3c104HalfEEEPKSF_lEEPiiNS8_6detail34convert_binary_result_type_wrapperINS8_3SumESJ_iEEEE10hipError_tPvRmT1_T2_T3_mT4_P12ihipStream_tbEUlT_E0_NS1_11comp_targetILNS1_3genE2ELNS1_11target_archE906ELNS1_3gpuE6ELNS1_3repE0EEENS1_30default_config_static_selectorELNS0_4arch9wavefront6targetE0EEEvSS_
		.amdhsa_group_segment_fixed_size 0
		.amdhsa_private_segment_fixed_size 0
		.amdhsa_kernarg_size 64
		.amdhsa_user_sgpr_count 2
		.amdhsa_user_sgpr_dispatch_ptr 0
		.amdhsa_user_sgpr_queue_ptr 0
		.amdhsa_user_sgpr_kernarg_segment_ptr 1
		.amdhsa_user_sgpr_dispatch_id 0
		.amdhsa_user_sgpr_private_segment_size 0
		.amdhsa_wavefront_size32 1
		.amdhsa_uses_dynamic_stack 0
		.amdhsa_enable_private_segment 0
		.amdhsa_system_sgpr_workgroup_id_x 1
		.amdhsa_system_sgpr_workgroup_id_y 0
		.amdhsa_system_sgpr_workgroup_id_z 0
		.amdhsa_system_sgpr_workgroup_info 0
		.amdhsa_system_vgpr_workitem_id 0
		.amdhsa_next_free_vgpr 1
		.amdhsa_next_free_sgpr 1
		.amdhsa_reserve_vcc 0
		.amdhsa_float_round_mode_32 0
		.amdhsa_float_round_mode_16_64 0
		.amdhsa_float_denorm_mode_32 3
		.amdhsa_float_denorm_mode_16_64 3
		.amdhsa_fp16_overflow 0
		.amdhsa_workgroup_processor_mode 1
		.amdhsa_memory_ordered 1
		.amdhsa_forward_progress 1
		.amdhsa_inst_pref_size 0
		.amdhsa_round_robin_scheduling 0
		.amdhsa_exception_fp_ieee_invalid_op 0
		.amdhsa_exception_fp_denorm_src 0
		.amdhsa_exception_fp_ieee_div_zero 0
		.amdhsa_exception_fp_ieee_overflow 0
		.amdhsa_exception_fp_ieee_underflow 0
		.amdhsa_exception_fp_ieee_inexact 0
		.amdhsa_exception_int_div_zero 0
	.end_amdhsa_kernel
	.section	.text._ZN7rocprim17ROCPRIM_400000_NS6detail17trampoline_kernelINS0_14default_configENS1_22reduce_config_selectorIbEEZNS1_11reduce_implILb1ES3_N6hipcub16HIPCUB_304000_NS22TransformInputIteratorIbN2at6native12_GLOBAL__N_19NonZeroOpIN3c104HalfEEEPKSF_lEEPiiNS8_6detail34convert_binary_result_type_wrapperINS8_3SumESJ_iEEEE10hipError_tPvRmT1_T2_T3_mT4_P12ihipStream_tbEUlT_E0_NS1_11comp_targetILNS1_3genE2ELNS1_11target_archE906ELNS1_3gpuE6ELNS1_3repE0EEENS1_30default_config_static_selectorELNS0_4arch9wavefront6targetE0EEEvSS_,"axG",@progbits,_ZN7rocprim17ROCPRIM_400000_NS6detail17trampoline_kernelINS0_14default_configENS1_22reduce_config_selectorIbEEZNS1_11reduce_implILb1ES3_N6hipcub16HIPCUB_304000_NS22TransformInputIteratorIbN2at6native12_GLOBAL__N_19NonZeroOpIN3c104HalfEEEPKSF_lEEPiiNS8_6detail34convert_binary_result_type_wrapperINS8_3SumESJ_iEEEE10hipError_tPvRmT1_T2_T3_mT4_P12ihipStream_tbEUlT_E0_NS1_11comp_targetILNS1_3genE2ELNS1_11target_archE906ELNS1_3gpuE6ELNS1_3repE0EEENS1_30default_config_static_selectorELNS0_4arch9wavefront6targetE0EEEvSS_,comdat
.Lfunc_end852:
	.size	_ZN7rocprim17ROCPRIM_400000_NS6detail17trampoline_kernelINS0_14default_configENS1_22reduce_config_selectorIbEEZNS1_11reduce_implILb1ES3_N6hipcub16HIPCUB_304000_NS22TransformInputIteratorIbN2at6native12_GLOBAL__N_19NonZeroOpIN3c104HalfEEEPKSF_lEEPiiNS8_6detail34convert_binary_result_type_wrapperINS8_3SumESJ_iEEEE10hipError_tPvRmT1_T2_T3_mT4_P12ihipStream_tbEUlT_E0_NS1_11comp_targetILNS1_3genE2ELNS1_11target_archE906ELNS1_3gpuE6ELNS1_3repE0EEENS1_30default_config_static_selectorELNS0_4arch9wavefront6targetE0EEEvSS_, .Lfunc_end852-_ZN7rocprim17ROCPRIM_400000_NS6detail17trampoline_kernelINS0_14default_configENS1_22reduce_config_selectorIbEEZNS1_11reduce_implILb1ES3_N6hipcub16HIPCUB_304000_NS22TransformInputIteratorIbN2at6native12_GLOBAL__N_19NonZeroOpIN3c104HalfEEEPKSF_lEEPiiNS8_6detail34convert_binary_result_type_wrapperINS8_3SumESJ_iEEEE10hipError_tPvRmT1_T2_T3_mT4_P12ihipStream_tbEUlT_E0_NS1_11comp_targetILNS1_3genE2ELNS1_11target_archE906ELNS1_3gpuE6ELNS1_3repE0EEENS1_30default_config_static_selectorELNS0_4arch9wavefront6targetE0EEEvSS_
                                        ; -- End function
	.set _ZN7rocprim17ROCPRIM_400000_NS6detail17trampoline_kernelINS0_14default_configENS1_22reduce_config_selectorIbEEZNS1_11reduce_implILb1ES3_N6hipcub16HIPCUB_304000_NS22TransformInputIteratorIbN2at6native12_GLOBAL__N_19NonZeroOpIN3c104HalfEEEPKSF_lEEPiiNS8_6detail34convert_binary_result_type_wrapperINS8_3SumESJ_iEEEE10hipError_tPvRmT1_T2_T3_mT4_P12ihipStream_tbEUlT_E0_NS1_11comp_targetILNS1_3genE2ELNS1_11target_archE906ELNS1_3gpuE6ELNS1_3repE0EEENS1_30default_config_static_selectorELNS0_4arch9wavefront6targetE0EEEvSS_.num_vgpr, 0
	.set _ZN7rocprim17ROCPRIM_400000_NS6detail17trampoline_kernelINS0_14default_configENS1_22reduce_config_selectorIbEEZNS1_11reduce_implILb1ES3_N6hipcub16HIPCUB_304000_NS22TransformInputIteratorIbN2at6native12_GLOBAL__N_19NonZeroOpIN3c104HalfEEEPKSF_lEEPiiNS8_6detail34convert_binary_result_type_wrapperINS8_3SumESJ_iEEEE10hipError_tPvRmT1_T2_T3_mT4_P12ihipStream_tbEUlT_E0_NS1_11comp_targetILNS1_3genE2ELNS1_11target_archE906ELNS1_3gpuE6ELNS1_3repE0EEENS1_30default_config_static_selectorELNS0_4arch9wavefront6targetE0EEEvSS_.num_agpr, 0
	.set _ZN7rocprim17ROCPRIM_400000_NS6detail17trampoline_kernelINS0_14default_configENS1_22reduce_config_selectorIbEEZNS1_11reduce_implILb1ES3_N6hipcub16HIPCUB_304000_NS22TransformInputIteratorIbN2at6native12_GLOBAL__N_19NonZeroOpIN3c104HalfEEEPKSF_lEEPiiNS8_6detail34convert_binary_result_type_wrapperINS8_3SumESJ_iEEEE10hipError_tPvRmT1_T2_T3_mT4_P12ihipStream_tbEUlT_E0_NS1_11comp_targetILNS1_3genE2ELNS1_11target_archE906ELNS1_3gpuE6ELNS1_3repE0EEENS1_30default_config_static_selectorELNS0_4arch9wavefront6targetE0EEEvSS_.numbered_sgpr, 0
	.set _ZN7rocprim17ROCPRIM_400000_NS6detail17trampoline_kernelINS0_14default_configENS1_22reduce_config_selectorIbEEZNS1_11reduce_implILb1ES3_N6hipcub16HIPCUB_304000_NS22TransformInputIteratorIbN2at6native12_GLOBAL__N_19NonZeroOpIN3c104HalfEEEPKSF_lEEPiiNS8_6detail34convert_binary_result_type_wrapperINS8_3SumESJ_iEEEE10hipError_tPvRmT1_T2_T3_mT4_P12ihipStream_tbEUlT_E0_NS1_11comp_targetILNS1_3genE2ELNS1_11target_archE906ELNS1_3gpuE6ELNS1_3repE0EEENS1_30default_config_static_selectorELNS0_4arch9wavefront6targetE0EEEvSS_.num_named_barrier, 0
	.set _ZN7rocprim17ROCPRIM_400000_NS6detail17trampoline_kernelINS0_14default_configENS1_22reduce_config_selectorIbEEZNS1_11reduce_implILb1ES3_N6hipcub16HIPCUB_304000_NS22TransformInputIteratorIbN2at6native12_GLOBAL__N_19NonZeroOpIN3c104HalfEEEPKSF_lEEPiiNS8_6detail34convert_binary_result_type_wrapperINS8_3SumESJ_iEEEE10hipError_tPvRmT1_T2_T3_mT4_P12ihipStream_tbEUlT_E0_NS1_11comp_targetILNS1_3genE2ELNS1_11target_archE906ELNS1_3gpuE6ELNS1_3repE0EEENS1_30default_config_static_selectorELNS0_4arch9wavefront6targetE0EEEvSS_.private_seg_size, 0
	.set _ZN7rocprim17ROCPRIM_400000_NS6detail17trampoline_kernelINS0_14default_configENS1_22reduce_config_selectorIbEEZNS1_11reduce_implILb1ES3_N6hipcub16HIPCUB_304000_NS22TransformInputIteratorIbN2at6native12_GLOBAL__N_19NonZeroOpIN3c104HalfEEEPKSF_lEEPiiNS8_6detail34convert_binary_result_type_wrapperINS8_3SumESJ_iEEEE10hipError_tPvRmT1_T2_T3_mT4_P12ihipStream_tbEUlT_E0_NS1_11comp_targetILNS1_3genE2ELNS1_11target_archE906ELNS1_3gpuE6ELNS1_3repE0EEENS1_30default_config_static_selectorELNS0_4arch9wavefront6targetE0EEEvSS_.uses_vcc, 0
	.set _ZN7rocprim17ROCPRIM_400000_NS6detail17trampoline_kernelINS0_14default_configENS1_22reduce_config_selectorIbEEZNS1_11reduce_implILb1ES3_N6hipcub16HIPCUB_304000_NS22TransformInputIteratorIbN2at6native12_GLOBAL__N_19NonZeroOpIN3c104HalfEEEPKSF_lEEPiiNS8_6detail34convert_binary_result_type_wrapperINS8_3SumESJ_iEEEE10hipError_tPvRmT1_T2_T3_mT4_P12ihipStream_tbEUlT_E0_NS1_11comp_targetILNS1_3genE2ELNS1_11target_archE906ELNS1_3gpuE6ELNS1_3repE0EEENS1_30default_config_static_selectorELNS0_4arch9wavefront6targetE0EEEvSS_.uses_flat_scratch, 0
	.set _ZN7rocprim17ROCPRIM_400000_NS6detail17trampoline_kernelINS0_14default_configENS1_22reduce_config_selectorIbEEZNS1_11reduce_implILb1ES3_N6hipcub16HIPCUB_304000_NS22TransformInputIteratorIbN2at6native12_GLOBAL__N_19NonZeroOpIN3c104HalfEEEPKSF_lEEPiiNS8_6detail34convert_binary_result_type_wrapperINS8_3SumESJ_iEEEE10hipError_tPvRmT1_T2_T3_mT4_P12ihipStream_tbEUlT_E0_NS1_11comp_targetILNS1_3genE2ELNS1_11target_archE906ELNS1_3gpuE6ELNS1_3repE0EEENS1_30default_config_static_selectorELNS0_4arch9wavefront6targetE0EEEvSS_.has_dyn_sized_stack, 0
	.set _ZN7rocprim17ROCPRIM_400000_NS6detail17trampoline_kernelINS0_14default_configENS1_22reduce_config_selectorIbEEZNS1_11reduce_implILb1ES3_N6hipcub16HIPCUB_304000_NS22TransformInputIteratorIbN2at6native12_GLOBAL__N_19NonZeroOpIN3c104HalfEEEPKSF_lEEPiiNS8_6detail34convert_binary_result_type_wrapperINS8_3SumESJ_iEEEE10hipError_tPvRmT1_T2_T3_mT4_P12ihipStream_tbEUlT_E0_NS1_11comp_targetILNS1_3genE2ELNS1_11target_archE906ELNS1_3gpuE6ELNS1_3repE0EEENS1_30default_config_static_selectorELNS0_4arch9wavefront6targetE0EEEvSS_.has_recursion, 0
	.set _ZN7rocprim17ROCPRIM_400000_NS6detail17trampoline_kernelINS0_14default_configENS1_22reduce_config_selectorIbEEZNS1_11reduce_implILb1ES3_N6hipcub16HIPCUB_304000_NS22TransformInputIteratorIbN2at6native12_GLOBAL__N_19NonZeroOpIN3c104HalfEEEPKSF_lEEPiiNS8_6detail34convert_binary_result_type_wrapperINS8_3SumESJ_iEEEE10hipError_tPvRmT1_T2_T3_mT4_P12ihipStream_tbEUlT_E0_NS1_11comp_targetILNS1_3genE2ELNS1_11target_archE906ELNS1_3gpuE6ELNS1_3repE0EEENS1_30default_config_static_selectorELNS0_4arch9wavefront6targetE0EEEvSS_.has_indirect_call, 0
	.section	.AMDGPU.csdata,"",@progbits
; Kernel info:
; codeLenInByte = 0
; TotalNumSgprs: 0
; NumVgprs: 0
; ScratchSize: 0
; MemoryBound: 0
; FloatMode: 240
; IeeeMode: 1
; LDSByteSize: 0 bytes/workgroup (compile time only)
; SGPRBlocks: 0
; VGPRBlocks: 0
; NumSGPRsForWavesPerEU: 1
; NumVGPRsForWavesPerEU: 1
; Occupancy: 16
; WaveLimiterHint : 0
; COMPUTE_PGM_RSRC2:SCRATCH_EN: 0
; COMPUTE_PGM_RSRC2:USER_SGPR: 2
; COMPUTE_PGM_RSRC2:TRAP_HANDLER: 0
; COMPUTE_PGM_RSRC2:TGID_X_EN: 1
; COMPUTE_PGM_RSRC2:TGID_Y_EN: 0
; COMPUTE_PGM_RSRC2:TGID_Z_EN: 0
; COMPUTE_PGM_RSRC2:TIDIG_COMP_CNT: 0
	.section	.text._ZN7rocprim17ROCPRIM_400000_NS6detail17trampoline_kernelINS0_14default_configENS1_22reduce_config_selectorIbEEZNS1_11reduce_implILb1ES3_N6hipcub16HIPCUB_304000_NS22TransformInputIteratorIbN2at6native12_GLOBAL__N_19NonZeroOpIN3c104HalfEEEPKSF_lEEPiiNS8_6detail34convert_binary_result_type_wrapperINS8_3SumESJ_iEEEE10hipError_tPvRmT1_T2_T3_mT4_P12ihipStream_tbEUlT_E0_NS1_11comp_targetILNS1_3genE10ELNS1_11target_archE1201ELNS1_3gpuE5ELNS1_3repE0EEENS1_30default_config_static_selectorELNS0_4arch9wavefront6targetE0EEEvSS_,"axG",@progbits,_ZN7rocprim17ROCPRIM_400000_NS6detail17trampoline_kernelINS0_14default_configENS1_22reduce_config_selectorIbEEZNS1_11reduce_implILb1ES3_N6hipcub16HIPCUB_304000_NS22TransformInputIteratorIbN2at6native12_GLOBAL__N_19NonZeroOpIN3c104HalfEEEPKSF_lEEPiiNS8_6detail34convert_binary_result_type_wrapperINS8_3SumESJ_iEEEE10hipError_tPvRmT1_T2_T3_mT4_P12ihipStream_tbEUlT_E0_NS1_11comp_targetILNS1_3genE10ELNS1_11target_archE1201ELNS1_3gpuE5ELNS1_3repE0EEENS1_30default_config_static_selectorELNS0_4arch9wavefront6targetE0EEEvSS_,comdat
	.globl	_ZN7rocprim17ROCPRIM_400000_NS6detail17trampoline_kernelINS0_14default_configENS1_22reduce_config_selectorIbEEZNS1_11reduce_implILb1ES3_N6hipcub16HIPCUB_304000_NS22TransformInputIteratorIbN2at6native12_GLOBAL__N_19NonZeroOpIN3c104HalfEEEPKSF_lEEPiiNS8_6detail34convert_binary_result_type_wrapperINS8_3SumESJ_iEEEE10hipError_tPvRmT1_T2_T3_mT4_P12ihipStream_tbEUlT_E0_NS1_11comp_targetILNS1_3genE10ELNS1_11target_archE1201ELNS1_3gpuE5ELNS1_3repE0EEENS1_30default_config_static_selectorELNS0_4arch9wavefront6targetE0EEEvSS_ ; -- Begin function _ZN7rocprim17ROCPRIM_400000_NS6detail17trampoline_kernelINS0_14default_configENS1_22reduce_config_selectorIbEEZNS1_11reduce_implILb1ES3_N6hipcub16HIPCUB_304000_NS22TransformInputIteratorIbN2at6native12_GLOBAL__N_19NonZeroOpIN3c104HalfEEEPKSF_lEEPiiNS8_6detail34convert_binary_result_type_wrapperINS8_3SumESJ_iEEEE10hipError_tPvRmT1_T2_T3_mT4_P12ihipStream_tbEUlT_E0_NS1_11comp_targetILNS1_3genE10ELNS1_11target_archE1201ELNS1_3gpuE5ELNS1_3repE0EEENS1_30default_config_static_selectorELNS0_4arch9wavefront6targetE0EEEvSS_
	.p2align	8
	.type	_ZN7rocprim17ROCPRIM_400000_NS6detail17trampoline_kernelINS0_14default_configENS1_22reduce_config_selectorIbEEZNS1_11reduce_implILb1ES3_N6hipcub16HIPCUB_304000_NS22TransformInputIteratorIbN2at6native12_GLOBAL__N_19NonZeroOpIN3c104HalfEEEPKSF_lEEPiiNS8_6detail34convert_binary_result_type_wrapperINS8_3SumESJ_iEEEE10hipError_tPvRmT1_T2_T3_mT4_P12ihipStream_tbEUlT_E0_NS1_11comp_targetILNS1_3genE10ELNS1_11target_archE1201ELNS1_3gpuE5ELNS1_3repE0EEENS1_30default_config_static_selectorELNS0_4arch9wavefront6targetE0EEEvSS_,@function
_ZN7rocprim17ROCPRIM_400000_NS6detail17trampoline_kernelINS0_14default_configENS1_22reduce_config_selectorIbEEZNS1_11reduce_implILb1ES3_N6hipcub16HIPCUB_304000_NS22TransformInputIteratorIbN2at6native12_GLOBAL__N_19NonZeroOpIN3c104HalfEEEPKSF_lEEPiiNS8_6detail34convert_binary_result_type_wrapperINS8_3SumESJ_iEEEE10hipError_tPvRmT1_T2_T3_mT4_P12ihipStream_tbEUlT_E0_NS1_11comp_targetILNS1_3genE10ELNS1_11target_archE1201ELNS1_3gpuE5ELNS1_3repE0EEENS1_30default_config_static_selectorELNS0_4arch9wavefront6targetE0EEEvSS_: ; @_ZN7rocprim17ROCPRIM_400000_NS6detail17trampoline_kernelINS0_14default_configENS1_22reduce_config_selectorIbEEZNS1_11reduce_implILb1ES3_N6hipcub16HIPCUB_304000_NS22TransformInputIteratorIbN2at6native12_GLOBAL__N_19NonZeroOpIN3c104HalfEEEPKSF_lEEPiiNS8_6detail34convert_binary_result_type_wrapperINS8_3SumESJ_iEEEE10hipError_tPvRmT1_T2_T3_mT4_P12ihipStream_tbEUlT_E0_NS1_11comp_targetILNS1_3genE10ELNS1_11target_archE1201ELNS1_3gpuE5ELNS1_3repE0EEENS1_30default_config_static_selectorELNS0_4arch9wavefront6targetE0EEEvSS_
; %bb.0:
	s_clause 0x2
	s_load_b256 s[16:23], s[0:1], 0x10
	s_load_b64 s[4:5], s[0:1], 0x0
	s_load_b64 s[26:27], s[0:1], 0x30
	s_lshl_b32 s2, ttmp9, 12
	s_mov_b32 s3, 0
	v_mbcnt_lo_u32_b32 v18, -1, 0
	v_lshlrev_b32_e32 v19, 1, v0
	s_mov_b32 s24, ttmp9
	s_mov_b32 s25, s3
	s_wait_kmcnt 0x0
	s_lshl_b64 s[6:7], s[16:17], 1
	s_lshr_b64 s[8:9], s[18:19], 12
	s_add_nc_u64 s[4:5], s[4:5], s[6:7]
	s_lshl_b64 s[6:7], s[2:3], 1
	s_cmp_lg_u64 s[8:9], s[24:25]
	s_add_nc_u64 s[16:17], s[4:5], s[6:7]
	s_cbranch_scc0 .LBB853_6
; %bb.1:
	s_clause 0xf
	global_load_u16 v1, v19, s[16:17]
	global_load_u16 v2, v19, s[16:17] offset:512
	global_load_u16 v3, v19, s[16:17] offset:1024
	;; [unrolled: 1-line block ×15, first 2 shown]
	s_mov_b32 s3, exec_lo
	s_wait_loadcnt 0xf
	v_and_b32_e32 v1, 0x7fff, v1
	s_wait_loadcnt 0xe
	v_and_b32_e32 v2, 0x7fff, v2
	;; [unrolled: 2-line block ×5, first 2 shown]
	v_cmp_ne_u16_e32 vcc_lo, 0, v1
	s_wait_loadcnt 0x9
	v_and_b32_e32 v7, 0x7fff, v7
	v_and_b32_e32 v6, 0x7fff, v6
	s_wait_loadcnt 0x7
	v_and_b32_e32 v9, 0x7fff, v9
	v_and_b32_e32 v8, 0x7fff, v8
	v_cndmask_b32_e64 v1, 0, 1, vcc_lo
	v_cmp_ne_u16_e32 vcc_lo, 0, v3
	s_wait_loadcnt 0x5
	v_and_b32_e32 v11, 0x7fff, v11
	v_and_b32_e32 v10, 0x7fff, v10
	s_wait_loadcnt 0x3
	v_and_b32_e32 v13, 0x7fff, v13
	v_and_b32_e32 v12, 0x7fff, v12
	s_wait_alu 0xfffd
	v_cndmask_b32_e64 v3, 0, 1, vcc_lo
	v_cmp_ne_u16_e32 vcc_lo, 0, v2
	s_wait_loadcnt 0x1
	v_and_b32_e32 v15, 0x7fff, v15
	v_and_b32_e32 v14, 0x7fff, v14
	s_wait_loadcnt 0x0
	v_and_b32_e32 v16, 0x7fff, v16
	s_wait_alu 0xfffd
	v_add_co_ci_u32_e64 v1, null, 0, v1, vcc_lo
	v_cmp_ne_u16_e32 vcc_lo, 0, v5
	s_wait_alu 0xfffd
	v_cndmask_b32_e64 v2, 0, 1, vcc_lo
	v_cmp_ne_u16_e32 vcc_lo, 0, v4
	s_wait_alu 0xfffd
	v_add_co_ci_u32_e64 v1, null, v1, v3, vcc_lo
	v_cmp_ne_u16_e32 vcc_lo, 0, v7
	s_wait_alu 0xfffd
	v_cndmask_b32_e64 v3, 0, 1, vcc_lo
	v_cmp_ne_u16_e32 vcc_lo, 0, v6
	;; [unrolled: 6-line block ×6, first 2 shown]
	s_wait_alu 0xfffd
	v_add_co_ci_u32_e64 v1, null, v1, v2, vcc_lo
	v_cmp_ne_u16_e32 vcc_lo, 0, v16
	s_wait_alu 0xfffd
	s_delay_alu instid0(VALU_DEP_2) | instskip(NEXT) | instid1(VALU_DEP_1)
	v_add_co_ci_u32_e64 v1, null, v1, v3, vcc_lo
	v_mov_b32_dpp v2, v1 quad_perm:[1,0,3,2] row_mask:0xf bank_mask:0xf
	s_delay_alu instid0(VALU_DEP_1) | instskip(NEXT) | instid1(VALU_DEP_1)
	v_add_nc_u32_e32 v1, v1, v2
	v_mov_b32_dpp v2, v1 quad_perm:[2,3,0,1] row_mask:0xf bank_mask:0xf
	s_delay_alu instid0(VALU_DEP_1) | instskip(NEXT) | instid1(VALU_DEP_1)
	v_add_nc_u32_e32 v1, v1, v2
	v_mov_b32_dpp v2, v1 row_ror:4 row_mask:0xf bank_mask:0xf
	s_delay_alu instid0(VALU_DEP_1) | instskip(NEXT) | instid1(VALU_DEP_1)
	v_add_nc_u32_e32 v1, v1, v2
	v_mov_b32_dpp v2, v1 row_ror:8 row_mask:0xf bank_mask:0xf
	s_delay_alu instid0(VALU_DEP_1)
	v_add_nc_u32_e32 v1, v1, v2
	ds_swizzle_b32 v2, v1 offset:swizzle(BROADCAST,32,15)
	s_wait_dscnt 0x0
	v_dual_mov_b32 v2, 0 :: v_dual_add_nc_u32 v1, v1, v2
	ds_bpermute_b32 v1, v2, v1 offset:124
	v_cmpx_eq_u32_e32 0, v18
	s_cbranch_execz .LBB853_3
; %bb.2:
	v_lshrrev_b32_e32 v2, 3, v0
	s_delay_alu instid0(VALU_DEP_1)
	v_and_b32_e32 v2, 28, v2
	s_wait_dscnt 0x0
	ds_store_b32 v2, v1
.LBB853_3:
	s_or_b32 exec_lo, exec_lo, s3
	s_delay_alu instid0(SALU_CYCLE_1)
	s_mov_b32 s3, exec_lo
	s_wait_dscnt 0x0
	s_barrier_signal -1
	s_barrier_wait -1
	global_inv scope:SCOPE_SE
	v_cmpx_gt_u32_e32 32, v0
	s_cbranch_execz .LBB853_5
; %bb.4:
	v_and_b32_e32 v1, 7, v18
	s_delay_alu instid0(VALU_DEP_1)
	v_lshlrev_b32_e32 v2, 2, v1
	v_cmp_ne_u32_e32 vcc_lo, 7, v1
	ds_load_b32 v2, v2
	s_wait_alu 0xfffd
	v_add_co_ci_u32_e64 v3, null, 0, v18, vcc_lo
	v_cmp_gt_u32_e32 vcc_lo, 6, v1
	s_delay_alu instid0(VALU_DEP_2) | instskip(SKIP_2) | instid1(VALU_DEP_1)
	v_lshlrev_b32_e32 v3, 2, v3
	s_wait_alu 0xfffd
	v_cndmask_b32_e64 v1, 0, 2, vcc_lo
	v_add_lshl_u32 v1, v1, v18, 2
	s_wait_dscnt 0x0
	ds_bpermute_b32 v3, v3, v2
	s_wait_dscnt 0x0
	v_add_nc_u32_e32 v2, v3, v2
	v_lshlrev_b32_e32 v3, 2, v18
	ds_bpermute_b32 v1, v1, v2
	s_wait_dscnt 0x0
	v_add_nc_u32_e32 v1, v1, v2
	v_or_b32_e32 v2, 16, v3
	ds_bpermute_b32 v2, v2, v1
	s_wait_dscnt 0x0
	v_add_nc_u32_e32 v1, v2, v1
.LBB853_5:
	s_or_b32 exec_lo, exec_lo, s3
	s_branch .LBB853_44
.LBB853_6:
                                        ; implicit-def: $vgpr1
	s_cbranch_execz .LBB853_44
; %bb.7:
	v_mov_b32_e32 v1, 0
	s_sub_co_i32 s28, s18, s2
	s_mov_b32 s2, exec_lo
	s_delay_alu instid0(VALU_DEP_1)
	v_dual_mov_b32 v2, v1 :: v_dual_mov_b32 v3, v1
	v_dual_mov_b32 v4, v1 :: v_dual_mov_b32 v5, v1
	;; [unrolled: 1-line block ×7, first 2 shown]
	v_mov_b32_e32 v16, v1
	v_cmpx_gt_u32_e64 s28, v0
	s_cbranch_execz .LBB853_9
; %bb.8:
	global_load_u16 v2, v19, s[16:17]
	v_dual_mov_b32 v16, v1 :: v_dual_mov_b32 v17, v1
	v_dual_mov_b32 v3, v1 :: v_dual_mov_b32 v4, v1
	;; [unrolled: 1-line block ×7, first 2 shown]
	s_wait_loadcnt 0x0
	v_dual_mov_b32 v9, v1 :: v_dual_and_b32 v2, 0x7fff, v2
	s_delay_alu instid0(VALU_DEP_1) | instskip(SKIP_1) | instid1(VALU_DEP_1)
	v_cmp_ne_u16_e32 vcc_lo, 0, v2
	v_cndmask_b32_e64 v2, 0, 1, vcc_lo
	v_and_b32_e32 v2, 0xffff, v2
	s_delay_alu instid0(VALU_DEP_1)
	v_mov_b32_e32 v1, v2
	v_mov_b32_e32 v2, v3
	;; [unrolled: 1-line block ×16, first 2 shown]
.LBB853_9:
	s_or_b32 exec_lo, exec_lo, s2
	v_or_b32_e32 v17, 0x100, v0
	s_delay_alu instid0(VALU_DEP_1)
	v_cmp_gt_u32_e32 vcc_lo, s28, v17
	s_and_saveexec_b32 s3, vcc_lo
	s_cbranch_execz .LBB853_11
; %bb.10:
	global_load_u16 v2, v19, s[16:17] offset:512
	s_wait_loadcnt 0x0
	v_and_b32_e32 v2, 0x7fff, v2
	s_delay_alu instid0(VALU_DEP_1) | instskip(NEXT) | instid1(VALU_DEP_1)
	v_cmp_ne_u16_e64 s2, 0, v2
	v_cndmask_b32_e64 v2, 0, 1, s2
.LBB853_11:
	s_or_b32 exec_lo, exec_lo, s3
	v_or_b32_e32 v17, 0x200, v0
	s_delay_alu instid0(VALU_DEP_1)
	v_cmp_gt_u32_e64 s2, s28, v17
	s_and_saveexec_b32 s4, s2
	s_cbranch_execz .LBB853_13
; %bb.12:
	global_load_u16 v3, v19, s[16:17] offset:1024
	s_wait_loadcnt 0x0
	v_and_b32_e32 v3, 0x7fff, v3
	s_delay_alu instid0(VALU_DEP_1) | instskip(SKIP_1) | instid1(VALU_DEP_1)
	v_cmp_ne_u16_e64 s3, 0, v3
	s_wait_alu 0xf1ff
	v_cndmask_b32_e64 v3, 0, 1, s3
.LBB853_13:
	s_or_b32 exec_lo, exec_lo, s4
	v_or_b32_e32 v17, 0x300, v0
	s_delay_alu instid0(VALU_DEP_1)
	v_cmp_gt_u32_e64 s3, s28, v17
	s_and_saveexec_b32 s5, s3
	s_cbranch_execz .LBB853_15
; %bb.14:
	global_load_u16 v4, v19, s[16:17] offset:1536
	s_wait_loadcnt 0x0
	v_and_b32_e32 v4, 0x7fff, v4
	s_delay_alu instid0(VALU_DEP_1) | instskip(NEXT) | instid1(VALU_DEP_1)
	v_cmp_ne_u16_e64 s4, 0, v4
	v_cndmask_b32_e64 v4, 0, 1, s4
.LBB853_15:
	s_or_b32 exec_lo, exec_lo, s5
	v_or_b32_e32 v17, 0x400, v0
	s_delay_alu instid0(VALU_DEP_1)
	v_cmp_gt_u32_e64 s4, s28, v17
	s_and_saveexec_b32 s6, s4
	s_cbranch_execz .LBB853_17
; %bb.16:
	global_load_u16 v5, v19, s[16:17] offset:2048
	s_wait_loadcnt 0x0
	v_and_b32_e32 v5, 0x7fff, v5
	s_delay_alu instid0(VALU_DEP_1) | instskip(SKIP_1) | instid1(VALU_DEP_1)
	v_cmp_ne_u16_e64 s5, 0, v5
	s_wait_alu 0xf1ff
	v_cndmask_b32_e64 v5, 0, 1, s5
.LBB853_17:
	s_or_b32 exec_lo, exec_lo, s6
	v_or_b32_e32 v17, 0x500, v0
	s_delay_alu instid0(VALU_DEP_1)
	v_cmp_gt_u32_e64 s5, s28, v17
	s_and_saveexec_b32 s7, s5
	s_cbranch_execz .LBB853_19
; %bb.18:
	global_load_u16 v6, v19, s[16:17] offset:2560
	s_wait_loadcnt 0x0
	v_and_b32_e32 v6, 0x7fff, v6
	s_delay_alu instid0(VALU_DEP_1) | instskip(NEXT) | instid1(VALU_DEP_1)
	v_cmp_ne_u16_e64 s6, 0, v6
	v_cndmask_b32_e64 v6, 0, 1, s6
.LBB853_19:
	s_or_b32 exec_lo, exec_lo, s7
	v_or_b32_e32 v17, 0x600, v0
	s_delay_alu instid0(VALU_DEP_1)
	v_cmp_gt_u32_e64 s6, s28, v17
	s_and_saveexec_b32 s8, s6
	s_cbranch_execz .LBB853_21
; %bb.20:
	global_load_u16 v7, v19, s[16:17] offset:3072
	s_wait_loadcnt 0x0
	v_and_b32_e32 v7, 0x7fff, v7
	s_delay_alu instid0(VALU_DEP_1) | instskip(SKIP_1) | instid1(VALU_DEP_1)
	v_cmp_ne_u16_e64 s7, 0, v7
	s_wait_alu 0xf1ff
	v_cndmask_b32_e64 v7, 0, 1, s7
.LBB853_21:
	s_or_b32 exec_lo, exec_lo, s8
	v_or_b32_e32 v17, 0x700, v0
	s_delay_alu instid0(VALU_DEP_1)
	v_cmp_gt_u32_e64 s7, s28, v17
	s_and_saveexec_b32 s9, s7
	s_cbranch_execz .LBB853_23
; %bb.22:
	global_load_u16 v8, v19, s[16:17] offset:3584
	s_wait_loadcnt 0x0
	v_and_b32_e32 v8, 0x7fff, v8
	s_delay_alu instid0(VALU_DEP_1) | instskip(NEXT) | instid1(VALU_DEP_1)
	v_cmp_ne_u16_e64 s8, 0, v8
	v_cndmask_b32_e64 v8, 0, 1, s8
.LBB853_23:
	s_or_b32 exec_lo, exec_lo, s9
	v_or_b32_e32 v17, 0x800, v0
	s_delay_alu instid0(VALU_DEP_1)
	v_cmp_gt_u32_e64 s8, s28, v17
	s_and_saveexec_b32 s10, s8
	s_cbranch_execz .LBB853_25
; %bb.24:
	global_load_u16 v9, v19, s[16:17] offset:4096
	s_wait_loadcnt 0x0
	v_and_b32_e32 v9, 0x7fff, v9
	s_delay_alu instid0(VALU_DEP_1) | instskip(SKIP_1) | instid1(VALU_DEP_1)
	v_cmp_ne_u16_e64 s9, 0, v9
	s_wait_alu 0xf1ff
	v_cndmask_b32_e64 v9, 0, 1, s9
.LBB853_25:
	s_or_b32 exec_lo, exec_lo, s10
	v_or_b32_e32 v17, 0x900, v0
	s_delay_alu instid0(VALU_DEP_1)
	v_cmp_gt_u32_e64 s9, s28, v17
	s_and_saveexec_b32 s11, s9
	s_cbranch_execz .LBB853_27
; %bb.26:
	global_load_u16 v10, v19, s[16:17] offset:4608
	s_wait_loadcnt 0x0
	v_and_b32_e32 v10, 0x7fff, v10
	s_delay_alu instid0(VALU_DEP_1) | instskip(NEXT) | instid1(VALU_DEP_1)
	v_cmp_ne_u16_e64 s10, 0, v10
	v_cndmask_b32_e64 v10, 0, 1, s10
.LBB853_27:
	s_or_b32 exec_lo, exec_lo, s11
	v_or_b32_e32 v17, 0xa00, v0
	s_delay_alu instid0(VALU_DEP_1)
	v_cmp_gt_u32_e64 s10, s28, v17
	s_and_saveexec_b32 s12, s10
	s_cbranch_execz .LBB853_29
; %bb.28:
	global_load_u16 v11, v19, s[16:17] offset:5120
	s_wait_loadcnt 0x0
	v_and_b32_e32 v11, 0x7fff, v11
	s_delay_alu instid0(VALU_DEP_1) | instskip(SKIP_1) | instid1(VALU_DEP_1)
	v_cmp_ne_u16_e64 s11, 0, v11
	s_wait_alu 0xf1ff
	v_cndmask_b32_e64 v11, 0, 1, s11
.LBB853_29:
	s_or_b32 exec_lo, exec_lo, s12
	v_or_b32_e32 v17, 0xb00, v0
	s_delay_alu instid0(VALU_DEP_1)
	v_cmp_gt_u32_e64 s11, s28, v17
	s_and_saveexec_b32 s13, s11
	s_cbranch_execz .LBB853_31
; %bb.30:
	global_load_u16 v12, v19, s[16:17] offset:5632
	s_wait_loadcnt 0x0
	v_and_b32_e32 v12, 0x7fff, v12
	s_delay_alu instid0(VALU_DEP_1) | instskip(NEXT) | instid1(VALU_DEP_1)
	v_cmp_ne_u16_e64 s12, 0, v12
	v_cndmask_b32_e64 v12, 0, 1, s12
.LBB853_31:
	s_or_b32 exec_lo, exec_lo, s13
	v_or_b32_e32 v17, 0xc00, v0
	s_delay_alu instid0(VALU_DEP_1)
	v_cmp_gt_u32_e64 s12, s28, v17
	s_and_saveexec_b32 s14, s12
	s_cbranch_execz .LBB853_33
; %bb.32:
	global_load_u16 v13, v19, s[16:17] offset:6144
	s_wait_loadcnt 0x0
	v_and_b32_e32 v13, 0x7fff, v13
	s_delay_alu instid0(VALU_DEP_1) | instskip(SKIP_1) | instid1(VALU_DEP_1)
	v_cmp_ne_u16_e64 s13, 0, v13
	s_wait_alu 0xf1ff
	v_cndmask_b32_e64 v13, 0, 1, s13
.LBB853_33:
	s_or_b32 exec_lo, exec_lo, s14
	v_or_b32_e32 v17, 0xd00, v0
	s_delay_alu instid0(VALU_DEP_1)
	v_cmp_gt_u32_e64 s13, s28, v17
	s_and_saveexec_b32 s15, s13
	s_cbranch_execz .LBB853_35
; %bb.34:
	global_load_u16 v14, v19, s[16:17] offset:6656
	s_wait_loadcnt 0x0
	v_and_b32_e32 v14, 0x7fff, v14
	s_delay_alu instid0(VALU_DEP_1) | instskip(NEXT) | instid1(VALU_DEP_1)
	v_cmp_ne_u16_e64 s14, 0, v14
	v_cndmask_b32_e64 v14, 0, 1, s14
.LBB853_35:
	s_or_b32 exec_lo, exec_lo, s15
	v_or_b32_e32 v17, 0xe00, v0
	s_delay_alu instid0(VALU_DEP_1)
	v_cmp_gt_u32_e64 s14, s28, v17
	s_and_saveexec_b32 s29, s14
	s_cbranch_execz .LBB853_37
; %bb.36:
	global_load_u16 v15, v19, s[16:17] offset:7168
	s_wait_loadcnt 0x0
	v_and_b32_e32 v15, 0x7fff, v15
	s_delay_alu instid0(VALU_DEP_1) | instskip(SKIP_1) | instid1(VALU_DEP_1)
	v_cmp_ne_u16_e64 s15, 0, v15
	s_wait_alu 0xf1ff
	v_cndmask_b32_e64 v15, 0, 1, s15
.LBB853_37:
	s_wait_alu 0xfffe
	s_or_b32 exec_lo, exec_lo, s29
	v_or_b32_e32 v17, 0xf00, v0
	s_delay_alu instid0(VALU_DEP_1)
	v_cmp_gt_u32_e64 s15, s28, v17
	s_and_saveexec_b32 s29, s15
	s_cbranch_execz .LBB853_39
; %bb.38:
	global_load_u16 v16, v19, s[16:17] offset:7680
	s_wait_loadcnt 0x0
	v_and_b32_e32 v16, 0x7fff, v16
	s_delay_alu instid0(VALU_DEP_1) | instskip(NEXT) | instid1(VALU_DEP_1)
	v_cmp_ne_u16_e64 s16, 0, v16
	v_cndmask_b32_e64 v16, 0, 1, s16
.LBB853_39:
	s_wait_alu 0xfffe
	s_or_b32 exec_lo, exec_lo, s29
	v_cndmask_b32_e32 v2, 0, v2, vcc_lo
	v_cndmask_b32_e64 v3, 0, v3, s2
	v_cndmask_b32_e64 v4, 0, v4, s3
	v_cmp_ne_u32_e32 vcc_lo, 31, v18
	s_min_u32 s2, s28, 0x100
	v_add_nc_u32_e32 v1, v2, v1
	v_cndmask_b32_e64 v2, 0, v5, s4
	v_cndmask_b32_e64 v5, 0, v6, s5
	;; [unrolled: 1-line block ×3, first 2 shown]
	s_mov_b32 s3, exec_lo
	v_add3_u32 v1, v1, v3, v4
	v_cndmask_b32_e64 v3, 0, v7, s6
	v_cndmask_b32_e64 v4, 0, v8, s7
	s_delay_alu instid0(VALU_DEP_3) | instskip(SKIP_2) | instid1(VALU_DEP_3)
	v_add3_u32 v1, v1, v2, v5
	v_cndmask_b32_e64 v2, 0, v9, s8
	v_cndmask_b32_e64 v5, 0, v10, s9
	v_add3_u32 v1, v1, v3, v4
	v_cndmask_b32_e64 v3, 0, v11, s10
	v_cndmask_b32_e64 v4, 0, v12, s11
	s_delay_alu instid0(VALU_DEP_3) | instskip(SKIP_2) | instid1(VALU_DEP_3)
	v_add3_u32 v1, v1, v2, v5
	v_cndmask_b32_e64 v2, 0, v13, s12
	v_cndmask_b32_e64 v5, 0, v14, s13
	v_add3_u32 v1, v1, v3, v4
	v_cndmask_b32_e64 v3, 0, v16, s15
	s_wait_alu 0xfffd
	v_add_co_ci_u32_e64 v4, null, 0, v18, vcc_lo
	v_cmp_gt_u32_e32 vcc_lo, 30, v18
	v_add3_u32 v1, v1, v2, v5
	s_delay_alu instid0(VALU_DEP_3)
	v_lshlrev_b32_e32 v2, 2, v4
	v_add_nc_u32_e32 v4, 1, v18
	s_wait_alu 0xfffd
	v_cndmask_b32_e64 v5, 0, 2, vcc_lo
	v_add3_u32 v1, v1, v6, v3
	v_and_b32_e32 v3, 0xe0, v0
	ds_bpermute_b32 v2, v2, v1
	s_wait_alu 0xfffe
	v_sub_nc_u32_e64 v3, s2, v3 clamp
	s_delay_alu instid0(VALU_DEP_1)
	v_cmp_lt_u32_e32 vcc_lo, v4, v3
	v_add_lshl_u32 v4, v5, v18, 2
	s_wait_dscnt 0x0
	s_wait_alu 0xfffd
	v_cndmask_b32_e32 v2, 0, v2, vcc_lo
	v_cmp_gt_u32_e32 vcc_lo, 28, v18
	s_delay_alu instid0(VALU_DEP_2) | instskip(SKIP_4) | instid1(VALU_DEP_1)
	v_add_nc_u32_e32 v1, v1, v2
	s_wait_alu 0xfffd
	v_cndmask_b32_e64 v5, 0, 4, vcc_lo
	ds_bpermute_b32 v2, v4, v1
	v_add_nc_u32_e32 v4, 2, v18
	v_cmp_lt_u32_e32 vcc_lo, v4, v3
	v_add_lshl_u32 v4, v5, v18, 2
	s_wait_dscnt 0x0
	s_wait_alu 0xfffd
	v_cndmask_b32_e32 v2, 0, v2, vcc_lo
	v_cmp_gt_u32_e32 vcc_lo, 24, v18
	s_delay_alu instid0(VALU_DEP_2) | instskip(SKIP_4) | instid1(VALU_DEP_1)
	v_add_nc_u32_e32 v1, v1, v2
	s_wait_alu 0xfffd
	v_cndmask_b32_e64 v5, 0, 8, vcc_lo
	ds_bpermute_b32 v2, v4, v1
	v_add_nc_u32_e32 v4, 4, v18
	v_cmp_lt_u32_e32 vcc_lo, v4, v3
	v_add_lshl_u32 v4, v5, v18, 2
	v_add_nc_u32_e32 v5, 8, v18
	s_wait_dscnt 0x0
	s_wait_alu 0xfffd
	v_cndmask_b32_e32 v2, 0, v2, vcc_lo
	s_delay_alu instid0(VALU_DEP_2) | instskip(NEXT) | instid1(VALU_DEP_2)
	v_cmp_lt_u32_e32 vcc_lo, v5, v3
	v_add_nc_u32_e32 v1, v1, v2
	v_lshlrev_b32_e32 v2, 2, v18
	ds_bpermute_b32 v4, v4, v1
	v_or_b32_e32 v5, 64, v2
	s_wait_dscnt 0x0
	s_wait_alu 0xfffd
	v_cndmask_b32_e32 v4, 0, v4, vcc_lo
	s_delay_alu instid0(VALU_DEP_1) | instskip(SKIP_2) | instid1(VALU_DEP_1)
	v_add_nc_u32_e32 v1, v1, v4
	ds_bpermute_b32 v4, v5, v1
	v_add_nc_u32_e32 v5, 16, v18
	v_cmp_lt_u32_e32 vcc_lo, v5, v3
	s_wait_dscnt 0x0
	s_wait_alu 0xfffd
	v_cndmask_b32_e32 v3, 0, v4, vcc_lo
	s_delay_alu instid0(VALU_DEP_1)
	v_add_nc_u32_e32 v1, v1, v3
	v_cmpx_eq_u32_e32 0, v18
; %bb.40:
	v_lshrrev_b32_e32 v3, 3, v0
	s_delay_alu instid0(VALU_DEP_1)
	v_and_b32_e32 v3, 28, v3
	ds_store_b32 v3, v1 offset:32
; %bb.41:
	s_or_b32 exec_lo, exec_lo, s3
	s_delay_alu instid0(SALU_CYCLE_1)
	s_mov_b32 s3, exec_lo
	s_wait_loadcnt_dscnt 0x0
	s_barrier_signal -1
	s_barrier_wait -1
	global_inv scope:SCOPE_SE
	v_cmpx_gt_u32_e32 8, v0
	s_cbranch_execz .LBB853_43
; %bb.42:
	ds_load_b32 v1, v2 offset:32
	v_and_b32_e32 v3, 7, v18
	s_add_co_i32 s2, s2, 31
	v_or_b32_e32 v2, 16, v2
	s_wait_alu 0xfffe
	s_lshr_b32 s2, s2, 5
	v_cmp_ne_u32_e32 vcc_lo, 7, v3
	v_add_nc_u32_e32 v5, 1, v3
	s_wait_alu 0xfffd
	v_add_co_ci_u32_e64 v4, null, 0, v18, vcc_lo
	v_cmp_gt_u32_e32 vcc_lo, 6, v3
	s_delay_alu instid0(VALU_DEP_2)
	v_lshlrev_b32_e32 v4, 2, v4
	s_wait_alu 0xfffd
	v_cndmask_b32_e64 v6, 0, 2, vcc_lo
	s_wait_alu 0xfffe
	v_cmp_gt_u32_e32 vcc_lo, s2, v5
	s_wait_dscnt 0x0
	ds_bpermute_b32 v4, v4, v1
	v_add_lshl_u32 v5, v6, v18, 2
	s_wait_dscnt 0x0
	s_wait_alu 0xfffd
	v_cndmask_b32_e32 v4, 0, v4, vcc_lo
	s_delay_alu instid0(VALU_DEP_1) | instskip(SKIP_3) | instid1(VALU_DEP_2)
	v_add_nc_u32_e32 v1, v4, v1
	ds_bpermute_b32 v4, v5, v1
	v_add_nc_u32_e32 v5, 2, v3
	v_add_nc_u32_e32 v3, 4, v3
	v_cmp_gt_u32_e32 vcc_lo, s2, v5
	s_wait_dscnt 0x0
	s_wait_alu 0xfffd
	v_cndmask_b32_e32 v4, 0, v4, vcc_lo
	v_cmp_gt_u32_e32 vcc_lo, s2, v3
	s_delay_alu instid0(VALU_DEP_2) | instskip(SKIP_4) | instid1(VALU_DEP_1)
	v_add_nc_u32_e32 v1, v1, v4
	ds_bpermute_b32 v2, v2, v1
	s_wait_dscnt 0x0
	s_wait_alu 0xfffd
	v_cndmask_b32_e32 v2, 0, v2, vcc_lo
	v_add_nc_u32_e32 v1, v1, v2
.LBB853_43:
	s_wait_alu 0xfffe
	s_or_b32 exec_lo, exec_lo, s3
.LBB853_44:
	s_load_b32 s0, s[0:1], 0x38
	s_mov_b32 s1, exec_lo
	v_cmpx_eq_u32_e32 0, v0
	s_cbranch_execz .LBB853_46
; %bb.45:
	s_mul_u64 s[2:3], s[26:27], s[22:23]
	s_wait_alu 0xfffe
	s_lshl_b64 s[2:3], s[2:3], 2
	s_cmp_eq_u64 s[18:19], 0
	s_wait_alu 0xfffe
	s_add_nc_u64 s[2:3], s[20:21], s[2:3]
	s_cselect_b32 s1, -1, 0
	s_wait_kmcnt 0x0
	v_cndmask_b32_e64 v0, v1, s0, s1
	v_mov_b32_e32 v1, 0
	s_lshl_b64 s[0:1], s[24:25], 2
	s_wait_alu 0xfffe
	s_add_nc_u64 s[0:1], s[2:3], s[0:1]
	global_store_b32 v1, v0, s[0:1]
.LBB853_46:
	s_endpgm
	.section	.rodata,"a",@progbits
	.p2align	6, 0x0
	.amdhsa_kernel _ZN7rocprim17ROCPRIM_400000_NS6detail17trampoline_kernelINS0_14default_configENS1_22reduce_config_selectorIbEEZNS1_11reduce_implILb1ES3_N6hipcub16HIPCUB_304000_NS22TransformInputIteratorIbN2at6native12_GLOBAL__N_19NonZeroOpIN3c104HalfEEEPKSF_lEEPiiNS8_6detail34convert_binary_result_type_wrapperINS8_3SumESJ_iEEEE10hipError_tPvRmT1_T2_T3_mT4_P12ihipStream_tbEUlT_E0_NS1_11comp_targetILNS1_3genE10ELNS1_11target_archE1201ELNS1_3gpuE5ELNS1_3repE0EEENS1_30default_config_static_selectorELNS0_4arch9wavefront6targetE0EEEvSS_
		.amdhsa_group_segment_fixed_size 64
		.amdhsa_private_segment_fixed_size 0
		.amdhsa_kernarg_size 64
		.amdhsa_user_sgpr_count 2
		.amdhsa_user_sgpr_dispatch_ptr 0
		.amdhsa_user_sgpr_queue_ptr 0
		.amdhsa_user_sgpr_kernarg_segment_ptr 1
		.amdhsa_user_sgpr_dispatch_id 0
		.amdhsa_user_sgpr_private_segment_size 0
		.amdhsa_wavefront_size32 1
		.amdhsa_uses_dynamic_stack 0
		.amdhsa_enable_private_segment 0
		.amdhsa_system_sgpr_workgroup_id_x 1
		.amdhsa_system_sgpr_workgroup_id_y 0
		.amdhsa_system_sgpr_workgroup_id_z 0
		.amdhsa_system_sgpr_workgroup_info 0
		.amdhsa_system_vgpr_workitem_id 0
		.amdhsa_next_free_vgpr 20
		.amdhsa_next_free_sgpr 30
		.amdhsa_reserve_vcc 1
		.amdhsa_float_round_mode_32 0
		.amdhsa_float_round_mode_16_64 0
		.amdhsa_float_denorm_mode_32 3
		.amdhsa_float_denorm_mode_16_64 3
		.amdhsa_fp16_overflow 0
		.amdhsa_workgroup_processor_mode 1
		.amdhsa_memory_ordered 1
		.amdhsa_forward_progress 1
		.amdhsa_inst_pref_size 26
		.amdhsa_round_robin_scheduling 0
		.amdhsa_exception_fp_ieee_invalid_op 0
		.amdhsa_exception_fp_denorm_src 0
		.amdhsa_exception_fp_ieee_div_zero 0
		.amdhsa_exception_fp_ieee_overflow 0
		.amdhsa_exception_fp_ieee_underflow 0
		.amdhsa_exception_fp_ieee_inexact 0
		.amdhsa_exception_int_div_zero 0
	.end_amdhsa_kernel
	.section	.text._ZN7rocprim17ROCPRIM_400000_NS6detail17trampoline_kernelINS0_14default_configENS1_22reduce_config_selectorIbEEZNS1_11reduce_implILb1ES3_N6hipcub16HIPCUB_304000_NS22TransformInputIteratorIbN2at6native12_GLOBAL__N_19NonZeroOpIN3c104HalfEEEPKSF_lEEPiiNS8_6detail34convert_binary_result_type_wrapperINS8_3SumESJ_iEEEE10hipError_tPvRmT1_T2_T3_mT4_P12ihipStream_tbEUlT_E0_NS1_11comp_targetILNS1_3genE10ELNS1_11target_archE1201ELNS1_3gpuE5ELNS1_3repE0EEENS1_30default_config_static_selectorELNS0_4arch9wavefront6targetE0EEEvSS_,"axG",@progbits,_ZN7rocprim17ROCPRIM_400000_NS6detail17trampoline_kernelINS0_14default_configENS1_22reduce_config_selectorIbEEZNS1_11reduce_implILb1ES3_N6hipcub16HIPCUB_304000_NS22TransformInputIteratorIbN2at6native12_GLOBAL__N_19NonZeroOpIN3c104HalfEEEPKSF_lEEPiiNS8_6detail34convert_binary_result_type_wrapperINS8_3SumESJ_iEEEE10hipError_tPvRmT1_T2_T3_mT4_P12ihipStream_tbEUlT_E0_NS1_11comp_targetILNS1_3genE10ELNS1_11target_archE1201ELNS1_3gpuE5ELNS1_3repE0EEENS1_30default_config_static_selectorELNS0_4arch9wavefront6targetE0EEEvSS_,comdat
.Lfunc_end853:
	.size	_ZN7rocprim17ROCPRIM_400000_NS6detail17trampoline_kernelINS0_14default_configENS1_22reduce_config_selectorIbEEZNS1_11reduce_implILb1ES3_N6hipcub16HIPCUB_304000_NS22TransformInputIteratorIbN2at6native12_GLOBAL__N_19NonZeroOpIN3c104HalfEEEPKSF_lEEPiiNS8_6detail34convert_binary_result_type_wrapperINS8_3SumESJ_iEEEE10hipError_tPvRmT1_T2_T3_mT4_P12ihipStream_tbEUlT_E0_NS1_11comp_targetILNS1_3genE10ELNS1_11target_archE1201ELNS1_3gpuE5ELNS1_3repE0EEENS1_30default_config_static_selectorELNS0_4arch9wavefront6targetE0EEEvSS_, .Lfunc_end853-_ZN7rocprim17ROCPRIM_400000_NS6detail17trampoline_kernelINS0_14default_configENS1_22reduce_config_selectorIbEEZNS1_11reduce_implILb1ES3_N6hipcub16HIPCUB_304000_NS22TransformInputIteratorIbN2at6native12_GLOBAL__N_19NonZeroOpIN3c104HalfEEEPKSF_lEEPiiNS8_6detail34convert_binary_result_type_wrapperINS8_3SumESJ_iEEEE10hipError_tPvRmT1_T2_T3_mT4_P12ihipStream_tbEUlT_E0_NS1_11comp_targetILNS1_3genE10ELNS1_11target_archE1201ELNS1_3gpuE5ELNS1_3repE0EEENS1_30default_config_static_selectorELNS0_4arch9wavefront6targetE0EEEvSS_
                                        ; -- End function
	.set _ZN7rocprim17ROCPRIM_400000_NS6detail17trampoline_kernelINS0_14default_configENS1_22reduce_config_selectorIbEEZNS1_11reduce_implILb1ES3_N6hipcub16HIPCUB_304000_NS22TransformInputIteratorIbN2at6native12_GLOBAL__N_19NonZeroOpIN3c104HalfEEEPKSF_lEEPiiNS8_6detail34convert_binary_result_type_wrapperINS8_3SumESJ_iEEEE10hipError_tPvRmT1_T2_T3_mT4_P12ihipStream_tbEUlT_E0_NS1_11comp_targetILNS1_3genE10ELNS1_11target_archE1201ELNS1_3gpuE5ELNS1_3repE0EEENS1_30default_config_static_selectorELNS0_4arch9wavefront6targetE0EEEvSS_.num_vgpr, 20
	.set _ZN7rocprim17ROCPRIM_400000_NS6detail17trampoline_kernelINS0_14default_configENS1_22reduce_config_selectorIbEEZNS1_11reduce_implILb1ES3_N6hipcub16HIPCUB_304000_NS22TransformInputIteratorIbN2at6native12_GLOBAL__N_19NonZeroOpIN3c104HalfEEEPKSF_lEEPiiNS8_6detail34convert_binary_result_type_wrapperINS8_3SumESJ_iEEEE10hipError_tPvRmT1_T2_T3_mT4_P12ihipStream_tbEUlT_E0_NS1_11comp_targetILNS1_3genE10ELNS1_11target_archE1201ELNS1_3gpuE5ELNS1_3repE0EEENS1_30default_config_static_selectorELNS0_4arch9wavefront6targetE0EEEvSS_.num_agpr, 0
	.set _ZN7rocprim17ROCPRIM_400000_NS6detail17trampoline_kernelINS0_14default_configENS1_22reduce_config_selectorIbEEZNS1_11reduce_implILb1ES3_N6hipcub16HIPCUB_304000_NS22TransformInputIteratorIbN2at6native12_GLOBAL__N_19NonZeroOpIN3c104HalfEEEPKSF_lEEPiiNS8_6detail34convert_binary_result_type_wrapperINS8_3SumESJ_iEEEE10hipError_tPvRmT1_T2_T3_mT4_P12ihipStream_tbEUlT_E0_NS1_11comp_targetILNS1_3genE10ELNS1_11target_archE1201ELNS1_3gpuE5ELNS1_3repE0EEENS1_30default_config_static_selectorELNS0_4arch9wavefront6targetE0EEEvSS_.numbered_sgpr, 30
	.set _ZN7rocprim17ROCPRIM_400000_NS6detail17trampoline_kernelINS0_14default_configENS1_22reduce_config_selectorIbEEZNS1_11reduce_implILb1ES3_N6hipcub16HIPCUB_304000_NS22TransformInputIteratorIbN2at6native12_GLOBAL__N_19NonZeroOpIN3c104HalfEEEPKSF_lEEPiiNS8_6detail34convert_binary_result_type_wrapperINS8_3SumESJ_iEEEE10hipError_tPvRmT1_T2_T3_mT4_P12ihipStream_tbEUlT_E0_NS1_11comp_targetILNS1_3genE10ELNS1_11target_archE1201ELNS1_3gpuE5ELNS1_3repE0EEENS1_30default_config_static_selectorELNS0_4arch9wavefront6targetE0EEEvSS_.num_named_barrier, 0
	.set _ZN7rocprim17ROCPRIM_400000_NS6detail17trampoline_kernelINS0_14default_configENS1_22reduce_config_selectorIbEEZNS1_11reduce_implILb1ES3_N6hipcub16HIPCUB_304000_NS22TransformInputIteratorIbN2at6native12_GLOBAL__N_19NonZeroOpIN3c104HalfEEEPKSF_lEEPiiNS8_6detail34convert_binary_result_type_wrapperINS8_3SumESJ_iEEEE10hipError_tPvRmT1_T2_T3_mT4_P12ihipStream_tbEUlT_E0_NS1_11comp_targetILNS1_3genE10ELNS1_11target_archE1201ELNS1_3gpuE5ELNS1_3repE0EEENS1_30default_config_static_selectorELNS0_4arch9wavefront6targetE0EEEvSS_.private_seg_size, 0
	.set _ZN7rocprim17ROCPRIM_400000_NS6detail17trampoline_kernelINS0_14default_configENS1_22reduce_config_selectorIbEEZNS1_11reduce_implILb1ES3_N6hipcub16HIPCUB_304000_NS22TransformInputIteratorIbN2at6native12_GLOBAL__N_19NonZeroOpIN3c104HalfEEEPKSF_lEEPiiNS8_6detail34convert_binary_result_type_wrapperINS8_3SumESJ_iEEEE10hipError_tPvRmT1_T2_T3_mT4_P12ihipStream_tbEUlT_E0_NS1_11comp_targetILNS1_3genE10ELNS1_11target_archE1201ELNS1_3gpuE5ELNS1_3repE0EEENS1_30default_config_static_selectorELNS0_4arch9wavefront6targetE0EEEvSS_.uses_vcc, 1
	.set _ZN7rocprim17ROCPRIM_400000_NS6detail17trampoline_kernelINS0_14default_configENS1_22reduce_config_selectorIbEEZNS1_11reduce_implILb1ES3_N6hipcub16HIPCUB_304000_NS22TransformInputIteratorIbN2at6native12_GLOBAL__N_19NonZeroOpIN3c104HalfEEEPKSF_lEEPiiNS8_6detail34convert_binary_result_type_wrapperINS8_3SumESJ_iEEEE10hipError_tPvRmT1_T2_T3_mT4_P12ihipStream_tbEUlT_E0_NS1_11comp_targetILNS1_3genE10ELNS1_11target_archE1201ELNS1_3gpuE5ELNS1_3repE0EEENS1_30default_config_static_selectorELNS0_4arch9wavefront6targetE0EEEvSS_.uses_flat_scratch, 0
	.set _ZN7rocprim17ROCPRIM_400000_NS6detail17trampoline_kernelINS0_14default_configENS1_22reduce_config_selectorIbEEZNS1_11reduce_implILb1ES3_N6hipcub16HIPCUB_304000_NS22TransformInputIteratorIbN2at6native12_GLOBAL__N_19NonZeroOpIN3c104HalfEEEPKSF_lEEPiiNS8_6detail34convert_binary_result_type_wrapperINS8_3SumESJ_iEEEE10hipError_tPvRmT1_T2_T3_mT4_P12ihipStream_tbEUlT_E0_NS1_11comp_targetILNS1_3genE10ELNS1_11target_archE1201ELNS1_3gpuE5ELNS1_3repE0EEENS1_30default_config_static_selectorELNS0_4arch9wavefront6targetE0EEEvSS_.has_dyn_sized_stack, 0
	.set _ZN7rocprim17ROCPRIM_400000_NS6detail17trampoline_kernelINS0_14default_configENS1_22reduce_config_selectorIbEEZNS1_11reduce_implILb1ES3_N6hipcub16HIPCUB_304000_NS22TransformInputIteratorIbN2at6native12_GLOBAL__N_19NonZeroOpIN3c104HalfEEEPKSF_lEEPiiNS8_6detail34convert_binary_result_type_wrapperINS8_3SumESJ_iEEEE10hipError_tPvRmT1_T2_T3_mT4_P12ihipStream_tbEUlT_E0_NS1_11comp_targetILNS1_3genE10ELNS1_11target_archE1201ELNS1_3gpuE5ELNS1_3repE0EEENS1_30default_config_static_selectorELNS0_4arch9wavefront6targetE0EEEvSS_.has_recursion, 0
	.set _ZN7rocprim17ROCPRIM_400000_NS6detail17trampoline_kernelINS0_14default_configENS1_22reduce_config_selectorIbEEZNS1_11reduce_implILb1ES3_N6hipcub16HIPCUB_304000_NS22TransformInputIteratorIbN2at6native12_GLOBAL__N_19NonZeroOpIN3c104HalfEEEPKSF_lEEPiiNS8_6detail34convert_binary_result_type_wrapperINS8_3SumESJ_iEEEE10hipError_tPvRmT1_T2_T3_mT4_P12ihipStream_tbEUlT_E0_NS1_11comp_targetILNS1_3genE10ELNS1_11target_archE1201ELNS1_3gpuE5ELNS1_3repE0EEENS1_30default_config_static_selectorELNS0_4arch9wavefront6targetE0EEEvSS_.has_indirect_call, 0
	.section	.AMDGPU.csdata,"",@progbits
; Kernel info:
; codeLenInByte = 3324
; TotalNumSgprs: 32
; NumVgprs: 20
; ScratchSize: 0
; MemoryBound: 0
; FloatMode: 240
; IeeeMode: 1
; LDSByteSize: 64 bytes/workgroup (compile time only)
; SGPRBlocks: 0
; VGPRBlocks: 2
; NumSGPRsForWavesPerEU: 32
; NumVGPRsForWavesPerEU: 20
; Occupancy: 16
; WaveLimiterHint : 1
; COMPUTE_PGM_RSRC2:SCRATCH_EN: 0
; COMPUTE_PGM_RSRC2:USER_SGPR: 2
; COMPUTE_PGM_RSRC2:TRAP_HANDLER: 0
; COMPUTE_PGM_RSRC2:TGID_X_EN: 1
; COMPUTE_PGM_RSRC2:TGID_Y_EN: 0
; COMPUTE_PGM_RSRC2:TGID_Z_EN: 0
; COMPUTE_PGM_RSRC2:TIDIG_COMP_CNT: 0
	.section	.text._ZN7rocprim17ROCPRIM_400000_NS6detail17trampoline_kernelINS0_14default_configENS1_22reduce_config_selectorIbEEZNS1_11reduce_implILb1ES3_N6hipcub16HIPCUB_304000_NS22TransformInputIteratorIbN2at6native12_GLOBAL__N_19NonZeroOpIN3c104HalfEEEPKSF_lEEPiiNS8_6detail34convert_binary_result_type_wrapperINS8_3SumESJ_iEEEE10hipError_tPvRmT1_T2_T3_mT4_P12ihipStream_tbEUlT_E0_NS1_11comp_targetILNS1_3genE10ELNS1_11target_archE1200ELNS1_3gpuE4ELNS1_3repE0EEENS1_30default_config_static_selectorELNS0_4arch9wavefront6targetE0EEEvSS_,"axG",@progbits,_ZN7rocprim17ROCPRIM_400000_NS6detail17trampoline_kernelINS0_14default_configENS1_22reduce_config_selectorIbEEZNS1_11reduce_implILb1ES3_N6hipcub16HIPCUB_304000_NS22TransformInputIteratorIbN2at6native12_GLOBAL__N_19NonZeroOpIN3c104HalfEEEPKSF_lEEPiiNS8_6detail34convert_binary_result_type_wrapperINS8_3SumESJ_iEEEE10hipError_tPvRmT1_T2_T3_mT4_P12ihipStream_tbEUlT_E0_NS1_11comp_targetILNS1_3genE10ELNS1_11target_archE1200ELNS1_3gpuE4ELNS1_3repE0EEENS1_30default_config_static_selectorELNS0_4arch9wavefront6targetE0EEEvSS_,comdat
	.globl	_ZN7rocprim17ROCPRIM_400000_NS6detail17trampoline_kernelINS0_14default_configENS1_22reduce_config_selectorIbEEZNS1_11reduce_implILb1ES3_N6hipcub16HIPCUB_304000_NS22TransformInputIteratorIbN2at6native12_GLOBAL__N_19NonZeroOpIN3c104HalfEEEPKSF_lEEPiiNS8_6detail34convert_binary_result_type_wrapperINS8_3SumESJ_iEEEE10hipError_tPvRmT1_T2_T3_mT4_P12ihipStream_tbEUlT_E0_NS1_11comp_targetILNS1_3genE10ELNS1_11target_archE1200ELNS1_3gpuE4ELNS1_3repE0EEENS1_30default_config_static_selectorELNS0_4arch9wavefront6targetE0EEEvSS_ ; -- Begin function _ZN7rocprim17ROCPRIM_400000_NS6detail17trampoline_kernelINS0_14default_configENS1_22reduce_config_selectorIbEEZNS1_11reduce_implILb1ES3_N6hipcub16HIPCUB_304000_NS22TransformInputIteratorIbN2at6native12_GLOBAL__N_19NonZeroOpIN3c104HalfEEEPKSF_lEEPiiNS8_6detail34convert_binary_result_type_wrapperINS8_3SumESJ_iEEEE10hipError_tPvRmT1_T2_T3_mT4_P12ihipStream_tbEUlT_E0_NS1_11comp_targetILNS1_3genE10ELNS1_11target_archE1200ELNS1_3gpuE4ELNS1_3repE0EEENS1_30default_config_static_selectorELNS0_4arch9wavefront6targetE0EEEvSS_
	.p2align	8
	.type	_ZN7rocprim17ROCPRIM_400000_NS6detail17trampoline_kernelINS0_14default_configENS1_22reduce_config_selectorIbEEZNS1_11reduce_implILb1ES3_N6hipcub16HIPCUB_304000_NS22TransformInputIteratorIbN2at6native12_GLOBAL__N_19NonZeroOpIN3c104HalfEEEPKSF_lEEPiiNS8_6detail34convert_binary_result_type_wrapperINS8_3SumESJ_iEEEE10hipError_tPvRmT1_T2_T3_mT4_P12ihipStream_tbEUlT_E0_NS1_11comp_targetILNS1_3genE10ELNS1_11target_archE1200ELNS1_3gpuE4ELNS1_3repE0EEENS1_30default_config_static_selectorELNS0_4arch9wavefront6targetE0EEEvSS_,@function
_ZN7rocprim17ROCPRIM_400000_NS6detail17trampoline_kernelINS0_14default_configENS1_22reduce_config_selectorIbEEZNS1_11reduce_implILb1ES3_N6hipcub16HIPCUB_304000_NS22TransformInputIteratorIbN2at6native12_GLOBAL__N_19NonZeroOpIN3c104HalfEEEPKSF_lEEPiiNS8_6detail34convert_binary_result_type_wrapperINS8_3SumESJ_iEEEE10hipError_tPvRmT1_T2_T3_mT4_P12ihipStream_tbEUlT_E0_NS1_11comp_targetILNS1_3genE10ELNS1_11target_archE1200ELNS1_3gpuE4ELNS1_3repE0EEENS1_30default_config_static_selectorELNS0_4arch9wavefront6targetE0EEEvSS_: ; @_ZN7rocprim17ROCPRIM_400000_NS6detail17trampoline_kernelINS0_14default_configENS1_22reduce_config_selectorIbEEZNS1_11reduce_implILb1ES3_N6hipcub16HIPCUB_304000_NS22TransformInputIteratorIbN2at6native12_GLOBAL__N_19NonZeroOpIN3c104HalfEEEPKSF_lEEPiiNS8_6detail34convert_binary_result_type_wrapperINS8_3SumESJ_iEEEE10hipError_tPvRmT1_T2_T3_mT4_P12ihipStream_tbEUlT_E0_NS1_11comp_targetILNS1_3genE10ELNS1_11target_archE1200ELNS1_3gpuE4ELNS1_3repE0EEENS1_30default_config_static_selectorELNS0_4arch9wavefront6targetE0EEEvSS_
; %bb.0:
	.section	.rodata,"a",@progbits
	.p2align	6, 0x0
	.amdhsa_kernel _ZN7rocprim17ROCPRIM_400000_NS6detail17trampoline_kernelINS0_14default_configENS1_22reduce_config_selectorIbEEZNS1_11reduce_implILb1ES3_N6hipcub16HIPCUB_304000_NS22TransformInputIteratorIbN2at6native12_GLOBAL__N_19NonZeroOpIN3c104HalfEEEPKSF_lEEPiiNS8_6detail34convert_binary_result_type_wrapperINS8_3SumESJ_iEEEE10hipError_tPvRmT1_T2_T3_mT4_P12ihipStream_tbEUlT_E0_NS1_11comp_targetILNS1_3genE10ELNS1_11target_archE1200ELNS1_3gpuE4ELNS1_3repE0EEENS1_30default_config_static_selectorELNS0_4arch9wavefront6targetE0EEEvSS_
		.amdhsa_group_segment_fixed_size 0
		.amdhsa_private_segment_fixed_size 0
		.amdhsa_kernarg_size 64
		.amdhsa_user_sgpr_count 2
		.amdhsa_user_sgpr_dispatch_ptr 0
		.amdhsa_user_sgpr_queue_ptr 0
		.amdhsa_user_sgpr_kernarg_segment_ptr 1
		.amdhsa_user_sgpr_dispatch_id 0
		.amdhsa_user_sgpr_private_segment_size 0
		.amdhsa_wavefront_size32 1
		.amdhsa_uses_dynamic_stack 0
		.amdhsa_enable_private_segment 0
		.amdhsa_system_sgpr_workgroup_id_x 1
		.amdhsa_system_sgpr_workgroup_id_y 0
		.amdhsa_system_sgpr_workgroup_id_z 0
		.amdhsa_system_sgpr_workgroup_info 0
		.amdhsa_system_vgpr_workitem_id 0
		.amdhsa_next_free_vgpr 1
		.amdhsa_next_free_sgpr 1
		.amdhsa_reserve_vcc 0
		.amdhsa_float_round_mode_32 0
		.amdhsa_float_round_mode_16_64 0
		.amdhsa_float_denorm_mode_32 3
		.amdhsa_float_denorm_mode_16_64 3
		.amdhsa_fp16_overflow 0
		.amdhsa_workgroup_processor_mode 1
		.amdhsa_memory_ordered 1
		.amdhsa_forward_progress 1
		.amdhsa_inst_pref_size 0
		.amdhsa_round_robin_scheduling 0
		.amdhsa_exception_fp_ieee_invalid_op 0
		.amdhsa_exception_fp_denorm_src 0
		.amdhsa_exception_fp_ieee_div_zero 0
		.amdhsa_exception_fp_ieee_overflow 0
		.amdhsa_exception_fp_ieee_underflow 0
		.amdhsa_exception_fp_ieee_inexact 0
		.amdhsa_exception_int_div_zero 0
	.end_amdhsa_kernel
	.section	.text._ZN7rocprim17ROCPRIM_400000_NS6detail17trampoline_kernelINS0_14default_configENS1_22reduce_config_selectorIbEEZNS1_11reduce_implILb1ES3_N6hipcub16HIPCUB_304000_NS22TransformInputIteratorIbN2at6native12_GLOBAL__N_19NonZeroOpIN3c104HalfEEEPKSF_lEEPiiNS8_6detail34convert_binary_result_type_wrapperINS8_3SumESJ_iEEEE10hipError_tPvRmT1_T2_T3_mT4_P12ihipStream_tbEUlT_E0_NS1_11comp_targetILNS1_3genE10ELNS1_11target_archE1200ELNS1_3gpuE4ELNS1_3repE0EEENS1_30default_config_static_selectorELNS0_4arch9wavefront6targetE0EEEvSS_,"axG",@progbits,_ZN7rocprim17ROCPRIM_400000_NS6detail17trampoline_kernelINS0_14default_configENS1_22reduce_config_selectorIbEEZNS1_11reduce_implILb1ES3_N6hipcub16HIPCUB_304000_NS22TransformInputIteratorIbN2at6native12_GLOBAL__N_19NonZeroOpIN3c104HalfEEEPKSF_lEEPiiNS8_6detail34convert_binary_result_type_wrapperINS8_3SumESJ_iEEEE10hipError_tPvRmT1_T2_T3_mT4_P12ihipStream_tbEUlT_E0_NS1_11comp_targetILNS1_3genE10ELNS1_11target_archE1200ELNS1_3gpuE4ELNS1_3repE0EEENS1_30default_config_static_selectorELNS0_4arch9wavefront6targetE0EEEvSS_,comdat
.Lfunc_end854:
	.size	_ZN7rocprim17ROCPRIM_400000_NS6detail17trampoline_kernelINS0_14default_configENS1_22reduce_config_selectorIbEEZNS1_11reduce_implILb1ES3_N6hipcub16HIPCUB_304000_NS22TransformInputIteratorIbN2at6native12_GLOBAL__N_19NonZeroOpIN3c104HalfEEEPKSF_lEEPiiNS8_6detail34convert_binary_result_type_wrapperINS8_3SumESJ_iEEEE10hipError_tPvRmT1_T2_T3_mT4_P12ihipStream_tbEUlT_E0_NS1_11comp_targetILNS1_3genE10ELNS1_11target_archE1200ELNS1_3gpuE4ELNS1_3repE0EEENS1_30default_config_static_selectorELNS0_4arch9wavefront6targetE0EEEvSS_, .Lfunc_end854-_ZN7rocprim17ROCPRIM_400000_NS6detail17trampoline_kernelINS0_14default_configENS1_22reduce_config_selectorIbEEZNS1_11reduce_implILb1ES3_N6hipcub16HIPCUB_304000_NS22TransformInputIteratorIbN2at6native12_GLOBAL__N_19NonZeroOpIN3c104HalfEEEPKSF_lEEPiiNS8_6detail34convert_binary_result_type_wrapperINS8_3SumESJ_iEEEE10hipError_tPvRmT1_T2_T3_mT4_P12ihipStream_tbEUlT_E0_NS1_11comp_targetILNS1_3genE10ELNS1_11target_archE1200ELNS1_3gpuE4ELNS1_3repE0EEENS1_30default_config_static_selectorELNS0_4arch9wavefront6targetE0EEEvSS_
                                        ; -- End function
	.set _ZN7rocprim17ROCPRIM_400000_NS6detail17trampoline_kernelINS0_14default_configENS1_22reduce_config_selectorIbEEZNS1_11reduce_implILb1ES3_N6hipcub16HIPCUB_304000_NS22TransformInputIteratorIbN2at6native12_GLOBAL__N_19NonZeroOpIN3c104HalfEEEPKSF_lEEPiiNS8_6detail34convert_binary_result_type_wrapperINS8_3SumESJ_iEEEE10hipError_tPvRmT1_T2_T3_mT4_P12ihipStream_tbEUlT_E0_NS1_11comp_targetILNS1_3genE10ELNS1_11target_archE1200ELNS1_3gpuE4ELNS1_3repE0EEENS1_30default_config_static_selectorELNS0_4arch9wavefront6targetE0EEEvSS_.num_vgpr, 0
	.set _ZN7rocprim17ROCPRIM_400000_NS6detail17trampoline_kernelINS0_14default_configENS1_22reduce_config_selectorIbEEZNS1_11reduce_implILb1ES3_N6hipcub16HIPCUB_304000_NS22TransformInputIteratorIbN2at6native12_GLOBAL__N_19NonZeroOpIN3c104HalfEEEPKSF_lEEPiiNS8_6detail34convert_binary_result_type_wrapperINS8_3SumESJ_iEEEE10hipError_tPvRmT1_T2_T3_mT4_P12ihipStream_tbEUlT_E0_NS1_11comp_targetILNS1_3genE10ELNS1_11target_archE1200ELNS1_3gpuE4ELNS1_3repE0EEENS1_30default_config_static_selectorELNS0_4arch9wavefront6targetE0EEEvSS_.num_agpr, 0
	.set _ZN7rocprim17ROCPRIM_400000_NS6detail17trampoline_kernelINS0_14default_configENS1_22reduce_config_selectorIbEEZNS1_11reduce_implILb1ES3_N6hipcub16HIPCUB_304000_NS22TransformInputIteratorIbN2at6native12_GLOBAL__N_19NonZeroOpIN3c104HalfEEEPKSF_lEEPiiNS8_6detail34convert_binary_result_type_wrapperINS8_3SumESJ_iEEEE10hipError_tPvRmT1_T2_T3_mT4_P12ihipStream_tbEUlT_E0_NS1_11comp_targetILNS1_3genE10ELNS1_11target_archE1200ELNS1_3gpuE4ELNS1_3repE0EEENS1_30default_config_static_selectorELNS0_4arch9wavefront6targetE0EEEvSS_.numbered_sgpr, 0
	.set _ZN7rocprim17ROCPRIM_400000_NS6detail17trampoline_kernelINS0_14default_configENS1_22reduce_config_selectorIbEEZNS1_11reduce_implILb1ES3_N6hipcub16HIPCUB_304000_NS22TransformInputIteratorIbN2at6native12_GLOBAL__N_19NonZeroOpIN3c104HalfEEEPKSF_lEEPiiNS8_6detail34convert_binary_result_type_wrapperINS8_3SumESJ_iEEEE10hipError_tPvRmT1_T2_T3_mT4_P12ihipStream_tbEUlT_E0_NS1_11comp_targetILNS1_3genE10ELNS1_11target_archE1200ELNS1_3gpuE4ELNS1_3repE0EEENS1_30default_config_static_selectorELNS0_4arch9wavefront6targetE0EEEvSS_.num_named_barrier, 0
	.set _ZN7rocprim17ROCPRIM_400000_NS6detail17trampoline_kernelINS0_14default_configENS1_22reduce_config_selectorIbEEZNS1_11reduce_implILb1ES3_N6hipcub16HIPCUB_304000_NS22TransformInputIteratorIbN2at6native12_GLOBAL__N_19NonZeroOpIN3c104HalfEEEPKSF_lEEPiiNS8_6detail34convert_binary_result_type_wrapperINS8_3SumESJ_iEEEE10hipError_tPvRmT1_T2_T3_mT4_P12ihipStream_tbEUlT_E0_NS1_11comp_targetILNS1_3genE10ELNS1_11target_archE1200ELNS1_3gpuE4ELNS1_3repE0EEENS1_30default_config_static_selectorELNS0_4arch9wavefront6targetE0EEEvSS_.private_seg_size, 0
	.set _ZN7rocprim17ROCPRIM_400000_NS6detail17trampoline_kernelINS0_14default_configENS1_22reduce_config_selectorIbEEZNS1_11reduce_implILb1ES3_N6hipcub16HIPCUB_304000_NS22TransformInputIteratorIbN2at6native12_GLOBAL__N_19NonZeroOpIN3c104HalfEEEPKSF_lEEPiiNS8_6detail34convert_binary_result_type_wrapperINS8_3SumESJ_iEEEE10hipError_tPvRmT1_T2_T3_mT4_P12ihipStream_tbEUlT_E0_NS1_11comp_targetILNS1_3genE10ELNS1_11target_archE1200ELNS1_3gpuE4ELNS1_3repE0EEENS1_30default_config_static_selectorELNS0_4arch9wavefront6targetE0EEEvSS_.uses_vcc, 0
	.set _ZN7rocprim17ROCPRIM_400000_NS6detail17trampoline_kernelINS0_14default_configENS1_22reduce_config_selectorIbEEZNS1_11reduce_implILb1ES3_N6hipcub16HIPCUB_304000_NS22TransformInputIteratorIbN2at6native12_GLOBAL__N_19NonZeroOpIN3c104HalfEEEPKSF_lEEPiiNS8_6detail34convert_binary_result_type_wrapperINS8_3SumESJ_iEEEE10hipError_tPvRmT1_T2_T3_mT4_P12ihipStream_tbEUlT_E0_NS1_11comp_targetILNS1_3genE10ELNS1_11target_archE1200ELNS1_3gpuE4ELNS1_3repE0EEENS1_30default_config_static_selectorELNS0_4arch9wavefront6targetE0EEEvSS_.uses_flat_scratch, 0
	.set _ZN7rocprim17ROCPRIM_400000_NS6detail17trampoline_kernelINS0_14default_configENS1_22reduce_config_selectorIbEEZNS1_11reduce_implILb1ES3_N6hipcub16HIPCUB_304000_NS22TransformInputIteratorIbN2at6native12_GLOBAL__N_19NonZeroOpIN3c104HalfEEEPKSF_lEEPiiNS8_6detail34convert_binary_result_type_wrapperINS8_3SumESJ_iEEEE10hipError_tPvRmT1_T2_T3_mT4_P12ihipStream_tbEUlT_E0_NS1_11comp_targetILNS1_3genE10ELNS1_11target_archE1200ELNS1_3gpuE4ELNS1_3repE0EEENS1_30default_config_static_selectorELNS0_4arch9wavefront6targetE0EEEvSS_.has_dyn_sized_stack, 0
	.set _ZN7rocprim17ROCPRIM_400000_NS6detail17trampoline_kernelINS0_14default_configENS1_22reduce_config_selectorIbEEZNS1_11reduce_implILb1ES3_N6hipcub16HIPCUB_304000_NS22TransformInputIteratorIbN2at6native12_GLOBAL__N_19NonZeroOpIN3c104HalfEEEPKSF_lEEPiiNS8_6detail34convert_binary_result_type_wrapperINS8_3SumESJ_iEEEE10hipError_tPvRmT1_T2_T3_mT4_P12ihipStream_tbEUlT_E0_NS1_11comp_targetILNS1_3genE10ELNS1_11target_archE1200ELNS1_3gpuE4ELNS1_3repE0EEENS1_30default_config_static_selectorELNS0_4arch9wavefront6targetE0EEEvSS_.has_recursion, 0
	.set _ZN7rocprim17ROCPRIM_400000_NS6detail17trampoline_kernelINS0_14default_configENS1_22reduce_config_selectorIbEEZNS1_11reduce_implILb1ES3_N6hipcub16HIPCUB_304000_NS22TransformInputIteratorIbN2at6native12_GLOBAL__N_19NonZeroOpIN3c104HalfEEEPKSF_lEEPiiNS8_6detail34convert_binary_result_type_wrapperINS8_3SumESJ_iEEEE10hipError_tPvRmT1_T2_T3_mT4_P12ihipStream_tbEUlT_E0_NS1_11comp_targetILNS1_3genE10ELNS1_11target_archE1200ELNS1_3gpuE4ELNS1_3repE0EEENS1_30default_config_static_selectorELNS0_4arch9wavefront6targetE0EEEvSS_.has_indirect_call, 0
	.section	.AMDGPU.csdata,"",@progbits
; Kernel info:
; codeLenInByte = 0
; TotalNumSgprs: 0
; NumVgprs: 0
; ScratchSize: 0
; MemoryBound: 0
; FloatMode: 240
; IeeeMode: 1
; LDSByteSize: 0 bytes/workgroup (compile time only)
; SGPRBlocks: 0
; VGPRBlocks: 0
; NumSGPRsForWavesPerEU: 1
; NumVGPRsForWavesPerEU: 1
; Occupancy: 16
; WaveLimiterHint : 0
; COMPUTE_PGM_RSRC2:SCRATCH_EN: 0
; COMPUTE_PGM_RSRC2:USER_SGPR: 2
; COMPUTE_PGM_RSRC2:TRAP_HANDLER: 0
; COMPUTE_PGM_RSRC2:TGID_X_EN: 1
; COMPUTE_PGM_RSRC2:TGID_Y_EN: 0
; COMPUTE_PGM_RSRC2:TGID_Z_EN: 0
; COMPUTE_PGM_RSRC2:TIDIG_COMP_CNT: 0
	.section	.text._ZN7rocprim17ROCPRIM_400000_NS6detail17trampoline_kernelINS0_14default_configENS1_22reduce_config_selectorIbEEZNS1_11reduce_implILb1ES3_N6hipcub16HIPCUB_304000_NS22TransformInputIteratorIbN2at6native12_GLOBAL__N_19NonZeroOpIN3c104HalfEEEPKSF_lEEPiiNS8_6detail34convert_binary_result_type_wrapperINS8_3SumESJ_iEEEE10hipError_tPvRmT1_T2_T3_mT4_P12ihipStream_tbEUlT_E0_NS1_11comp_targetILNS1_3genE9ELNS1_11target_archE1100ELNS1_3gpuE3ELNS1_3repE0EEENS1_30default_config_static_selectorELNS0_4arch9wavefront6targetE0EEEvSS_,"axG",@progbits,_ZN7rocprim17ROCPRIM_400000_NS6detail17trampoline_kernelINS0_14default_configENS1_22reduce_config_selectorIbEEZNS1_11reduce_implILb1ES3_N6hipcub16HIPCUB_304000_NS22TransformInputIteratorIbN2at6native12_GLOBAL__N_19NonZeroOpIN3c104HalfEEEPKSF_lEEPiiNS8_6detail34convert_binary_result_type_wrapperINS8_3SumESJ_iEEEE10hipError_tPvRmT1_T2_T3_mT4_P12ihipStream_tbEUlT_E0_NS1_11comp_targetILNS1_3genE9ELNS1_11target_archE1100ELNS1_3gpuE3ELNS1_3repE0EEENS1_30default_config_static_selectorELNS0_4arch9wavefront6targetE0EEEvSS_,comdat
	.globl	_ZN7rocprim17ROCPRIM_400000_NS6detail17trampoline_kernelINS0_14default_configENS1_22reduce_config_selectorIbEEZNS1_11reduce_implILb1ES3_N6hipcub16HIPCUB_304000_NS22TransformInputIteratorIbN2at6native12_GLOBAL__N_19NonZeroOpIN3c104HalfEEEPKSF_lEEPiiNS8_6detail34convert_binary_result_type_wrapperINS8_3SumESJ_iEEEE10hipError_tPvRmT1_T2_T3_mT4_P12ihipStream_tbEUlT_E0_NS1_11comp_targetILNS1_3genE9ELNS1_11target_archE1100ELNS1_3gpuE3ELNS1_3repE0EEENS1_30default_config_static_selectorELNS0_4arch9wavefront6targetE0EEEvSS_ ; -- Begin function _ZN7rocprim17ROCPRIM_400000_NS6detail17trampoline_kernelINS0_14default_configENS1_22reduce_config_selectorIbEEZNS1_11reduce_implILb1ES3_N6hipcub16HIPCUB_304000_NS22TransformInputIteratorIbN2at6native12_GLOBAL__N_19NonZeroOpIN3c104HalfEEEPKSF_lEEPiiNS8_6detail34convert_binary_result_type_wrapperINS8_3SumESJ_iEEEE10hipError_tPvRmT1_T2_T3_mT4_P12ihipStream_tbEUlT_E0_NS1_11comp_targetILNS1_3genE9ELNS1_11target_archE1100ELNS1_3gpuE3ELNS1_3repE0EEENS1_30default_config_static_selectorELNS0_4arch9wavefront6targetE0EEEvSS_
	.p2align	8
	.type	_ZN7rocprim17ROCPRIM_400000_NS6detail17trampoline_kernelINS0_14default_configENS1_22reduce_config_selectorIbEEZNS1_11reduce_implILb1ES3_N6hipcub16HIPCUB_304000_NS22TransformInputIteratorIbN2at6native12_GLOBAL__N_19NonZeroOpIN3c104HalfEEEPKSF_lEEPiiNS8_6detail34convert_binary_result_type_wrapperINS8_3SumESJ_iEEEE10hipError_tPvRmT1_T2_T3_mT4_P12ihipStream_tbEUlT_E0_NS1_11comp_targetILNS1_3genE9ELNS1_11target_archE1100ELNS1_3gpuE3ELNS1_3repE0EEENS1_30default_config_static_selectorELNS0_4arch9wavefront6targetE0EEEvSS_,@function
_ZN7rocprim17ROCPRIM_400000_NS6detail17trampoline_kernelINS0_14default_configENS1_22reduce_config_selectorIbEEZNS1_11reduce_implILb1ES3_N6hipcub16HIPCUB_304000_NS22TransformInputIteratorIbN2at6native12_GLOBAL__N_19NonZeroOpIN3c104HalfEEEPKSF_lEEPiiNS8_6detail34convert_binary_result_type_wrapperINS8_3SumESJ_iEEEE10hipError_tPvRmT1_T2_T3_mT4_P12ihipStream_tbEUlT_E0_NS1_11comp_targetILNS1_3genE9ELNS1_11target_archE1100ELNS1_3gpuE3ELNS1_3repE0EEENS1_30default_config_static_selectorELNS0_4arch9wavefront6targetE0EEEvSS_: ; @_ZN7rocprim17ROCPRIM_400000_NS6detail17trampoline_kernelINS0_14default_configENS1_22reduce_config_selectorIbEEZNS1_11reduce_implILb1ES3_N6hipcub16HIPCUB_304000_NS22TransformInputIteratorIbN2at6native12_GLOBAL__N_19NonZeroOpIN3c104HalfEEEPKSF_lEEPiiNS8_6detail34convert_binary_result_type_wrapperINS8_3SumESJ_iEEEE10hipError_tPvRmT1_T2_T3_mT4_P12ihipStream_tbEUlT_E0_NS1_11comp_targetILNS1_3genE9ELNS1_11target_archE1100ELNS1_3gpuE3ELNS1_3repE0EEENS1_30default_config_static_selectorELNS0_4arch9wavefront6targetE0EEEvSS_
; %bb.0:
	.section	.rodata,"a",@progbits
	.p2align	6, 0x0
	.amdhsa_kernel _ZN7rocprim17ROCPRIM_400000_NS6detail17trampoline_kernelINS0_14default_configENS1_22reduce_config_selectorIbEEZNS1_11reduce_implILb1ES3_N6hipcub16HIPCUB_304000_NS22TransformInputIteratorIbN2at6native12_GLOBAL__N_19NonZeroOpIN3c104HalfEEEPKSF_lEEPiiNS8_6detail34convert_binary_result_type_wrapperINS8_3SumESJ_iEEEE10hipError_tPvRmT1_T2_T3_mT4_P12ihipStream_tbEUlT_E0_NS1_11comp_targetILNS1_3genE9ELNS1_11target_archE1100ELNS1_3gpuE3ELNS1_3repE0EEENS1_30default_config_static_selectorELNS0_4arch9wavefront6targetE0EEEvSS_
		.amdhsa_group_segment_fixed_size 0
		.amdhsa_private_segment_fixed_size 0
		.amdhsa_kernarg_size 64
		.amdhsa_user_sgpr_count 2
		.amdhsa_user_sgpr_dispatch_ptr 0
		.amdhsa_user_sgpr_queue_ptr 0
		.amdhsa_user_sgpr_kernarg_segment_ptr 1
		.amdhsa_user_sgpr_dispatch_id 0
		.amdhsa_user_sgpr_private_segment_size 0
		.amdhsa_wavefront_size32 1
		.amdhsa_uses_dynamic_stack 0
		.amdhsa_enable_private_segment 0
		.amdhsa_system_sgpr_workgroup_id_x 1
		.amdhsa_system_sgpr_workgroup_id_y 0
		.amdhsa_system_sgpr_workgroup_id_z 0
		.amdhsa_system_sgpr_workgroup_info 0
		.amdhsa_system_vgpr_workitem_id 0
		.amdhsa_next_free_vgpr 1
		.amdhsa_next_free_sgpr 1
		.amdhsa_reserve_vcc 0
		.amdhsa_float_round_mode_32 0
		.amdhsa_float_round_mode_16_64 0
		.amdhsa_float_denorm_mode_32 3
		.amdhsa_float_denorm_mode_16_64 3
		.amdhsa_fp16_overflow 0
		.amdhsa_workgroup_processor_mode 1
		.amdhsa_memory_ordered 1
		.amdhsa_forward_progress 1
		.amdhsa_inst_pref_size 0
		.amdhsa_round_robin_scheduling 0
		.amdhsa_exception_fp_ieee_invalid_op 0
		.amdhsa_exception_fp_denorm_src 0
		.amdhsa_exception_fp_ieee_div_zero 0
		.amdhsa_exception_fp_ieee_overflow 0
		.amdhsa_exception_fp_ieee_underflow 0
		.amdhsa_exception_fp_ieee_inexact 0
		.amdhsa_exception_int_div_zero 0
	.end_amdhsa_kernel
	.section	.text._ZN7rocprim17ROCPRIM_400000_NS6detail17trampoline_kernelINS0_14default_configENS1_22reduce_config_selectorIbEEZNS1_11reduce_implILb1ES3_N6hipcub16HIPCUB_304000_NS22TransformInputIteratorIbN2at6native12_GLOBAL__N_19NonZeroOpIN3c104HalfEEEPKSF_lEEPiiNS8_6detail34convert_binary_result_type_wrapperINS8_3SumESJ_iEEEE10hipError_tPvRmT1_T2_T3_mT4_P12ihipStream_tbEUlT_E0_NS1_11comp_targetILNS1_3genE9ELNS1_11target_archE1100ELNS1_3gpuE3ELNS1_3repE0EEENS1_30default_config_static_selectorELNS0_4arch9wavefront6targetE0EEEvSS_,"axG",@progbits,_ZN7rocprim17ROCPRIM_400000_NS6detail17trampoline_kernelINS0_14default_configENS1_22reduce_config_selectorIbEEZNS1_11reduce_implILb1ES3_N6hipcub16HIPCUB_304000_NS22TransformInputIteratorIbN2at6native12_GLOBAL__N_19NonZeroOpIN3c104HalfEEEPKSF_lEEPiiNS8_6detail34convert_binary_result_type_wrapperINS8_3SumESJ_iEEEE10hipError_tPvRmT1_T2_T3_mT4_P12ihipStream_tbEUlT_E0_NS1_11comp_targetILNS1_3genE9ELNS1_11target_archE1100ELNS1_3gpuE3ELNS1_3repE0EEENS1_30default_config_static_selectorELNS0_4arch9wavefront6targetE0EEEvSS_,comdat
.Lfunc_end855:
	.size	_ZN7rocprim17ROCPRIM_400000_NS6detail17trampoline_kernelINS0_14default_configENS1_22reduce_config_selectorIbEEZNS1_11reduce_implILb1ES3_N6hipcub16HIPCUB_304000_NS22TransformInputIteratorIbN2at6native12_GLOBAL__N_19NonZeroOpIN3c104HalfEEEPKSF_lEEPiiNS8_6detail34convert_binary_result_type_wrapperINS8_3SumESJ_iEEEE10hipError_tPvRmT1_T2_T3_mT4_P12ihipStream_tbEUlT_E0_NS1_11comp_targetILNS1_3genE9ELNS1_11target_archE1100ELNS1_3gpuE3ELNS1_3repE0EEENS1_30default_config_static_selectorELNS0_4arch9wavefront6targetE0EEEvSS_, .Lfunc_end855-_ZN7rocprim17ROCPRIM_400000_NS6detail17trampoline_kernelINS0_14default_configENS1_22reduce_config_selectorIbEEZNS1_11reduce_implILb1ES3_N6hipcub16HIPCUB_304000_NS22TransformInputIteratorIbN2at6native12_GLOBAL__N_19NonZeroOpIN3c104HalfEEEPKSF_lEEPiiNS8_6detail34convert_binary_result_type_wrapperINS8_3SumESJ_iEEEE10hipError_tPvRmT1_T2_T3_mT4_P12ihipStream_tbEUlT_E0_NS1_11comp_targetILNS1_3genE9ELNS1_11target_archE1100ELNS1_3gpuE3ELNS1_3repE0EEENS1_30default_config_static_selectorELNS0_4arch9wavefront6targetE0EEEvSS_
                                        ; -- End function
	.set _ZN7rocprim17ROCPRIM_400000_NS6detail17trampoline_kernelINS0_14default_configENS1_22reduce_config_selectorIbEEZNS1_11reduce_implILb1ES3_N6hipcub16HIPCUB_304000_NS22TransformInputIteratorIbN2at6native12_GLOBAL__N_19NonZeroOpIN3c104HalfEEEPKSF_lEEPiiNS8_6detail34convert_binary_result_type_wrapperINS8_3SumESJ_iEEEE10hipError_tPvRmT1_T2_T3_mT4_P12ihipStream_tbEUlT_E0_NS1_11comp_targetILNS1_3genE9ELNS1_11target_archE1100ELNS1_3gpuE3ELNS1_3repE0EEENS1_30default_config_static_selectorELNS0_4arch9wavefront6targetE0EEEvSS_.num_vgpr, 0
	.set _ZN7rocprim17ROCPRIM_400000_NS6detail17trampoline_kernelINS0_14default_configENS1_22reduce_config_selectorIbEEZNS1_11reduce_implILb1ES3_N6hipcub16HIPCUB_304000_NS22TransformInputIteratorIbN2at6native12_GLOBAL__N_19NonZeroOpIN3c104HalfEEEPKSF_lEEPiiNS8_6detail34convert_binary_result_type_wrapperINS8_3SumESJ_iEEEE10hipError_tPvRmT1_T2_T3_mT4_P12ihipStream_tbEUlT_E0_NS1_11comp_targetILNS1_3genE9ELNS1_11target_archE1100ELNS1_3gpuE3ELNS1_3repE0EEENS1_30default_config_static_selectorELNS0_4arch9wavefront6targetE0EEEvSS_.num_agpr, 0
	.set _ZN7rocprim17ROCPRIM_400000_NS6detail17trampoline_kernelINS0_14default_configENS1_22reduce_config_selectorIbEEZNS1_11reduce_implILb1ES3_N6hipcub16HIPCUB_304000_NS22TransformInputIteratorIbN2at6native12_GLOBAL__N_19NonZeroOpIN3c104HalfEEEPKSF_lEEPiiNS8_6detail34convert_binary_result_type_wrapperINS8_3SumESJ_iEEEE10hipError_tPvRmT1_T2_T3_mT4_P12ihipStream_tbEUlT_E0_NS1_11comp_targetILNS1_3genE9ELNS1_11target_archE1100ELNS1_3gpuE3ELNS1_3repE0EEENS1_30default_config_static_selectorELNS0_4arch9wavefront6targetE0EEEvSS_.numbered_sgpr, 0
	.set _ZN7rocprim17ROCPRIM_400000_NS6detail17trampoline_kernelINS0_14default_configENS1_22reduce_config_selectorIbEEZNS1_11reduce_implILb1ES3_N6hipcub16HIPCUB_304000_NS22TransformInputIteratorIbN2at6native12_GLOBAL__N_19NonZeroOpIN3c104HalfEEEPKSF_lEEPiiNS8_6detail34convert_binary_result_type_wrapperINS8_3SumESJ_iEEEE10hipError_tPvRmT1_T2_T3_mT4_P12ihipStream_tbEUlT_E0_NS1_11comp_targetILNS1_3genE9ELNS1_11target_archE1100ELNS1_3gpuE3ELNS1_3repE0EEENS1_30default_config_static_selectorELNS0_4arch9wavefront6targetE0EEEvSS_.num_named_barrier, 0
	.set _ZN7rocprim17ROCPRIM_400000_NS6detail17trampoline_kernelINS0_14default_configENS1_22reduce_config_selectorIbEEZNS1_11reduce_implILb1ES3_N6hipcub16HIPCUB_304000_NS22TransformInputIteratorIbN2at6native12_GLOBAL__N_19NonZeroOpIN3c104HalfEEEPKSF_lEEPiiNS8_6detail34convert_binary_result_type_wrapperINS8_3SumESJ_iEEEE10hipError_tPvRmT1_T2_T3_mT4_P12ihipStream_tbEUlT_E0_NS1_11comp_targetILNS1_3genE9ELNS1_11target_archE1100ELNS1_3gpuE3ELNS1_3repE0EEENS1_30default_config_static_selectorELNS0_4arch9wavefront6targetE0EEEvSS_.private_seg_size, 0
	.set _ZN7rocprim17ROCPRIM_400000_NS6detail17trampoline_kernelINS0_14default_configENS1_22reduce_config_selectorIbEEZNS1_11reduce_implILb1ES3_N6hipcub16HIPCUB_304000_NS22TransformInputIteratorIbN2at6native12_GLOBAL__N_19NonZeroOpIN3c104HalfEEEPKSF_lEEPiiNS8_6detail34convert_binary_result_type_wrapperINS8_3SumESJ_iEEEE10hipError_tPvRmT1_T2_T3_mT4_P12ihipStream_tbEUlT_E0_NS1_11comp_targetILNS1_3genE9ELNS1_11target_archE1100ELNS1_3gpuE3ELNS1_3repE0EEENS1_30default_config_static_selectorELNS0_4arch9wavefront6targetE0EEEvSS_.uses_vcc, 0
	.set _ZN7rocprim17ROCPRIM_400000_NS6detail17trampoline_kernelINS0_14default_configENS1_22reduce_config_selectorIbEEZNS1_11reduce_implILb1ES3_N6hipcub16HIPCUB_304000_NS22TransformInputIteratorIbN2at6native12_GLOBAL__N_19NonZeroOpIN3c104HalfEEEPKSF_lEEPiiNS8_6detail34convert_binary_result_type_wrapperINS8_3SumESJ_iEEEE10hipError_tPvRmT1_T2_T3_mT4_P12ihipStream_tbEUlT_E0_NS1_11comp_targetILNS1_3genE9ELNS1_11target_archE1100ELNS1_3gpuE3ELNS1_3repE0EEENS1_30default_config_static_selectorELNS0_4arch9wavefront6targetE0EEEvSS_.uses_flat_scratch, 0
	.set _ZN7rocprim17ROCPRIM_400000_NS6detail17trampoline_kernelINS0_14default_configENS1_22reduce_config_selectorIbEEZNS1_11reduce_implILb1ES3_N6hipcub16HIPCUB_304000_NS22TransformInputIteratorIbN2at6native12_GLOBAL__N_19NonZeroOpIN3c104HalfEEEPKSF_lEEPiiNS8_6detail34convert_binary_result_type_wrapperINS8_3SumESJ_iEEEE10hipError_tPvRmT1_T2_T3_mT4_P12ihipStream_tbEUlT_E0_NS1_11comp_targetILNS1_3genE9ELNS1_11target_archE1100ELNS1_3gpuE3ELNS1_3repE0EEENS1_30default_config_static_selectorELNS0_4arch9wavefront6targetE0EEEvSS_.has_dyn_sized_stack, 0
	.set _ZN7rocprim17ROCPRIM_400000_NS6detail17trampoline_kernelINS0_14default_configENS1_22reduce_config_selectorIbEEZNS1_11reduce_implILb1ES3_N6hipcub16HIPCUB_304000_NS22TransformInputIteratorIbN2at6native12_GLOBAL__N_19NonZeroOpIN3c104HalfEEEPKSF_lEEPiiNS8_6detail34convert_binary_result_type_wrapperINS8_3SumESJ_iEEEE10hipError_tPvRmT1_T2_T3_mT4_P12ihipStream_tbEUlT_E0_NS1_11comp_targetILNS1_3genE9ELNS1_11target_archE1100ELNS1_3gpuE3ELNS1_3repE0EEENS1_30default_config_static_selectorELNS0_4arch9wavefront6targetE0EEEvSS_.has_recursion, 0
	.set _ZN7rocprim17ROCPRIM_400000_NS6detail17trampoline_kernelINS0_14default_configENS1_22reduce_config_selectorIbEEZNS1_11reduce_implILb1ES3_N6hipcub16HIPCUB_304000_NS22TransformInputIteratorIbN2at6native12_GLOBAL__N_19NonZeroOpIN3c104HalfEEEPKSF_lEEPiiNS8_6detail34convert_binary_result_type_wrapperINS8_3SumESJ_iEEEE10hipError_tPvRmT1_T2_T3_mT4_P12ihipStream_tbEUlT_E0_NS1_11comp_targetILNS1_3genE9ELNS1_11target_archE1100ELNS1_3gpuE3ELNS1_3repE0EEENS1_30default_config_static_selectorELNS0_4arch9wavefront6targetE0EEEvSS_.has_indirect_call, 0
	.section	.AMDGPU.csdata,"",@progbits
; Kernel info:
; codeLenInByte = 0
; TotalNumSgprs: 0
; NumVgprs: 0
; ScratchSize: 0
; MemoryBound: 0
; FloatMode: 240
; IeeeMode: 1
; LDSByteSize: 0 bytes/workgroup (compile time only)
; SGPRBlocks: 0
; VGPRBlocks: 0
; NumSGPRsForWavesPerEU: 1
; NumVGPRsForWavesPerEU: 1
; Occupancy: 16
; WaveLimiterHint : 0
; COMPUTE_PGM_RSRC2:SCRATCH_EN: 0
; COMPUTE_PGM_RSRC2:USER_SGPR: 2
; COMPUTE_PGM_RSRC2:TRAP_HANDLER: 0
; COMPUTE_PGM_RSRC2:TGID_X_EN: 1
; COMPUTE_PGM_RSRC2:TGID_Y_EN: 0
; COMPUTE_PGM_RSRC2:TGID_Z_EN: 0
; COMPUTE_PGM_RSRC2:TIDIG_COMP_CNT: 0
	.section	.text._ZN7rocprim17ROCPRIM_400000_NS6detail17trampoline_kernelINS0_14default_configENS1_22reduce_config_selectorIbEEZNS1_11reduce_implILb1ES3_N6hipcub16HIPCUB_304000_NS22TransformInputIteratorIbN2at6native12_GLOBAL__N_19NonZeroOpIN3c104HalfEEEPKSF_lEEPiiNS8_6detail34convert_binary_result_type_wrapperINS8_3SumESJ_iEEEE10hipError_tPvRmT1_T2_T3_mT4_P12ihipStream_tbEUlT_E0_NS1_11comp_targetILNS1_3genE8ELNS1_11target_archE1030ELNS1_3gpuE2ELNS1_3repE0EEENS1_30default_config_static_selectorELNS0_4arch9wavefront6targetE0EEEvSS_,"axG",@progbits,_ZN7rocprim17ROCPRIM_400000_NS6detail17trampoline_kernelINS0_14default_configENS1_22reduce_config_selectorIbEEZNS1_11reduce_implILb1ES3_N6hipcub16HIPCUB_304000_NS22TransformInputIteratorIbN2at6native12_GLOBAL__N_19NonZeroOpIN3c104HalfEEEPKSF_lEEPiiNS8_6detail34convert_binary_result_type_wrapperINS8_3SumESJ_iEEEE10hipError_tPvRmT1_T2_T3_mT4_P12ihipStream_tbEUlT_E0_NS1_11comp_targetILNS1_3genE8ELNS1_11target_archE1030ELNS1_3gpuE2ELNS1_3repE0EEENS1_30default_config_static_selectorELNS0_4arch9wavefront6targetE0EEEvSS_,comdat
	.globl	_ZN7rocprim17ROCPRIM_400000_NS6detail17trampoline_kernelINS0_14default_configENS1_22reduce_config_selectorIbEEZNS1_11reduce_implILb1ES3_N6hipcub16HIPCUB_304000_NS22TransformInputIteratorIbN2at6native12_GLOBAL__N_19NonZeroOpIN3c104HalfEEEPKSF_lEEPiiNS8_6detail34convert_binary_result_type_wrapperINS8_3SumESJ_iEEEE10hipError_tPvRmT1_T2_T3_mT4_P12ihipStream_tbEUlT_E0_NS1_11comp_targetILNS1_3genE8ELNS1_11target_archE1030ELNS1_3gpuE2ELNS1_3repE0EEENS1_30default_config_static_selectorELNS0_4arch9wavefront6targetE0EEEvSS_ ; -- Begin function _ZN7rocprim17ROCPRIM_400000_NS6detail17trampoline_kernelINS0_14default_configENS1_22reduce_config_selectorIbEEZNS1_11reduce_implILb1ES3_N6hipcub16HIPCUB_304000_NS22TransformInputIteratorIbN2at6native12_GLOBAL__N_19NonZeroOpIN3c104HalfEEEPKSF_lEEPiiNS8_6detail34convert_binary_result_type_wrapperINS8_3SumESJ_iEEEE10hipError_tPvRmT1_T2_T3_mT4_P12ihipStream_tbEUlT_E0_NS1_11comp_targetILNS1_3genE8ELNS1_11target_archE1030ELNS1_3gpuE2ELNS1_3repE0EEENS1_30default_config_static_selectorELNS0_4arch9wavefront6targetE0EEEvSS_
	.p2align	8
	.type	_ZN7rocprim17ROCPRIM_400000_NS6detail17trampoline_kernelINS0_14default_configENS1_22reduce_config_selectorIbEEZNS1_11reduce_implILb1ES3_N6hipcub16HIPCUB_304000_NS22TransformInputIteratorIbN2at6native12_GLOBAL__N_19NonZeroOpIN3c104HalfEEEPKSF_lEEPiiNS8_6detail34convert_binary_result_type_wrapperINS8_3SumESJ_iEEEE10hipError_tPvRmT1_T2_T3_mT4_P12ihipStream_tbEUlT_E0_NS1_11comp_targetILNS1_3genE8ELNS1_11target_archE1030ELNS1_3gpuE2ELNS1_3repE0EEENS1_30default_config_static_selectorELNS0_4arch9wavefront6targetE0EEEvSS_,@function
_ZN7rocprim17ROCPRIM_400000_NS6detail17trampoline_kernelINS0_14default_configENS1_22reduce_config_selectorIbEEZNS1_11reduce_implILb1ES3_N6hipcub16HIPCUB_304000_NS22TransformInputIteratorIbN2at6native12_GLOBAL__N_19NonZeroOpIN3c104HalfEEEPKSF_lEEPiiNS8_6detail34convert_binary_result_type_wrapperINS8_3SumESJ_iEEEE10hipError_tPvRmT1_T2_T3_mT4_P12ihipStream_tbEUlT_E0_NS1_11comp_targetILNS1_3genE8ELNS1_11target_archE1030ELNS1_3gpuE2ELNS1_3repE0EEENS1_30default_config_static_selectorELNS0_4arch9wavefront6targetE0EEEvSS_: ; @_ZN7rocprim17ROCPRIM_400000_NS6detail17trampoline_kernelINS0_14default_configENS1_22reduce_config_selectorIbEEZNS1_11reduce_implILb1ES3_N6hipcub16HIPCUB_304000_NS22TransformInputIteratorIbN2at6native12_GLOBAL__N_19NonZeroOpIN3c104HalfEEEPKSF_lEEPiiNS8_6detail34convert_binary_result_type_wrapperINS8_3SumESJ_iEEEE10hipError_tPvRmT1_T2_T3_mT4_P12ihipStream_tbEUlT_E0_NS1_11comp_targetILNS1_3genE8ELNS1_11target_archE1030ELNS1_3gpuE2ELNS1_3repE0EEENS1_30default_config_static_selectorELNS0_4arch9wavefront6targetE0EEEvSS_
; %bb.0:
	.section	.rodata,"a",@progbits
	.p2align	6, 0x0
	.amdhsa_kernel _ZN7rocprim17ROCPRIM_400000_NS6detail17trampoline_kernelINS0_14default_configENS1_22reduce_config_selectorIbEEZNS1_11reduce_implILb1ES3_N6hipcub16HIPCUB_304000_NS22TransformInputIteratorIbN2at6native12_GLOBAL__N_19NonZeroOpIN3c104HalfEEEPKSF_lEEPiiNS8_6detail34convert_binary_result_type_wrapperINS8_3SumESJ_iEEEE10hipError_tPvRmT1_T2_T3_mT4_P12ihipStream_tbEUlT_E0_NS1_11comp_targetILNS1_3genE8ELNS1_11target_archE1030ELNS1_3gpuE2ELNS1_3repE0EEENS1_30default_config_static_selectorELNS0_4arch9wavefront6targetE0EEEvSS_
		.amdhsa_group_segment_fixed_size 0
		.amdhsa_private_segment_fixed_size 0
		.amdhsa_kernarg_size 64
		.amdhsa_user_sgpr_count 2
		.amdhsa_user_sgpr_dispatch_ptr 0
		.amdhsa_user_sgpr_queue_ptr 0
		.amdhsa_user_sgpr_kernarg_segment_ptr 1
		.amdhsa_user_sgpr_dispatch_id 0
		.amdhsa_user_sgpr_private_segment_size 0
		.amdhsa_wavefront_size32 1
		.amdhsa_uses_dynamic_stack 0
		.amdhsa_enable_private_segment 0
		.amdhsa_system_sgpr_workgroup_id_x 1
		.amdhsa_system_sgpr_workgroup_id_y 0
		.amdhsa_system_sgpr_workgroup_id_z 0
		.amdhsa_system_sgpr_workgroup_info 0
		.amdhsa_system_vgpr_workitem_id 0
		.amdhsa_next_free_vgpr 1
		.amdhsa_next_free_sgpr 1
		.amdhsa_reserve_vcc 0
		.amdhsa_float_round_mode_32 0
		.amdhsa_float_round_mode_16_64 0
		.amdhsa_float_denorm_mode_32 3
		.amdhsa_float_denorm_mode_16_64 3
		.amdhsa_fp16_overflow 0
		.amdhsa_workgroup_processor_mode 1
		.amdhsa_memory_ordered 1
		.amdhsa_forward_progress 1
		.amdhsa_inst_pref_size 0
		.amdhsa_round_robin_scheduling 0
		.amdhsa_exception_fp_ieee_invalid_op 0
		.amdhsa_exception_fp_denorm_src 0
		.amdhsa_exception_fp_ieee_div_zero 0
		.amdhsa_exception_fp_ieee_overflow 0
		.amdhsa_exception_fp_ieee_underflow 0
		.amdhsa_exception_fp_ieee_inexact 0
		.amdhsa_exception_int_div_zero 0
	.end_amdhsa_kernel
	.section	.text._ZN7rocprim17ROCPRIM_400000_NS6detail17trampoline_kernelINS0_14default_configENS1_22reduce_config_selectorIbEEZNS1_11reduce_implILb1ES3_N6hipcub16HIPCUB_304000_NS22TransformInputIteratorIbN2at6native12_GLOBAL__N_19NonZeroOpIN3c104HalfEEEPKSF_lEEPiiNS8_6detail34convert_binary_result_type_wrapperINS8_3SumESJ_iEEEE10hipError_tPvRmT1_T2_T3_mT4_P12ihipStream_tbEUlT_E0_NS1_11comp_targetILNS1_3genE8ELNS1_11target_archE1030ELNS1_3gpuE2ELNS1_3repE0EEENS1_30default_config_static_selectorELNS0_4arch9wavefront6targetE0EEEvSS_,"axG",@progbits,_ZN7rocprim17ROCPRIM_400000_NS6detail17trampoline_kernelINS0_14default_configENS1_22reduce_config_selectorIbEEZNS1_11reduce_implILb1ES3_N6hipcub16HIPCUB_304000_NS22TransformInputIteratorIbN2at6native12_GLOBAL__N_19NonZeroOpIN3c104HalfEEEPKSF_lEEPiiNS8_6detail34convert_binary_result_type_wrapperINS8_3SumESJ_iEEEE10hipError_tPvRmT1_T2_T3_mT4_P12ihipStream_tbEUlT_E0_NS1_11comp_targetILNS1_3genE8ELNS1_11target_archE1030ELNS1_3gpuE2ELNS1_3repE0EEENS1_30default_config_static_selectorELNS0_4arch9wavefront6targetE0EEEvSS_,comdat
.Lfunc_end856:
	.size	_ZN7rocprim17ROCPRIM_400000_NS6detail17trampoline_kernelINS0_14default_configENS1_22reduce_config_selectorIbEEZNS1_11reduce_implILb1ES3_N6hipcub16HIPCUB_304000_NS22TransformInputIteratorIbN2at6native12_GLOBAL__N_19NonZeroOpIN3c104HalfEEEPKSF_lEEPiiNS8_6detail34convert_binary_result_type_wrapperINS8_3SumESJ_iEEEE10hipError_tPvRmT1_T2_T3_mT4_P12ihipStream_tbEUlT_E0_NS1_11comp_targetILNS1_3genE8ELNS1_11target_archE1030ELNS1_3gpuE2ELNS1_3repE0EEENS1_30default_config_static_selectorELNS0_4arch9wavefront6targetE0EEEvSS_, .Lfunc_end856-_ZN7rocprim17ROCPRIM_400000_NS6detail17trampoline_kernelINS0_14default_configENS1_22reduce_config_selectorIbEEZNS1_11reduce_implILb1ES3_N6hipcub16HIPCUB_304000_NS22TransformInputIteratorIbN2at6native12_GLOBAL__N_19NonZeroOpIN3c104HalfEEEPKSF_lEEPiiNS8_6detail34convert_binary_result_type_wrapperINS8_3SumESJ_iEEEE10hipError_tPvRmT1_T2_T3_mT4_P12ihipStream_tbEUlT_E0_NS1_11comp_targetILNS1_3genE8ELNS1_11target_archE1030ELNS1_3gpuE2ELNS1_3repE0EEENS1_30default_config_static_selectorELNS0_4arch9wavefront6targetE0EEEvSS_
                                        ; -- End function
	.set _ZN7rocprim17ROCPRIM_400000_NS6detail17trampoline_kernelINS0_14default_configENS1_22reduce_config_selectorIbEEZNS1_11reduce_implILb1ES3_N6hipcub16HIPCUB_304000_NS22TransformInputIteratorIbN2at6native12_GLOBAL__N_19NonZeroOpIN3c104HalfEEEPKSF_lEEPiiNS8_6detail34convert_binary_result_type_wrapperINS8_3SumESJ_iEEEE10hipError_tPvRmT1_T2_T3_mT4_P12ihipStream_tbEUlT_E0_NS1_11comp_targetILNS1_3genE8ELNS1_11target_archE1030ELNS1_3gpuE2ELNS1_3repE0EEENS1_30default_config_static_selectorELNS0_4arch9wavefront6targetE0EEEvSS_.num_vgpr, 0
	.set _ZN7rocprim17ROCPRIM_400000_NS6detail17trampoline_kernelINS0_14default_configENS1_22reduce_config_selectorIbEEZNS1_11reduce_implILb1ES3_N6hipcub16HIPCUB_304000_NS22TransformInputIteratorIbN2at6native12_GLOBAL__N_19NonZeroOpIN3c104HalfEEEPKSF_lEEPiiNS8_6detail34convert_binary_result_type_wrapperINS8_3SumESJ_iEEEE10hipError_tPvRmT1_T2_T3_mT4_P12ihipStream_tbEUlT_E0_NS1_11comp_targetILNS1_3genE8ELNS1_11target_archE1030ELNS1_3gpuE2ELNS1_3repE0EEENS1_30default_config_static_selectorELNS0_4arch9wavefront6targetE0EEEvSS_.num_agpr, 0
	.set _ZN7rocprim17ROCPRIM_400000_NS6detail17trampoline_kernelINS0_14default_configENS1_22reduce_config_selectorIbEEZNS1_11reduce_implILb1ES3_N6hipcub16HIPCUB_304000_NS22TransformInputIteratorIbN2at6native12_GLOBAL__N_19NonZeroOpIN3c104HalfEEEPKSF_lEEPiiNS8_6detail34convert_binary_result_type_wrapperINS8_3SumESJ_iEEEE10hipError_tPvRmT1_T2_T3_mT4_P12ihipStream_tbEUlT_E0_NS1_11comp_targetILNS1_3genE8ELNS1_11target_archE1030ELNS1_3gpuE2ELNS1_3repE0EEENS1_30default_config_static_selectorELNS0_4arch9wavefront6targetE0EEEvSS_.numbered_sgpr, 0
	.set _ZN7rocprim17ROCPRIM_400000_NS6detail17trampoline_kernelINS0_14default_configENS1_22reduce_config_selectorIbEEZNS1_11reduce_implILb1ES3_N6hipcub16HIPCUB_304000_NS22TransformInputIteratorIbN2at6native12_GLOBAL__N_19NonZeroOpIN3c104HalfEEEPKSF_lEEPiiNS8_6detail34convert_binary_result_type_wrapperINS8_3SumESJ_iEEEE10hipError_tPvRmT1_T2_T3_mT4_P12ihipStream_tbEUlT_E0_NS1_11comp_targetILNS1_3genE8ELNS1_11target_archE1030ELNS1_3gpuE2ELNS1_3repE0EEENS1_30default_config_static_selectorELNS0_4arch9wavefront6targetE0EEEvSS_.num_named_barrier, 0
	.set _ZN7rocprim17ROCPRIM_400000_NS6detail17trampoline_kernelINS0_14default_configENS1_22reduce_config_selectorIbEEZNS1_11reduce_implILb1ES3_N6hipcub16HIPCUB_304000_NS22TransformInputIteratorIbN2at6native12_GLOBAL__N_19NonZeroOpIN3c104HalfEEEPKSF_lEEPiiNS8_6detail34convert_binary_result_type_wrapperINS8_3SumESJ_iEEEE10hipError_tPvRmT1_T2_T3_mT4_P12ihipStream_tbEUlT_E0_NS1_11comp_targetILNS1_3genE8ELNS1_11target_archE1030ELNS1_3gpuE2ELNS1_3repE0EEENS1_30default_config_static_selectorELNS0_4arch9wavefront6targetE0EEEvSS_.private_seg_size, 0
	.set _ZN7rocprim17ROCPRIM_400000_NS6detail17trampoline_kernelINS0_14default_configENS1_22reduce_config_selectorIbEEZNS1_11reduce_implILb1ES3_N6hipcub16HIPCUB_304000_NS22TransformInputIteratorIbN2at6native12_GLOBAL__N_19NonZeroOpIN3c104HalfEEEPKSF_lEEPiiNS8_6detail34convert_binary_result_type_wrapperINS8_3SumESJ_iEEEE10hipError_tPvRmT1_T2_T3_mT4_P12ihipStream_tbEUlT_E0_NS1_11comp_targetILNS1_3genE8ELNS1_11target_archE1030ELNS1_3gpuE2ELNS1_3repE0EEENS1_30default_config_static_selectorELNS0_4arch9wavefront6targetE0EEEvSS_.uses_vcc, 0
	.set _ZN7rocprim17ROCPRIM_400000_NS6detail17trampoline_kernelINS0_14default_configENS1_22reduce_config_selectorIbEEZNS1_11reduce_implILb1ES3_N6hipcub16HIPCUB_304000_NS22TransformInputIteratorIbN2at6native12_GLOBAL__N_19NonZeroOpIN3c104HalfEEEPKSF_lEEPiiNS8_6detail34convert_binary_result_type_wrapperINS8_3SumESJ_iEEEE10hipError_tPvRmT1_T2_T3_mT4_P12ihipStream_tbEUlT_E0_NS1_11comp_targetILNS1_3genE8ELNS1_11target_archE1030ELNS1_3gpuE2ELNS1_3repE0EEENS1_30default_config_static_selectorELNS0_4arch9wavefront6targetE0EEEvSS_.uses_flat_scratch, 0
	.set _ZN7rocprim17ROCPRIM_400000_NS6detail17trampoline_kernelINS0_14default_configENS1_22reduce_config_selectorIbEEZNS1_11reduce_implILb1ES3_N6hipcub16HIPCUB_304000_NS22TransformInputIteratorIbN2at6native12_GLOBAL__N_19NonZeroOpIN3c104HalfEEEPKSF_lEEPiiNS8_6detail34convert_binary_result_type_wrapperINS8_3SumESJ_iEEEE10hipError_tPvRmT1_T2_T3_mT4_P12ihipStream_tbEUlT_E0_NS1_11comp_targetILNS1_3genE8ELNS1_11target_archE1030ELNS1_3gpuE2ELNS1_3repE0EEENS1_30default_config_static_selectorELNS0_4arch9wavefront6targetE0EEEvSS_.has_dyn_sized_stack, 0
	.set _ZN7rocprim17ROCPRIM_400000_NS6detail17trampoline_kernelINS0_14default_configENS1_22reduce_config_selectorIbEEZNS1_11reduce_implILb1ES3_N6hipcub16HIPCUB_304000_NS22TransformInputIteratorIbN2at6native12_GLOBAL__N_19NonZeroOpIN3c104HalfEEEPKSF_lEEPiiNS8_6detail34convert_binary_result_type_wrapperINS8_3SumESJ_iEEEE10hipError_tPvRmT1_T2_T3_mT4_P12ihipStream_tbEUlT_E0_NS1_11comp_targetILNS1_3genE8ELNS1_11target_archE1030ELNS1_3gpuE2ELNS1_3repE0EEENS1_30default_config_static_selectorELNS0_4arch9wavefront6targetE0EEEvSS_.has_recursion, 0
	.set _ZN7rocprim17ROCPRIM_400000_NS6detail17trampoline_kernelINS0_14default_configENS1_22reduce_config_selectorIbEEZNS1_11reduce_implILb1ES3_N6hipcub16HIPCUB_304000_NS22TransformInputIteratorIbN2at6native12_GLOBAL__N_19NonZeroOpIN3c104HalfEEEPKSF_lEEPiiNS8_6detail34convert_binary_result_type_wrapperINS8_3SumESJ_iEEEE10hipError_tPvRmT1_T2_T3_mT4_P12ihipStream_tbEUlT_E0_NS1_11comp_targetILNS1_3genE8ELNS1_11target_archE1030ELNS1_3gpuE2ELNS1_3repE0EEENS1_30default_config_static_selectorELNS0_4arch9wavefront6targetE0EEEvSS_.has_indirect_call, 0
	.section	.AMDGPU.csdata,"",@progbits
; Kernel info:
; codeLenInByte = 0
; TotalNumSgprs: 0
; NumVgprs: 0
; ScratchSize: 0
; MemoryBound: 0
; FloatMode: 240
; IeeeMode: 1
; LDSByteSize: 0 bytes/workgroup (compile time only)
; SGPRBlocks: 0
; VGPRBlocks: 0
; NumSGPRsForWavesPerEU: 1
; NumVGPRsForWavesPerEU: 1
; Occupancy: 16
; WaveLimiterHint : 0
; COMPUTE_PGM_RSRC2:SCRATCH_EN: 0
; COMPUTE_PGM_RSRC2:USER_SGPR: 2
; COMPUTE_PGM_RSRC2:TRAP_HANDLER: 0
; COMPUTE_PGM_RSRC2:TGID_X_EN: 1
; COMPUTE_PGM_RSRC2:TGID_Y_EN: 0
; COMPUTE_PGM_RSRC2:TGID_Z_EN: 0
; COMPUTE_PGM_RSRC2:TIDIG_COMP_CNT: 0
	.section	.text._ZN7rocprim17ROCPRIM_400000_NS6detail17trampoline_kernelINS0_14default_configENS1_22reduce_config_selectorIbEEZNS1_11reduce_implILb1ES3_N6hipcub16HIPCUB_304000_NS22TransformInputIteratorIbN2at6native12_GLOBAL__N_19NonZeroOpIN3c104HalfEEEPKSF_lEEPiiNS8_6detail34convert_binary_result_type_wrapperINS8_3SumESJ_iEEEE10hipError_tPvRmT1_T2_T3_mT4_P12ihipStream_tbEUlT_E1_NS1_11comp_targetILNS1_3genE0ELNS1_11target_archE4294967295ELNS1_3gpuE0ELNS1_3repE0EEENS1_30default_config_static_selectorELNS0_4arch9wavefront6targetE0EEEvSS_,"axG",@progbits,_ZN7rocprim17ROCPRIM_400000_NS6detail17trampoline_kernelINS0_14default_configENS1_22reduce_config_selectorIbEEZNS1_11reduce_implILb1ES3_N6hipcub16HIPCUB_304000_NS22TransformInputIteratorIbN2at6native12_GLOBAL__N_19NonZeroOpIN3c104HalfEEEPKSF_lEEPiiNS8_6detail34convert_binary_result_type_wrapperINS8_3SumESJ_iEEEE10hipError_tPvRmT1_T2_T3_mT4_P12ihipStream_tbEUlT_E1_NS1_11comp_targetILNS1_3genE0ELNS1_11target_archE4294967295ELNS1_3gpuE0ELNS1_3repE0EEENS1_30default_config_static_selectorELNS0_4arch9wavefront6targetE0EEEvSS_,comdat
	.globl	_ZN7rocprim17ROCPRIM_400000_NS6detail17trampoline_kernelINS0_14default_configENS1_22reduce_config_selectorIbEEZNS1_11reduce_implILb1ES3_N6hipcub16HIPCUB_304000_NS22TransformInputIteratorIbN2at6native12_GLOBAL__N_19NonZeroOpIN3c104HalfEEEPKSF_lEEPiiNS8_6detail34convert_binary_result_type_wrapperINS8_3SumESJ_iEEEE10hipError_tPvRmT1_T2_T3_mT4_P12ihipStream_tbEUlT_E1_NS1_11comp_targetILNS1_3genE0ELNS1_11target_archE4294967295ELNS1_3gpuE0ELNS1_3repE0EEENS1_30default_config_static_selectorELNS0_4arch9wavefront6targetE0EEEvSS_ ; -- Begin function _ZN7rocprim17ROCPRIM_400000_NS6detail17trampoline_kernelINS0_14default_configENS1_22reduce_config_selectorIbEEZNS1_11reduce_implILb1ES3_N6hipcub16HIPCUB_304000_NS22TransformInputIteratorIbN2at6native12_GLOBAL__N_19NonZeroOpIN3c104HalfEEEPKSF_lEEPiiNS8_6detail34convert_binary_result_type_wrapperINS8_3SumESJ_iEEEE10hipError_tPvRmT1_T2_T3_mT4_P12ihipStream_tbEUlT_E1_NS1_11comp_targetILNS1_3genE0ELNS1_11target_archE4294967295ELNS1_3gpuE0ELNS1_3repE0EEENS1_30default_config_static_selectorELNS0_4arch9wavefront6targetE0EEEvSS_
	.p2align	8
	.type	_ZN7rocprim17ROCPRIM_400000_NS6detail17trampoline_kernelINS0_14default_configENS1_22reduce_config_selectorIbEEZNS1_11reduce_implILb1ES3_N6hipcub16HIPCUB_304000_NS22TransformInputIteratorIbN2at6native12_GLOBAL__N_19NonZeroOpIN3c104HalfEEEPKSF_lEEPiiNS8_6detail34convert_binary_result_type_wrapperINS8_3SumESJ_iEEEE10hipError_tPvRmT1_T2_T3_mT4_P12ihipStream_tbEUlT_E1_NS1_11comp_targetILNS1_3genE0ELNS1_11target_archE4294967295ELNS1_3gpuE0ELNS1_3repE0EEENS1_30default_config_static_selectorELNS0_4arch9wavefront6targetE0EEEvSS_,@function
_ZN7rocprim17ROCPRIM_400000_NS6detail17trampoline_kernelINS0_14default_configENS1_22reduce_config_selectorIbEEZNS1_11reduce_implILb1ES3_N6hipcub16HIPCUB_304000_NS22TransformInputIteratorIbN2at6native12_GLOBAL__N_19NonZeroOpIN3c104HalfEEEPKSF_lEEPiiNS8_6detail34convert_binary_result_type_wrapperINS8_3SumESJ_iEEEE10hipError_tPvRmT1_T2_T3_mT4_P12ihipStream_tbEUlT_E1_NS1_11comp_targetILNS1_3genE0ELNS1_11target_archE4294967295ELNS1_3gpuE0ELNS1_3repE0EEENS1_30default_config_static_selectorELNS0_4arch9wavefront6targetE0EEEvSS_: ; @_ZN7rocprim17ROCPRIM_400000_NS6detail17trampoline_kernelINS0_14default_configENS1_22reduce_config_selectorIbEEZNS1_11reduce_implILb1ES3_N6hipcub16HIPCUB_304000_NS22TransformInputIteratorIbN2at6native12_GLOBAL__N_19NonZeroOpIN3c104HalfEEEPKSF_lEEPiiNS8_6detail34convert_binary_result_type_wrapperINS8_3SumESJ_iEEEE10hipError_tPvRmT1_T2_T3_mT4_P12ihipStream_tbEUlT_E1_NS1_11comp_targetILNS1_3genE0ELNS1_11target_archE4294967295ELNS1_3gpuE0ELNS1_3repE0EEENS1_30default_config_static_selectorELNS0_4arch9wavefront6targetE0EEEvSS_
; %bb.0:
	.section	.rodata,"a",@progbits
	.p2align	6, 0x0
	.amdhsa_kernel _ZN7rocprim17ROCPRIM_400000_NS6detail17trampoline_kernelINS0_14default_configENS1_22reduce_config_selectorIbEEZNS1_11reduce_implILb1ES3_N6hipcub16HIPCUB_304000_NS22TransformInputIteratorIbN2at6native12_GLOBAL__N_19NonZeroOpIN3c104HalfEEEPKSF_lEEPiiNS8_6detail34convert_binary_result_type_wrapperINS8_3SumESJ_iEEEE10hipError_tPvRmT1_T2_T3_mT4_P12ihipStream_tbEUlT_E1_NS1_11comp_targetILNS1_3genE0ELNS1_11target_archE4294967295ELNS1_3gpuE0ELNS1_3repE0EEENS1_30default_config_static_selectorELNS0_4arch9wavefront6targetE0EEEvSS_
		.amdhsa_group_segment_fixed_size 0
		.amdhsa_private_segment_fixed_size 0
		.amdhsa_kernarg_size 48
		.amdhsa_user_sgpr_count 2
		.amdhsa_user_sgpr_dispatch_ptr 0
		.amdhsa_user_sgpr_queue_ptr 0
		.amdhsa_user_sgpr_kernarg_segment_ptr 1
		.amdhsa_user_sgpr_dispatch_id 0
		.amdhsa_user_sgpr_private_segment_size 0
		.amdhsa_wavefront_size32 1
		.amdhsa_uses_dynamic_stack 0
		.amdhsa_enable_private_segment 0
		.amdhsa_system_sgpr_workgroup_id_x 1
		.amdhsa_system_sgpr_workgroup_id_y 0
		.amdhsa_system_sgpr_workgroup_id_z 0
		.amdhsa_system_sgpr_workgroup_info 0
		.amdhsa_system_vgpr_workitem_id 0
		.amdhsa_next_free_vgpr 1
		.amdhsa_next_free_sgpr 1
		.amdhsa_reserve_vcc 0
		.amdhsa_float_round_mode_32 0
		.amdhsa_float_round_mode_16_64 0
		.amdhsa_float_denorm_mode_32 3
		.amdhsa_float_denorm_mode_16_64 3
		.amdhsa_fp16_overflow 0
		.amdhsa_workgroup_processor_mode 1
		.amdhsa_memory_ordered 1
		.amdhsa_forward_progress 1
		.amdhsa_inst_pref_size 0
		.amdhsa_round_robin_scheduling 0
		.amdhsa_exception_fp_ieee_invalid_op 0
		.amdhsa_exception_fp_denorm_src 0
		.amdhsa_exception_fp_ieee_div_zero 0
		.amdhsa_exception_fp_ieee_overflow 0
		.amdhsa_exception_fp_ieee_underflow 0
		.amdhsa_exception_fp_ieee_inexact 0
		.amdhsa_exception_int_div_zero 0
	.end_amdhsa_kernel
	.section	.text._ZN7rocprim17ROCPRIM_400000_NS6detail17trampoline_kernelINS0_14default_configENS1_22reduce_config_selectorIbEEZNS1_11reduce_implILb1ES3_N6hipcub16HIPCUB_304000_NS22TransformInputIteratorIbN2at6native12_GLOBAL__N_19NonZeroOpIN3c104HalfEEEPKSF_lEEPiiNS8_6detail34convert_binary_result_type_wrapperINS8_3SumESJ_iEEEE10hipError_tPvRmT1_T2_T3_mT4_P12ihipStream_tbEUlT_E1_NS1_11comp_targetILNS1_3genE0ELNS1_11target_archE4294967295ELNS1_3gpuE0ELNS1_3repE0EEENS1_30default_config_static_selectorELNS0_4arch9wavefront6targetE0EEEvSS_,"axG",@progbits,_ZN7rocprim17ROCPRIM_400000_NS6detail17trampoline_kernelINS0_14default_configENS1_22reduce_config_selectorIbEEZNS1_11reduce_implILb1ES3_N6hipcub16HIPCUB_304000_NS22TransformInputIteratorIbN2at6native12_GLOBAL__N_19NonZeroOpIN3c104HalfEEEPKSF_lEEPiiNS8_6detail34convert_binary_result_type_wrapperINS8_3SumESJ_iEEEE10hipError_tPvRmT1_T2_T3_mT4_P12ihipStream_tbEUlT_E1_NS1_11comp_targetILNS1_3genE0ELNS1_11target_archE4294967295ELNS1_3gpuE0ELNS1_3repE0EEENS1_30default_config_static_selectorELNS0_4arch9wavefront6targetE0EEEvSS_,comdat
.Lfunc_end857:
	.size	_ZN7rocprim17ROCPRIM_400000_NS6detail17trampoline_kernelINS0_14default_configENS1_22reduce_config_selectorIbEEZNS1_11reduce_implILb1ES3_N6hipcub16HIPCUB_304000_NS22TransformInputIteratorIbN2at6native12_GLOBAL__N_19NonZeroOpIN3c104HalfEEEPKSF_lEEPiiNS8_6detail34convert_binary_result_type_wrapperINS8_3SumESJ_iEEEE10hipError_tPvRmT1_T2_T3_mT4_P12ihipStream_tbEUlT_E1_NS1_11comp_targetILNS1_3genE0ELNS1_11target_archE4294967295ELNS1_3gpuE0ELNS1_3repE0EEENS1_30default_config_static_selectorELNS0_4arch9wavefront6targetE0EEEvSS_, .Lfunc_end857-_ZN7rocprim17ROCPRIM_400000_NS6detail17trampoline_kernelINS0_14default_configENS1_22reduce_config_selectorIbEEZNS1_11reduce_implILb1ES3_N6hipcub16HIPCUB_304000_NS22TransformInputIteratorIbN2at6native12_GLOBAL__N_19NonZeroOpIN3c104HalfEEEPKSF_lEEPiiNS8_6detail34convert_binary_result_type_wrapperINS8_3SumESJ_iEEEE10hipError_tPvRmT1_T2_T3_mT4_P12ihipStream_tbEUlT_E1_NS1_11comp_targetILNS1_3genE0ELNS1_11target_archE4294967295ELNS1_3gpuE0ELNS1_3repE0EEENS1_30default_config_static_selectorELNS0_4arch9wavefront6targetE0EEEvSS_
                                        ; -- End function
	.set _ZN7rocprim17ROCPRIM_400000_NS6detail17trampoline_kernelINS0_14default_configENS1_22reduce_config_selectorIbEEZNS1_11reduce_implILb1ES3_N6hipcub16HIPCUB_304000_NS22TransformInputIteratorIbN2at6native12_GLOBAL__N_19NonZeroOpIN3c104HalfEEEPKSF_lEEPiiNS8_6detail34convert_binary_result_type_wrapperINS8_3SumESJ_iEEEE10hipError_tPvRmT1_T2_T3_mT4_P12ihipStream_tbEUlT_E1_NS1_11comp_targetILNS1_3genE0ELNS1_11target_archE4294967295ELNS1_3gpuE0ELNS1_3repE0EEENS1_30default_config_static_selectorELNS0_4arch9wavefront6targetE0EEEvSS_.num_vgpr, 0
	.set _ZN7rocprim17ROCPRIM_400000_NS6detail17trampoline_kernelINS0_14default_configENS1_22reduce_config_selectorIbEEZNS1_11reduce_implILb1ES3_N6hipcub16HIPCUB_304000_NS22TransformInputIteratorIbN2at6native12_GLOBAL__N_19NonZeroOpIN3c104HalfEEEPKSF_lEEPiiNS8_6detail34convert_binary_result_type_wrapperINS8_3SumESJ_iEEEE10hipError_tPvRmT1_T2_T3_mT4_P12ihipStream_tbEUlT_E1_NS1_11comp_targetILNS1_3genE0ELNS1_11target_archE4294967295ELNS1_3gpuE0ELNS1_3repE0EEENS1_30default_config_static_selectorELNS0_4arch9wavefront6targetE0EEEvSS_.num_agpr, 0
	.set _ZN7rocprim17ROCPRIM_400000_NS6detail17trampoline_kernelINS0_14default_configENS1_22reduce_config_selectorIbEEZNS1_11reduce_implILb1ES3_N6hipcub16HIPCUB_304000_NS22TransformInputIteratorIbN2at6native12_GLOBAL__N_19NonZeroOpIN3c104HalfEEEPKSF_lEEPiiNS8_6detail34convert_binary_result_type_wrapperINS8_3SumESJ_iEEEE10hipError_tPvRmT1_T2_T3_mT4_P12ihipStream_tbEUlT_E1_NS1_11comp_targetILNS1_3genE0ELNS1_11target_archE4294967295ELNS1_3gpuE0ELNS1_3repE0EEENS1_30default_config_static_selectorELNS0_4arch9wavefront6targetE0EEEvSS_.numbered_sgpr, 0
	.set _ZN7rocprim17ROCPRIM_400000_NS6detail17trampoline_kernelINS0_14default_configENS1_22reduce_config_selectorIbEEZNS1_11reduce_implILb1ES3_N6hipcub16HIPCUB_304000_NS22TransformInputIteratorIbN2at6native12_GLOBAL__N_19NonZeroOpIN3c104HalfEEEPKSF_lEEPiiNS8_6detail34convert_binary_result_type_wrapperINS8_3SumESJ_iEEEE10hipError_tPvRmT1_T2_T3_mT4_P12ihipStream_tbEUlT_E1_NS1_11comp_targetILNS1_3genE0ELNS1_11target_archE4294967295ELNS1_3gpuE0ELNS1_3repE0EEENS1_30default_config_static_selectorELNS0_4arch9wavefront6targetE0EEEvSS_.num_named_barrier, 0
	.set _ZN7rocprim17ROCPRIM_400000_NS6detail17trampoline_kernelINS0_14default_configENS1_22reduce_config_selectorIbEEZNS1_11reduce_implILb1ES3_N6hipcub16HIPCUB_304000_NS22TransformInputIteratorIbN2at6native12_GLOBAL__N_19NonZeroOpIN3c104HalfEEEPKSF_lEEPiiNS8_6detail34convert_binary_result_type_wrapperINS8_3SumESJ_iEEEE10hipError_tPvRmT1_T2_T3_mT4_P12ihipStream_tbEUlT_E1_NS1_11comp_targetILNS1_3genE0ELNS1_11target_archE4294967295ELNS1_3gpuE0ELNS1_3repE0EEENS1_30default_config_static_selectorELNS0_4arch9wavefront6targetE0EEEvSS_.private_seg_size, 0
	.set _ZN7rocprim17ROCPRIM_400000_NS6detail17trampoline_kernelINS0_14default_configENS1_22reduce_config_selectorIbEEZNS1_11reduce_implILb1ES3_N6hipcub16HIPCUB_304000_NS22TransformInputIteratorIbN2at6native12_GLOBAL__N_19NonZeroOpIN3c104HalfEEEPKSF_lEEPiiNS8_6detail34convert_binary_result_type_wrapperINS8_3SumESJ_iEEEE10hipError_tPvRmT1_T2_T3_mT4_P12ihipStream_tbEUlT_E1_NS1_11comp_targetILNS1_3genE0ELNS1_11target_archE4294967295ELNS1_3gpuE0ELNS1_3repE0EEENS1_30default_config_static_selectorELNS0_4arch9wavefront6targetE0EEEvSS_.uses_vcc, 0
	.set _ZN7rocprim17ROCPRIM_400000_NS6detail17trampoline_kernelINS0_14default_configENS1_22reduce_config_selectorIbEEZNS1_11reduce_implILb1ES3_N6hipcub16HIPCUB_304000_NS22TransformInputIteratorIbN2at6native12_GLOBAL__N_19NonZeroOpIN3c104HalfEEEPKSF_lEEPiiNS8_6detail34convert_binary_result_type_wrapperINS8_3SumESJ_iEEEE10hipError_tPvRmT1_T2_T3_mT4_P12ihipStream_tbEUlT_E1_NS1_11comp_targetILNS1_3genE0ELNS1_11target_archE4294967295ELNS1_3gpuE0ELNS1_3repE0EEENS1_30default_config_static_selectorELNS0_4arch9wavefront6targetE0EEEvSS_.uses_flat_scratch, 0
	.set _ZN7rocprim17ROCPRIM_400000_NS6detail17trampoline_kernelINS0_14default_configENS1_22reduce_config_selectorIbEEZNS1_11reduce_implILb1ES3_N6hipcub16HIPCUB_304000_NS22TransformInputIteratorIbN2at6native12_GLOBAL__N_19NonZeroOpIN3c104HalfEEEPKSF_lEEPiiNS8_6detail34convert_binary_result_type_wrapperINS8_3SumESJ_iEEEE10hipError_tPvRmT1_T2_T3_mT4_P12ihipStream_tbEUlT_E1_NS1_11comp_targetILNS1_3genE0ELNS1_11target_archE4294967295ELNS1_3gpuE0ELNS1_3repE0EEENS1_30default_config_static_selectorELNS0_4arch9wavefront6targetE0EEEvSS_.has_dyn_sized_stack, 0
	.set _ZN7rocprim17ROCPRIM_400000_NS6detail17trampoline_kernelINS0_14default_configENS1_22reduce_config_selectorIbEEZNS1_11reduce_implILb1ES3_N6hipcub16HIPCUB_304000_NS22TransformInputIteratorIbN2at6native12_GLOBAL__N_19NonZeroOpIN3c104HalfEEEPKSF_lEEPiiNS8_6detail34convert_binary_result_type_wrapperINS8_3SumESJ_iEEEE10hipError_tPvRmT1_T2_T3_mT4_P12ihipStream_tbEUlT_E1_NS1_11comp_targetILNS1_3genE0ELNS1_11target_archE4294967295ELNS1_3gpuE0ELNS1_3repE0EEENS1_30default_config_static_selectorELNS0_4arch9wavefront6targetE0EEEvSS_.has_recursion, 0
	.set _ZN7rocprim17ROCPRIM_400000_NS6detail17trampoline_kernelINS0_14default_configENS1_22reduce_config_selectorIbEEZNS1_11reduce_implILb1ES3_N6hipcub16HIPCUB_304000_NS22TransformInputIteratorIbN2at6native12_GLOBAL__N_19NonZeroOpIN3c104HalfEEEPKSF_lEEPiiNS8_6detail34convert_binary_result_type_wrapperINS8_3SumESJ_iEEEE10hipError_tPvRmT1_T2_T3_mT4_P12ihipStream_tbEUlT_E1_NS1_11comp_targetILNS1_3genE0ELNS1_11target_archE4294967295ELNS1_3gpuE0ELNS1_3repE0EEENS1_30default_config_static_selectorELNS0_4arch9wavefront6targetE0EEEvSS_.has_indirect_call, 0
	.section	.AMDGPU.csdata,"",@progbits
; Kernel info:
; codeLenInByte = 0
; TotalNumSgprs: 0
; NumVgprs: 0
; ScratchSize: 0
; MemoryBound: 0
; FloatMode: 240
; IeeeMode: 1
; LDSByteSize: 0 bytes/workgroup (compile time only)
; SGPRBlocks: 0
; VGPRBlocks: 0
; NumSGPRsForWavesPerEU: 1
; NumVGPRsForWavesPerEU: 1
; Occupancy: 16
; WaveLimiterHint : 0
; COMPUTE_PGM_RSRC2:SCRATCH_EN: 0
; COMPUTE_PGM_RSRC2:USER_SGPR: 2
; COMPUTE_PGM_RSRC2:TRAP_HANDLER: 0
; COMPUTE_PGM_RSRC2:TGID_X_EN: 1
; COMPUTE_PGM_RSRC2:TGID_Y_EN: 0
; COMPUTE_PGM_RSRC2:TGID_Z_EN: 0
; COMPUTE_PGM_RSRC2:TIDIG_COMP_CNT: 0
	.section	.text._ZN7rocprim17ROCPRIM_400000_NS6detail17trampoline_kernelINS0_14default_configENS1_22reduce_config_selectorIbEEZNS1_11reduce_implILb1ES3_N6hipcub16HIPCUB_304000_NS22TransformInputIteratorIbN2at6native12_GLOBAL__N_19NonZeroOpIN3c104HalfEEEPKSF_lEEPiiNS8_6detail34convert_binary_result_type_wrapperINS8_3SumESJ_iEEEE10hipError_tPvRmT1_T2_T3_mT4_P12ihipStream_tbEUlT_E1_NS1_11comp_targetILNS1_3genE5ELNS1_11target_archE942ELNS1_3gpuE9ELNS1_3repE0EEENS1_30default_config_static_selectorELNS0_4arch9wavefront6targetE0EEEvSS_,"axG",@progbits,_ZN7rocprim17ROCPRIM_400000_NS6detail17trampoline_kernelINS0_14default_configENS1_22reduce_config_selectorIbEEZNS1_11reduce_implILb1ES3_N6hipcub16HIPCUB_304000_NS22TransformInputIteratorIbN2at6native12_GLOBAL__N_19NonZeroOpIN3c104HalfEEEPKSF_lEEPiiNS8_6detail34convert_binary_result_type_wrapperINS8_3SumESJ_iEEEE10hipError_tPvRmT1_T2_T3_mT4_P12ihipStream_tbEUlT_E1_NS1_11comp_targetILNS1_3genE5ELNS1_11target_archE942ELNS1_3gpuE9ELNS1_3repE0EEENS1_30default_config_static_selectorELNS0_4arch9wavefront6targetE0EEEvSS_,comdat
	.globl	_ZN7rocprim17ROCPRIM_400000_NS6detail17trampoline_kernelINS0_14default_configENS1_22reduce_config_selectorIbEEZNS1_11reduce_implILb1ES3_N6hipcub16HIPCUB_304000_NS22TransformInputIteratorIbN2at6native12_GLOBAL__N_19NonZeroOpIN3c104HalfEEEPKSF_lEEPiiNS8_6detail34convert_binary_result_type_wrapperINS8_3SumESJ_iEEEE10hipError_tPvRmT1_T2_T3_mT4_P12ihipStream_tbEUlT_E1_NS1_11comp_targetILNS1_3genE5ELNS1_11target_archE942ELNS1_3gpuE9ELNS1_3repE0EEENS1_30default_config_static_selectorELNS0_4arch9wavefront6targetE0EEEvSS_ ; -- Begin function _ZN7rocprim17ROCPRIM_400000_NS6detail17trampoline_kernelINS0_14default_configENS1_22reduce_config_selectorIbEEZNS1_11reduce_implILb1ES3_N6hipcub16HIPCUB_304000_NS22TransformInputIteratorIbN2at6native12_GLOBAL__N_19NonZeroOpIN3c104HalfEEEPKSF_lEEPiiNS8_6detail34convert_binary_result_type_wrapperINS8_3SumESJ_iEEEE10hipError_tPvRmT1_T2_T3_mT4_P12ihipStream_tbEUlT_E1_NS1_11comp_targetILNS1_3genE5ELNS1_11target_archE942ELNS1_3gpuE9ELNS1_3repE0EEENS1_30default_config_static_selectorELNS0_4arch9wavefront6targetE0EEEvSS_
	.p2align	8
	.type	_ZN7rocprim17ROCPRIM_400000_NS6detail17trampoline_kernelINS0_14default_configENS1_22reduce_config_selectorIbEEZNS1_11reduce_implILb1ES3_N6hipcub16HIPCUB_304000_NS22TransformInputIteratorIbN2at6native12_GLOBAL__N_19NonZeroOpIN3c104HalfEEEPKSF_lEEPiiNS8_6detail34convert_binary_result_type_wrapperINS8_3SumESJ_iEEEE10hipError_tPvRmT1_T2_T3_mT4_P12ihipStream_tbEUlT_E1_NS1_11comp_targetILNS1_3genE5ELNS1_11target_archE942ELNS1_3gpuE9ELNS1_3repE0EEENS1_30default_config_static_selectorELNS0_4arch9wavefront6targetE0EEEvSS_,@function
_ZN7rocprim17ROCPRIM_400000_NS6detail17trampoline_kernelINS0_14default_configENS1_22reduce_config_selectorIbEEZNS1_11reduce_implILb1ES3_N6hipcub16HIPCUB_304000_NS22TransformInputIteratorIbN2at6native12_GLOBAL__N_19NonZeroOpIN3c104HalfEEEPKSF_lEEPiiNS8_6detail34convert_binary_result_type_wrapperINS8_3SumESJ_iEEEE10hipError_tPvRmT1_T2_T3_mT4_P12ihipStream_tbEUlT_E1_NS1_11comp_targetILNS1_3genE5ELNS1_11target_archE942ELNS1_3gpuE9ELNS1_3repE0EEENS1_30default_config_static_selectorELNS0_4arch9wavefront6targetE0EEEvSS_: ; @_ZN7rocprim17ROCPRIM_400000_NS6detail17trampoline_kernelINS0_14default_configENS1_22reduce_config_selectorIbEEZNS1_11reduce_implILb1ES3_N6hipcub16HIPCUB_304000_NS22TransformInputIteratorIbN2at6native12_GLOBAL__N_19NonZeroOpIN3c104HalfEEEPKSF_lEEPiiNS8_6detail34convert_binary_result_type_wrapperINS8_3SumESJ_iEEEE10hipError_tPvRmT1_T2_T3_mT4_P12ihipStream_tbEUlT_E1_NS1_11comp_targetILNS1_3genE5ELNS1_11target_archE942ELNS1_3gpuE9ELNS1_3repE0EEENS1_30default_config_static_selectorELNS0_4arch9wavefront6targetE0EEEvSS_
; %bb.0:
	.section	.rodata,"a",@progbits
	.p2align	6, 0x0
	.amdhsa_kernel _ZN7rocprim17ROCPRIM_400000_NS6detail17trampoline_kernelINS0_14default_configENS1_22reduce_config_selectorIbEEZNS1_11reduce_implILb1ES3_N6hipcub16HIPCUB_304000_NS22TransformInputIteratorIbN2at6native12_GLOBAL__N_19NonZeroOpIN3c104HalfEEEPKSF_lEEPiiNS8_6detail34convert_binary_result_type_wrapperINS8_3SumESJ_iEEEE10hipError_tPvRmT1_T2_T3_mT4_P12ihipStream_tbEUlT_E1_NS1_11comp_targetILNS1_3genE5ELNS1_11target_archE942ELNS1_3gpuE9ELNS1_3repE0EEENS1_30default_config_static_selectorELNS0_4arch9wavefront6targetE0EEEvSS_
		.amdhsa_group_segment_fixed_size 0
		.amdhsa_private_segment_fixed_size 0
		.amdhsa_kernarg_size 48
		.amdhsa_user_sgpr_count 2
		.amdhsa_user_sgpr_dispatch_ptr 0
		.amdhsa_user_sgpr_queue_ptr 0
		.amdhsa_user_sgpr_kernarg_segment_ptr 1
		.amdhsa_user_sgpr_dispatch_id 0
		.amdhsa_user_sgpr_private_segment_size 0
		.amdhsa_wavefront_size32 1
		.amdhsa_uses_dynamic_stack 0
		.amdhsa_enable_private_segment 0
		.amdhsa_system_sgpr_workgroup_id_x 1
		.amdhsa_system_sgpr_workgroup_id_y 0
		.amdhsa_system_sgpr_workgroup_id_z 0
		.amdhsa_system_sgpr_workgroup_info 0
		.amdhsa_system_vgpr_workitem_id 0
		.amdhsa_next_free_vgpr 1
		.amdhsa_next_free_sgpr 1
		.amdhsa_reserve_vcc 0
		.amdhsa_float_round_mode_32 0
		.amdhsa_float_round_mode_16_64 0
		.amdhsa_float_denorm_mode_32 3
		.amdhsa_float_denorm_mode_16_64 3
		.amdhsa_fp16_overflow 0
		.amdhsa_workgroup_processor_mode 1
		.amdhsa_memory_ordered 1
		.amdhsa_forward_progress 1
		.amdhsa_inst_pref_size 0
		.amdhsa_round_robin_scheduling 0
		.amdhsa_exception_fp_ieee_invalid_op 0
		.amdhsa_exception_fp_denorm_src 0
		.amdhsa_exception_fp_ieee_div_zero 0
		.amdhsa_exception_fp_ieee_overflow 0
		.amdhsa_exception_fp_ieee_underflow 0
		.amdhsa_exception_fp_ieee_inexact 0
		.amdhsa_exception_int_div_zero 0
	.end_amdhsa_kernel
	.section	.text._ZN7rocprim17ROCPRIM_400000_NS6detail17trampoline_kernelINS0_14default_configENS1_22reduce_config_selectorIbEEZNS1_11reduce_implILb1ES3_N6hipcub16HIPCUB_304000_NS22TransformInputIteratorIbN2at6native12_GLOBAL__N_19NonZeroOpIN3c104HalfEEEPKSF_lEEPiiNS8_6detail34convert_binary_result_type_wrapperINS8_3SumESJ_iEEEE10hipError_tPvRmT1_T2_T3_mT4_P12ihipStream_tbEUlT_E1_NS1_11comp_targetILNS1_3genE5ELNS1_11target_archE942ELNS1_3gpuE9ELNS1_3repE0EEENS1_30default_config_static_selectorELNS0_4arch9wavefront6targetE0EEEvSS_,"axG",@progbits,_ZN7rocprim17ROCPRIM_400000_NS6detail17trampoline_kernelINS0_14default_configENS1_22reduce_config_selectorIbEEZNS1_11reduce_implILb1ES3_N6hipcub16HIPCUB_304000_NS22TransformInputIteratorIbN2at6native12_GLOBAL__N_19NonZeroOpIN3c104HalfEEEPKSF_lEEPiiNS8_6detail34convert_binary_result_type_wrapperINS8_3SumESJ_iEEEE10hipError_tPvRmT1_T2_T3_mT4_P12ihipStream_tbEUlT_E1_NS1_11comp_targetILNS1_3genE5ELNS1_11target_archE942ELNS1_3gpuE9ELNS1_3repE0EEENS1_30default_config_static_selectorELNS0_4arch9wavefront6targetE0EEEvSS_,comdat
.Lfunc_end858:
	.size	_ZN7rocprim17ROCPRIM_400000_NS6detail17trampoline_kernelINS0_14default_configENS1_22reduce_config_selectorIbEEZNS1_11reduce_implILb1ES3_N6hipcub16HIPCUB_304000_NS22TransformInputIteratorIbN2at6native12_GLOBAL__N_19NonZeroOpIN3c104HalfEEEPKSF_lEEPiiNS8_6detail34convert_binary_result_type_wrapperINS8_3SumESJ_iEEEE10hipError_tPvRmT1_T2_T3_mT4_P12ihipStream_tbEUlT_E1_NS1_11comp_targetILNS1_3genE5ELNS1_11target_archE942ELNS1_3gpuE9ELNS1_3repE0EEENS1_30default_config_static_selectorELNS0_4arch9wavefront6targetE0EEEvSS_, .Lfunc_end858-_ZN7rocprim17ROCPRIM_400000_NS6detail17trampoline_kernelINS0_14default_configENS1_22reduce_config_selectorIbEEZNS1_11reduce_implILb1ES3_N6hipcub16HIPCUB_304000_NS22TransformInputIteratorIbN2at6native12_GLOBAL__N_19NonZeroOpIN3c104HalfEEEPKSF_lEEPiiNS8_6detail34convert_binary_result_type_wrapperINS8_3SumESJ_iEEEE10hipError_tPvRmT1_T2_T3_mT4_P12ihipStream_tbEUlT_E1_NS1_11comp_targetILNS1_3genE5ELNS1_11target_archE942ELNS1_3gpuE9ELNS1_3repE0EEENS1_30default_config_static_selectorELNS0_4arch9wavefront6targetE0EEEvSS_
                                        ; -- End function
	.set _ZN7rocprim17ROCPRIM_400000_NS6detail17trampoline_kernelINS0_14default_configENS1_22reduce_config_selectorIbEEZNS1_11reduce_implILb1ES3_N6hipcub16HIPCUB_304000_NS22TransformInputIteratorIbN2at6native12_GLOBAL__N_19NonZeroOpIN3c104HalfEEEPKSF_lEEPiiNS8_6detail34convert_binary_result_type_wrapperINS8_3SumESJ_iEEEE10hipError_tPvRmT1_T2_T3_mT4_P12ihipStream_tbEUlT_E1_NS1_11comp_targetILNS1_3genE5ELNS1_11target_archE942ELNS1_3gpuE9ELNS1_3repE0EEENS1_30default_config_static_selectorELNS0_4arch9wavefront6targetE0EEEvSS_.num_vgpr, 0
	.set _ZN7rocprim17ROCPRIM_400000_NS6detail17trampoline_kernelINS0_14default_configENS1_22reduce_config_selectorIbEEZNS1_11reduce_implILb1ES3_N6hipcub16HIPCUB_304000_NS22TransformInputIteratorIbN2at6native12_GLOBAL__N_19NonZeroOpIN3c104HalfEEEPKSF_lEEPiiNS8_6detail34convert_binary_result_type_wrapperINS8_3SumESJ_iEEEE10hipError_tPvRmT1_T2_T3_mT4_P12ihipStream_tbEUlT_E1_NS1_11comp_targetILNS1_3genE5ELNS1_11target_archE942ELNS1_3gpuE9ELNS1_3repE0EEENS1_30default_config_static_selectorELNS0_4arch9wavefront6targetE0EEEvSS_.num_agpr, 0
	.set _ZN7rocprim17ROCPRIM_400000_NS6detail17trampoline_kernelINS0_14default_configENS1_22reduce_config_selectorIbEEZNS1_11reduce_implILb1ES3_N6hipcub16HIPCUB_304000_NS22TransformInputIteratorIbN2at6native12_GLOBAL__N_19NonZeroOpIN3c104HalfEEEPKSF_lEEPiiNS8_6detail34convert_binary_result_type_wrapperINS8_3SumESJ_iEEEE10hipError_tPvRmT1_T2_T3_mT4_P12ihipStream_tbEUlT_E1_NS1_11comp_targetILNS1_3genE5ELNS1_11target_archE942ELNS1_3gpuE9ELNS1_3repE0EEENS1_30default_config_static_selectorELNS0_4arch9wavefront6targetE0EEEvSS_.numbered_sgpr, 0
	.set _ZN7rocprim17ROCPRIM_400000_NS6detail17trampoline_kernelINS0_14default_configENS1_22reduce_config_selectorIbEEZNS1_11reduce_implILb1ES3_N6hipcub16HIPCUB_304000_NS22TransformInputIteratorIbN2at6native12_GLOBAL__N_19NonZeroOpIN3c104HalfEEEPKSF_lEEPiiNS8_6detail34convert_binary_result_type_wrapperINS8_3SumESJ_iEEEE10hipError_tPvRmT1_T2_T3_mT4_P12ihipStream_tbEUlT_E1_NS1_11comp_targetILNS1_3genE5ELNS1_11target_archE942ELNS1_3gpuE9ELNS1_3repE0EEENS1_30default_config_static_selectorELNS0_4arch9wavefront6targetE0EEEvSS_.num_named_barrier, 0
	.set _ZN7rocprim17ROCPRIM_400000_NS6detail17trampoline_kernelINS0_14default_configENS1_22reduce_config_selectorIbEEZNS1_11reduce_implILb1ES3_N6hipcub16HIPCUB_304000_NS22TransformInputIteratorIbN2at6native12_GLOBAL__N_19NonZeroOpIN3c104HalfEEEPKSF_lEEPiiNS8_6detail34convert_binary_result_type_wrapperINS8_3SumESJ_iEEEE10hipError_tPvRmT1_T2_T3_mT4_P12ihipStream_tbEUlT_E1_NS1_11comp_targetILNS1_3genE5ELNS1_11target_archE942ELNS1_3gpuE9ELNS1_3repE0EEENS1_30default_config_static_selectorELNS0_4arch9wavefront6targetE0EEEvSS_.private_seg_size, 0
	.set _ZN7rocprim17ROCPRIM_400000_NS6detail17trampoline_kernelINS0_14default_configENS1_22reduce_config_selectorIbEEZNS1_11reduce_implILb1ES3_N6hipcub16HIPCUB_304000_NS22TransformInputIteratorIbN2at6native12_GLOBAL__N_19NonZeroOpIN3c104HalfEEEPKSF_lEEPiiNS8_6detail34convert_binary_result_type_wrapperINS8_3SumESJ_iEEEE10hipError_tPvRmT1_T2_T3_mT4_P12ihipStream_tbEUlT_E1_NS1_11comp_targetILNS1_3genE5ELNS1_11target_archE942ELNS1_3gpuE9ELNS1_3repE0EEENS1_30default_config_static_selectorELNS0_4arch9wavefront6targetE0EEEvSS_.uses_vcc, 0
	.set _ZN7rocprim17ROCPRIM_400000_NS6detail17trampoline_kernelINS0_14default_configENS1_22reduce_config_selectorIbEEZNS1_11reduce_implILb1ES3_N6hipcub16HIPCUB_304000_NS22TransformInputIteratorIbN2at6native12_GLOBAL__N_19NonZeroOpIN3c104HalfEEEPKSF_lEEPiiNS8_6detail34convert_binary_result_type_wrapperINS8_3SumESJ_iEEEE10hipError_tPvRmT1_T2_T3_mT4_P12ihipStream_tbEUlT_E1_NS1_11comp_targetILNS1_3genE5ELNS1_11target_archE942ELNS1_3gpuE9ELNS1_3repE0EEENS1_30default_config_static_selectorELNS0_4arch9wavefront6targetE0EEEvSS_.uses_flat_scratch, 0
	.set _ZN7rocprim17ROCPRIM_400000_NS6detail17trampoline_kernelINS0_14default_configENS1_22reduce_config_selectorIbEEZNS1_11reduce_implILb1ES3_N6hipcub16HIPCUB_304000_NS22TransformInputIteratorIbN2at6native12_GLOBAL__N_19NonZeroOpIN3c104HalfEEEPKSF_lEEPiiNS8_6detail34convert_binary_result_type_wrapperINS8_3SumESJ_iEEEE10hipError_tPvRmT1_T2_T3_mT4_P12ihipStream_tbEUlT_E1_NS1_11comp_targetILNS1_3genE5ELNS1_11target_archE942ELNS1_3gpuE9ELNS1_3repE0EEENS1_30default_config_static_selectorELNS0_4arch9wavefront6targetE0EEEvSS_.has_dyn_sized_stack, 0
	.set _ZN7rocprim17ROCPRIM_400000_NS6detail17trampoline_kernelINS0_14default_configENS1_22reduce_config_selectorIbEEZNS1_11reduce_implILb1ES3_N6hipcub16HIPCUB_304000_NS22TransformInputIteratorIbN2at6native12_GLOBAL__N_19NonZeroOpIN3c104HalfEEEPKSF_lEEPiiNS8_6detail34convert_binary_result_type_wrapperINS8_3SumESJ_iEEEE10hipError_tPvRmT1_T2_T3_mT4_P12ihipStream_tbEUlT_E1_NS1_11comp_targetILNS1_3genE5ELNS1_11target_archE942ELNS1_3gpuE9ELNS1_3repE0EEENS1_30default_config_static_selectorELNS0_4arch9wavefront6targetE0EEEvSS_.has_recursion, 0
	.set _ZN7rocprim17ROCPRIM_400000_NS6detail17trampoline_kernelINS0_14default_configENS1_22reduce_config_selectorIbEEZNS1_11reduce_implILb1ES3_N6hipcub16HIPCUB_304000_NS22TransformInputIteratorIbN2at6native12_GLOBAL__N_19NonZeroOpIN3c104HalfEEEPKSF_lEEPiiNS8_6detail34convert_binary_result_type_wrapperINS8_3SumESJ_iEEEE10hipError_tPvRmT1_T2_T3_mT4_P12ihipStream_tbEUlT_E1_NS1_11comp_targetILNS1_3genE5ELNS1_11target_archE942ELNS1_3gpuE9ELNS1_3repE0EEENS1_30default_config_static_selectorELNS0_4arch9wavefront6targetE0EEEvSS_.has_indirect_call, 0
	.section	.AMDGPU.csdata,"",@progbits
; Kernel info:
; codeLenInByte = 0
; TotalNumSgprs: 0
; NumVgprs: 0
; ScratchSize: 0
; MemoryBound: 0
; FloatMode: 240
; IeeeMode: 1
; LDSByteSize: 0 bytes/workgroup (compile time only)
; SGPRBlocks: 0
; VGPRBlocks: 0
; NumSGPRsForWavesPerEU: 1
; NumVGPRsForWavesPerEU: 1
; Occupancy: 16
; WaveLimiterHint : 0
; COMPUTE_PGM_RSRC2:SCRATCH_EN: 0
; COMPUTE_PGM_RSRC2:USER_SGPR: 2
; COMPUTE_PGM_RSRC2:TRAP_HANDLER: 0
; COMPUTE_PGM_RSRC2:TGID_X_EN: 1
; COMPUTE_PGM_RSRC2:TGID_Y_EN: 0
; COMPUTE_PGM_RSRC2:TGID_Z_EN: 0
; COMPUTE_PGM_RSRC2:TIDIG_COMP_CNT: 0
	.section	.text._ZN7rocprim17ROCPRIM_400000_NS6detail17trampoline_kernelINS0_14default_configENS1_22reduce_config_selectorIbEEZNS1_11reduce_implILb1ES3_N6hipcub16HIPCUB_304000_NS22TransformInputIteratorIbN2at6native12_GLOBAL__N_19NonZeroOpIN3c104HalfEEEPKSF_lEEPiiNS8_6detail34convert_binary_result_type_wrapperINS8_3SumESJ_iEEEE10hipError_tPvRmT1_T2_T3_mT4_P12ihipStream_tbEUlT_E1_NS1_11comp_targetILNS1_3genE4ELNS1_11target_archE910ELNS1_3gpuE8ELNS1_3repE0EEENS1_30default_config_static_selectorELNS0_4arch9wavefront6targetE0EEEvSS_,"axG",@progbits,_ZN7rocprim17ROCPRIM_400000_NS6detail17trampoline_kernelINS0_14default_configENS1_22reduce_config_selectorIbEEZNS1_11reduce_implILb1ES3_N6hipcub16HIPCUB_304000_NS22TransformInputIteratorIbN2at6native12_GLOBAL__N_19NonZeroOpIN3c104HalfEEEPKSF_lEEPiiNS8_6detail34convert_binary_result_type_wrapperINS8_3SumESJ_iEEEE10hipError_tPvRmT1_T2_T3_mT4_P12ihipStream_tbEUlT_E1_NS1_11comp_targetILNS1_3genE4ELNS1_11target_archE910ELNS1_3gpuE8ELNS1_3repE0EEENS1_30default_config_static_selectorELNS0_4arch9wavefront6targetE0EEEvSS_,comdat
	.globl	_ZN7rocprim17ROCPRIM_400000_NS6detail17trampoline_kernelINS0_14default_configENS1_22reduce_config_selectorIbEEZNS1_11reduce_implILb1ES3_N6hipcub16HIPCUB_304000_NS22TransformInputIteratorIbN2at6native12_GLOBAL__N_19NonZeroOpIN3c104HalfEEEPKSF_lEEPiiNS8_6detail34convert_binary_result_type_wrapperINS8_3SumESJ_iEEEE10hipError_tPvRmT1_T2_T3_mT4_P12ihipStream_tbEUlT_E1_NS1_11comp_targetILNS1_3genE4ELNS1_11target_archE910ELNS1_3gpuE8ELNS1_3repE0EEENS1_30default_config_static_selectorELNS0_4arch9wavefront6targetE0EEEvSS_ ; -- Begin function _ZN7rocprim17ROCPRIM_400000_NS6detail17trampoline_kernelINS0_14default_configENS1_22reduce_config_selectorIbEEZNS1_11reduce_implILb1ES3_N6hipcub16HIPCUB_304000_NS22TransformInputIteratorIbN2at6native12_GLOBAL__N_19NonZeroOpIN3c104HalfEEEPKSF_lEEPiiNS8_6detail34convert_binary_result_type_wrapperINS8_3SumESJ_iEEEE10hipError_tPvRmT1_T2_T3_mT4_P12ihipStream_tbEUlT_E1_NS1_11comp_targetILNS1_3genE4ELNS1_11target_archE910ELNS1_3gpuE8ELNS1_3repE0EEENS1_30default_config_static_selectorELNS0_4arch9wavefront6targetE0EEEvSS_
	.p2align	8
	.type	_ZN7rocprim17ROCPRIM_400000_NS6detail17trampoline_kernelINS0_14default_configENS1_22reduce_config_selectorIbEEZNS1_11reduce_implILb1ES3_N6hipcub16HIPCUB_304000_NS22TransformInputIteratorIbN2at6native12_GLOBAL__N_19NonZeroOpIN3c104HalfEEEPKSF_lEEPiiNS8_6detail34convert_binary_result_type_wrapperINS8_3SumESJ_iEEEE10hipError_tPvRmT1_T2_T3_mT4_P12ihipStream_tbEUlT_E1_NS1_11comp_targetILNS1_3genE4ELNS1_11target_archE910ELNS1_3gpuE8ELNS1_3repE0EEENS1_30default_config_static_selectorELNS0_4arch9wavefront6targetE0EEEvSS_,@function
_ZN7rocprim17ROCPRIM_400000_NS6detail17trampoline_kernelINS0_14default_configENS1_22reduce_config_selectorIbEEZNS1_11reduce_implILb1ES3_N6hipcub16HIPCUB_304000_NS22TransformInputIteratorIbN2at6native12_GLOBAL__N_19NonZeroOpIN3c104HalfEEEPKSF_lEEPiiNS8_6detail34convert_binary_result_type_wrapperINS8_3SumESJ_iEEEE10hipError_tPvRmT1_T2_T3_mT4_P12ihipStream_tbEUlT_E1_NS1_11comp_targetILNS1_3genE4ELNS1_11target_archE910ELNS1_3gpuE8ELNS1_3repE0EEENS1_30default_config_static_selectorELNS0_4arch9wavefront6targetE0EEEvSS_: ; @_ZN7rocprim17ROCPRIM_400000_NS6detail17trampoline_kernelINS0_14default_configENS1_22reduce_config_selectorIbEEZNS1_11reduce_implILb1ES3_N6hipcub16HIPCUB_304000_NS22TransformInputIteratorIbN2at6native12_GLOBAL__N_19NonZeroOpIN3c104HalfEEEPKSF_lEEPiiNS8_6detail34convert_binary_result_type_wrapperINS8_3SumESJ_iEEEE10hipError_tPvRmT1_T2_T3_mT4_P12ihipStream_tbEUlT_E1_NS1_11comp_targetILNS1_3genE4ELNS1_11target_archE910ELNS1_3gpuE8ELNS1_3repE0EEENS1_30default_config_static_selectorELNS0_4arch9wavefront6targetE0EEEvSS_
; %bb.0:
	.section	.rodata,"a",@progbits
	.p2align	6, 0x0
	.amdhsa_kernel _ZN7rocprim17ROCPRIM_400000_NS6detail17trampoline_kernelINS0_14default_configENS1_22reduce_config_selectorIbEEZNS1_11reduce_implILb1ES3_N6hipcub16HIPCUB_304000_NS22TransformInputIteratorIbN2at6native12_GLOBAL__N_19NonZeroOpIN3c104HalfEEEPKSF_lEEPiiNS8_6detail34convert_binary_result_type_wrapperINS8_3SumESJ_iEEEE10hipError_tPvRmT1_T2_T3_mT4_P12ihipStream_tbEUlT_E1_NS1_11comp_targetILNS1_3genE4ELNS1_11target_archE910ELNS1_3gpuE8ELNS1_3repE0EEENS1_30default_config_static_selectorELNS0_4arch9wavefront6targetE0EEEvSS_
		.amdhsa_group_segment_fixed_size 0
		.amdhsa_private_segment_fixed_size 0
		.amdhsa_kernarg_size 48
		.amdhsa_user_sgpr_count 2
		.amdhsa_user_sgpr_dispatch_ptr 0
		.amdhsa_user_sgpr_queue_ptr 0
		.amdhsa_user_sgpr_kernarg_segment_ptr 1
		.amdhsa_user_sgpr_dispatch_id 0
		.amdhsa_user_sgpr_private_segment_size 0
		.amdhsa_wavefront_size32 1
		.amdhsa_uses_dynamic_stack 0
		.amdhsa_enable_private_segment 0
		.amdhsa_system_sgpr_workgroup_id_x 1
		.amdhsa_system_sgpr_workgroup_id_y 0
		.amdhsa_system_sgpr_workgroup_id_z 0
		.amdhsa_system_sgpr_workgroup_info 0
		.amdhsa_system_vgpr_workitem_id 0
		.amdhsa_next_free_vgpr 1
		.amdhsa_next_free_sgpr 1
		.amdhsa_reserve_vcc 0
		.amdhsa_float_round_mode_32 0
		.amdhsa_float_round_mode_16_64 0
		.amdhsa_float_denorm_mode_32 3
		.amdhsa_float_denorm_mode_16_64 3
		.amdhsa_fp16_overflow 0
		.amdhsa_workgroup_processor_mode 1
		.amdhsa_memory_ordered 1
		.amdhsa_forward_progress 1
		.amdhsa_inst_pref_size 0
		.amdhsa_round_robin_scheduling 0
		.amdhsa_exception_fp_ieee_invalid_op 0
		.amdhsa_exception_fp_denorm_src 0
		.amdhsa_exception_fp_ieee_div_zero 0
		.amdhsa_exception_fp_ieee_overflow 0
		.amdhsa_exception_fp_ieee_underflow 0
		.amdhsa_exception_fp_ieee_inexact 0
		.amdhsa_exception_int_div_zero 0
	.end_amdhsa_kernel
	.section	.text._ZN7rocprim17ROCPRIM_400000_NS6detail17trampoline_kernelINS0_14default_configENS1_22reduce_config_selectorIbEEZNS1_11reduce_implILb1ES3_N6hipcub16HIPCUB_304000_NS22TransformInputIteratorIbN2at6native12_GLOBAL__N_19NonZeroOpIN3c104HalfEEEPKSF_lEEPiiNS8_6detail34convert_binary_result_type_wrapperINS8_3SumESJ_iEEEE10hipError_tPvRmT1_T2_T3_mT4_P12ihipStream_tbEUlT_E1_NS1_11comp_targetILNS1_3genE4ELNS1_11target_archE910ELNS1_3gpuE8ELNS1_3repE0EEENS1_30default_config_static_selectorELNS0_4arch9wavefront6targetE0EEEvSS_,"axG",@progbits,_ZN7rocprim17ROCPRIM_400000_NS6detail17trampoline_kernelINS0_14default_configENS1_22reduce_config_selectorIbEEZNS1_11reduce_implILb1ES3_N6hipcub16HIPCUB_304000_NS22TransformInputIteratorIbN2at6native12_GLOBAL__N_19NonZeroOpIN3c104HalfEEEPKSF_lEEPiiNS8_6detail34convert_binary_result_type_wrapperINS8_3SumESJ_iEEEE10hipError_tPvRmT1_T2_T3_mT4_P12ihipStream_tbEUlT_E1_NS1_11comp_targetILNS1_3genE4ELNS1_11target_archE910ELNS1_3gpuE8ELNS1_3repE0EEENS1_30default_config_static_selectorELNS0_4arch9wavefront6targetE0EEEvSS_,comdat
.Lfunc_end859:
	.size	_ZN7rocprim17ROCPRIM_400000_NS6detail17trampoline_kernelINS0_14default_configENS1_22reduce_config_selectorIbEEZNS1_11reduce_implILb1ES3_N6hipcub16HIPCUB_304000_NS22TransformInputIteratorIbN2at6native12_GLOBAL__N_19NonZeroOpIN3c104HalfEEEPKSF_lEEPiiNS8_6detail34convert_binary_result_type_wrapperINS8_3SumESJ_iEEEE10hipError_tPvRmT1_T2_T3_mT4_P12ihipStream_tbEUlT_E1_NS1_11comp_targetILNS1_3genE4ELNS1_11target_archE910ELNS1_3gpuE8ELNS1_3repE0EEENS1_30default_config_static_selectorELNS0_4arch9wavefront6targetE0EEEvSS_, .Lfunc_end859-_ZN7rocprim17ROCPRIM_400000_NS6detail17trampoline_kernelINS0_14default_configENS1_22reduce_config_selectorIbEEZNS1_11reduce_implILb1ES3_N6hipcub16HIPCUB_304000_NS22TransformInputIteratorIbN2at6native12_GLOBAL__N_19NonZeroOpIN3c104HalfEEEPKSF_lEEPiiNS8_6detail34convert_binary_result_type_wrapperINS8_3SumESJ_iEEEE10hipError_tPvRmT1_T2_T3_mT4_P12ihipStream_tbEUlT_E1_NS1_11comp_targetILNS1_3genE4ELNS1_11target_archE910ELNS1_3gpuE8ELNS1_3repE0EEENS1_30default_config_static_selectorELNS0_4arch9wavefront6targetE0EEEvSS_
                                        ; -- End function
	.set _ZN7rocprim17ROCPRIM_400000_NS6detail17trampoline_kernelINS0_14default_configENS1_22reduce_config_selectorIbEEZNS1_11reduce_implILb1ES3_N6hipcub16HIPCUB_304000_NS22TransformInputIteratorIbN2at6native12_GLOBAL__N_19NonZeroOpIN3c104HalfEEEPKSF_lEEPiiNS8_6detail34convert_binary_result_type_wrapperINS8_3SumESJ_iEEEE10hipError_tPvRmT1_T2_T3_mT4_P12ihipStream_tbEUlT_E1_NS1_11comp_targetILNS1_3genE4ELNS1_11target_archE910ELNS1_3gpuE8ELNS1_3repE0EEENS1_30default_config_static_selectorELNS0_4arch9wavefront6targetE0EEEvSS_.num_vgpr, 0
	.set _ZN7rocprim17ROCPRIM_400000_NS6detail17trampoline_kernelINS0_14default_configENS1_22reduce_config_selectorIbEEZNS1_11reduce_implILb1ES3_N6hipcub16HIPCUB_304000_NS22TransformInputIteratorIbN2at6native12_GLOBAL__N_19NonZeroOpIN3c104HalfEEEPKSF_lEEPiiNS8_6detail34convert_binary_result_type_wrapperINS8_3SumESJ_iEEEE10hipError_tPvRmT1_T2_T3_mT4_P12ihipStream_tbEUlT_E1_NS1_11comp_targetILNS1_3genE4ELNS1_11target_archE910ELNS1_3gpuE8ELNS1_3repE0EEENS1_30default_config_static_selectorELNS0_4arch9wavefront6targetE0EEEvSS_.num_agpr, 0
	.set _ZN7rocprim17ROCPRIM_400000_NS6detail17trampoline_kernelINS0_14default_configENS1_22reduce_config_selectorIbEEZNS1_11reduce_implILb1ES3_N6hipcub16HIPCUB_304000_NS22TransformInputIteratorIbN2at6native12_GLOBAL__N_19NonZeroOpIN3c104HalfEEEPKSF_lEEPiiNS8_6detail34convert_binary_result_type_wrapperINS8_3SumESJ_iEEEE10hipError_tPvRmT1_T2_T3_mT4_P12ihipStream_tbEUlT_E1_NS1_11comp_targetILNS1_3genE4ELNS1_11target_archE910ELNS1_3gpuE8ELNS1_3repE0EEENS1_30default_config_static_selectorELNS0_4arch9wavefront6targetE0EEEvSS_.numbered_sgpr, 0
	.set _ZN7rocprim17ROCPRIM_400000_NS6detail17trampoline_kernelINS0_14default_configENS1_22reduce_config_selectorIbEEZNS1_11reduce_implILb1ES3_N6hipcub16HIPCUB_304000_NS22TransformInputIteratorIbN2at6native12_GLOBAL__N_19NonZeroOpIN3c104HalfEEEPKSF_lEEPiiNS8_6detail34convert_binary_result_type_wrapperINS8_3SumESJ_iEEEE10hipError_tPvRmT1_T2_T3_mT4_P12ihipStream_tbEUlT_E1_NS1_11comp_targetILNS1_3genE4ELNS1_11target_archE910ELNS1_3gpuE8ELNS1_3repE0EEENS1_30default_config_static_selectorELNS0_4arch9wavefront6targetE0EEEvSS_.num_named_barrier, 0
	.set _ZN7rocprim17ROCPRIM_400000_NS6detail17trampoline_kernelINS0_14default_configENS1_22reduce_config_selectorIbEEZNS1_11reduce_implILb1ES3_N6hipcub16HIPCUB_304000_NS22TransformInputIteratorIbN2at6native12_GLOBAL__N_19NonZeroOpIN3c104HalfEEEPKSF_lEEPiiNS8_6detail34convert_binary_result_type_wrapperINS8_3SumESJ_iEEEE10hipError_tPvRmT1_T2_T3_mT4_P12ihipStream_tbEUlT_E1_NS1_11comp_targetILNS1_3genE4ELNS1_11target_archE910ELNS1_3gpuE8ELNS1_3repE0EEENS1_30default_config_static_selectorELNS0_4arch9wavefront6targetE0EEEvSS_.private_seg_size, 0
	.set _ZN7rocprim17ROCPRIM_400000_NS6detail17trampoline_kernelINS0_14default_configENS1_22reduce_config_selectorIbEEZNS1_11reduce_implILb1ES3_N6hipcub16HIPCUB_304000_NS22TransformInputIteratorIbN2at6native12_GLOBAL__N_19NonZeroOpIN3c104HalfEEEPKSF_lEEPiiNS8_6detail34convert_binary_result_type_wrapperINS8_3SumESJ_iEEEE10hipError_tPvRmT1_T2_T3_mT4_P12ihipStream_tbEUlT_E1_NS1_11comp_targetILNS1_3genE4ELNS1_11target_archE910ELNS1_3gpuE8ELNS1_3repE0EEENS1_30default_config_static_selectorELNS0_4arch9wavefront6targetE0EEEvSS_.uses_vcc, 0
	.set _ZN7rocprim17ROCPRIM_400000_NS6detail17trampoline_kernelINS0_14default_configENS1_22reduce_config_selectorIbEEZNS1_11reduce_implILb1ES3_N6hipcub16HIPCUB_304000_NS22TransformInputIteratorIbN2at6native12_GLOBAL__N_19NonZeroOpIN3c104HalfEEEPKSF_lEEPiiNS8_6detail34convert_binary_result_type_wrapperINS8_3SumESJ_iEEEE10hipError_tPvRmT1_T2_T3_mT4_P12ihipStream_tbEUlT_E1_NS1_11comp_targetILNS1_3genE4ELNS1_11target_archE910ELNS1_3gpuE8ELNS1_3repE0EEENS1_30default_config_static_selectorELNS0_4arch9wavefront6targetE0EEEvSS_.uses_flat_scratch, 0
	.set _ZN7rocprim17ROCPRIM_400000_NS6detail17trampoline_kernelINS0_14default_configENS1_22reduce_config_selectorIbEEZNS1_11reduce_implILb1ES3_N6hipcub16HIPCUB_304000_NS22TransformInputIteratorIbN2at6native12_GLOBAL__N_19NonZeroOpIN3c104HalfEEEPKSF_lEEPiiNS8_6detail34convert_binary_result_type_wrapperINS8_3SumESJ_iEEEE10hipError_tPvRmT1_T2_T3_mT4_P12ihipStream_tbEUlT_E1_NS1_11comp_targetILNS1_3genE4ELNS1_11target_archE910ELNS1_3gpuE8ELNS1_3repE0EEENS1_30default_config_static_selectorELNS0_4arch9wavefront6targetE0EEEvSS_.has_dyn_sized_stack, 0
	.set _ZN7rocprim17ROCPRIM_400000_NS6detail17trampoline_kernelINS0_14default_configENS1_22reduce_config_selectorIbEEZNS1_11reduce_implILb1ES3_N6hipcub16HIPCUB_304000_NS22TransformInputIteratorIbN2at6native12_GLOBAL__N_19NonZeroOpIN3c104HalfEEEPKSF_lEEPiiNS8_6detail34convert_binary_result_type_wrapperINS8_3SumESJ_iEEEE10hipError_tPvRmT1_T2_T3_mT4_P12ihipStream_tbEUlT_E1_NS1_11comp_targetILNS1_3genE4ELNS1_11target_archE910ELNS1_3gpuE8ELNS1_3repE0EEENS1_30default_config_static_selectorELNS0_4arch9wavefront6targetE0EEEvSS_.has_recursion, 0
	.set _ZN7rocprim17ROCPRIM_400000_NS6detail17trampoline_kernelINS0_14default_configENS1_22reduce_config_selectorIbEEZNS1_11reduce_implILb1ES3_N6hipcub16HIPCUB_304000_NS22TransformInputIteratorIbN2at6native12_GLOBAL__N_19NonZeroOpIN3c104HalfEEEPKSF_lEEPiiNS8_6detail34convert_binary_result_type_wrapperINS8_3SumESJ_iEEEE10hipError_tPvRmT1_T2_T3_mT4_P12ihipStream_tbEUlT_E1_NS1_11comp_targetILNS1_3genE4ELNS1_11target_archE910ELNS1_3gpuE8ELNS1_3repE0EEENS1_30default_config_static_selectorELNS0_4arch9wavefront6targetE0EEEvSS_.has_indirect_call, 0
	.section	.AMDGPU.csdata,"",@progbits
; Kernel info:
; codeLenInByte = 0
; TotalNumSgprs: 0
; NumVgprs: 0
; ScratchSize: 0
; MemoryBound: 0
; FloatMode: 240
; IeeeMode: 1
; LDSByteSize: 0 bytes/workgroup (compile time only)
; SGPRBlocks: 0
; VGPRBlocks: 0
; NumSGPRsForWavesPerEU: 1
; NumVGPRsForWavesPerEU: 1
; Occupancy: 16
; WaveLimiterHint : 0
; COMPUTE_PGM_RSRC2:SCRATCH_EN: 0
; COMPUTE_PGM_RSRC2:USER_SGPR: 2
; COMPUTE_PGM_RSRC2:TRAP_HANDLER: 0
; COMPUTE_PGM_RSRC2:TGID_X_EN: 1
; COMPUTE_PGM_RSRC2:TGID_Y_EN: 0
; COMPUTE_PGM_RSRC2:TGID_Z_EN: 0
; COMPUTE_PGM_RSRC2:TIDIG_COMP_CNT: 0
	.section	.text._ZN7rocprim17ROCPRIM_400000_NS6detail17trampoline_kernelINS0_14default_configENS1_22reduce_config_selectorIbEEZNS1_11reduce_implILb1ES3_N6hipcub16HIPCUB_304000_NS22TransformInputIteratorIbN2at6native12_GLOBAL__N_19NonZeroOpIN3c104HalfEEEPKSF_lEEPiiNS8_6detail34convert_binary_result_type_wrapperINS8_3SumESJ_iEEEE10hipError_tPvRmT1_T2_T3_mT4_P12ihipStream_tbEUlT_E1_NS1_11comp_targetILNS1_3genE3ELNS1_11target_archE908ELNS1_3gpuE7ELNS1_3repE0EEENS1_30default_config_static_selectorELNS0_4arch9wavefront6targetE0EEEvSS_,"axG",@progbits,_ZN7rocprim17ROCPRIM_400000_NS6detail17trampoline_kernelINS0_14default_configENS1_22reduce_config_selectorIbEEZNS1_11reduce_implILb1ES3_N6hipcub16HIPCUB_304000_NS22TransformInputIteratorIbN2at6native12_GLOBAL__N_19NonZeroOpIN3c104HalfEEEPKSF_lEEPiiNS8_6detail34convert_binary_result_type_wrapperINS8_3SumESJ_iEEEE10hipError_tPvRmT1_T2_T3_mT4_P12ihipStream_tbEUlT_E1_NS1_11comp_targetILNS1_3genE3ELNS1_11target_archE908ELNS1_3gpuE7ELNS1_3repE0EEENS1_30default_config_static_selectorELNS0_4arch9wavefront6targetE0EEEvSS_,comdat
	.globl	_ZN7rocprim17ROCPRIM_400000_NS6detail17trampoline_kernelINS0_14default_configENS1_22reduce_config_selectorIbEEZNS1_11reduce_implILb1ES3_N6hipcub16HIPCUB_304000_NS22TransformInputIteratorIbN2at6native12_GLOBAL__N_19NonZeroOpIN3c104HalfEEEPKSF_lEEPiiNS8_6detail34convert_binary_result_type_wrapperINS8_3SumESJ_iEEEE10hipError_tPvRmT1_T2_T3_mT4_P12ihipStream_tbEUlT_E1_NS1_11comp_targetILNS1_3genE3ELNS1_11target_archE908ELNS1_3gpuE7ELNS1_3repE0EEENS1_30default_config_static_selectorELNS0_4arch9wavefront6targetE0EEEvSS_ ; -- Begin function _ZN7rocprim17ROCPRIM_400000_NS6detail17trampoline_kernelINS0_14default_configENS1_22reduce_config_selectorIbEEZNS1_11reduce_implILb1ES3_N6hipcub16HIPCUB_304000_NS22TransformInputIteratorIbN2at6native12_GLOBAL__N_19NonZeroOpIN3c104HalfEEEPKSF_lEEPiiNS8_6detail34convert_binary_result_type_wrapperINS8_3SumESJ_iEEEE10hipError_tPvRmT1_T2_T3_mT4_P12ihipStream_tbEUlT_E1_NS1_11comp_targetILNS1_3genE3ELNS1_11target_archE908ELNS1_3gpuE7ELNS1_3repE0EEENS1_30default_config_static_selectorELNS0_4arch9wavefront6targetE0EEEvSS_
	.p2align	8
	.type	_ZN7rocprim17ROCPRIM_400000_NS6detail17trampoline_kernelINS0_14default_configENS1_22reduce_config_selectorIbEEZNS1_11reduce_implILb1ES3_N6hipcub16HIPCUB_304000_NS22TransformInputIteratorIbN2at6native12_GLOBAL__N_19NonZeroOpIN3c104HalfEEEPKSF_lEEPiiNS8_6detail34convert_binary_result_type_wrapperINS8_3SumESJ_iEEEE10hipError_tPvRmT1_T2_T3_mT4_P12ihipStream_tbEUlT_E1_NS1_11comp_targetILNS1_3genE3ELNS1_11target_archE908ELNS1_3gpuE7ELNS1_3repE0EEENS1_30default_config_static_selectorELNS0_4arch9wavefront6targetE0EEEvSS_,@function
_ZN7rocprim17ROCPRIM_400000_NS6detail17trampoline_kernelINS0_14default_configENS1_22reduce_config_selectorIbEEZNS1_11reduce_implILb1ES3_N6hipcub16HIPCUB_304000_NS22TransformInputIteratorIbN2at6native12_GLOBAL__N_19NonZeroOpIN3c104HalfEEEPKSF_lEEPiiNS8_6detail34convert_binary_result_type_wrapperINS8_3SumESJ_iEEEE10hipError_tPvRmT1_T2_T3_mT4_P12ihipStream_tbEUlT_E1_NS1_11comp_targetILNS1_3genE3ELNS1_11target_archE908ELNS1_3gpuE7ELNS1_3repE0EEENS1_30default_config_static_selectorELNS0_4arch9wavefront6targetE0EEEvSS_: ; @_ZN7rocprim17ROCPRIM_400000_NS6detail17trampoline_kernelINS0_14default_configENS1_22reduce_config_selectorIbEEZNS1_11reduce_implILb1ES3_N6hipcub16HIPCUB_304000_NS22TransformInputIteratorIbN2at6native12_GLOBAL__N_19NonZeroOpIN3c104HalfEEEPKSF_lEEPiiNS8_6detail34convert_binary_result_type_wrapperINS8_3SumESJ_iEEEE10hipError_tPvRmT1_T2_T3_mT4_P12ihipStream_tbEUlT_E1_NS1_11comp_targetILNS1_3genE3ELNS1_11target_archE908ELNS1_3gpuE7ELNS1_3repE0EEENS1_30default_config_static_selectorELNS0_4arch9wavefront6targetE0EEEvSS_
; %bb.0:
	.section	.rodata,"a",@progbits
	.p2align	6, 0x0
	.amdhsa_kernel _ZN7rocprim17ROCPRIM_400000_NS6detail17trampoline_kernelINS0_14default_configENS1_22reduce_config_selectorIbEEZNS1_11reduce_implILb1ES3_N6hipcub16HIPCUB_304000_NS22TransformInputIteratorIbN2at6native12_GLOBAL__N_19NonZeroOpIN3c104HalfEEEPKSF_lEEPiiNS8_6detail34convert_binary_result_type_wrapperINS8_3SumESJ_iEEEE10hipError_tPvRmT1_T2_T3_mT4_P12ihipStream_tbEUlT_E1_NS1_11comp_targetILNS1_3genE3ELNS1_11target_archE908ELNS1_3gpuE7ELNS1_3repE0EEENS1_30default_config_static_selectorELNS0_4arch9wavefront6targetE0EEEvSS_
		.amdhsa_group_segment_fixed_size 0
		.amdhsa_private_segment_fixed_size 0
		.amdhsa_kernarg_size 48
		.amdhsa_user_sgpr_count 2
		.amdhsa_user_sgpr_dispatch_ptr 0
		.amdhsa_user_sgpr_queue_ptr 0
		.amdhsa_user_sgpr_kernarg_segment_ptr 1
		.amdhsa_user_sgpr_dispatch_id 0
		.amdhsa_user_sgpr_private_segment_size 0
		.amdhsa_wavefront_size32 1
		.amdhsa_uses_dynamic_stack 0
		.amdhsa_enable_private_segment 0
		.amdhsa_system_sgpr_workgroup_id_x 1
		.amdhsa_system_sgpr_workgroup_id_y 0
		.amdhsa_system_sgpr_workgroup_id_z 0
		.amdhsa_system_sgpr_workgroup_info 0
		.amdhsa_system_vgpr_workitem_id 0
		.amdhsa_next_free_vgpr 1
		.amdhsa_next_free_sgpr 1
		.amdhsa_reserve_vcc 0
		.amdhsa_float_round_mode_32 0
		.amdhsa_float_round_mode_16_64 0
		.amdhsa_float_denorm_mode_32 3
		.amdhsa_float_denorm_mode_16_64 3
		.amdhsa_fp16_overflow 0
		.amdhsa_workgroup_processor_mode 1
		.amdhsa_memory_ordered 1
		.amdhsa_forward_progress 1
		.amdhsa_inst_pref_size 0
		.amdhsa_round_robin_scheduling 0
		.amdhsa_exception_fp_ieee_invalid_op 0
		.amdhsa_exception_fp_denorm_src 0
		.amdhsa_exception_fp_ieee_div_zero 0
		.amdhsa_exception_fp_ieee_overflow 0
		.amdhsa_exception_fp_ieee_underflow 0
		.amdhsa_exception_fp_ieee_inexact 0
		.amdhsa_exception_int_div_zero 0
	.end_amdhsa_kernel
	.section	.text._ZN7rocprim17ROCPRIM_400000_NS6detail17trampoline_kernelINS0_14default_configENS1_22reduce_config_selectorIbEEZNS1_11reduce_implILb1ES3_N6hipcub16HIPCUB_304000_NS22TransformInputIteratorIbN2at6native12_GLOBAL__N_19NonZeroOpIN3c104HalfEEEPKSF_lEEPiiNS8_6detail34convert_binary_result_type_wrapperINS8_3SumESJ_iEEEE10hipError_tPvRmT1_T2_T3_mT4_P12ihipStream_tbEUlT_E1_NS1_11comp_targetILNS1_3genE3ELNS1_11target_archE908ELNS1_3gpuE7ELNS1_3repE0EEENS1_30default_config_static_selectorELNS0_4arch9wavefront6targetE0EEEvSS_,"axG",@progbits,_ZN7rocprim17ROCPRIM_400000_NS6detail17trampoline_kernelINS0_14default_configENS1_22reduce_config_selectorIbEEZNS1_11reduce_implILb1ES3_N6hipcub16HIPCUB_304000_NS22TransformInputIteratorIbN2at6native12_GLOBAL__N_19NonZeroOpIN3c104HalfEEEPKSF_lEEPiiNS8_6detail34convert_binary_result_type_wrapperINS8_3SumESJ_iEEEE10hipError_tPvRmT1_T2_T3_mT4_P12ihipStream_tbEUlT_E1_NS1_11comp_targetILNS1_3genE3ELNS1_11target_archE908ELNS1_3gpuE7ELNS1_3repE0EEENS1_30default_config_static_selectorELNS0_4arch9wavefront6targetE0EEEvSS_,comdat
.Lfunc_end860:
	.size	_ZN7rocprim17ROCPRIM_400000_NS6detail17trampoline_kernelINS0_14default_configENS1_22reduce_config_selectorIbEEZNS1_11reduce_implILb1ES3_N6hipcub16HIPCUB_304000_NS22TransformInputIteratorIbN2at6native12_GLOBAL__N_19NonZeroOpIN3c104HalfEEEPKSF_lEEPiiNS8_6detail34convert_binary_result_type_wrapperINS8_3SumESJ_iEEEE10hipError_tPvRmT1_T2_T3_mT4_P12ihipStream_tbEUlT_E1_NS1_11comp_targetILNS1_3genE3ELNS1_11target_archE908ELNS1_3gpuE7ELNS1_3repE0EEENS1_30default_config_static_selectorELNS0_4arch9wavefront6targetE0EEEvSS_, .Lfunc_end860-_ZN7rocprim17ROCPRIM_400000_NS6detail17trampoline_kernelINS0_14default_configENS1_22reduce_config_selectorIbEEZNS1_11reduce_implILb1ES3_N6hipcub16HIPCUB_304000_NS22TransformInputIteratorIbN2at6native12_GLOBAL__N_19NonZeroOpIN3c104HalfEEEPKSF_lEEPiiNS8_6detail34convert_binary_result_type_wrapperINS8_3SumESJ_iEEEE10hipError_tPvRmT1_T2_T3_mT4_P12ihipStream_tbEUlT_E1_NS1_11comp_targetILNS1_3genE3ELNS1_11target_archE908ELNS1_3gpuE7ELNS1_3repE0EEENS1_30default_config_static_selectorELNS0_4arch9wavefront6targetE0EEEvSS_
                                        ; -- End function
	.set _ZN7rocprim17ROCPRIM_400000_NS6detail17trampoline_kernelINS0_14default_configENS1_22reduce_config_selectorIbEEZNS1_11reduce_implILb1ES3_N6hipcub16HIPCUB_304000_NS22TransformInputIteratorIbN2at6native12_GLOBAL__N_19NonZeroOpIN3c104HalfEEEPKSF_lEEPiiNS8_6detail34convert_binary_result_type_wrapperINS8_3SumESJ_iEEEE10hipError_tPvRmT1_T2_T3_mT4_P12ihipStream_tbEUlT_E1_NS1_11comp_targetILNS1_3genE3ELNS1_11target_archE908ELNS1_3gpuE7ELNS1_3repE0EEENS1_30default_config_static_selectorELNS0_4arch9wavefront6targetE0EEEvSS_.num_vgpr, 0
	.set _ZN7rocprim17ROCPRIM_400000_NS6detail17trampoline_kernelINS0_14default_configENS1_22reduce_config_selectorIbEEZNS1_11reduce_implILb1ES3_N6hipcub16HIPCUB_304000_NS22TransformInputIteratorIbN2at6native12_GLOBAL__N_19NonZeroOpIN3c104HalfEEEPKSF_lEEPiiNS8_6detail34convert_binary_result_type_wrapperINS8_3SumESJ_iEEEE10hipError_tPvRmT1_T2_T3_mT4_P12ihipStream_tbEUlT_E1_NS1_11comp_targetILNS1_3genE3ELNS1_11target_archE908ELNS1_3gpuE7ELNS1_3repE0EEENS1_30default_config_static_selectorELNS0_4arch9wavefront6targetE0EEEvSS_.num_agpr, 0
	.set _ZN7rocprim17ROCPRIM_400000_NS6detail17trampoline_kernelINS0_14default_configENS1_22reduce_config_selectorIbEEZNS1_11reduce_implILb1ES3_N6hipcub16HIPCUB_304000_NS22TransformInputIteratorIbN2at6native12_GLOBAL__N_19NonZeroOpIN3c104HalfEEEPKSF_lEEPiiNS8_6detail34convert_binary_result_type_wrapperINS8_3SumESJ_iEEEE10hipError_tPvRmT1_T2_T3_mT4_P12ihipStream_tbEUlT_E1_NS1_11comp_targetILNS1_3genE3ELNS1_11target_archE908ELNS1_3gpuE7ELNS1_3repE0EEENS1_30default_config_static_selectorELNS0_4arch9wavefront6targetE0EEEvSS_.numbered_sgpr, 0
	.set _ZN7rocprim17ROCPRIM_400000_NS6detail17trampoline_kernelINS0_14default_configENS1_22reduce_config_selectorIbEEZNS1_11reduce_implILb1ES3_N6hipcub16HIPCUB_304000_NS22TransformInputIteratorIbN2at6native12_GLOBAL__N_19NonZeroOpIN3c104HalfEEEPKSF_lEEPiiNS8_6detail34convert_binary_result_type_wrapperINS8_3SumESJ_iEEEE10hipError_tPvRmT1_T2_T3_mT4_P12ihipStream_tbEUlT_E1_NS1_11comp_targetILNS1_3genE3ELNS1_11target_archE908ELNS1_3gpuE7ELNS1_3repE0EEENS1_30default_config_static_selectorELNS0_4arch9wavefront6targetE0EEEvSS_.num_named_barrier, 0
	.set _ZN7rocprim17ROCPRIM_400000_NS6detail17trampoline_kernelINS0_14default_configENS1_22reduce_config_selectorIbEEZNS1_11reduce_implILb1ES3_N6hipcub16HIPCUB_304000_NS22TransformInputIteratorIbN2at6native12_GLOBAL__N_19NonZeroOpIN3c104HalfEEEPKSF_lEEPiiNS8_6detail34convert_binary_result_type_wrapperINS8_3SumESJ_iEEEE10hipError_tPvRmT1_T2_T3_mT4_P12ihipStream_tbEUlT_E1_NS1_11comp_targetILNS1_3genE3ELNS1_11target_archE908ELNS1_3gpuE7ELNS1_3repE0EEENS1_30default_config_static_selectorELNS0_4arch9wavefront6targetE0EEEvSS_.private_seg_size, 0
	.set _ZN7rocprim17ROCPRIM_400000_NS6detail17trampoline_kernelINS0_14default_configENS1_22reduce_config_selectorIbEEZNS1_11reduce_implILb1ES3_N6hipcub16HIPCUB_304000_NS22TransformInputIteratorIbN2at6native12_GLOBAL__N_19NonZeroOpIN3c104HalfEEEPKSF_lEEPiiNS8_6detail34convert_binary_result_type_wrapperINS8_3SumESJ_iEEEE10hipError_tPvRmT1_T2_T3_mT4_P12ihipStream_tbEUlT_E1_NS1_11comp_targetILNS1_3genE3ELNS1_11target_archE908ELNS1_3gpuE7ELNS1_3repE0EEENS1_30default_config_static_selectorELNS0_4arch9wavefront6targetE0EEEvSS_.uses_vcc, 0
	.set _ZN7rocprim17ROCPRIM_400000_NS6detail17trampoline_kernelINS0_14default_configENS1_22reduce_config_selectorIbEEZNS1_11reduce_implILb1ES3_N6hipcub16HIPCUB_304000_NS22TransformInputIteratorIbN2at6native12_GLOBAL__N_19NonZeroOpIN3c104HalfEEEPKSF_lEEPiiNS8_6detail34convert_binary_result_type_wrapperINS8_3SumESJ_iEEEE10hipError_tPvRmT1_T2_T3_mT4_P12ihipStream_tbEUlT_E1_NS1_11comp_targetILNS1_3genE3ELNS1_11target_archE908ELNS1_3gpuE7ELNS1_3repE0EEENS1_30default_config_static_selectorELNS0_4arch9wavefront6targetE0EEEvSS_.uses_flat_scratch, 0
	.set _ZN7rocprim17ROCPRIM_400000_NS6detail17trampoline_kernelINS0_14default_configENS1_22reduce_config_selectorIbEEZNS1_11reduce_implILb1ES3_N6hipcub16HIPCUB_304000_NS22TransformInputIteratorIbN2at6native12_GLOBAL__N_19NonZeroOpIN3c104HalfEEEPKSF_lEEPiiNS8_6detail34convert_binary_result_type_wrapperINS8_3SumESJ_iEEEE10hipError_tPvRmT1_T2_T3_mT4_P12ihipStream_tbEUlT_E1_NS1_11comp_targetILNS1_3genE3ELNS1_11target_archE908ELNS1_3gpuE7ELNS1_3repE0EEENS1_30default_config_static_selectorELNS0_4arch9wavefront6targetE0EEEvSS_.has_dyn_sized_stack, 0
	.set _ZN7rocprim17ROCPRIM_400000_NS6detail17trampoline_kernelINS0_14default_configENS1_22reduce_config_selectorIbEEZNS1_11reduce_implILb1ES3_N6hipcub16HIPCUB_304000_NS22TransformInputIteratorIbN2at6native12_GLOBAL__N_19NonZeroOpIN3c104HalfEEEPKSF_lEEPiiNS8_6detail34convert_binary_result_type_wrapperINS8_3SumESJ_iEEEE10hipError_tPvRmT1_T2_T3_mT4_P12ihipStream_tbEUlT_E1_NS1_11comp_targetILNS1_3genE3ELNS1_11target_archE908ELNS1_3gpuE7ELNS1_3repE0EEENS1_30default_config_static_selectorELNS0_4arch9wavefront6targetE0EEEvSS_.has_recursion, 0
	.set _ZN7rocprim17ROCPRIM_400000_NS6detail17trampoline_kernelINS0_14default_configENS1_22reduce_config_selectorIbEEZNS1_11reduce_implILb1ES3_N6hipcub16HIPCUB_304000_NS22TransformInputIteratorIbN2at6native12_GLOBAL__N_19NonZeroOpIN3c104HalfEEEPKSF_lEEPiiNS8_6detail34convert_binary_result_type_wrapperINS8_3SumESJ_iEEEE10hipError_tPvRmT1_T2_T3_mT4_P12ihipStream_tbEUlT_E1_NS1_11comp_targetILNS1_3genE3ELNS1_11target_archE908ELNS1_3gpuE7ELNS1_3repE0EEENS1_30default_config_static_selectorELNS0_4arch9wavefront6targetE0EEEvSS_.has_indirect_call, 0
	.section	.AMDGPU.csdata,"",@progbits
; Kernel info:
; codeLenInByte = 0
; TotalNumSgprs: 0
; NumVgprs: 0
; ScratchSize: 0
; MemoryBound: 0
; FloatMode: 240
; IeeeMode: 1
; LDSByteSize: 0 bytes/workgroup (compile time only)
; SGPRBlocks: 0
; VGPRBlocks: 0
; NumSGPRsForWavesPerEU: 1
; NumVGPRsForWavesPerEU: 1
; Occupancy: 16
; WaveLimiterHint : 0
; COMPUTE_PGM_RSRC2:SCRATCH_EN: 0
; COMPUTE_PGM_RSRC2:USER_SGPR: 2
; COMPUTE_PGM_RSRC2:TRAP_HANDLER: 0
; COMPUTE_PGM_RSRC2:TGID_X_EN: 1
; COMPUTE_PGM_RSRC2:TGID_Y_EN: 0
; COMPUTE_PGM_RSRC2:TGID_Z_EN: 0
; COMPUTE_PGM_RSRC2:TIDIG_COMP_CNT: 0
	.section	.text._ZN7rocprim17ROCPRIM_400000_NS6detail17trampoline_kernelINS0_14default_configENS1_22reduce_config_selectorIbEEZNS1_11reduce_implILb1ES3_N6hipcub16HIPCUB_304000_NS22TransformInputIteratorIbN2at6native12_GLOBAL__N_19NonZeroOpIN3c104HalfEEEPKSF_lEEPiiNS8_6detail34convert_binary_result_type_wrapperINS8_3SumESJ_iEEEE10hipError_tPvRmT1_T2_T3_mT4_P12ihipStream_tbEUlT_E1_NS1_11comp_targetILNS1_3genE2ELNS1_11target_archE906ELNS1_3gpuE6ELNS1_3repE0EEENS1_30default_config_static_selectorELNS0_4arch9wavefront6targetE0EEEvSS_,"axG",@progbits,_ZN7rocprim17ROCPRIM_400000_NS6detail17trampoline_kernelINS0_14default_configENS1_22reduce_config_selectorIbEEZNS1_11reduce_implILb1ES3_N6hipcub16HIPCUB_304000_NS22TransformInputIteratorIbN2at6native12_GLOBAL__N_19NonZeroOpIN3c104HalfEEEPKSF_lEEPiiNS8_6detail34convert_binary_result_type_wrapperINS8_3SumESJ_iEEEE10hipError_tPvRmT1_T2_T3_mT4_P12ihipStream_tbEUlT_E1_NS1_11comp_targetILNS1_3genE2ELNS1_11target_archE906ELNS1_3gpuE6ELNS1_3repE0EEENS1_30default_config_static_selectorELNS0_4arch9wavefront6targetE0EEEvSS_,comdat
	.globl	_ZN7rocprim17ROCPRIM_400000_NS6detail17trampoline_kernelINS0_14default_configENS1_22reduce_config_selectorIbEEZNS1_11reduce_implILb1ES3_N6hipcub16HIPCUB_304000_NS22TransformInputIteratorIbN2at6native12_GLOBAL__N_19NonZeroOpIN3c104HalfEEEPKSF_lEEPiiNS8_6detail34convert_binary_result_type_wrapperINS8_3SumESJ_iEEEE10hipError_tPvRmT1_T2_T3_mT4_P12ihipStream_tbEUlT_E1_NS1_11comp_targetILNS1_3genE2ELNS1_11target_archE906ELNS1_3gpuE6ELNS1_3repE0EEENS1_30default_config_static_selectorELNS0_4arch9wavefront6targetE0EEEvSS_ ; -- Begin function _ZN7rocprim17ROCPRIM_400000_NS6detail17trampoline_kernelINS0_14default_configENS1_22reduce_config_selectorIbEEZNS1_11reduce_implILb1ES3_N6hipcub16HIPCUB_304000_NS22TransformInputIteratorIbN2at6native12_GLOBAL__N_19NonZeroOpIN3c104HalfEEEPKSF_lEEPiiNS8_6detail34convert_binary_result_type_wrapperINS8_3SumESJ_iEEEE10hipError_tPvRmT1_T2_T3_mT4_P12ihipStream_tbEUlT_E1_NS1_11comp_targetILNS1_3genE2ELNS1_11target_archE906ELNS1_3gpuE6ELNS1_3repE0EEENS1_30default_config_static_selectorELNS0_4arch9wavefront6targetE0EEEvSS_
	.p2align	8
	.type	_ZN7rocprim17ROCPRIM_400000_NS6detail17trampoline_kernelINS0_14default_configENS1_22reduce_config_selectorIbEEZNS1_11reduce_implILb1ES3_N6hipcub16HIPCUB_304000_NS22TransformInputIteratorIbN2at6native12_GLOBAL__N_19NonZeroOpIN3c104HalfEEEPKSF_lEEPiiNS8_6detail34convert_binary_result_type_wrapperINS8_3SumESJ_iEEEE10hipError_tPvRmT1_T2_T3_mT4_P12ihipStream_tbEUlT_E1_NS1_11comp_targetILNS1_3genE2ELNS1_11target_archE906ELNS1_3gpuE6ELNS1_3repE0EEENS1_30default_config_static_selectorELNS0_4arch9wavefront6targetE0EEEvSS_,@function
_ZN7rocprim17ROCPRIM_400000_NS6detail17trampoline_kernelINS0_14default_configENS1_22reduce_config_selectorIbEEZNS1_11reduce_implILb1ES3_N6hipcub16HIPCUB_304000_NS22TransformInputIteratorIbN2at6native12_GLOBAL__N_19NonZeroOpIN3c104HalfEEEPKSF_lEEPiiNS8_6detail34convert_binary_result_type_wrapperINS8_3SumESJ_iEEEE10hipError_tPvRmT1_T2_T3_mT4_P12ihipStream_tbEUlT_E1_NS1_11comp_targetILNS1_3genE2ELNS1_11target_archE906ELNS1_3gpuE6ELNS1_3repE0EEENS1_30default_config_static_selectorELNS0_4arch9wavefront6targetE0EEEvSS_: ; @_ZN7rocprim17ROCPRIM_400000_NS6detail17trampoline_kernelINS0_14default_configENS1_22reduce_config_selectorIbEEZNS1_11reduce_implILb1ES3_N6hipcub16HIPCUB_304000_NS22TransformInputIteratorIbN2at6native12_GLOBAL__N_19NonZeroOpIN3c104HalfEEEPKSF_lEEPiiNS8_6detail34convert_binary_result_type_wrapperINS8_3SumESJ_iEEEE10hipError_tPvRmT1_T2_T3_mT4_P12ihipStream_tbEUlT_E1_NS1_11comp_targetILNS1_3genE2ELNS1_11target_archE906ELNS1_3gpuE6ELNS1_3repE0EEENS1_30default_config_static_selectorELNS0_4arch9wavefront6targetE0EEEvSS_
; %bb.0:
	.section	.rodata,"a",@progbits
	.p2align	6, 0x0
	.amdhsa_kernel _ZN7rocprim17ROCPRIM_400000_NS6detail17trampoline_kernelINS0_14default_configENS1_22reduce_config_selectorIbEEZNS1_11reduce_implILb1ES3_N6hipcub16HIPCUB_304000_NS22TransformInputIteratorIbN2at6native12_GLOBAL__N_19NonZeroOpIN3c104HalfEEEPKSF_lEEPiiNS8_6detail34convert_binary_result_type_wrapperINS8_3SumESJ_iEEEE10hipError_tPvRmT1_T2_T3_mT4_P12ihipStream_tbEUlT_E1_NS1_11comp_targetILNS1_3genE2ELNS1_11target_archE906ELNS1_3gpuE6ELNS1_3repE0EEENS1_30default_config_static_selectorELNS0_4arch9wavefront6targetE0EEEvSS_
		.amdhsa_group_segment_fixed_size 0
		.amdhsa_private_segment_fixed_size 0
		.amdhsa_kernarg_size 48
		.amdhsa_user_sgpr_count 2
		.amdhsa_user_sgpr_dispatch_ptr 0
		.amdhsa_user_sgpr_queue_ptr 0
		.amdhsa_user_sgpr_kernarg_segment_ptr 1
		.amdhsa_user_sgpr_dispatch_id 0
		.amdhsa_user_sgpr_private_segment_size 0
		.amdhsa_wavefront_size32 1
		.amdhsa_uses_dynamic_stack 0
		.amdhsa_enable_private_segment 0
		.amdhsa_system_sgpr_workgroup_id_x 1
		.amdhsa_system_sgpr_workgroup_id_y 0
		.amdhsa_system_sgpr_workgroup_id_z 0
		.amdhsa_system_sgpr_workgroup_info 0
		.amdhsa_system_vgpr_workitem_id 0
		.amdhsa_next_free_vgpr 1
		.amdhsa_next_free_sgpr 1
		.amdhsa_reserve_vcc 0
		.amdhsa_float_round_mode_32 0
		.amdhsa_float_round_mode_16_64 0
		.amdhsa_float_denorm_mode_32 3
		.amdhsa_float_denorm_mode_16_64 3
		.amdhsa_fp16_overflow 0
		.amdhsa_workgroup_processor_mode 1
		.amdhsa_memory_ordered 1
		.amdhsa_forward_progress 1
		.amdhsa_inst_pref_size 0
		.amdhsa_round_robin_scheduling 0
		.amdhsa_exception_fp_ieee_invalid_op 0
		.amdhsa_exception_fp_denorm_src 0
		.amdhsa_exception_fp_ieee_div_zero 0
		.amdhsa_exception_fp_ieee_overflow 0
		.amdhsa_exception_fp_ieee_underflow 0
		.amdhsa_exception_fp_ieee_inexact 0
		.amdhsa_exception_int_div_zero 0
	.end_amdhsa_kernel
	.section	.text._ZN7rocprim17ROCPRIM_400000_NS6detail17trampoline_kernelINS0_14default_configENS1_22reduce_config_selectorIbEEZNS1_11reduce_implILb1ES3_N6hipcub16HIPCUB_304000_NS22TransformInputIteratorIbN2at6native12_GLOBAL__N_19NonZeroOpIN3c104HalfEEEPKSF_lEEPiiNS8_6detail34convert_binary_result_type_wrapperINS8_3SumESJ_iEEEE10hipError_tPvRmT1_T2_T3_mT4_P12ihipStream_tbEUlT_E1_NS1_11comp_targetILNS1_3genE2ELNS1_11target_archE906ELNS1_3gpuE6ELNS1_3repE0EEENS1_30default_config_static_selectorELNS0_4arch9wavefront6targetE0EEEvSS_,"axG",@progbits,_ZN7rocprim17ROCPRIM_400000_NS6detail17trampoline_kernelINS0_14default_configENS1_22reduce_config_selectorIbEEZNS1_11reduce_implILb1ES3_N6hipcub16HIPCUB_304000_NS22TransformInputIteratorIbN2at6native12_GLOBAL__N_19NonZeroOpIN3c104HalfEEEPKSF_lEEPiiNS8_6detail34convert_binary_result_type_wrapperINS8_3SumESJ_iEEEE10hipError_tPvRmT1_T2_T3_mT4_P12ihipStream_tbEUlT_E1_NS1_11comp_targetILNS1_3genE2ELNS1_11target_archE906ELNS1_3gpuE6ELNS1_3repE0EEENS1_30default_config_static_selectorELNS0_4arch9wavefront6targetE0EEEvSS_,comdat
.Lfunc_end861:
	.size	_ZN7rocprim17ROCPRIM_400000_NS6detail17trampoline_kernelINS0_14default_configENS1_22reduce_config_selectorIbEEZNS1_11reduce_implILb1ES3_N6hipcub16HIPCUB_304000_NS22TransformInputIteratorIbN2at6native12_GLOBAL__N_19NonZeroOpIN3c104HalfEEEPKSF_lEEPiiNS8_6detail34convert_binary_result_type_wrapperINS8_3SumESJ_iEEEE10hipError_tPvRmT1_T2_T3_mT4_P12ihipStream_tbEUlT_E1_NS1_11comp_targetILNS1_3genE2ELNS1_11target_archE906ELNS1_3gpuE6ELNS1_3repE0EEENS1_30default_config_static_selectorELNS0_4arch9wavefront6targetE0EEEvSS_, .Lfunc_end861-_ZN7rocprim17ROCPRIM_400000_NS6detail17trampoline_kernelINS0_14default_configENS1_22reduce_config_selectorIbEEZNS1_11reduce_implILb1ES3_N6hipcub16HIPCUB_304000_NS22TransformInputIteratorIbN2at6native12_GLOBAL__N_19NonZeroOpIN3c104HalfEEEPKSF_lEEPiiNS8_6detail34convert_binary_result_type_wrapperINS8_3SumESJ_iEEEE10hipError_tPvRmT1_T2_T3_mT4_P12ihipStream_tbEUlT_E1_NS1_11comp_targetILNS1_3genE2ELNS1_11target_archE906ELNS1_3gpuE6ELNS1_3repE0EEENS1_30default_config_static_selectorELNS0_4arch9wavefront6targetE0EEEvSS_
                                        ; -- End function
	.set _ZN7rocprim17ROCPRIM_400000_NS6detail17trampoline_kernelINS0_14default_configENS1_22reduce_config_selectorIbEEZNS1_11reduce_implILb1ES3_N6hipcub16HIPCUB_304000_NS22TransformInputIteratorIbN2at6native12_GLOBAL__N_19NonZeroOpIN3c104HalfEEEPKSF_lEEPiiNS8_6detail34convert_binary_result_type_wrapperINS8_3SumESJ_iEEEE10hipError_tPvRmT1_T2_T3_mT4_P12ihipStream_tbEUlT_E1_NS1_11comp_targetILNS1_3genE2ELNS1_11target_archE906ELNS1_3gpuE6ELNS1_3repE0EEENS1_30default_config_static_selectorELNS0_4arch9wavefront6targetE0EEEvSS_.num_vgpr, 0
	.set _ZN7rocprim17ROCPRIM_400000_NS6detail17trampoline_kernelINS0_14default_configENS1_22reduce_config_selectorIbEEZNS1_11reduce_implILb1ES3_N6hipcub16HIPCUB_304000_NS22TransformInputIteratorIbN2at6native12_GLOBAL__N_19NonZeroOpIN3c104HalfEEEPKSF_lEEPiiNS8_6detail34convert_binary_result_type_wrapperINS8_3SumESJ_iEEEE10hipError_tPvRmT1_T2_T3_mT4_P12ihipStream_tbEUlT_E1_NS1_11comp_targetILNS1_3genE2ELNS1_11target_archE906ELNS1_3gpuE6ELNS1_3repE0EEENS1_30default_config_static_selectorELNS0_4arch9wavefront6targetE0EEEvSS_.num_agpr, 0
	.set _ZN7rocprim17ROCPRIM_400000_NS6detail17trampoline_kernelINS0_14default_configENS1_22reduce_config_selectorIbEEZNS1_11reduce_implILb1ES3_N6hipcub16HIPCUB_304000_NS22TransformInputIteratorIbN2at6native12_GLOBAL__N_19NonZeroOpIN3c104HalfEEEPKSF_lEEPiiNS8_6detail34convert_binary_result_type_wrapperINS8_3SumESJ_iEEEE10hipError_tPvRmT1_T2_T3_mT4_P12ihipStream_tbEUlT_E1_NS1_11comp_targetILNS1_3genE2ELNS1_11target_archE906ELNS1_3gpuE6ELNS1_3repE0EEENS1_30default_config_static_selectorELNS0_4arch9wavefront6targetE0EEEvSS_.numbered_sgpr, 0
	.set _ZN7rocprim17ROCPRIM_400000_NS6detail17trampoline_kernelINS0_14default_configENS1_22reduce_config_selectorIbEEZNS1_11reduce_implILb1ES3_N6hipcub16HIPCUB_304000_NS22TransformInputIteratorIbN2at6native12_GLOBAL__N_19NonZeroOpIN3c104HalfEEEPKSF_lEEPiiNS8_6detail34convert_binary_result_type_wrapperINS8_3SumESJ_iEEEE10hipError_tPvRmT1_T2_T3_mT4_P12ihipStream_tbEUlT_E1_NS1_11comp_targetILNS1_3genE2ELNS1_11target_archE906ELNS1_3gpuE6ELNS1_3repE0EEENS1_30default_config_static_selectorELNS0_4arch9wavefront6targetE0EEEvSS_.num_named_barrier, 0
	.set _ZN7rocprim17ROCPRIM_400000_NS6detail17trampoline_kernelINS0_14default_configENS1_22reduce_config_selectorIbEEZNS1_11reduce_implILb1ES3_N6hipcub16HIPCUB_304000_NS22TransformInputIteratorIbN2at6native12_GLOBAL__N_19NonZeroOpIN3c104HalfEEEPKSF_lEEPiiNS8_6detail34convert_binary_result_type_wrapperINS8_3SumESJ_iEEEE10hipError_tPvRmT1_T2_T3_mT4_P12ihipStream_tbEUlT_E1_NS1_11comp_targetILNS1_3genE2ELNS1_11target_archE906ELNS1_3gpuE6ELNS1_3repE0EEENS1_30default_config_static_selectorELNS0_4arch9wavefront6targetE0EEEvSS_.private_seg_size, 0
	.set _ZN7rocprim17ROCPRIM_400000_NS6detail17trampoline_kernelINS0_14default_configENS1_22reduce_config_selectorIbEEZNS1_11reduce_implILb1ES3_N6hipcub16HIPCUB_304000_NS22TransformInputIteratorIbN2at6native12_GLOBAL__N_19NonZeroOpIN3c104HalfEEEPKSF_lEEPiiNS8_6detail34convert_binary_result_type_wrapperINS8_3SumESJ_iEEEE10hipError_tPvRmT1_T2_T3_mT4_P12ihipStream_tbEUlT_E1_NS1_11comp_targetILNS1_3genE2ELNS1_11target_archE906ELNS1_3gpuE6ELNS1_3repE0EEENS1_30default_config_static_selectorELNS0_4arch9wavefront6targetE0EEEvSS_.uses_vcc, 0
	.set _ZN7rocprim17ROCPRIM_400000_NS6detail17trampoline_kernelINS0_14default_configENS1_22reduce_config_selectorIbEEZNS1_11reduce_implILb1ES3_N6hipcub16HIPCUB_304000_NS22TransformInputIteratorIbN2at6native12_GLOBAL__N_19NonZeroOpIN3c104HalfEEEPKSF_lEEPiiNS8_6detail34convert_binary_result_type_wrapperINS8_3SumESJ_iEEEE10hipError_tPvRmT1_T2_T3_mT4_P12ihipStream_tbEUlT_E1_NS1_11comp_targetILNS1_3genE2ELNS1_11target_archE906ELNS1_3gpuE6ELNS1_3repE0EEENS1_30default_config_static_selectorELNS0_4arch9wavefront6targetE0EEEvSS_.uses_flat_scratch, 0
	.set _ZN7rocprim17ROCPRIM_400000_NS6detail17trampoline_kernelINS0_14default_configENS1_22reduce_config_selectorIbEEZNS1_11reduce_implILb1ES3_N6hipcub16HIPCUB_304000_NS22TransformInputIteratorIbN2at6native12_GLOBAL__N_19NonZeroOpIN3c104HalfEEEPKSF_lEEPiiNS8_6detail34convert_binary_result_type_wrapperINS8_3SumESJ_iEEEE10hipError_tPvRmT1_T2_T3_mT4_P12ihipStream_tbEUlT_E1_NS1_11comp_targetILNS1_3genE2ELNS1_11target_archE906ELNS1_3gpuE6ELNS1_3repE0EEENS1_30default_config_static_selectorELNS0_4arch9wavefront6targetE0EEEvSS_.has_dyn_sized_stack, 0
	.set _ZN7rocprim17ROCPRIM_400000_NS6detail17trampoline_kernelINS0_14default_configENS1_22reduce_config_selectorIbEEZNS1_11reduce_implILb1ES3_N6hipcub16HIPCUB_304000_NS22TransformInputIteratorIbN2at6native12_GLOBAL__N_19NonZeroOpIN3c104HalfEEEPKSF_lEEPiiNS8_6detail34convert_binary_result_type_wrapperINS8_3SumESJ_iEEEE10hipError_tPvRmT1_T2_T3_mT4_P12ihipStream_tbEUlT_E1_NS1_11comp_targetILNS1_3genE2ELNS1_11target_archE906ELNS1_3gpuE6ELNS1_3repE0EEENS1_30default_config_static_selectorELNS0_4arch9wavefront6targetE0EEEvSS_.has_recursion, 0
	.set _ZN7rocprim17ROCPRIM_400000_NS6detail17trampoline_kernelINS0_14default_configENS1_22reduce_config_selectorIbEEZNS1_11reduce_implILb1ES3_N6hipcub16HIPCUB_304000_NS22TransformInputIteratorIbN2at6native12_GLOBAL__N_19NonZeroOpIN3c104HalfEEEPKSF_lEEPiiNS8_6detail34convert_binary_result_type_wrapperINS8_3SumESJ_iEEEE10hipError_tPvRmT1_T2_T3_mT4_P12ihipStream_tbEUlT_E1_NS1_11comp_targetILNS1_3genE2ELNS1_11target_archE906ELNS1_3gpuE6ELNS1_3repE0EEENS1_30default_config_static_selectorELNS0_4arch9wavefront6targetE0EEEvSS_.has_indirect_call, 0
	.section	.AMDGPU.csdata,"",@progbits
; Kernel info:
; codeLenInByte = 0
; TotalNumSgprs: 0
; NumVgprs: 0
; ScratchSize: 0
; MemoryBound: 0
; FloatMode: 240
; IeeeMode: 1
; LDSByteSize: 0 bytes/workgroup (compile time only)
; SGPRBlocks: 0
; VGPRBlocks: 0
; NumSGPRsForWavesPerEU: 1
; NumVGPRsForWavesPerEU: 1
; Occupancy: 16
; WaveLimiterHint : 0
; COMPUTE_PGM_RSRC2:SCRATCH_EN: 0
; COMPUTE_PGM_RSRC2:USER_SGPR: 2
; COMPUTE_PGM_RSRC2:TRAP_HANDLER: 0
; COMPUTE_PGM_RSRC2:TGID_X_EN: 1
; COMPUTE_PGM_RSRC2:TGID_Y_EN: 0
; COMPUTE_PGM_RSRC2:TGID_Z_EN: 0
; COMPUTE_PGM_RSRC2:TIDIG_COMP_CNT: 0
	.section	.text._ZN7rocprim17ROCPRIM_400000_NS6detail17trampoline_kernelINS0_14default_configENS1_22reduce_config_selectorIbEEZNS1_11reduce_implILb1ES3_N6hipcub16HIPCUB_304000_NS22TransformInputIteratorIbN2at6native12_GLOBAL__N_19NonZeroOpIN3c104HalfEEEPKSF_lEEPiiNS8_6detail34convert_binary_result_type_wrapperINS8_3SumESJ_iEEEE10hipError_tPvRmT1_T2_T3_mT4_P12ihipStream_tbEUlT_E1_NS1_11comp_targetILNS1_3genE10ELNS1_11target_archE1201ELNS1_3gpuE5ELNS1_3repE0EEENS1_30default_config_static_selectorELNS0_4arch9wavefront6targetE0EEEvSS_,"axG",@progbits,_ZN7rocprim17ROCPRIM_400000_NS6detail17trampoline_kernelINS0_14default_configENS1_22reduce_config_selectorIbEEZNS1_11reduce_implILb1ES3_N6hipcub16HIPCUB_304000_NS22TransformInputIteratorIbN2at6native12_GLOBAL__N_19NonZeroOpIN3c104HalfEEEPKSF_lEEPiiNS8_6detail34convert_binary_result_type_wrapperINS8_3SumESJ_iEEEE10hipError_tPvRmT1_T2_T3_mT4_P12ihipStream_tbEUlT_E1_NS1_11comp_targetILNS1_3genE10ELNS1_11target_archE1201ELNS1_3gpuE5ELNS1_3repE0EEENS1_30default_config_static_selectorELNS0_4arch9wavefront6targetE0EEEvSS_,comdat
	.globl	_ZN7rocprim17ROCPRIM_400000_NS6detail17trampoline_kernelINS0_14default_configENS1_22reduce_config_selectorIbEEZNS1_11reduce_implILb1ES3_N6hipcub16HIPCUB_304000_NS22TransformInputIteratorIbN2at6native12_GLOBAL__N_19NonZeroOpIN3c104HalfEEEPKSF_lEEPiiNS8_6detail34convert_binary_result_type_wrapperINS8_3SumESJ_iEEEE10hipError_tPvRmT1_T2_T3_mT4_P12ihipStream_tbEUlT_E1_NS1_11comp_targetILNS1_3genE10ELNS1_11target_archE1201ELNS1_3gpuE5ELNS1_3repE0EEENS1_30default_config_static_selectorELNS0_4arch9wavefront6targetE0EEEvSS_ ; -- Begin function _ZN7rocprim17ROCPRIM_400000_NS6detail17trampoline_kernelINS0_14default_configENS1_22reduce_config_selectorIbEEZNS1_11reduce_implILb1ES3_N6hipcub16HIPCUB_304000_NS22TransformInputIteratorIbN2at6native12_GLOBAL__N_19NonZeroOpIN3c104HalfEEEPKSF_lEEPiiNS8_6detail34convert_binary_result_type_wrapperINS8_3SumESJ_iEEEE10hipError_tPvRmT1_T2_T3_mT4_P12ihipStream_tbEUlT_E1_NS1_11comp_targetILNS1_3genE10ELNS1_11target_archE1201ELNS1_3gpuE5ELNS1_3repE0EEENS1_30default_config_static_selectorELNS0_4arch9wavefront6targetE0EEEvSS_
	.p2align	8
	.type	_ZN7rocprim17ROCPRIM_400000_NS6detail17trampoline_kernelINS0_14default_configENS1_22reduce_config_selectorIbEEZNS1_11reduce_implILb1ES3_N6hipcub16HIPCUB_304000_NS22TransformInputIteratorIbN2at6native12_GLOBAL__N_19NonZeroOpIN3c104HalfEEEPKSF_lEEPiiNS8_6detail34convert_binary_result_type_wrapperINS8_3SumESJ_iEEEE10hipError_tPvRmT1_T2_T3_mT4_P12ihipStream_tbEUlT_E1_NS1_11comp_targetILNS1_3genE10ELNS1_11target_archE1201ELNS1_3gpuE5ELNS1_3repE0EEENS1_30default_config_static_selectorELNS0_4arch9wavefront6targetE0EEEvSS_,@function
_ZN7rocprim17ROCPRIM_400000_NS6detail17trampoline_kernelINS0_14default_configENS1_22reduce_config_selectorIbEEZNS1_11reduce_implILb1ES3_N6hipcub16HIPCUB_304000_NS22TransformInputIteratorIbN2at6native12_GLOBAL__N_19NonZeroOpIN3c104HalfEEEPKSF_lEEPiiNS8_6detail34convert_binary_result_type_wrapperINS8_3SumESJ_iEEEE10hipError_tPvRmT1_T2_T3_mT4_P12ihipStream_tbEUlT_E1_NS1_11comp_targetILNS1_3genE10ELNS1_11target_archE1201ELNS1_3gpuE5ELNS1_3repE0EEENS1_30default_config_static_selectorELNS0_4arch9wavefront6targetE0EEEvSS_: ; @_ZN7rocprim17ROCPRIM_400000_NS6detail17trampoline_kernelINS0_14default_configENS1_22reduce_config_selectorIbEEZNS1_11reduce_implILb1ES3_N6hipcub16HIPCUB_304000_NS22TransformInputIteratorIbN2at6native12_GLOBAL__N_19NonZeroOpIN3c104HalfEEEPKSF_lEEPiiNS8_6detail34convert_binary_result_type_wrapperINS8_3SumESJ_iEEEE10hipError_tPvRmT1_T2_T3_mT4_P12ihipStream_tbEUlT_E1_NS1_11comp_targetILNS1_3genE10ELNS1_11target_archE1201ELNS1_3gpuE5ELNS1_3repE0EEENS1_30default_config_static_selectorELNS0_4arch9wavefront6targetE0EEEvSS_
; %bb.0:
	s_clause 0x2
	s_load_b32 s44, s[0:1], 0x4
	s_load_b64 s[40:41], s[0:1], 0x8
	s_load_b128 s[36:39], s[0:1], 0x18
	s_mov_b32 s34, ttmp9
	s_wait_kmcnt 0x0
	s_cmp_lt_i32 s44, 16
	s_cbranch_scc1 .LBB862_12
; %bb.1:
	s_cmp_gt_i32 s44, 63
	s_cbranch_scc0 .LBB862_13
; %bb.2:
	s_cmp_gt_i32 s44, 0x7f
	s_cbranch_scc0 .LBB862_22
; %bb.3:
	s_cmp_eq_u32 s44, 0x80
	s_mov_b32 s6, 0
	s_cbranch_scc0 .LBB862_23
; %bb.4:
	s_mov_b32 s35, 0
	s_lshl_b32 s4, s34, 15
	s_mov_b32 s5, s35
	s_lshr_b64 s[2:3], s[36:37], 15
	s_lshl_b64 s[8:9], s[4:5], 1
	s_cmp_lg_u64 s[2:3], s[34:35]
	s_add_nc_u64 s[2:3], s[40:41], s[8:9]
	s_cbranch_scc0 .LBB862_34
; %bb.5:
	v_lshlrev_b32_e32 v1, 1, v0
	s_mov_b32 s5, exec_lo
	s_clause 0x1f
	global_load_u16 v2, v1, s[2:3]
	global_load_u16 v3, v1, s[2:3] offset:512
	global_load_u16 v4, v1, s[2:3] offset:1024
	global_load_u16 v5, v1, s[2:3] offset:1536
	global_load_u16 v6, v1, s[2:3] offset:2048
	global_load_u16 v7, v1, s[2:3] offset:2560
	global_load_u16 v8, v1, s[2:3] offset:3072
	global_load_u16 v9, v1, s[2:3] offset:3584
	global_load_u16 v10, v1, s[2:3] offset:4096
	global_load_u16 v11, v1, s[2:3] offset:4608
	global_load_u16 v12, v1, s[2:3] offset:5120
	global_load_u16 v13, v1, s[2:3] offset:5632
	global_load_u16 v14, v1, s[2:3] offset:6144
	global_load_u16 v15, v1, s[2:3] offset:6656
	global_load_u16 v16, v1, s[2:3] offset:7168
	global_load_u16 v17, v1, s[2:3] offset:7680
	global_load_u16 v18, v1, s[2:3] offset:8192
	global_load_u16 v19, v1, s[2:3] offset:8704
	global_load_u16 v20, v1, s[2:3] offset:9216
	global_load_u16 v21, v1, s[2:3] offset:9728
	global_load_u16 v22, v1, s[2:3] offset:10240
	global_load_u16 v23, v1, s[2:3] offset:10752
	global_load_u16 v24, v1, s[2:3] offset:11264
	global_load_u16 v25, v1, s[2:3] offset:11776
	global_load_u16 v26, v1, s[2:3] offset:12288
	global_load_u16 v27, v1, s[2:3] offset:12800
	global_load_u16 v28, v1, s[2:3] offset:13312
	global_load_u16 v29, v1, s[2:3] offset:13824
	global_load_u16 v30, v1, s[2:3] offset:14336
	global_load_u16 v31, v1, s[2:3] offset:14848
	global_load_u16 v32, v1, s[2:3] offset:15360
	global_load_u16 v33, v1, s[2:3] offset:15872
	s_clause 0x1f
	global_load_u16 v34, v1, s[2:3] offset:16384
	global_load_u16 v35, v1, s[2:3] offset:16896
	global_load_u16 v36, v1, s[2:3] offset:17408
	global_load_u16 v37, v1, s[2:3] offset:17920
	global_load_u16 v38, v1, s[2:3] offset:18432
	global_load_u16 v39, v1, s[2:3] offset:18944
	global_load_u16 v40, v1, s[2:3] offset:19456
	global_load_u16 v41, v1, s[2:3] offset:19968
	global_load_u16 v42, v1, s[2:3] offset:20480
	global_load_u16 v43, v1, s[2:3] offset:20992
	global_load_u16 v44, v1, s[2:3] offset:21504
	global_load_u16 v45, v1, s[2:3] offset:22016
	global_load_u16 v46, v1, s[2:3] offset:22528
	global_load_u16 v47, v1, s[2:3] offset:23040
	global_load_u16 v48, v1, s[2:3] offset:23552
	global_load_u16 v49, v1, s[2:3] offset:24064
	global_load_u16 v50, v1, s[2:3] offset:24576
	global_load_u16 v51, v1, s[2:3] offset:25088
	global_load_u16 v52, v1, s[2:3] offset:25600
	global_load_u16 v53, v1, s[2:3] offset:26112
	global_load_u16 v54, v1, s[2:3] offset:26624
	global_load_u16 v55, v1, s[2:3] offset:27136
	global_load_u16 v56, v1, s[2:3] offset:27648
	global_load_u16 v57, v1, s[2:3] offset:28160
	global_load_u16 v58, v1, s[2:3] offset:28672
	global_load_u16 v59, v1, s[2:3] offset:29184
	global_load_u16 v60, v1, s[2:3] offset:29696
	global_load_u16 v61, v1, s[2:3] offset:30208
	global_load_u16 v62, v1, s[2:3] offset:30720
	global_load_u16 v63, v1, s[2:3] offset:31232
	global_load_u16 v64, v1, s[2:3] offset:31744
	global_load_u16 v65, v1, s[2:3] offset:32256
	s_clause 0x1f
	global_load_u16 v66, v1, s[2:3] offset:32768
	;; [unrolled: 33-line block ×3, first 2 shown]
	global_load_u16 v99, v1, s[2:3] offset:49664
	global_load_u16 v100, v1, s[2:3] offset:50176
	;; [unrolled: 1-line block ×31, first 2 shown]
	s_wait_loadcnt 0x3e
	v_and_b32_e32 v2, 0x7fff, v2
	v_and_b32_e32 v3, 0x7fff, v3
	;; [unrolled: 1-line block ×5, first 2 shown]
	v_cmp_ne_u16_e32 vcc_lo, 0, v2
	v_and_b32_e32 v8, 0x7fff, v8
	v_and_b32_e32 v7, 0x7fff, v7
	;; [unrolled: 1-line block ×4, first 2 shown]
	v_cndmask_b32_e64 v2, 0, 1, vcc_lo
	v_cmp_ne_u16_e32 vcc_lo, 0, v4
	v_and_b32_e32 v12, 0x7fff, v12
	v_and_b32_e32 v11, 0x7fff, v11
	v_and_b32_e32 v14, 0x7fff, v14
	v_and_b32_e32 v13, 0x7fff, v13
	s_wait_alu 0xfffd
	v_cndmask_b32_e64 v4, 0, 1, vcc_lo
	v_cmp_ne_u16_e32 vcc_lo, 0, v3
	v_and_b32_e32 v16, 0x7fff, v16
	v_and_b32_e32 v15, 0x7fff, v15
	v_and_b32_e32 v18, 0x7fff, v18
	v_and_b32_e32 v17, 0x7fff, v17
	s_wait_alu 0xfffd
	v_add_co_ci_u32_e64 v2, null, 0, v2, vcc_lo
	v_cmp_ne_u16_e32 vcc_lo, 0, v6
	v_and_b32_e32 v20, 0x7fff, v20
	v_and_b32_e32 v19, 0x7fff, v19
	v_and_b32_e32 v22, 0x7fff, v22
	v_and_b32_e32 v21, 0x7fff, v21
	s_wait_alu 0xfffd
	v_cndmask_b32_e64 v3, 0, 1, vcc_lo
	v_cmp_ne_u16_e32 vcc_lo, 0, v5
	v_and_b32_e32 v24, 0x7fff, v24
	v_and_b32_e32 v23, 0x7fff, v23
	v_and_b32_e32 v26, 0x7fff, v26
	v_and_b32_e32 v25, 0x7fff, v25
	s_wait_alu 0xfffd
	v_add_co_ci_u32_e64 v2, null, v2, v4, vcc_lo
	;; [unrolled: 14-line block ×7, first 2 shown]
	v_cmp_ne_u16_e32 vcc_lo, 0, v18
	s_wait_loadcnt 0x3d
	v_and_b32_e32 v68, 0x7fff, v68
	v_and_b32_e32 v67, 0x7fff, v67
	s_wait_loadcnt 0x3b
	v_and_b32_e32 v70, 0x7fff, v70
	v_and_b32_e32 v69, 0x7fff, v69
	s_wait_alu 0xfffd
	v_cndmask_b32_e64 v3, 0, 1, vcc_lo
	v_cmp_ne_u16_e32 vcc_lo, 0, v17
	s_wait_loadcnt 0x39
	v_and_b32_e32 v72, 0x7fff, v72
	v_and_b32_e32 v71, 0x7fff, v71
	s_wait_loadcnt 0x37
	v_and_b32_e32 v74, 0x7fff, v74
	v_and_b32_e32 v73, 0x7fff, v73
	s_wait_alu 0xfffd
	v_add_co_ci_u32_e64 v2, null, v2, v4, vcc_lo
	v_cmp_ne_u16_e32 vcc_lo, 0, v20
	s_wait_loadcnt 0x35
	v_and_b32_e32 v76, 0x7fff, v76
	v_and_b32_e32 v75, 0x7fff, v75
	s_wait_loadcnt 0x33
	v_and_b32_e32 v78, 0x7fff, v78
	v_and_b32_e32 v77, 0x7fff, v77
	s_wait_alu 0xfffd
	v_cndmask_b32_e64 v4, 0, 1, vcc_lo
	v_cmp_ne_u16_e32 vcc_lo, 0, v19
	s_wait_loadcnt 0x31
	v_and_b32_e32 v80, 0x7fff, v80
	v_and_b32_e32 v79, 0x7fff, v79
	s_wait_loadcnt 0x2f
	v_and_b32_e32 v82, 0x7fff, v82
	v_and_b32_e32 v81, 0x7fff, v81
	s_wait_alu 0xfffd
	v_add_co_ci_u32_e64 v2, null, v2, v3, vcc_lo
	v_cmp_ne_u16_e32 vcc_lo, 0, v22
	s_wait_loadcnt 0x2d
	v_and_b32_e32 v84, 0x7fff, v84
	v_and_b32_e32 v83, 0x7fff, v83
	s_wait_loadcnt 0x2b
	v_and_b32_e32 v86, 0x7fff, v86
	v_and_b32_e32 v85, 0x7fff, v85
	s_wait_alu 0xfffd
	v_cndmask_b32_e64 v3, 0, 1, vcc_lo
	v_cmp_ne_u16_e32 vcc_lo, 0, v21
	s_wait_loadcnt 0x29
	v_and_b32_e32 v88, 0x7fff, v88
	v_and_b32_e32 v87, 0x7fff, v87
	s_wait_loadcnt 0x27
	v_and_b32_e32 v90, 0x7fff, v90
	v_and_b32_e32 v89, 0x7fff, v89
	s_wait_alu 0xfffd
	v_add_co_ci_u32_e64 v2, null, v2, v4, vcc_lo
	v_cmp_ne_u16_e32 vcc_lo, 0, v24
	s_wait_loadcnt 0x25
	v_and_b32_e32 v92, 0x7fff, v92
	v_and_b32_e32 v91, 0x7fff, v91
	s_wait_loadcnt 0x23
	v_and_b32_e32 v94, 0x7fff, v94
	v_and_b32_e32 v93, 0x7fff, v93
	s_wait_alu 0xfffd
	v_cndmask_b32_e64 v4, 0, 1, vcc_lo
	v_cmp_ne_u16_e32 vcc_lo, 0, v23
	s_wait_loadcnt 0x21
	v_and_b32_e32 v96, 0x7fff, v96
	v_and_b32_e32 v95, 0x7fff, v95
	s_wait_loadcnt 0x1f
	v_and_b32_e32 v98, 0x7fff, v98
	v_and_b32_e32 v97, 0x7fff, v97
	s_wait_alu 0xfffd
	v_add_co_ci_u32_e64 v2, null, v2, v3, vcc_lo
	v_cmp_ne_u16_e32 vcc_lo, 0, v26
	s_wait_loadcnt 0x1d
	v_and_b32_e32 v100, 0x7fff, v100
	v_and_b32_e32 v99, 0x7fff, v99
	s_wait_loadcnt 0x1b
	v_and_b32_e32 v102, 0x7fff, v102
	v_and_b32_e32 v101, 0x7fff, v101
	s_wait_alu 0xfffd
	v_cndmask_b32_e64 v3, 0, 1, vcc_lo
	v_cmp_ne_u16_e32 vcc_lo, 0, v25
	s_wait_loadcnt 0x19
	v_and_b32_e32 v104, 0x7fff, v104
	v_and_b32_e32 v103, 0x7fff, v103
	s_wait_loadcnt 0x17
	v_and_b32_e32 v106, 0x7fff, v106
	v_and_b32_e32 v105, 0x7fff, v105
	s_wait_alu 0xfffd
	v_add_co_ci_u32_e64 v2, null, v2, v4, vcc_lo
	v_cmp_ne_u16_e32 vcc_lo, 0, v28
	s_wait_loadcnt 0x15
	v_and_b32_e32 v108, 0x7fff, v108
	v_and_b32_e32 v107, 0x7fff, v107
	s_wait_loadcnt 0x13
	v_and_b32_e32 v110, 0x7fff, v110
	v_and_b32_e32 v109, 0x7fff, v109
	s_wait_alu 0xfffd
	v_cndmask_b32_e64 v4, 0, 1, vcc_lo
	v_cmp_ne_u16_e32 vcc_lo, 0, v27
	s_wait_loadcnt 0x11
	v_and_b32_e32 v112, 0x7fff, v112
	v_and_b32_e32 v111, 0x7fff, v111
	s_wait_loadcnt 0xf
	v_and_b32_e32 v114, 0x7fff, v114
	v_and_b32_e32 v113, 0x7fff, v113
	s_wait_alu 0xfffd
	v_add_co_ci_u32_e64 v2, null, v2, v3, vcc_lo
	v_cmp_ne_u16_e32 vcc_lo, 0, v30
	s_wait_loadcnt 0xd
	v_and_b32_e32 v116, 0x7fff, v116
	v_and_b32_e32 v115, 0x7fff, v115
	s_wait_loadcnt 0xb
	v_and_b32_e32 v118, 0x7fff, v118
	v_and_b32_e32 v117, 0x7fff, v117
	s_wait_alu 0xfffd
	v_cndmask_b32_e64 v3, 0, 1, vcc_lo
	v_cmp_ne_u16_e32 vcc_lo, 0, v29
	s_wait_loadcnt 0x9
	v_and_b32_e32 v120, 0x7fff, v120
	v_and_b32_e32 v119, 0x7fff, v119
	s_wait_loadcnt 0x7
	v_and_b32_e32 v122, 0x7fff, v122
	v_and_b32_e32 v121, 0x7fff, v121
	s_wait_alu 0xfffd
	v_add_co_ci_u32_e64 v2, null, v2, v4, vcc_lo
	v_cmp_ne_u16_e32 vcc_lo, 0, v32
	s_wait_loadcnt 0x5
	v_and_b32_e32 v124, 0x7fff, v124
	v_and_b32_e32 v123, 0x7fff, v123
	s_wait_loadcnt 0x3
	v_and_b32_e32 v126, 0x7fff, v126
	v_and_b32_e32 v125, 0x7fff, v125
	s_wait_alu 0xfffd
	v_cndmask_b32_e64 v4, 0, 1, vcc_lo
	v_cmp_ne_u16_e32 vcc_lo, 0, v31
	s_wait_loadcnt 0x1
	v_and_b32_e32 v128, 0x7fff, v128
	v_and_b32_e32 v127, 0x7fff, v127
	s_wait_loadcnt 0x0
	v_and_b32_e32 v1, 0x7fff, v1
	s_wait_alu 0xfffd
	v_add_co_ci_u32_e64 v2, null, v2, v3, vcc_lo
	v_cmp_ne_u16_e32 vcc_lo, 0, v34
	s_wait_alu 0xfffd
	v_cndmask_b32_e64 v3, 0, 1, vcc_lo
	v_cmp_ne_u16_e32 vcc_lo, 0, v33
	s_wait_alu 0xfffd
	v_add_co_ci_u32_e64 v2, null, v2, v4, vcc_lo
	v_cmp_ne_u16_e32 vcc_lo, 0, v36
	s_wait_alu 0xfffd
	v_cndmask_b32_e64 v4, 0, 1, vcc_lo
	v_cmp_ne_u16_e32 vcc_lo, 0, v35
	;; [unrolled: 6-line block ×47, first 2 shown]
	s_wait_alu 0xfffd
	v_add_co_ci_u32_e64 v2, null, v2, v4, vcc_lo
	v_cmp_ne_u16_e64 vcc_lo, 0, v128
	s_wait_alu 0xfffd
	s_delay_alu instid0(VALU_DEP_1)
	v_cndmask_b32_e64 v4, 0, 1, vcc_lo
	v_cmp_ne_u16_e32 vcc_lo, 0, v127
	s_wait_alu 0xfffd
	v_add_co_ci_u32_e64 v2, null, v2, v3, vcc_lo
	v_cmp_ne_u16_e32 vcc_lo, 0, v1
	s_wait_alu 0xfffd
	s_delay_alu instid0(VALU_DEP_2) | instskip(NEXT) | instid1(VALU_DEP_1)
	v_add_co_ci_u32_e64 v1, null, v2, v4, vcc_lo
	v_mov_b32_dpp v2, v1 quad_perm:[1,0,3,2] row_mask:0xf bank_mask:0xf
	s_delay_alu instid0(VALU_DEP_1) | instskip(NEXT) | instid1(VALU_DEP_1)
	v_add_nc_u32_e32 v1, v1, v2
	v_mov_b32_dpp v2, v1 quad_perm:[2,3,0,1] row_mask:0xf bank_mask:0xf
	s_delay_alu instid0(VALU_DEP_1) | instskip(NEXT) | instid1(VALU_DEP_1)
	v_add_nc_u32_e32 v1, v1, v2
	v_mov_b32_dpp v2, v1 row_ror:4 row_mask:0xf bank_mask:0xf
	s_delay_alu instid0(VALU_DEP_1) | instskip(NEXT) | instid1(VALU_DEP_1)
	v_add_nc_u32_e32 v1, v1, v2
	v_mov_b32_dpp v2, v1 row_ror:8 row_mask:0xf bank_mask:0xf
	s_delay_alu instid0(VALU_DEP_1)
	v_add_nc_u32_e32 v1, v1, v2
	ds_swizzle_b32 v2, v1 offset:swizzle(BROADCAST,32,15)
	s_wait_dscnt 0x0
	v_dual_mov_b32 v2, 0 :: v_dual_add_nc_u32 v1, v1, v2
	ds_bpermute_b32 v1, v2, v1 offset:124
	v_mbcnt_lo_u32_b32 v2, -1, 0
	s_delay_alu instid0(VALU_DEP_1)
	v_cmpx_eq_u32_e32 0, v2
	s_cbranch_execz .LBB862_7
; %bb.6:
	v_lshrrev_b32_e32 v3, 3, v0
	s_delay_alu instid0(VALU_DEP_1)
	v_and_b32_e32 v3, 28, v3
	s_wait_dscnt 0x0
	ds_store_b32 v3, v1
.LBB862_7:
	s_or_b32 exec_lo, exec_lo, s5
	s_delay_alu instid0(SALU_CYCLE_1)
	s_mov_b32 s5, exec_lo
	s_wait_dscnt 0x0
	s_barrier_signal -1
	s_barrier_wait -1
	global_inv scope:SCOPE_SE
	v_cmpx_gt_u32_e32 32, v0
	s_cbranch_execz .LBB862_9
; %bb.8:
	v_and_b32_e32 v1, 7, v2
	s_delay_alu instid0(VALU_DEP_1)
	v_lshlrev_b32_e32 v3, 2, v1
	v_cmp_ne_u32_e32 vcc_lo, 7, v1
	ds_load_b32 v3, v3
	s_wait_alu 0xfffd
	v_add_co_ci_u32_e64 v4, null, 0, v2, vcc_lo
	v_cmp_gt_u32_e32 vcc_lo, 6, v1
	s_delay_alu instid0(VALU_DEP_2) | instskip(SKIP_2) | instid1(VALU_DEP_1)
	v_lshlrev_b32_e32 v4, 2, v4
	s_wait_alu 0xfffd
	v_cndmask_b32_e64 v1, 0, 2, vcc_lo
	v_add_lshl_u32 v1, v1, v2, 2
	v_lshlrev_b32_e32 v2, 2, v2
	s_delay_alu instid0(VALU_DEP_1)
	v_or_b32_e32 v2, 16, v2
	s_wait_dscnt 0x0
	ds_bpermute_b32 v4, v4, v3
	s_wait_dscnt 0x0
	v_add_nc_u32_e32 v3, v4, v3
	ds_bpermute_b32 v1, v1, v3
	s_wait_dscnt 0x0
	v_add_nc_u32_e32 v1, v1, v3
	ds_bpermute_b32 v2, v2, v1
	s_wait_dscnt 0x0
	v_add_nc_u32_e32 v1, v2, v1
.LBB862_9:
	s_or_b32 exec_lo, exec_lo, s5
.LBB862_10:
	v_cmp_eq_u32_e64 s2, 0, v0
	s_and_b32 vcc_lo, exec_lo, s6
	s_wait_alu 0xfffe
	s_cbranch_vccnz .LBB862_24
.LBB862_11:
	s_branch .LBB862_512
.LBB862_12:
	s_mov_b32 s2, 0
                                        ; implicit-def: $vgpr1
	s_cbranch_execz .LBB862_623
	s_branch .LBB862_513
.LBB862_13:
	s_mov_b32 s2, 0
                                        ; implicit-def: $vgpr1
	s_cbranch_execz .LBB862_512
; %bb.14:
	s_cmp_gt_i32 s44, 31
	s_cbranch_scc0 .LBB862_31
; %bb.15:
	s_cmp_eq_u32 s44, 32
	s_cbranch_scc0 .LBB862_32
; %bb.16:
	s_mov_b32 s35, 0
	s_lshl_b32 s2, s34, 13
	s_mov_b32 s3, s35
	s_lshr_b64 s[4:5], s[36:37], 13
	s_lshl_b64 s[6:7], s[2:3], 1
	s_cmp_lg_u64 s[4:5], s[34:35]
	s_add_nc_u64 s[42:43], s[40:41], s[6:7]
	s_cbranch_scc0 .LBB862_296
; %bb.17:
	v_lshlrev_b32_e32 v1, 1, v0
	s_mov_b32 s3, exec_lo
	s_clause 0x1f
	global_load_u16 v2, v1, s[42:43]
	global_load_u16 v3, v1, s[42:43] offset:512
	global_load_u16 v4, v1, s[42:43] offset:1024
	;; [unrolled: 1-line block ×31, first 2 shown]
	s_wait_loadcnt 0x1f
	v_and_b32_e32 v2, 0x7fff, v2
	s_wait_loadcnt 0x1e
	v_and_b32_e32 v3, 0x7fff, v3
	;; [unrolled: 2-line block ×5, first 2 shown]
	v_cmp_ne_u16_e32 vcc_lo, 0, v2
	s_wait_loadcnt 0x19
	v_and_b32_e32 v8, 0x7fff, v8
	v_and_b32_e32 v7, 0x7fff, v7
	s_wait_loadcnt 0x17
	v_and_b32_e32 v10, 0x7fff, v10
	v_and_b32_e32 v9, 0x7fff, v9
	v_cndmask_b32_e64 v2, 0, 1, vcc_lo
	v_cmp_ne_u16_e32 vcc_lo, 0, v4
	s_wait_loadcnt 0x15
	v_and_b32_e32 v12, 0x7fff, v12
	v_and_b32_e32 v11, 0x7fff, v11
	s_wait_loadcnt 0x13
	v_and_b32_e32 v14, 0x7fff, v14
	v_and_b32_e32 v13, 0x7fff, v13
	s_wait_alu 0xfffd
	v_cndmask_b32_e64 v4, 0, 1, vcc_lo
	v_cmp_ne_u16_e32 vcc_lo, 0, v3
	s_wait_loadcnt 0x11
	v_and_b32_e32 v16, 0x7fff, v16
	v_and_b32_e32 v15, 0x7fff, v15
	s_wait_loadcnt 0xf
	v_and_b32_e32 v18, 0x7fff, v18
	v_and_b32_e32 v17, 0x7fff, v17
	s_wait_alu 0xfffd
	v_add_co_ci_u32_e64 v2, null, 0, v2, vcc_lo
	v_cmp_ne_u16_e32 vcc_lo, 0, v6
	s_wait_loadcnt 0xd
	v_and_b32_e32 v20, 0x7fff, v20
	v_and_b32_e32 v19, 0x7fff, v19
	s_wait_loadcnt 0xb
	v_and_b32_e32 v22, 0x7fff, v22
	v_and_b32_e32 v21, 0x7fff, v21
	s_wait_alu 0xfffd
	v_cndmask_b32_e64 v3, 0, 1, vcc_lo
	v_cmp_ne_u16_e32 vcc_lo, 0, v5
	s_wait_loadcnt 0x9
	v_and_b32_e32 v24, 0x7fff, v24
	v_and_b32_e32 v23, 0x7fff, v23
	s_wait_loadcnt 0x7
	v_and_b32_e32 v26, 0x7fff, v26
	v_and_b32_e32 v25, 0x7fff, v25
	s_wait_alu 0xfffd
	v_add_co_ci_u32_e64 v2, null, v2, v4, vcc_lo
	v_cmp_ne_u16_e32 vcc_lo, 0, v8
	s_wait_loadcnt 0x5
	v_and_b32_e32 v28, 0x7fff, v28
	v_and_b32_e32 v27, 0x7fff, v27
	s_wait_loadcnt 0x3
	v_and_b32_e32 v30, 0x7fff, v30
	v_and_b32_e32 v29, 0x7fff, v29
	s_wait_alu 0xfffd
	v_cndmask_b32_e64 v4, 0, 1, vcc_lo
	v_cmp_ne_u16_e32 vcc_lo, 0, v7
	s_wait_loadcnt 0x1
	v_and_b32_e32 v32, 0x7fff, v32
	v_and_b32_e32 v31, 0x7fff, v31
	s_wait_loadcnt 0x0
	v_and_b32_e32 v1, 0x7fff, v1
	s_wait_alu 0xfffd
	v_add_co_ci_u32_e64 v2, null, v2, v3, vcc_lo
	v_cmp_ne_u16_e32 vcc_lo, 0, v10
	s_wait_alu 0xfffd
	v_cndmask_b32_e64 v3, 0, 1, vcc_lo
	v_cmp_ne_u16_e32 vcc_lo, 0, v9
	s_wait_alu 0xfffd
	v_add_co_ci_u32_e64 v2, null, v2, v4, vcc_lo
	v_cmp_ne_u16_e32 vcc_lo, 0, v12
	s_wait_alu 0xfffd
	v_cndmask_b32_e64 v4, 0, 1, vcc_lo
	v_cmp_ne_u16_e32 vcc_lo, 0, v11
	;; [unrolled: 6-line block ×12, first 2 shown]
	s_wait_alu 0xfffd
	v_add_co_ci_u32_e64 v2, null, v2, v3, vcc_lo
	v_cmp_ne_u16_e32 vcc_lo, 0, v1
	s_wait_alu 0xfffd
	s_delay_alu instid0(VALU_DEP_2) | instskip(NEXT) | instid1(VALU_DEP_1)
	v_add_co_ci_u32_e64 v1, null, v2, v4, vcc_lo
	v_mov_b32_dpp v2, v1 quad_perm:[1,0,3,2] row_mask:0xf bank_mask:0xf
	s_delay_alu instid0(VALU_DEP_1) | instskip(NEXT) | instid1(VALU_DEP_1)
	v_add_nc_u32_e32 v1, v1, v2
	v_mov_b32_dpp v2, v1 quad_perm:[2,3,0,1] row_mask:0xf bank_mask:0xf
	s_delay_alu instid0(VALU_DEP_1) | instskip(NEXT) | instid1(VALU_DEP_1)
	v_add_nc_u32_e32 v1, v1, v2
	v_mov_b32_dpp v2, v1 row_ror:4 row_mask:0xf bank_mask:0xf
	s_delay_alu instid0(VALU_DEP_1) | instskip(NEXT) | instid1(VALU_DEP_1)
	v_add_nc_u32_e32 v1, v1, v2
	v_mov_b32_dpp v2, v1 row_ror:8 row_mask:0xf bank_mask:0xf
	s_delay_alu instid0(VALU_DEP_1)
	v_add_nc_u32_e32 v1, v1, v2
	ds_swizzle_b32 v2, v1 offset:swizzle(BROADCAST,32,15)
	s_wait_dscnt 0x0
	v_dual_mov_b32 v2, 0 :: v_dual_add_nc_u32 v1, v1, v2
	ds_bpermute_b32 v1, v2, v1 offset:124
	v_mbcnt_lo_u32_b32 v2, -1, 0
	s_delay_alu instid0(VALU_DEP_1)
	v_cmpx_eq_u32_e32 0, v2
	s_cbranch_execz .LBB862_19
; %bb.18:
	v_lshrrev_b32_e32 v3, 3, v0
	s_delay_alu instid0(VALU_DEP_1)
	v_and_b32_e32 v3, 28, v3
	s_wait_dscnt 0x0
	ds_store_b32 v3, v1 offset:128
.LBB862_19:
	s_or_b32 exec_lo, exec_lo, s3
	s_delay_alu instid0(SALU_CYCLE_1)
	s_mov_b32 s3, exec_lo
	s_wait_dscnt 0x0
	s_barrier_signal -1
	s_barrier_wait -1
	global_inv scope:SCOPE_SE
	v_cmpx_gt_u32_e32 32, v0
	s_cbranch_execz .LBB862_21
; %bb.20:
	v_and_b32_e32 v1, 7, v2
	s_delay_alu instid0(VALU_DEP_1)
	v_lshlrev_b32_e32 v3, 2, v1
	v_cmp_ne_u32_e32 vcc_lo, 7, v1
	ds_load_b32 v3, v3 offset:128
	s_wait_alu 0xfffd
	v_add_co_ci_u32_e64 v4, null, 0, v2, vcc_lo
	v_cmp_gt_u32_e32 vcc_lo, 6, v1
	s_delay_alu instid0(VALU_DEP_2) | instskip(SKIP_2) | instid1(VALU_DEP_1)
	v_lshlrev_b32_e32 v4, 2, v4
	s_wait_alu 0xfffd
	v_cndmask_b32_e64 v1, 0, 2, vcc_lo
	v_add_lshl_u32 v1, v1, v2, 2
	v_lshlrev_b32_e32 v2, 2, v2
	s_delay_alu instid0(VALU_DEP_1)
	v_or_b32_e32 v2, 16, v2
	s_wait_dscnt 0x0
	ds_bpermute_b32 v4, v4, v3
	s_wait_dscnt 0x0
	v_add_nc_u32_e32 v3, v4, v3
	ds_bpermute_b32 v1, v1, v3
	s_wait_dscnt 0x0
	v_add_nc_u32_e32 v1, v1, v3
	;; [unrolled: 3-line block ×3, first 2 shown]
.LBB862_21:
	s_or_b32 exec_lo, exec_lo, s3
	s_mov_b32 s3, 0
	s_branch .LBB862_297
.LBB862_22:
	s_mov_b32 s6, -1
.LBB862_23:
	s_mov_b32 s2, 0
                                        ; implicit-def: $vgpr1
	s_and_b32 vcc_lo, exec_lo, s6
	s_cbranch_vccz .LBB862_11
.LBB862_24:
	s_cmp_eq_u32 s44, 64
	s_cbranch_scc0 .LBB862_33
; %bb.25:
	s_mov_b32 s35, 0
	s_lshl_b32 s4, s34, 14
	s_mov_b32 s5, s35
	s_lshr_b64 s[2:3], s[36:37], 14
	s_wait_alu 0xfffe
	s_lshl_b64 s[6:7], s[4:5], 1
	s_cmp_lg_u64 s[2:3], s[34:35]
	s_add_nc_u64 s[2:3], s[40:41], s[6:7]
	s_cbranch_scc0 .LBB862_376
; %bb.26:
	v_lshlrev_b32_e32 v1, 1, v0
	s_mov_b32 s5, exec_lo
	s_clause 0x1f
	global_load_u16 v2, v1, s[2:3]
	global_load_u16 v3, v1, s[2:3] offset:512
	global_load_u16 v4, v1, s[2:3] offset:1024
	;; [unrolled: 1-line block ×31, first 2 shown]
	s_clause 0x1f
	global_load_u16 v34, v1, s[2:3] offset:16384
	global_load_u16 v35, v1, s[2:3] offset:16896
	;; [unrolled: 1-line block ×32, first 2 shown]
	s_wait_loadcnt 0x3e
	v_and_b32_e32 v2, 0x7fff, v2
	v_and_b32_e32 v3, 0x7fff, v3
	s_wait_loadcnt 0x3d
	v_and_b32_e32 v4, 0x7fff, v4
	s_wait_loadcnt 0x3c
	;; [unrolled: 2-line block ×3, first 2 shown]
	v_and_b32_e32 v6, 0x7fff, v6
	v_cmp_ne_u16_e32 vcc_lo, 0, v2
	s_wait_loadcnt 0x39
	v_and_b32_e32 v8, 0x7fff, v8
	v_and_b32_e32 v7, 0x7fff, v7
	s_wait_loadcnt 0x37
	v_and_b32_e32 v10, 0x7fff, v10
	v_and_b32_e32 v9, 0x7fff, v9
	s_wait_alu 0xfffd
	v_cndmask_b32_e64 v2, 0, 1, vcc_lo
	v_cmp_ne_u16_e32 vcc_lo, 0, v4
	s_wait_loadcnt 0x35
	v_and_b32_e32 v12, 0x7fff, v12
	v_and_b32_e32 v11, 0x7fff, v11
	s_wait_loadcnt 0x33
	v_and_b32_e32 v14, 0x7fff, v14
	v_and_b32_e32 v13, 0x7fff, v13
	s_wait_alu 0xfffd
	v_cndmask_b32_e64 v4, 0, 1, vcc_lo
	v_cmp_ne_u16_e32 vcc_lo, 0, v3
	s_wait_loadcnt 0x31
	v_and_b32_e32 v16, 0x7fff, v16
	v_and_b32_e32 v15, 0x7fff, v15
	s_wait_loadcnt 0x2f
	v_and_b32_e32 v18, 0x7fff, v18
	v_and_b32_e32 v17, 0x7fff, v17
	s_wait_alu 0xfffd
	v_add_co_ci_u32_e64 v2, null, 0, v2, vcc_lo
	v_cmp_ne_u16_e32 vcc_lo, 0, v6
	s_wait_loadcnt 0x2d
	v_and_b32_e32 v20, 0x7fff, v20
	v_and_b32_e32 v19, 0x7fff, v19
	s_wait_loadcnt 0x2b
	v_and_b32_e32 v22, 0x7fff, v22
	v_and_b32_e32 v21, 0x7fff, v21
	s_wait_alu 0xfffd
	v_cndmask_b32_e64 v3, 0, 1, vcc_lo
	v_cmp_ne_u16_e32 vcc_lo, 0, v5
	s_wait_loadcnt 0x29
	v_and_b32_e32 v24, 0x7fff, v24
	v_and_b32_e32 v23, 0x7fff, v23
	s_wait_loadcnt 0x27
	v_and_b32_e32 v26, 0x7fff, v26
	v_and_b32_e32 v25, 0x7fff, v25
	s_wait_alu 0xfffd
	v_add_co_ci_u32_e64 v2, null, v2, v4, vcc_lo
	;; [unrolled: 18-line block ×6, first 2 shown]
	v_cmp_ne_u16_e32 vcc_lo, 0, v16
	s_wait_loadcnt 0x5
	v_and_b32_e32 v60, 0x7fff, v60
	v_and_b32_e32 v59, 0x7fff, v59
	s_wait_loadcnt 0x3
	v_and_b32_e32 v62, 0x7fff, v62
	v_and_b32_e32 v61, 0x7fff, v61
	s_wait_alu 0xfffd
	v_cndmask_b32_e64 v4, 0, 1, vcc_lo
	v_cmp_ne_u16_e32 vcc_lo, 0, v15
	s_wait_loadcnt 0x1
	v_and_b32_e32 v64, 0x7fff, v64
	v_and_b32_e32 v63, 0x7fff, v63
	s_wait_loadcnt 0x0
	v_and_b32_e32 v1, 0x7fff, v1
	s_wait_alu 0xfffd
	v_add_co_ci_u32_e64 v2, null, v2, v3, vcc_lo
	v_cmp_ne_u16_e32 vcc_lo, 0, v18
	s_wait_alu 0xfffd
	v_cndmask_b32_e64 v3, 0, 1, vcc_lo
	v_cmp_ne_u16_e32 vcc_lo, 0, v17
	s_wait_alu 0xfffd
	v_add_co_ci_u32_e64 v2, null, v2, v4, vcc_lo
	v_cmp_ne_u16_e32 vcc_lo, 0, v20
	s_wait_alu 0xfffd
	v_cndmask_b32_e64 v4, 0, 1, vcc_lo
	v_cmp_ne_u16_e32 vcc_lo, 0, v19
	;; [unrolled: 6-line block ×24, first 2 shown]
	s_wait_alu 0xfffd
	v_add_co_ci_u32_e64 v2, null, v2, v3, vcc_lo
	v_cmp_ne_u16_e32 vcc_lo, 0, v1
	s_wait_alu 0xfffd
	s_delay_alu instid0(VALU_DEP_2) | instskip(NEXT) | instid1(VALU_DEP_1)
	v_add_co_ci_u32_e64 v1, null, v2, v4, vcc_lo
	v_mov_b32_dpp v2, v1 quad_perm:[1,0,3,2] row_mask:0xf bank_mask:0xf
	s_delay_alu instid0(VALU_DEP_1) | instskip(NEXT) | instid1(VALU_DEP_1)
	v_add_nc_u32_e32 v1, v1, v2
	v_mov_b32_dpp v2, v1 quad_perm:[2,3,0,1] row_mask:0xf bank_mask:0xf
	s_delay_alu instid0(VALU_DEP_1) | instskip(NEXT) | instid1(VALU_DEP_1)
	v_add_nc_u32_e32 v1, v1, v2
	v_mov_b32_dpp v2, v1 row_ror:4 row_mask:0xf bank_mask:0xf
	s_delay_alu instid0(VALU_DEP_1) | instskip(NEXT) | instid1(VALU_DEP_1)
	v_add_nc_u32_e32 v1, v1, v2
	v_mov_b32_dpp v2, v1 row_ror:8 row_mask:0xf bank_mask:0xf
	s_delay_alu instid0(VALU_DEP_1)
	v_add_nc_u32_e32 v1, v1, v2
	ds_swizzle_b32 v2, v1 offset:swizzle(BROADCAST,32,15)
	s_wait_dscnt 0x0
	v_dual_mov_b32 v2, 0 :: v_dual_add_nc_u32 v1, v1, v2
	ds_bpermute_b32 v1, v2, v1 offset:124
	v_mbcnt_lo_u32_b32 v2, -1, 0
	s_delay_alu instid0(VALU_DEP_1)
	v_cmpx_eq_u32_e32 0, v2
	s_cbranch_execz .LBB862_28
; %bb.27:
	v_lshrrev_b32_e32 v3, 3, v0
	s_delay_alu instid0(VALU_DEP_1)
	v_and_b32_e32 v3, 28, v3
	s_wait_dscnt 0x0
	ds_store_b32 v3, v1 offset:192
.LBB862_28:
	s_wait_alu 0xfffe
	s_or_b32 exec_lo, exec_lo, s5
	s_delay_alu instid0(SALU_CYCLE_1)
	s_mov_b32 s5, exec_lo
	s_wait_dscnt 0x0
	s_barrier_signal -1
	s_barrier_wait -1
	global_inv scope:SCOPE_SE
	v_cmpx_gt_u32_e32 32, v0
	s_cbranch_execz .LBB862_30
; %bb.29:
	v_and_b32_e32 v1, 7, v2
	s_delay_alu instid0(VALU_DEP_1)
	v_lshlrev_b32_e32 v3, 2, v1
	v_cmp_ne_u32_e32 vcc_lo, 7, v1
	ds_load_b32 v3, v3 offset:192
	s_wait_alu 0xfffd
	v_add_co_ci_u32_e64 v4, null, 0, v2, vcc_lo
	v_cmp_gt_u32_e32 vcc_lo, 6, v1
	s_delay_alu instid0(VALU_DEP_2) | instskip(SKIP_2) | instid1(VALU_DEP_1)
	v_lshlrev_b32_e32 v4, 2, v4
	s_wait_alu 0xfffd
	v_cndmask_b32_e64 v1, 0, 2, vcc_lo
	v_add_lshl_u32 v1, v1, v2, 2
	v_lshlrev_b32_e32 v2, 2, v2
	s_delay_alu instid0(VALU_DEP_1)
	v_or_b32_e32 v2, 16, v2
	s_wait_dscnt 0x0
	ds_bpermute_b32 v4, v4, v3
	s_wait_dscnt 0x0
	v_add_nc_u32_e32 v3, v4, v3
	ds_bpermute_b32 v1, v1, v3
	s_wait_dscnt 0x0
	v_add_nc_u32_e32 v1, v1, v3
	;; [unrolled: 3-line block ×3, first 2 shown]
.LBB862_30:
	s_wait_alu 0xfffe
	s_or_b32 exec_lo, exec_lo, s5
	s_mov_b32 s5, 0
	s_branch .LBB862_377
.LBB862_31:
                                        ; implicit-def: $vgpr1
	s_cbranch_execz .LBB862_512
	s_branch .LBB862_368
.LBB862_32:
                                        ; implicit-def: $vgpr1
	s_branch .LBB862_512
.LBB862_33:
                                        ; implicit-def: $vgpr1
	s_branch .LBB862_512
.LBB862_34:
                                        ; implicit-def: $vgpr1
	s_cbranch_execz .LBB862_10
; %bb.35:
	s_sub_co_i32 s4, s36, s4
	s_mov_b32 s5, exec_lo
                                        ; implicit-def: $vgpr1
	v_cmpx_gt_u32_e64 s4, v0
	s_cbranch_execz .LBB862_37
; %bb.36:
	v_lshlrev_b32_e32 v1, 1, v0
	global_load_u16 v1, v1, s[2:3]
	s_wait_loadcnt 0x0
	v_and_b32_e32 v1, 0x7fff, v1
	s_delay_alu instid0(VALU_DEP_1)
	v_cmp_ne_u16_e32 vcc_lo, 0, v1
	v_cndmask_b32_e64 v1, 0, 1, vcc_lo
.LBB862_37:
	s_or_b32 exec_lo, exec_lo, s5
	v_or_b32_e32 v3, 0x100, v0
	v_mov_b32_e32 v2, 0
	s_delay_alu instid0(VALU_DEP_2)
	v_cmp_gt_u32_e32 vcc_lo, s4, v3
	v_mov_b32_e32 v3, 0
	s_and_saveexec_b32 s5, vcc_lo
	s_cbranch_execz .LBB862_39
; %bb.38:
	v_lshlrev_b32_e32 v3, 1, v0
	global_load_u16 v3, v3, s[2:3] offset:512
	s_wait_loadcnt 0x0
	v_and_b32_e32 v3, 0x7fff, v3
	s_delay_alu instid0(VALU_DEP_1)
	v_cmp_ne_u16_e32 vcc_lo, 0, v3
	s_wait_alu 0xfffd
	v_cndmask_b32_e64 v3, 0, 1, vcc_lo
.LBB862_39:
	s_wait_alu 0xfffe
	s_or_b32 exec_lo, exec_lo, s5
	v_or_b32_e32 v4, 0x200, v0
	s_mov_b32 s5, exec_lo
	s_delay_alu instid0(VALU_DEP_1)
	v_cmpx_gt_u32_e64 s4, v4
	s_cbranch_execz .LBB862_41
; %bb.40:
	v_lshlrev_b32_e32 v2, 1, v0
	global_load_u16 v2, v2, s[2:3] offset:1024
	s_wait_loadcnt 0x0
	v_and_b32_e32 v2, 0x7fff, v2
	s_delay_alu instid0(VALU_DEP_1)
	v_cmp_ne_u16_e32 vcc_lo, 0, v2
	s_wait_alu 0xfffd
	v_cndmask_b32_e64 v2, 0, 1, vcc_lo
.LBB862_41:
	s_wait_alu 0xfffe
	s_or_b32 exec_lo, exec_lo, s5
	v_or_b32_e32 v5, 0x300, v0
	v_mov_b32_e32 v4, 0
	s_delay_alu instid0(VALU_DEP_2)
	v_cmp_gt_u32_e32 vcc_lo, s4, v5
	v_mov_b32_e32 v5, 0
	s_and_saveexec_b32 s5, vcc_lo
	s_cbranch_execz .LBB862_43
; %bb.42:
	v_lshlrev_b32_e32 v5, 1, v0
	global_load_u16 v5, v5, s[2:3] offset:1536
	s_wait_loadcnt 0x0
	v_and_b32_e32 v5, 0x7fff, v5
	s_delay_alu instid0(VALU_DEP_1)
	v_cmp_ne_u16_e32 vcc_lo, 0, v5
	s_wait_alu 0xfffd
	v_cndmask_b32_e64 v5, 0, 1, vcc_lo
.LBB862_43:
	s_wait_alu 0xfffe
	s_or_b32 exec_lo, exec_lo, s5
	v_or_b32_e32 v6, 0x400, v0
	s_mov_b32 s5, exec_lo
	s_delay_alu instid0(VALU_DEP_1)
	v_cmpx_gt_u32_e64 s4, v6
	s_cbranch_execz .LBB862_45
; %bb.44:
	v_lshlrev_b32_e32 v4, 1, v0
	global_load_u16 v4, v4, s[2:3] offset:2048
	s_wait_loadcnt 0x0
	v_and_b32_e32 v4, 0x7fff, v4
	s_delay_alu instid0(VALU_DEP_1)
	v_cmp_ne_u16_e32 vcc_lo, 0, v4
	s_wait_alu 0xfffd
	v_cndmask_b32_e64 v4, 0, 1, vcc_lo
.LBB862_45:
	s_wait_alu 0xfffe
	;; [unrolled: 36-line block ×63, first 2 shown]
	s_or_b32 exec_lo, exec_lo, s5
	v_or_b32_e32 v128, 0x7f00, v0
	s_delay_alu instid0(VALU_DEP_1)
	v_cmp_gt_u32_e32 vcc_lo, s4, v128
	v_mov_b32_e32 v128, 0
	s_and_saveexec_b32 s5, vcc_lo
	s_cbranch_execz .LBB862_291
; %bb.290:
	v_lshlrev_b32_e32 v128, 1, v0
	global_load_u16 v128, v128, s[2:3] offset:65024
	s_wait_loadcnt 0x0
	v_and_b32_e32 v128, 0x7fff, v128
	s_delay_alu instid0(VALU_DEP_1) | instskip(SKIP_1) | instid1(VALU_DEP_1)
	v_cmp_ne_u16_e64 vcc_lo, 0, v128
	s_wait_alu 0xfffd
	v_cndmask_b32_e64 v128, 0, 1, vcc_lo
.LBB862_291:
	s_wait_alu 0xfffe
	s_or_b32 exec_lo, exec_lo, s5
	v_add_nc_u32_e32 v1, v3, v1
	s_min_u32 s2, s4, 0x100
	s_mov_b32 s3, exec_lo
	s_delay_alu instid0(VALU_DEP_1) | instskip(SKIP_1) | instid1(VALU_DEP_2)
	v_add3_u32 v1, v1, v2, v5
	v_mbcnt_lo_u32_b32 v2, -1, 0
	v_add3_u32 v1, v1, v4, v7
	s_delay_alu instid0(VALU_DEP_2) | instskip(SKIP_1) | instid1(VALU_DEP_3)
	v_cmp_ne_u32_e32 vcc_lo, 31, v2
	v_add_nc_u32_e32 v5, 1, v2
	v_add3_u32 v1, v1, v6, v9
	s_wait_alu 0xfffd
	v_add_co_ci_u32_e64 v3, null, 0, v2, vcc_lo
	v_cmp_gt_u32_e32 vcc_lo, 30, v2
	s_delay_alu instid0(VALU_DEP_3) | instskip(NEXT) | instid1(VALU_DEP_3)
	v_add3_u32 v1, v1, v8, v11
	v_lshlrev_b32_e32 v3, 2, v3
	s_wait_alu 0xfffd
	v_cndmask_b32_e64 v6, 0, 2, vcc_lo
	s_delay_alu instid0(VALU_DEP_3) | instskip(NEXT) | instid1(VALU_DEP_1)
	v_add3_u32 v1, v1, v10, v13
	v_add3_u32 v1, v1, v12, v15
	s_delay_alu instid0(VALU_DEP_1) | instskip(NEXT) | instid1(VALU_DEP_1)
	v_add3_u32 v1, v1, v14, v17
	v_add3_u32 v1, v1, v16, v19
	s_delay_alu instid0(VALU_DEP_1) | instskip(NEXT) | instid1(VALU_DEP_1)
	;; [unrolled: 3-line block ×28, first 2 shown]
	v_add3_u32 v1, v1, v122, v125
	v_add3_u32 v1, v1, v124, v127
	s_delay_alu instid0(VALU_DEP_1) | instskip(SKIP_2) | instid1(VALU_DEP_1)
	v_add3_u32 v1, v1, v126, v128
	ds_bpermute_b32 v3, v3, v1
	v_and_b32_e32 v4, 0xe0, v0
	v_sub_nc_u32_e64 v4, s2, v4 clamp
	s_delay_alu instid0(VALU_DEP_1)
	v_cmp_lt_u32_e32 vcc_lo, v5, v4
	v_add_lshl_u32 v5, v6, v2, 2
	s_wait_dscnt 0x0
	s_wait_alu 0xfffd
	v_cndmask_b32_e32 v3, 0, v3, vcc_lo
	v_cmp_gt_u32_e32 vcc_lo, 28, v2
	s_delay_alu instid0(VALU_DEP_2) | instskip(SKIP_4) | instid1(VALU_DEP_1)
	v_add_nc_u32_e32 v1, v3, v1
	s_wait_alu 0xfffd
	v_cndmask_b32_e64 v6, 0, 4, vcc_lo
	ds_bpermute_b32 v3, v5, v1
	v_add_nc_u32_e32 v5, 2, v2
	v_cmp_lt_u32_e32 vcc_lo, v5, v4
	v_add_lshl_u32 v5, v6, v2, 2
	s_wait_dscnt 0x0
	s_wait_alu 0xfffd
	v_cndmask_b32_e32 v3, 0, v3, vcc_lo
	v_cmp_gt_u32_e32 vcc_lo, 24, v2
	s_delay_alu instid0(VALU_DEP_2) | instskip(SKIP_4) | instid1(VALU_DEP_1)
	v_add_nc_u32_e32 v1, v1, v3
	s_wait_alu 0xfffd
	v_cndmask_b32_e64 v6, 0, 8, vcc_lo
	ds_bpermute_b32 v3, v5, v1
	v_add_nc_u32_e32 v5, 4, v2
	v_cmp_lt_u32_e32 vcc_lo, v5, v4
	v_add_lshl_u32 v5, v6, v2, 2
	s_wait_dscnt 0x0
	s_wait_alu 0xfffd
	v_dual_cndmask_b32 v3, 0, v3 :: v_dual_add_nc_u32 v6, 8, v2
	s_delay_alu instid0(VALU_DEP_1) | instskip(NEXT) | instid1(VALU_DEP_2)
	v_cmp_lt_u32_e32 vcc_lo, v6, v4
	v_add_nc_u32_e32 v1, v1, v3
	v_lshlrev_b32_e32 v3, 2, v2
	ds_bpermute_b32 v5, v5, v1
	v_or_b32_e32 v6, 64, v3
	s_wait_dscnt 0x0
	s_wait_alu 0xfffd
	v_cndmask_b32_e32 v5, 0, v5, vcc_lo
	s_delay_alu instid0(VALU_DEP_1) | instskip(SKIP_2) | instid1(VALU_DEP_1)
	v_add_nc_u32_e32 v1, v1, v5
	ds_bpermute_b32 v5, v6, v1
	v_add_nc_u32_e32 v6, 16, v2
	v_cmp_lt_u32_e32 vcc_lo, v6, v4
	s_wait_dscnt 0x0
	s_wait_alu 0xfffd
	v_cndmask_b32_e32 v4, 0, v5, vcc_lo
	s_delay_alu instid0(VALU_DEP_1)
	v_add_nc_u32_e32 v1, v1, v4
	v_cmpx_eq_u32_e32 0, v2
; %bb.292:
	v_lshrrev_b32_e32 v4, 3, v0
	s_delay_alu instid0(VALU_DEP_1)
	v_and_b32_e32 v4, 28, v4
	ds_store_b32 v4, v1 offset:256
; %bb.293:
	s_or_b32 exec_lo, exec_lo, s3
	s_delay_alu instid0(SALU_CYCLE_1)
	s_mov_b32 s3, exec_lo
	s_wait_loadcnt_dscnt 0x0
	s_barrier_signal -1
	s_barrier_wait -1
	global_inv scope:SCOPE_SE
	v_cmpx_gt_u32_e32 8, v0
	s_cbranch_execz .LBB862_295
; %bb.294:
	ds_load_b32 v1, v3 offset:256
	v_and_b32_e32 v4, 7, v2
	s_add_co_i32 s2, s2, 31
	s_wait_alu 0xfffe
	s_lshr_b32 s2, s2, 5
	s_delay_alu instid0(VALU_DEP_1) | instskip(SKIP_4) | instid1(VALU_DEP_2)
	v_cmp_ne_u32_e32 vcc_lo, 7, v4
	v_add_nc_u32_e32 v6, 1, v4
	s_wait_alu 0xfffd
	v_add_co_ci_u32_e64 v5, null, 0, v2, vcc_lo
	v_cmp_gt_u32_e32 vcc_lo, 6, v4
	v_lshlrev_b32_e32 v5, 2, v5
	s_wait_alu 0xfffd
	v_cndmask_b32_e64 v7, 0, 2, vcc_lo
	s_wait_alu 0xfffe
	v_cmp_gt_u32_e32 vcc_lo, s2, v6
	s_wait_dscnt 0x0
	ds_bpermute_b32 v5, v5, v1
	v_add_lshl_u32 v2, v7, v2, 2
	s_wait_dscnt 0x0
	s_wait_alu 0xfffd
	v_cndmask_b32_e32 v5, 0, v5, vcc_lo
	s_delay_alu instid0(VALU_DEP_1)
	v_add_nc_u32_e32 v1, v5, v1
	v_add_nc_u32_e32 v5, 2, v4
	ds_bpermute_b32 v2, v2, v1
	v_cmp_gt_u32_e32 vcc_lo, s2, v5
	s_wait_dscnt 0x0
	s_wait_alu 0xfffd
	v_cndmask_b32_e32 v2, 0, v2, vcc_lo
	s_delay_alu instid0(VALU_DEP_1)
	v_add_nc_u32_e32 v1, v1, v2
	v_or_b32_e32 v2, 16, v3
	v_add_nc_u32_e32 v3, 4, v4
	ds_bpermute_b32 v2, v2, v1
	v_cmp_gt_u32_e32 vcc_lo, s2, v3
	s_wait_dscnt 0x0
	s_wait_alu 0xfffd
	v_cndmask_b32_e32 v2, 0, v2, vcc_lo
	s_delay_alu instid0(VALU_DEP_1)
	v_add_nc_u32_e32 v1, v1, v2
.LBB862_295:
	s_wait_alu 0xfffe
	s_or_b32 exec_lo, exec_lo, s3
	v_cmp_eq_u32_e64 s2, 0, v0
	s_and_b32 vcc_lo, exec_lo, s6
	s_wait_alu 0xfffe
	s_cbranch_vccnz .LBB862_24
	s_branch .LBB862_11
.LBB862_296:
	s_mov_b32 s3, -1
                                        ; implicit-def: $vgpr1
.LBB862_297:
	s_delay_alu instid0(SALU_CYCLE_1)
	s_and_b32 vcc_lo, exec_lo, s3
	s_wait_alu 0xfffe
	s_cbranch_vccz .LBB862_367
; %bb.298:
	v_mov_b32_e32 v1, 0
	s_sub_co_i32 s45, s36, s2
	s_delay_alu instid0(SALU_CYCLE_1) | instskip(NEXT) | instid1(VALU_DEP_2)
	v_cmp_gt_u32_e32 vcc_lo, s45, v0
	v_dual_mov_b32 v2, v1 :: v_dual_mov_b32 v3, v1
	v_dual_mov_b32 v4, v1 :: v_dual_mov_b32 v5, v1
	;; [unrolled: 1-line block ×15, first 2 shown]
	v_mov_b32_e32 v32, v1
	s_and_saveexec_b32 s2, vcc_lo
	s_cbranch_execz .LBB862_300
; %bb.299:
	v_dual_mov_b32 v3, v1 :: v_dual_lshlrev_b32 v2, 1, v0
	v_dual_mov_b32 v30, v1 :: v_dual_mov_b32 v33, v1
	v_dual_mov_b32 v4, v1 :: v_dual_mov_b32 v5, v1
	global_load_u16 v2, v2, s[42:43]
	v_dual_mov_b32 v6, v1 :: v_dual_mov_b32 v7, v1
	v_dual_mov_b32 v8, v1 :: v_dual_mov_b32 v9, v1
	;; [unrolled: 1-line block ×13, first 2 shown]
	s_wait_loadcnt 0x0
	v_and_b32_e32 v2, 0x7fff, v2
	s_delay_alu instid0(VALU_DEP_1) | instskip(SKIP_2) | instid1(VALU_DEP_1)
	v_cmp_ne_u16_e32 vcc_lo, 0, v2
	s_wait_alu 0xfffd
	v_cndmask_b32_e64 v2, 0, 1, vcc_lo
	v_mov_b32_e32 v1, v2
	v_mov_b32_e32 v2, v3
	;; [unrolled: 1-line block ×32, first 2 shown]
.LBB862_300:
	s_or_b32 exec_lo, exec_lo, s2
	v_or_b32_e32 v33, 0x100, v0
	s_delay_alu instid0(VALU_DEP_1)
	v_cmp_gt_u32_e32 vcc_lo, s45, v33
	s_and_saveexec_b32 s3, vcc_lo
	s_cbranch_execz .LBB862_302
; %bb.301:
	v_lshlrev_b32_e32 v2, 1, v0
	global_load_u16 v2, v2, s[42:43] offset:512
	s_wait_loadcnt 0x0
	v_and_b32_e32 v2, 0x7fff, v2
	s_delay_alu instid0(VALU_DEP_1) | instskip(NEXT) | instid1(VALU_DEP_1)
	v_cmp_ne_u16_e64 s2, 0, v2
	v_cndmask_b32_e64 v2, 0, 1, s2
.LBB862_302:
	s_or_b32 exec_lo, exec_lo, s3
	v_or_b32_e32 v33, 0x200, v0
	s_delay_alu instid0(VALU_DEP_1)
	v_cmp_gt_u32_e64 s2, s45, v33
	s_and_saveexec_b32 s4, s2
	s_cbranch_execz .LBB862_304
; %bb.303:
	v_lshlrev_b32_e32 v3, 1, v0
	global_load_u16 v3, v3, s[42:43] offset:1024
	s_wait_loadcnt 0x0
	v_and_b32_e32 v3, 0x7fff, v3
	s_delay_alu instid0(VALU_DEP_1) | instskip(SKIP_1) | instid1(VALU_DEP_1)
	v_cmp_ne_u16_e64 s3, 0, v3
	s_wait_alu 0xf1ff
	v_cndmask_b32_e64 v3, 0, 1, s3
.LBB862_304:
	s_or_b32 exec_lo, exec_lo, s4
	v_or_b32_e32 v33, 0x300, v0
	s_delay_alu instid0(VALU_DEP_1)
	v_cmp_gt_u32_e64 s3, s45, v33
	s_and_saveexec_b32 s5, s3
	s_cbranch_execz .LBB862_306
; %bb.305:
	v_lshlrev_b32_e32 v4, 1, v0
	global_load_u16 v4, v4, s[42:43] offset:1536
	s_wait_loadcnt 0x0
	v_and_b32_e32 v4, 0x7fff, v4
	s_delay_alu instid0(VALU_DEP_1) | instskip(NEXT) | instid1(VALU_DEP_1)
	v_cmp_ne_u16_e64 s4, 0, v4
	v_cndmask_b32_e64 v4, 0, 1, s4
.LBB862_306:
	s_or_b32 exec_lo, exec_lo, s5
	v_or_b32_e32 v33, 0x400, v0
	s_delay_alu instid0(VALU_DEP_1)
	v_cmp_gt_u32_e64 s4, s45, v33
	s_and_saveexec_b32 s6, s4
	s_cbranch_execz .LBB862_308
; %bb.307:
	v_lshlrev_b32_e32 v5, 1, v0
	global_load_u16 v5, v5, s[42:43] offset:2048
	s_wait_loadcnt 0x0
	v_and_b32_e32 v5, 0x7fff, v5
	s_delay_alu instid0(VALU_DEP_1) | instskip(SKIP_1) | instid1(VALU_DEP_1)
	v_cmp_ne_u16_e64 s5, 0, v5
	s_wait_alu 0xf1ff
	v_cndmask_b32_e64 v5, 0, 1, s5
.LBB862_308:
	s_or_b32 exec_lo, exec_lo, s6
	v_or_b32_e32 v33, 0x500, v0
	s_delay_alu instid0(VALU_DEP_1)
	v_cmp_gt_u32_e64 s5, s45, v33
	s_and_saveexec_b32 s7, s5
	s_cbranch_execz .LBB862_310
; %bb.309:
	v_lshlrev_b32_e32 v6, 1, v0
	global_load_u16 v6, v6, s[42:43] offset:2560
	s_wait_loadcnt 0x0
	v_and_b32_e32 v6, 0x7fff, v6
	s_delay_alu instid0(VALU_DEP_1) | instskip(NEXT) | instid1(VALU_DEP_1)
	v_cmp_ne_u16_e64 s6, 0, v6
	v_cndmask_b32_e64 v6, 0, 1, s6
.LBB862_310:
	s_or_b32 exec_lo, exec_lo, s7
	v_or_b32_e32 v33, 0x600, v0
	s_delay_alu instid0(VALU_DEP_1)
	v_cmp_gt_u32_e64 s6, s45, v33
	s_and_saveexec_b32 s8, s6
	s_cbranch_execz .LBB862_312
; %bb.311:
	v_lshlrev_b32_e32 v7, 1, v0
	global_load_u16 v7, v7, s[42:43] offset:3072
	s_wait_loadcnt 0x0
	v_and_b32_e32 v7, 0x7fff, v7
	s_delay_alu instid0(VALU_DEP_1) | instskip(SKIP_1) | instid1(VALU_DEP_1)
	v_cmp_ne_u16_e64 s7, 0, v7
	s_wait_alu 0xf1ff
	v_cndmask_b32_e64 v7, 0, 1, s7
.LBB862_312:
	s_or_b32 exec_lo, exec_lo, s8
	v_or_b32_e32 v33, 0x700, v0
	s_delay_alu instid0(VALU_DEP_1)
	v_cmp_gt_u32_e64 s7, s45, v33
	s_and_saveexec_b32 s9, s7
	s_cbranch_execz .LBB862_314
; %bb.313:
	v_lshlrev_b32_e32 v8, 1, v0
	global_load_u16 v8, v8, s[42:43] offset:3584
	s_wait_loadcnt 0x0
	v_and_b32_e32 v8, 0x7fff, v8
	s_delay_alu instid0(VALU_DEP_1) | instskip(NEXT) | instid1(VALU_DEP_1)
	v_cmp_ne_u16_e64 s8, 0, v8
	v_cndmask_b32_e64 v8, 0, 1, s8
.LBB862_314:
	s_or_b32 exec_lo, exec_lo, s9
	v_or_b32_e32 v33, 0x800, v0
	s_delay_alu instid0(VALU_DEP_1)
	v_cmp_gt_u32_e64 s8, s45, v33
	s_and_saveexec_b32 s10, s8
	s_cbranch_execz .LBB862_316
; %bb.315:
	v_lshlrev_b32_e32 v9, 1, v0
	global_load_u16 v9, v9, s[42:43] offset:4096
	s_wait_loadcnt 0x0
	v_and_b32_e32 v9, 0x7fff, v9
	s_delay_alu instid0(VALU_DEP_1) | instskip(SKIP_1) | instid1(VALU_DEP_1)
	v_cmp_ne_u16_e64 s9, 0, v9
	s_wait_alu 0xf1ff
	v_cndmask_b32_e64 v9, 0, 1, s9
.LBB862_316:
	s_or_b32 exec_lo, exec_lo, s10
	v_or_b32_e32 v33, 0x900, v0
	s_delay_alu instid0(VALU_DEP_1)
	v_cmp_gt_u32_e64 s9, s45, v33
	s_and_saveexec_b32 s11, s9
	s_cbranch_execz .LBB862_318
; %bb.317:
	v_lshlrev_b32_e32 v10, 1, v0
	global_load_u16 v10, v10, s[42:43] offset:4608
	s_wait_loadcnt 0x0
	v_and_b32_e32 v10, 0x7fff, v10
	s_delay_alu instid0(VALU_DEP_1) | instskip(NEXT) | instid1(VALU_DEP_1)
	v_cmp_ne_u16_e64 s10, 0, v10
	v_cndmask_b32_e64 v10, 0, 1, s10
.LBB862_318:
	s_or_b32 exec_lo, exec_lo, s11
	v_or_b32_e32 v33, 0xa00, v0
	s_delay_alu instid0(VALU_DEP_1)
	v_cmp_gt_u32_e64 s10, s45, v33
	s_and_saveexec_b32 s12, s10
	s_cbranch_execz .LBB862_320
; %bb.319:
	v_lshlrev_b32_e32 v11, 1, v0
	global_load_u16 v11, v11, s[42:43] offset:5120
	s_wait_loadcnt 0x0
	v_and_b32_e32 v11, 0x7fff, v11
	s_delay_alu instid0(VALU_DEP_1) | instskip(SKIP_1) | instid1(VALU_DEP_1)
	v_cmp_ne_u16_e64 s11, 0, v11
	s_wait_alu 0xf1ff
	v_cndmask_b32_e64 v11, 0, 1, s11
.LBB862_320:
	s_or_b32 exec_lo, exec_lo, s12
	v_or_b32_e32 v33, 0xb00, v0
	s_delay_alu instid0(VALU_DEP_1)
	v_cmp_gt_u32_e64 s11, s45, v33
	s_and_saveexec_b32 s13, s11
	s_cbranch_execz .LBB862_322
; %bb.321:
	v_lshlrev_b32_e32 v12, 1, v0
	global_load_u16 v12, v12, s[42:43] offset:5632
	s_wait_loadcnt 0x0
	v_and_b32_e32 v12, 0x7fff, v12
	s_delay_alu instid0(VALU_DEP_1) | instskip(NEXT) | instid1(VALU_DEP_1)
	v_cmp_ne_u16_e64 s12, 0, v12
	v_cndmask_b32_e64 v12, 0, 1, s12
.LBB862_322:
	s_or_b32 exec_lo, exec_lo, s13
	v_or_b32_e32 v33, 0xc00, v0
	s_delay_alu instid0(VALU_DEP_1)
	v_cmp_gt_u32_e64 s12, s45, v33
	s_and_saveexec_b32 s14, s12
	s_cbranch_execz .LBB862_324
; %bb.323:
	v_lshlrev_b32_e32 v13, 1, v0
	global_load_u16 v13, v13, s[42:43] offset:6144
	s_wait_loadcnt 0x0
	v_and_b32_e32 v13, 0x7fff, v13
	s_delay_alu instid0(VALU_DEP_1) | instskip(SKIP_1) | instid1(VALU_DEP_1)
	v_cmp_ne_u16_e64 s13, 0, v13
	s_wait_alu 0xf1ff
	v_cndmask_b32_e64 v13, 0, 1, s13
.LBB862_324:
	s_or_b32 exec_lo, exec_lo, s14
	v_or_b32_e32 v33, 0xd00, v0
	s_delay_alu instid0(VALU_DEP_1)
	v_cmp_gt_u32_e64 s13, s45, v33
	s_and_saveexec_b32 s15, s13
	s_cbranch_execz .LBB862_326
; %bb.325:
	v_lshlrev_b32_e32 v14, 1, v0
	global_load_u16 v14, v14, s[42:43] offset:6656
	s_wait_loadcnt 0x0
	v_and_b32_e32 v14, 0x7fff, v14
	s_delay_alu instid0(VALU_DEP_1) | instskip(NEXT) | instid1(VALU_DEP_1)
	v_cmp_ne_u16_e64 s14, 0, v14
	v_cndmask_b32_e64 v14, 0, 1, s14
.LBB862_326:
	s_or_b32 exec_lo, exec_lo, s15
	v_or_b32_e32 v33, 0xe00, v0
	s_delay_alu instid0(VALU_DEP_1)
	v_cmp_gt_u32_e64 s14, s45, v33
	s_and_saveexec_b32 s16, s14
	s_cbranch_execz .LBB862_328
; %bb.327:
	v_lshlrev_b32_e32 v15, 1, v0
	global_load_u16 v15, v15, s[42:43] offset:7168
	s_wait_loadcnt 0x0
	v_and_b32_e32 v15, 0x7fff, v15
	s_delay_alu instid0(VALU_DEP_1) | instskip(SKIP_1) | instid1(VALU_DEP_1)
	v_cmp_ne_u16_e64 s15, 0, v15
	s_wait_alu 0xf1ff
	v_cndmask_b32_e64 v15, 0, 1, s15
.LBB862_328:
	s_or_b32 exec_lo, exec_lo, s16
	v_or_b32_e32 v33, 0xf00, v0
	s_delay_alu instid0(VALU_DEP_1)
	v_cmp_gt_u32_e64 s15, s45, v33
	s_and_saveexec_b32 s17, s15
	s_cbranch_execz .LBB862_330
; %bb.329:
	v_lshlrev_b32_e32 v16, 1, v0
	global_load_u16 v16, v16, s[42:43] offset:7680
	s_wait_loadcnt 0x0
	v_and_b32_e32 v16, 0x7fff, v16
	s_delay_alu instid0(VALU_DEP_1) | instskip(NEXT) | instid1(VALU_DEP_1)
	v_cmp_ne_u16_e64 s16, 0, v16
	v_cndmask_b32_e64 v16, 0, 1, s16
.LBB862_330:
	s_or_b32 exec_lo, exec_lo, s17
	v_or_b32_e32 v33, 0x1000, v0
	s_delay_alu instid0(VALU_DEP_1)
	v_cmp_gt_u32_e64 s16, s45, v33
	s_and_saveexec_b32 s18, s16
	s_cbranch_execz .LBB862_332
; %bb.331:
	v_lshlrev_b32_e32 v17, 1, v0
	global_load_u16 v17, v17, s[42:43] offset:8192
	s_wait_loadcnt 0x0
	v_and_b32_e32 v17, 0x7fff, v17
	s_delay_alu instid0(VALU_DEP_1) | instskip(SKIP_1) | instid1(VALU_DEP_1)
	v_cmp_ne_u16_e64 s17, 0, v17
	s_wait_alu 0xf1ff
	v_cndmask_b32_e64 v17, 0, 1, s17
.LBB862_332:
	s_or_b32 exec_lo, exec_lo, s18
	v_or_b32_e32 v33, 0x1100, v0
	s_delay_alu instid0(VALU_DEP_1)
	v_cmp_gt_u32_e64 s17, s45, v33
	s_and_saveexec_b32 s19, s17
	s_cbranch_execz .LBB862_334
; %bb.333:
	v_lshlrev_b32_e32 v18, 1, v0
	global_load_u16 v18, v18, s[42:43] offset:8704
	s_wait_loadcnt 0x0
	v_and_b32_e32 v18, 0x7fff, v18
	s_delay_alu instid0(VALU_DEP_1) | instskip(NEXT) | instid1(VALU_DEP_1)
	v_cmp_ne_u16_e64 s18, 0, v18
	v_cndmask_b32_e64 v18, 0, 1, s18
.LBB862_334:
	s_or_b32 exec_lo, exec_lo, s19
	v_or_b32_e32 v33, 0x1200, v0
	s_delay_alu instid0(VALU_DEP_1)
	v_cmp_gt_u32_e64 s18, s45, v33
	s_and_saveexec_b32 s20, s18
	s_cbranch_execz .LBB862_336
; %bb.335:
	v_lshlrev_b32_e32 v19, 1, v0
	global_load_u16 v19, v19, s[42:43] offset:9216
	s_wait_loadcnt 0x0
	v_and_b32_e32 v19, 0x7fff, v19
	s_delay_alu instid0(VALU_DEP_1) | instskip(SKIP_1) | instid1(VALU_DEP_1)
	v_cmp_ne_u16_e64 s19, 0, v19
	s_wait_alu 0xf1ff
	v_cndmask_b32_e64 v19, 0, 1, s19
.LBB862_336:
	s_or_b32 exec_lo, exec_lo, s20
	v_or_b32_e32 v33, 0x1300, v0
	s_delay_alu instid0(VALU_DEP_1)
	v_cmp_gt_u32_e64 s19, s45, v33
	s_and_saveexec_b32 s21, s19
	s_cbranch_execz .LBB862_338
; %bb.337:
	v_lshlrev_b32_e32 v20, 1, v0
	global_load_u16 v20, v20, s[42:43] offset:9728
	s_wait_loadcnt 0x0
	v_and_b32_e32 v20, 0x7fff, v20
	s_delay_alu instid0(VALU_DEP_1) | instskip(NEXT) | instid1(VALU_DEP_1)
	v_cmp_ne_u16_e64 s20, 0, v20
	v_cndmask_b32_e64 v20, 0, 1, s20
.LBB862_338:
	s_or_b32 exec_lo, exec_lo, s21
	v_or_b32_e32 v33, 0x1400, v0
	s_delay_alu instid0(VALU_DEP_1)
	v_cmp_gt_u32_e64 s20, s45, v33
	s_and_saveexec_b32 s22, s20
	s_cbranch_execz .LBB862_340
; %bb.339:
	v_lshlrev_b32_e32 v21, 1, v0
	global_load_u16 v21, v21, s[42:43] offset:10240
	s_wait_loadcnt 0x0
	v_and_b32_e32 v21, 0x7fff, v21
	s_delay_alu instid0(VALU_DEP_1) | instskip(SKIP_1) | instid1(VALU_DEP_1)
	v_cmp_ne_u16_e64 s21, 0, v21
	s_wait_alu 0xf1ff
	v_cndmask_b32_e64 v21, 0, 1, s21
.LBB862_340:
	s_or_b32 exec_lo, exec_lo, s22
	v_or_b32_e32 v33, 0x1500, v0
	s_delay_alu instid0(VALU_DEP_1)
	v_cmp_gt_u32_e64 s21, s45, v33
	s_and_saveexec_b32 s23, s21
	s_cbranch_execz .LBB862_342
; %bb.341:
	v_lshlrev_b32_e32 v22, 1, v0
	global_load_u16 v22, v22, s[42:43] offset:10752
	s_wait_loadcnt 0x0
	v_and_b32_e32 v22, 0x7fff, v22
	s_delay_alu instid0(VALU_DEP_1) | instskip(NEXT) | instid1(VALU_DEP_1)
	v_cmp_ne_u16_e64 s22, 0, v22
	v_cndmask_b32_e64 v22, 0, 1, s22
.LBB862_342:
	s_or_b32 exec_lo, exec_lo, s23
	v_or_b32_e32 v33, 0x1600, v0
	s_delay_alu instid0(VALU_DEP_1)
	v_cmp_gt_u32_e64 s22, s45, v33
	s_and_saveexec_b32 s24, s22
	s_cbranch_execz .LBB862_344
; %bb.343:
	v_lshlrev_b32_e32 v23, 1, v0
	global_load_u16 v23, v23, s[42:43] offset:11264
	s_wait_loadcnt 0x0
	v_and_b32_e32 v23, 0x7fff, v23
	s_delay_alu instid0(VALU_DEP_1) | instskip(SKIP_1) | instid1(VALU_DEP_1)
	v_cmp_ne_u16_e64 s23, 0, v23
	s_wait_alu 0xf1ff
	v_cndmask_b32_e64 v23, 0, 1, s23
.LBB862_344:
	s_or_b32 exec_lo, exec_lo, s24
	v_or_b32_e32 v33, 0x1700, v0
	s_delay_alu instid0(VALU_DEP_1)
	v_cmp_gt_u32_e64 s23, s45, v33
	s_and_saveexec_b32 s25, s23
	s_cbranch_execz .LBB862_346
; %bb.345:
	v_lshlrev_b32_e32 v24, 1, v0
	global_load_u16 v24, v24, s[42:43] offset:11776
	s_wait_loadcnt 0x0
	v_and_b32_e32 v24, 0x7fff, v24
	s_delay_alu instid0(VALU_DEP_1) | instskip(NEXT) | instid1(VALU_DEP_1)
	v_cmp_ne_u16_e64 s24, 0, v24
	v_cndmask_b32_e64 v24, 0, 1, s24
.LBB862_346:
	s_or_b32 exec_lo, exec_lo, s25
	v_or_b32_e32 v33, 0x1800, v0
	s_delay_alu instid0(VALU_DEP_1)
	v_cmp_gt_u32_e64 s24, s45, v33
	s_and_saveexec_b32 s26, s24
	s_cbranch_execz .LBB862_348
; %bb.347:
	v_lshlrev_b32_e32 v25, 1, v0
	global_load_u16 v25, v25, s[42:43] offset:12288
	s_wait_loadcnt 0x0
	v_and_b32_e32 v25, 0x7fff, v25
	s_delay_alu instid0(VALU_DEP_1) | instskip(SKIP_1) | instid1(VALU_DEP_1)
	v_cmp_ne_u16_e64 s25, 0, v25
	s_wait_alu 0xf1ff
	v_cndmask_b32_e64 v25, 0, 1, s25
.LBB862_348:
	s_or_b32 exec_lo, exec_lo, s26
	v_or_b32_e32 v33, 0x1900, v0
	s_delay_alu instid0(VALU_DEP_1)
	v_cmp_gt_u32_e64 s25, s45, v33
	s_and_saveexec_b32 s27, s25
	s_cbranch_execz .LBB862_350
; %bb.349:
	v_lshlrev_b32_e32 v26, 1, v0
	global_load_u16 v26, v26, s[42:43] offset:12800
	s_wait_loadcnt 0x0
	v_and_b32_e32 v26, 0x7fff, v26
	s_delay_alu instid0(VALU_DEP_1) | instskip(NEXT) | instid1(VALU_DEP_1)
	v_cmp_ne_u16_e64 s26, 0, v26
	v_cndmask_b32_e64 v26, 0, 1, s26
.LBB862_350:
	s_or_b32 exec_lo, exec_lo, s27
	v_or_b32_e32 v33, 0x1a00, v0
	s_delay_alu instid0(VALU_DEP_1)
	v_cmp_gt_u32_e64 s26, s45, v33
	s_and_saveexec_b32 s28, s26
	s_cbranch_execz .LBB862_352
; %bb.351:
	v_lshlrev_b32_e32 v27, 1, v0
	global_load_u16 v27, v27, s[42:43] offset:13312
	s_wait_loadcnt 0x0
	v_and_b32_e32 v27, 0x7fff, v27
	s_delay_alu instid0(VALU_DEP_1) | instskip(SKIP_1) | instid1(VALU_DEP_1)
	v_cmp_ne_u16_e64 s27, 0, v27
	s_wait_alu 0xf1ff
	v_cndmask_b32_e64 v27, 0, 1, s27
.LBB862_352:
	s_or_b32 exec_lo, exec_lo, s28
	v_or_b32_e32 v33, 0x1b00, v0
	s_delay_alu instid0(VALU_DEP_1)
	v_cmp_gt_u32_e64 s27, s45, v33
	s_and_saveexec_b32 s29, s27
	s_cbranch_execz .LBB862_354
; %bb.353:
	v_lshlrev_b32_e32 v28, 1, v0
	global_load_u16 v28, v28, s[42:43] offset:13824
	s_wait_loadcnt 0x0
	v_and_b32_e32 v28, 0x7fff, v28
	s_delay_alu instid0(VALU_DEP_1) | instskip(NEXT) | instid1(VALU_DEP_1)
	v_cmp_ne_u16_e64 s28, 0, v28
	v_cndmask_b32_e64 v28, 0, 1, s28
.LBB862_354:
	s_or_b32 exec_lo, exec_lo, s29
	v_or_b32_e32 v33, 0x1c00, v0
	s_delay_alu instid0(VALU_DEP_1)
	v_cmp_gt_u32_e64 s28, s45, v33
	s_and_saveexec_b32 s30, s28
	s_cbranch_execz .LBB862_356
; %bb.355:
	v_lshlrev_b32_e32 v29, 1, v0
	global_load_u16 v29, v29, s[42:43] offset:14336
	s_wait_loadcnt 0x0
	v_and_b32_e32 v29, 0x7fff, v29
	s_delay_alu instid0(VALU_DEP_1) | instskip(SKIP_1) | instid1(VALU_DEP_1)
	v_cmp_ne_u16_e64 s29, 0, v29
	s_wait_alu 0xf1ff
	v_cndmask_b32_e64 v29, 0, 1, s29
.LBB862_356:
	s_or_b32 exec_lo, exec_lo, s30
	v_or_b32_e32 v33, 0x1d00, v0
	s_delay_alu instid0(VALU_DEP_1)
	v_cmp_gt_u32_e64 s29, s45, v33
	s_and_saveexec_b32 s31, s29
	s_cbranch_execz .LBB862_358
; %bb.357:
	v_lshlrev_b32_e32 v30, 1, v0
	global_load_u16 v30, v30, s[42:43] offset:14848
	s_wait_loadcnt 0x0
	v_and_b32_e32 v30, 0x7fff, v30
	s_delay_alu instid0(VALU_DEP_1) | instskip(NEXT) | instid1(VALU_DEP_1)
	v_cmp_ne_u16_e64 s30, 0, v30
	v_cndmask_b32_e64 v30, 0, 1, s30
.LBB862_358:
	s_or_b32 exec_lo, exec_lo, s31
	v_or_b32_e32 v33, 0x1e00, v0
	s_delay_alu instid0(VALU_DEP_1)
	v_cmp_gt_u32_e64 s30, s45, v33
	s_and_saveexec_b32 s33, s30
	s_cbranch_execz .LBB862_360
; %bb.359:
	v_lshlrev_b32_e32 v31, 1, v0
	global_load_u16 v31, v31, s[42:43] offset:15360
	s_wait_loadcnt 0x0
	v_and_b32_e32 v31, 0x7fff, v31
	s_delay_alu instid0(VALU_DEP_1) | instskip(SKIP_1) | instid1(VALU_DEP_1)
	v_cmp_ne_u16_e64 s31, 0, v31
	s_wait_alu 0xf1ff
	v_cndmask_b32_e64 v31, 0, 1, s31
.LBB862_360:
	s_or_b32 exec_lo, exec_lo, s33
	v_or_b32_e32 v33, 0x1f00, v0
	s_delay_alu instid0(VALU_DEP_1)
	v_cmp_gt_u32_e64 s31, s45, v33
	s_and_saveexec_b32 s46, s31
	s_cbranch_execz .LBB862_362
; %bb.361:
	v_lshlrev_b32_e32 v32, 1, v0
	global_load_u16 v32, v32, s[42:43] offset:15872
	s_wait_loadcnt 0x0
	v_and_b32_e32 v32, 0x7fff, v32
	s_delay_alu instid0(VALU_DEP_1) | instskip(NEXT) | instid1(VALU_DEP_1)
	v_cmp_ne_u16_e64 s33, 0, v32
	v_cndmask_b32_e64 v32, 0, 1, s33
.LBB862_362:
	s_or_b32 exec_lo, exec_lo, s46
	v_cndmask_b32_e32 v2, 0, v2, vcc_lo
	v_cndmask_b32_e64 v3, 0, v3, s2
	v_cndmask_b32_e64 v4, 0, v4, s3
	s_min_u32 s2, s45, 0x100
	s_mov_b32 s3, exec_lo
	v_add_nc_u32_e32 v1, v2, v1
	v_cndmask_b32_e64 v2, 0, v5, s4
	v_cndmask_b32_e64 v5, 0, v6, s5
	;; [unrolled: 1-line block ×3, first 2 shown]
	s_delay_alu instid0(VALU_DEP_4) | instskip(SKIP_3) | instid1(VALU_DEP_4)
	v_add3_u32 v1, v1, v3, v4
	v_cndmask_b32_e64 v3, 0, v7, s6
	v_cndmask_b32_e64 v4, 0, v8, s7
	;; [unrolled: 1-line block ×3, first 2 shown]
	v_add3_u32 v1, v1, v2, v5
	v_cndmask_b32_e64 v2, 0, v9, s8
	v_cndmask_b32_e64 v5, 0, v10, s9
	s_delay_alu instid0(VALU_DEP_3) | instskip(SKIP_2) | instid1(VALU_DEP_3)
	v_add3_u32 v1, v1, v3, v4
	v_cndmask_b32_e64 v3, 0, v11, s10
	v_cndmask_b32_e64 v4, 0, v12, s11
	v_add3_u32 v1, v1, v2, v5
	v_cndmask_b32_e64 v2, 0, v13, s12
	v_cndmask_b32_e64 v5, 0, v14, s13
	s_delay_alu instid0(VALU_DEP_3) | instskip(SKIP_2) | instid1(VALU_DEP_3)
	v_add3_u32 v1, v1, v3, v4
	v_cndmask_b32_e64 v3, 0, v15, s14
	v_cndmask_b32_e64 v4, 0, v16, s15
	;; [unrolled: 7-line block ×5, first 2 shown]
	v_add3_u32 v1, v1, v2, v5
	v_mbcnt_lo_u32_b32 v2, -1, 0
	v_cndmask_b32_e64 v5, 0, v29, s28
	s_delay_alu instid0(VALU_DEP_3) | instskip(NEXT) | instid1(VALU_DEP_3)
	v_add3_u32 v1, v1, v3, v4
	v_cmp_ne_u32_e32 vcc_lo, 31, v2
	v_cndmask_b32_e64 v3, 0, v32, s31
	s_delay_alu instid0(VALU_DEP_3)
	v_add3_u32 v1, v1, v5, v6
	s_wait_alu 0xfffd
	v_add_co_ci_u32_e64 v4, null, 0, v2, vcc_lo
	v_add_nc_u32_e32 v5, 1, v2
	v_cmp_gt_u32_e32 vcc_lo, 30, v2
	v_add3_u32 v1, v1, v7, v3
	s_delay_alu instid0(VALU_DEP_4)
	v_lshlrev_b32_e32 v4, 2, v4
	s_wait_alu 0xfffd
	v_cndmask_b32_e64 v6, 0, 2, vcc_lo
	ds_bpermute_b32 v3, v4, v1
	v_and_b32_e32 v4, 0xe0, v0
	s_wait_alu 0xfffe
	s_delay_alu instid0(VALU_DEP_1) | instskip(NEXT) | instid1(VALU_DEP_1)
	v_sub_nc_u32_e64 v4, s2, v4 clamp
	v_cmp_lt_u32_e32 vcc_lo, v5, v4
	v_add_lshl_u32 v5, v6, v2, 2
	s_wait_dscnt 0x0
	s_wait_alu 0xfffd
	v_cndmask_b32_e32 v3, 0, v3, vcc_lo
	v_cmp_gt_u32_e32 vcc_lo, 28, v2
	s_delay_alu instid0(VALU_DEP_2) | instskip(SKIP_4) | instid1(VALU_DEP_1)
	v_add_nc_u32_e32 v1, v1, v3
	s_wait_alu 0xfffd
	v_cndmask_b32_e64 v6, 0, 4, vcc_lo
	ds_bpermute_b32 v3, v5, v1
	v_add_nc_u32_e32 v5, 2, v2
	v_cmp_lt_u32_e32 vcc_lo, v5, v4
	v_add_lshl_u32 v5, v6, v2, 2
	s_wait_dscnt 0x0
	s_wait_alu 0xfffd
	v_cndmask_b32_e32 v3, 0, v3, vcc_lo
	v_cmp_gt_u32_e32 vcc_lo, 24, v2
	s_delay_alu instid0(VALU_DEP_2) | instskip(SKIP_4) | instid1(VALU_DEP_1)
	v_add_nc_u32_e32 v1, v1, v3
	s_wait_alu 0xfffd
	v_cndmask_b32_e64 v6, 0, 8, vcc_lo
	ds_bpermute_b32 v3, v5, v1
	v_add_nc_u32_e32 v5, 4, v2
	v_cmp_lt_u32_e32 vcc_lo, v5, v4
	v_add_lshl_u32 v5, v6, v2, 2
	s_wait_dscnt 0x0
	s_wait_alu 0xfffd
	v_cndmask_b32_e32 v3, 0, v3, vcc_lo
	s_delay_alu instid0(VALU_DEP_1) | instskip(SKIP_3) | instid1(VALU_DEP_1)
	v_add_nc_u32_e32 v1, v1, v3
	v_lshlrev_b32_e32 v3, 2, v2
	ds_bpermute_b32 v5, v5, v1
	v_add_nc_u32_e32 v6, 8, v2
	v_cmp_lt_u32_e32 vcc_lo, v6, v4
	v_or_b32_e32 v6, 64, v3
	s_wait_dscnt 0x0
	s_wait_alu 0xfffd
	v_cndmask_b32_e32 v5, 0, v5, vcc_lo
	s_delay_alu instid0(VALU_DEP_1) | instskip(SKIP_2) | instid1(VALU_DEP_1)
	v_add_nc_u32_e32 v1, v1, v5
	ds_bpermute_b32 v5, v6, v1
	v_add_nc_u32_e32 v6, 16, v2
	v_cmp_lt_u32_e32 vcc_lo, v6, v4
	s_wait_dscnt 0x0
	s_wait_alu 0xfffd
	v_cndmask_b32_e32 v4, 0, v5, vcc_lo
	s_delay_alu instid0(VALU_DEP_1)
	v_add_nc_u32_e32 v1, v1, v4
	v_cmpx_eq_u32_e32 0, v2
; %bb.363:
	v_lshrrev_b32_e32 v4, 3, v0
	s_delay_alu instid0(VALU_DEP_1)
	v_and_b32_e32 v4, 28, v4
	ds_store_b32 v4, v1 offset:256
; %bb.364:
	s_or_b32 exec_lo, exec_lo, s3
	s_delay_alu instid0(SALU_CYCLE_1)
	s_mov_b32 s3, exec_lo
	s_wait_loadcnt_dscnt 0x0
	s_barrier_signal -1
	s_barrier_wait -1
	global_inv scope:SCOPE_SE
	v_cmpx_gt_u32_e32 8, v0
	s_cbranch_execz .LBB862_366
; %bb.365:
	ds_load_b32 v1, v3 offset:256
	v_and_b32_e32 v4, 7, v2
	s_add_co_i32 s2, s2, 31
	s_wait_alu 0xfffe
	s_lshr_b32 s2, s2, 5
	s_delay_alu instid0(VALU_DEP_1) | instskip(SKIP_4) | instid1(VALU_DEP_2)
	v_cmp_ne_u32_e32 vcc_lo, 7, v4
	v_add_nc_u32_e32 v6, 1, v4
	s_wait_alu 0xfffd
	v_add_co_ci_u32_e64 v5, null, 0, v2, vcc_lo
	v_cmp_gt_u32_e32 vcc_lo, 6, v4
	v_lshlrev_b32_e32 v5, 2, v5
	s_wait_alu 0xfffd
	v_cndmask_b32_e64 v7, 0, 2, vcc_lo
	s_wait_alu 0xfffe
	v_cmp_gt_u32_e32 vcc_lo, s2, v6
	s_wait_dscnt 0x0
	ds_bpermute_b32 v5, v5, v1
	v_add_lshl_u32 v2, v7, v2, 2
	s_wait_dscnt 0x0
	s_wait_alu 0xfffd
	v_cndmask_b32_e32 v5, 0, v5, vcc_lo
	s_delay_alu instid0(VALU_DEP_1)
	v_add_nc_u32_e32 v1, v5, v1
	v_add_nc_u32_e32 v5, 2, v4
	ds_bpermute_b32 v2, v2, v1
	v_cmp_gt_u32_e32 vcc_lo, s2, v5
	s_wait_dscnt 0x0
	s_wait_alu 0xfffd
	v_cndmask_b32_e32 v2, 0, v2, vcc_lo
	s_delay_alu instid0(VALU_DEP_1)
	v_add_nc_u32_e32 v1, v1, v2
	v_or_b32_e32 v2, 16, v3
	v_add_nc_u32_e32 v3, 4, v4
	ds_bpermute_b32 v2, v2, v1
	v_cmp_gt_u32_e32 vcc_lo, s2, v3
	s_wait_dscnt 0x0
	s_wait_alu 0xfffd
	v_cndmask_b32_e32 v2, 0, v2, vcc_lo
	s_delay_alu instid0(VALU_DEP_1)
	v_add_nc_u32_e32 v1, v1, v2
.LBB862_366:
	s_wait_alu 0xfffe
	s_or_b32 exec_lo, exec_lo, s3
.LBB862_367:
	v_cmp_eq_u32_e64 s2, 0, v0
	s_branch .LBB862_512
.LBB862_368:
	s_cmp_eq_u32 s44, 16
	s_cbranch_scc0 .LBB862_375
; %bb.369:
	s_mov_b32 s35, 0
	s_lshl_b32 s2, s34, 12
	s_mov_b32 s3, s35
	s_lshr_b64 s[4:5], s[36:37], 12
	s_lshl_b64 s[6:7], s[2:3], 1
	s_cmp_lg_u64 s[4:5], s[34:35]
	s_add_nc_u64 s[16:17], s[40:41], s[6:7]
	s_cbranch_scc0 .LBB862_533
; %bb.370:
	v_lshlrev_b32_e32 v1, 1, v0
	s_mov_b32 s3, exec_lo
	s_clause 0xf
	global_load_u16 v2, v1, s[16:17]
	global_load_u16 v3, v1, s[16:17] offset:512
	global_load_u16 v4, v1, s[16:17] offset:1024
	;; [unrolled: 1-line block ×15, first 2 shown]
	s_wait_loadcnt 0xf
	v_and_b32_e32 v2, 0x7fff, v2
	s_wait_loadcnt 0xe
	v_and_b32_e32 v3, 0x7fff, v3
	;; [unrolled: 2-line block ×5, first 2 shown]
	v_cmp_ne_u16_e32 vcc_lo, 0, v2
	s_wait_loadcnt 0x9
	v_and_b32_e32 v8, 0x7fff, v8
	v_and_b32_e32 v7, 0x7fff, v7
	s_wait_loadcnt 0x7
	v_and_b32_e32 v10, 0x7fff, v10
	v_and_b32_e32 v9, 0x7fff, v9
	v_cndmask_b32_e64 v2, 0, 1, vcc_lo
	v_cmp_ne_u16_e32 vcc_lo, 0, v4
	s_wait_loadcnt 0x5
	v_and_b32_e32 v12, 0x7fff, v12
	v_and_b32_e32 v11, 0x7fff, v11
	s_wait_loadcnt 0x3
	v_and_b32_e32 v14, 0x7fff, v14
	v_and_b32_e32 v13, 0x7fff, v13
	s_wait_alu 0xfffd
	v_cndmask_b32_e64 v4, 0, 1, vcc_lo
	v_cmp_ne_u16_e32 vcc_lo, 0, v3
	s_wait_loadcnt 0x1
	v_and_b32_e32 v16, 0x7fff, v16
	v_and_b32_e32 v15, 0x7fff, v15
	s_wait_loadcnt 0x0
	v_and_b32_e32 v1, 0x7fff, v1
	s_wait_alu 0xfffd
	v_add_co_ci_u32_e64 v2, null, 0, v2, vcc_lo
	v_cmp_ne_u16_e32 vcc_lo, 0, v6
	s_wait_alu 0xfffd
	v_cndmask_b32_e64 v3, 0, 1, vcc_lo
	v_cmp_ne_u16_e32 vcc_lo, 0, v5
	s_wait_alu 0xfffd
	v_add_co_ci_u32_e64 v2, null, v2, v4, vcc_lo
	v_cmp_ne_u16_e32 vcc_lo, 0, v8
	s_wait_alu 0xfffd
	v_cndmask_b32_e64 v4, 0, 1, vcc_lo
	v_cmp_ne_u16_e32 vcc_lo, 0, v7
	;; [unrolled: 6-line block ×6, first 2 shown]
	s_wait_alu 0xfffd
	v_add_co_ci_u32_e64 v2, null, v2, v3, vcc_lo
	v_cmp_ne_u16_e32 vcc_lo, 0, v1
	s_wait_alu 0xfffd
	s_delay_alu instid0(VALU_DEP_2) | instskip(NEXT) | instid1(VALU_DEP_1)
	v_add_co_ci_u32_e64 v1, null, v2, v4, vcc_lo
	v_mov_b32_dpp v2, v1 quad_perm:[1,0,3,2] row_mask:0xf bank_mask:0xf
	s_delay_alu instid0(VALU_DEP_1) | instskip(NEXT) | instid1(VALU_DEP_1)
	v_add_nc_u32_e32 v1, v1, v2
	v_mov_b32_dpp v2, v1 quad_perm:[2,3,0,1] row_mask:0xf bank_mask:0xf
	s_delay_alu instid0(VALU_DEP_1) | instskip(NEXT) | instid1(VALU_DEP_1)
	v_add_nc_u32_e32 v1, v1, v2
	v_mov_b32_dpp v2, v1 row_ror:4 row_mask:0xf bank_mask:0xf
	s_delay_alu instid0(VALU_DEP_1) | instskip(NEXT) | instid1(VALU_DEP_1)
	v_add_nc_u32_e32 v1, v1, v2
	v_mov_b32_dpp v2, v1 row_ror:8 row_mask:0xf bank_mask:0xf
	s_delay_alu instid0(VALU_DEP_1)
	v_add_nc_u32_e32 v1, v1, v2
	ds_swizzle_b32 v2, v1 offset:swizzle(BROADCAST,32,15)
	s_wait_dscnt 0x0
	v_dual_mov_b32 v2, 0 :: v_dual_add_nc_u32 v1, v1, v2
	ds_bpermute_b32 v1, v2, v1 offset:124
	v_mbcnt_lo_u32_b32 v2, -1, 0
	s_delay_alu instid0(VALU_DEP_1)
	v_cmpx_eq_u32_e32 0, v2
	s_cbranch_execz .LBB862_372
; %bb.371:
	v_lshrrev_b32_e32 v3, 3, v0
	s_delay_alu instid0(VALU_DEP_1)
	v_and_b32_e32 v3, 28, v3
	s_wait_dscnt 0x0
	ds_store_b32 v3, v1 offset:32
.LBB862_372:
	s_or_b32 exec_lo, exec_lo, s3
	s_delay_alu instid0(SALU_CYCLE_1)
	s_mov_b32 s3, exec_lo
	s_wait_dscnt 0x0
	s_barrier_signal -1
	s_barrier_wait -1
	global_inv scope:SCOPE_SE
	v_cmpx_gt_u32_e32 32, v0
	s_cbranch_execz .LBB862_374
; %bb.373:
	v_and_b32_e32 v1, 7, v2
	s_delay_alu instid0(VALU_DEP_1)
	v_lshlrev_b32_e32 v3, 2, v1
	v_cmp_ne_u32_e32 vcc_lo, 7, v1
	ds_load_b32 v3, v3 offset:32
	s_wait_alu 0xfffd
	v_add_co_ci_u32_e64 v4, null, 0, v2, vcc_lo
	v_cmp_gt_u32_e32 vcc_lo, 6, v1
	s_delay_alu instid0(VALU_DEP_2) | instskip(SKIP_2) | instid1(VALU_DEP_1)
	v_lshlrev_b32_e32 v4, 2, v4
	s_wait_alu 0xfffd
	v_cndmask_b32_e64 v1, 0, 2, vcc_lo
	v_add_lshl_u32 v1, v1, v2, 2
	v_lshlrev_b32_e32 v2, 2, v2
	s_delay_alu instid0(VALU_DEP_1)
	v_or_b32_e32 v2, 16, v2
	s_wait_dscnt 0x0
	ds_bpermute_b32 v4, v4, v3
	s_wait_dscnt 0x0
	v_add_nc_u32_e32 v3, v4, v3
	ds_bpermute_b32 v1, v1, v3
	s_wait_dscnt 0x0
	v_add_nc_u32_e32 v1, v1, v3
	;; [unrolled: 3-line block ×3, first 2 shown]
.LBB862_374:
	s_or_b32 exec_lo, exec_lo, s3
	s_mov_b32 s3, 0
	s_branch .LBB862_534
.LBB862_375:
                                        ; implicit-def: $vgpr1
	s_branch .LBB862_623
.LBB862_376:
	s_mov_b32 s5, -1
                                        ; implicit-def: $vgpr1
.LBB862_377:
	s_wait_alu 0xfffe
	s_and_b32 vcc_lo, exec_lo, s5
	s_wait_alu 0xfffe
	s_cbranch_vccz .LBB862_511
; %bb.378:
	s_sub_co_i32 s4, s36, s4
	s_mov_b32 s5, exec_lo
                                        ; implicit-def: $vgpr1
	s_wait_alu 0xfffe
	v_cmpx_gt_u32_e64 s4, v0
	s_cbranch_execz .LBB862_380
; %bb.379:
	v_lshlrev_b32_e32 v1, 1, v0
	global_load_u16 v1, v1, s[2:3]
	s_wait_loadcnt 0x0
	v_and_b32_e32 v1, 0x7fff, v1
	s_delay_alu instid0(VALU_DEP_1)
	v_cmp_ne_u16_e32 vcc_lo, 0, v1
	s_wait_alu 0xfffd
	v_cndmask_b32_e64 v1, 0, 1, vcc_lo
.LBB862_380:
	s_or_b32 exec_lo, exec_lo, s5
	v_or_b32_e32 v3, 0x100, v0
	v_mov_b32_e32 v2, 0
	s_delay_alu instid0(VALU_DEP_2)
	v_cmp_gt_u32_e32 vcc_lo, s4, v3
	v_mov_b32_e32 v3, 0
	s_and_saveexec_b32 s5, vcc_lo
	s_cbranch_execz .LBB862_382
; %bb.381:
	v_lshlrev_b32_e32 v3, 1, v0
	global_load_u16 v3, v3, s[2:3] offset:512
	s_wait_loadcnt 0x0
	v_and_b32_e32 v3, 0x7fff, v3
	s_delay_alu instid0(VALU_DEP_1)
	v_cmp_ne_u16_e32 vcc_lo, 0, v3
	s_wait_alu 0xfffd
	v_cndmask_b32_e64 v3, 0, 1, vcc_lo
.LBB862_382:
	s_wait_alu 0xfffe
	s_or_b32 exec_lo, exec_lo, s5
	v_or_b32_e32 v4, 0x200, v0
	s_mov_b32 s5, exec_lo
	s_delay_alu instid0(VALU_DEP_1)
	v_cmpx_gt_u32_e64 s4, v4
	s_cbranch_execz .LBB862_384
; %bb.383:
	v_lshlrev_b32_e32 v2, 1, v0
	global_load_u16 v2, v2, s[2:3] offset:1024
	s_wait_loadcnt 0x0
	v_and_b32_e32 v2, 0x7fff, v2
	s_delay_alu instid0(VALU_DEP_1)
	v_cmp_ne_u16_e32 vcc_lo, 0, v2
	s_wait_alu 0xfffd
	v_cndmask_b32_e64 v2, 0, 1, vcc_lo
.LBB862_384:
	s_wait_alu 0xfffe
	s_or_b32 exec_lo, exec_lo, s5
	v_or_b32_e32 v5, 0x300, v0
	v_mov_b32_e32 v4, 0
	s_delay_alu instid0(VALU_DEP_2)
	v_cmp_gt_u32_e32 vcc_lo, s4, v5
	v_mov_b32_e32 v5, 0
	s_and_saveexec_b32 s5, vcc_lo
	s_cbranch_execz .LBB862_386
; %bb.385:
	v_lshlrev_b32_e32 v5, 1, v0
	global_load_u16 v5, v5, s[2:3] offset:1536
	s_wait_loadcnt 0x0
	v_and_b32_e32 v5, 0x7fff, v5
	s_delay_alu instid0(VALU_DEP_1)
	v_cmp_ne_u16_e32 vcc_lo, 0, v5
	s_wait_alu 0xfffd
	v_cndmask_b32_e64 v5, 0, 1, vcc_lo
.LBB862_386:
	s_wait_alu 0xfffe
	s_or_b32 exec_lo, exec_lo, s5
	v_or_b32_e32 v6, 0x400, v0
	s_mov_b32 s5, exec_lo
	s_delay_alu instid0(VALU_DEP_1)
	v_cmpx_gt_u32_e64 s4, v6
	s_cbranch_execz .LBB862_388
; %bb.387:
	v_lshlrev_b32_e32 v4, 1, v0
	global_load_u16 v4, v4, s[2:3] offset:2048
	s_wait_loadcnt 0x0
	v_and_b32_e32 v4, 0x7fff, v4
	s_delay_alu instid0(VALU_DEP_1)
	v_cmp_ne_u16_e32 vcc_lo, 0, v4
	s_wait_alu 0xfffd
	v_cndmask_b32_e64 v4, 0, 1, vcc_lo
.LBB862_388:
	s_wait_alu 0xfffe
	;; [unrolled: 36-line block ×31, first 2 shown]
	s_or_b32 exec_lo, exec_lo, s5
	v_or_b32_e32 v64, 0x3f00, v0
	s_delay_alu instid0(VALU_DEP_1)
	v_cmp_gt_u32_e32 vcc_lo, s4, v64
	v_mov_b32_e32 v64, 0
	s_and_saveexec_b32 s5, vcc_lo
	s_cbranch_execz .LBB862_506
; %bb.505:
	v_lshlrev_b32_e32 v64, 1, v0
	global_load_u16 v64, v64, s[2:3] offset:32256
	s_wait_loadcnt 0x0
	v_and_b32_e32 v64, 0x7fff, v64
	s_delay_alu instid0(VALU_DEP_1)
	v_cmp_ne_u16_e32 vcc_lo, 0, v64
	s_wait_alu 0xfffd
	v_cndmask_b32_e64 v64, 0, 1, vcc_lo
.LBB862_506:
	s_wait_alu 0xfffe
	s_or_b32 exec_lo, exec_lo, s5
	v_add_nc_u32_e32 v1, v3, v1
	s_min_u32 s2, s4, 0x100
	s_mov_b32 s3, exec_lo
	s_delay_alu instid0(VALU_DEP_1) | instskip(SKIP_1) | instid1(VALU_DEP_2)
	v_add3_u32 v1, v1, v2, v5
	v_mbcnt_lo_u32_b32 v2, -1, 0
	v_add3_u32 v1, v1, v4, v7
	s_delay_alu instid0(VALU_DEP_2) | instskip(SKIP_1) | instid1(VALU_DEP_3)
	v_cmp_ne_u32_e32 vcc_lo, 31, v2
	v_add_nc_u32_e32 v5, 1, v2
	v_add3_u32 v1, v1, v6, v9
	s_wait_alu 0xfffd
	v_add_co_ci_u32_e64 v3, null, 0, v2, vcc_lo
	v_cmp_gt_u32_e32 vcc_lo, 30, v2
	s_delay_alu instid0(VALU_DEP_3) | instskip(NEXT) | instid1(VALU_DEP_3)
	v_add3_u32 v1, v1, v8, v11
	v_lshlrev_b32_e32 v3, 2, v3
	s_wait_alu 0xfffd
	v_cndmask_b32_e64 v6, 0, 2, vcc_lo
	s_delay_alu instid0(VALU_DEP_3) | instskip(NEXT) | instid1(VALU_DEP_1)
	v_add3_u32 v1, v1, v10, v13
	v_add3_u32 v1, v1, v12, v15
	s_delay_alu instid0(VALU_DEP_1) | instskip(NEXT) | instid1(VALU_DEP_1)
	v_add3_u32 v1, v1, v14, v17
	v_add3_u32 v1, v1, v16, v19
	s_delay_alu instid0(VALU_DEP_1) | instskip(NEXT) | instid1(VALU_DEP_1)
	;; [unrolled: 3-line block ×12, first 2 shown]
	v_add3_u32 v1, v1, v58, v61
	v_add3_u32 v1, v1, v60, v63
	s_delay_alu instid0(VALU_DEP_1) | instskip(SKIP_3) | instid1(VALU_DEP_1)
	v_add3_u32 v1, v1, v62, v64
	ds_bpermute_b32 v3, v3, v1
	v_and_b32_e32 v4, 0xe0, v0
	s_wait_alu 0xfffe
	v_sub_nc_u32_e64 v4, s2, v4 clamp
	s_delay_alu instid0(VALU_DEP_1)
	v_cmp_lt_u32_e32 vcc_lo, v5, v4
	v_add_lshl_u32 v5, v6, v2, 2
	s_wait_dscnt 0x0
	s_wait_alu 0xfffd
	v_cndmask_b32_e32 v3, 0, v3, vcc_lo
	v_cmp_gt_u32_e32 vcc_lo, 28, v2
	s_delay_alu instid0(VALU_DEP_2) | instskip(SKIP_4) | instid1(VALU_DEP_1)
	v_add_nc_u32_e32 v1, v3, v1
	s_wait_alu 0xfffd
	v_cndmask_b32_e64 v6, 0, 4, vcc_lo
	ds_bpermute_b32 v3, v5, v1
	v_add_nc_u32_e32 v5, 2, v2
	v_cmp_lt_u32_e32 vcc_lo, v5, v4
	v_add_lshl_u32 v5, v6, v2, 2
	s_wait_dscnt 0x0
	s_wait_alu 0xfffd
	v_cndmask_b32_e32 v3, 0, v3, vcc_lo
	v_cmp_gt_u32_e32 vcc_lo, 24, v2
	s_delay_alu instid0(VALU_DEP_2) | instskip(SKIP_4) | instid1(VALU_DEP_1)
	v_add_nc_u32_e32 v1, v1, v3
	s_wait_alu 0xfffd
	v_cndmask_b32_e64 v6, 0, 8, vcc_lo
	ds_bpermute_b32 v3, v5, v1
	v_add_nc_u32_e32 v5, 4, v2
	v_cmp_lt_u32_e32 vcc_lo, v5, v4
	v_add_lshl_u32 v5, v6, v2, 2
	s_wait_dscnt 0x0
	s_wait_alu 0xfffd
	v_dual_cndmask_b32 v3, 0, v3 :: v_dual_add_nc_u32 v6, 8, v2
	s_delay_alu instid0(VALU_DEP_1) | instskip(NEXT) | instid1(VALU_DEP_2)
	v_cmp_lt_u32_e32 vcc_lo, v6, v4
	v_add_nc_u32_e32 v1, v1, v3
	v_lshlrev_b32_e32 v3, 2, v2
	ds_bpermute_b32 v5, v5, v1
	v_or_b32_e32 v6, 64, v3
	s_wait_dscnt 0x0
	s_wait_alu 0xfffd
	v_cndmask_b32_e32 v5, 0, v5, vcc_lo
	s_delay_alu instid0(VALU_DEP_1) | instskip(SKIP_2) | instid1(VALU_DEP_1)
	v_add_nc_u32_e32 v1, v1, v5
	ds_bpermute_b32 v5, v6, v1
	v_add_nc_u32_e32 v6, 16, v2
	v_cmp_lt_u32_e32 vcc_lo, v6, v4
	s_wait_dscnt 0x0
	s_wait_alu 0xfffd
	v_cndmask_b32_e32 v4, 0, v5, vcc_lo
	s_delay_alu instid0(VALU_DEP_1)
	v_add_nc_u32_e32 v1, v1, v4
	v_cmpx_eq_u32_e32 0, v2
; %bb.507:
	v_lshrrev_b32_e32 v4, 3, v0
	s_delay_alu instid0(VALU_DEP_1)
	v_and_b32_e32 v4, 28, v4
	ds_store_b32 v4, v1 offset:256
; %bb.508:
	s_or_b32 exec_lo, exec_lo, s3
	s_delay_alu instid0(SALU_CYCLE_1)
	s_mov_b32 s3, exec_lo
	s_wait_loadcnt_dscnt 0x0
	s_barrier_signal -1
	s_barrier_wait -1
	global_inv scope:SCOPE_SE
	v_cmpx_gt_u32_e32 8, v0
	s_cbranch_execz .LBB862_510
; %bb.509:
	ds_load_b32 v1, v3 offset:256
	v_and_b32_e32 v4, 7, v2
	s_add_co_i32 s2, s2, 31
	s_wait_alu 0xfffe
	s_lshr_b32 s2, s2, 5
	s_delay_alu instid0(VALU_DEP_1) | instskip(SKIP_4) | instid1(VALU_DEP_2)
	v_cmp_ne_u32_e32 vcc_lo, 7, v4
	v_add_nc_u32_e32 v6, 1, v4
	s_wait_alu 0xfffd
	v_add_co_ci_u32_e64 v5, null, 0, v2, vcc_lo
	v_cmp_gt_u32_e32 vcc_lo, 6, v4
	v_lshlrev_b32_e32 v5, 2, v5
	s_wait_alu 0xfffd
	v_cndmask_b32_e64 v7, 0, 2, vcc_lo
	s_wait_alu 0xfffe
	v_cmp_gt_u32_e32 vcc_lo, s2, v6
	s_wait_dscnt 0x0
	ds_bpermute_b32 v5, v5, v1
	v_add_lshl_u32 v2, v7, v2, 2
	s_wait_dscnt 0x0
	s_wait_alu 0xfffd
	v_cndmask_b32_e32 v5, 0, v5, vcc_lo
	s_delay_alu instid0(VALU_DEP_1)
	v_add_nc_u32_e32 v1, v5, v1
	v_add_nc_u32_e32 v5, 2, v4
	ds_bpermute_b32 v2, v2, v1
	v_cmp_gt_u32_e32 vcc_lo, s2, v5
	s_wait_dscnt 0x0
	s_wait_alu 0xfffd
	v_cndmask_b32_e32 v2, 0, v2, vcc_lo
	s_delay_alu instid0(VALU_DEP_1)
	v_add_nc_u32_e32 v1, v1, v2
	v_or_b32_e32 v2, 16, v3
	v_add_nc_u32_e32 v3, 4, v4
	ds_bpermute_b32 v2, v2, v1
	v_cmp_gt_u32_e32 vcc_lo, s2, v3
	s_wait_dscnt 0x0
	s_wait_alu 0xfffd
	v_cndmask_b32_e32 v2, 0, v2, vcc_lo
	s_delay_alu instid0(VALU_DEP_1)
	v_add_nc_u32_e32 v1, v1, v2
.LBB862_510:
	s_wait_alu 0xfffe
	s_or_b32 exec_lo, exec_lo, s3
.LBB862_511:
	v_cmp_eq_u32_e64 s2, 0, v0
.LBB862_512:
	s_branch .LBB862_623
.LBB862_513:
	s_cmp_gt_i32 s44, 3
	s_cbranch_scc0 .LBB862_522
; %bb.514:
	s_cmp_gt_i32 s44, 7
	s_cbranch_scc0 .LBB862_523
; %bb.515:
	s_cmp_eq_u32 s44, 8
	s_cbranch_scc0 .LBB862_531
; %bb.516:
	s_mov_b32 s35, 0
	s_lshl_b32 s2, s34, 11
	s_mov_b32 s3, s35
	s_lshr_b64 s[4:5], s[36:37], 11
	s_lshl_b64 s[6:7], s[2:3], 1
	s_cmp_lg_u64 s[4:5], s[34:35]
	s_add_nc_u64 s[8:9], s[40:41], s[6:7]
	s_cbranch_scc0 .LBB862_573
; %bb.517:
	v_lshlrev_b32_e32 v1, 1, v0
	s_mov_b32 s3, exec_lo
	s_clause 0x7
	global_load_u16 v2, v1, s[8:9]
	global_load_u16 v3, v1, s[8:9] offset:512
	global_load_u16 v4, v1, s[8:9] offset:1024
	;; [unrolled: 1-line block ×7, first 2 shown]
	s_wait_loadcnt 0x7
	v_and_b32_e32 v2, 0x7fff, v2
	s_wait_loadcnt 0x6
	v_and_b32_e32 v3, 0x7fff, v3
	;; [unrolled: 2-line block ×5, first 2 shown]
	v_cmp_ne_u16_e32 vcc_lo, 0, v2
	s_wait_loadcnt 0x1
	v_and_b32_e32 v8, 0x7fff, v8
	v_and_b32_e32 v7, 0x7fff, v7
	s_wait_loadcnt 0x0
	v_and_b32_e32 v1, 0x7fff, v1
	v_cndmask_b32_e64 v2, 0, 1, vcc_lo
	v_cmp_ne_u16_e32 vcc_lo, 0, v4
	s_wait_alu 0xfffd
	v_cndmask_b32_e64 v4, 0, 1, vcc_lo
	v_cmp_ne_u16_e32 vcc_lo, 0, v3
	s_wait_alu 0xfffd
	v_add_co_ci_u32_e64 v2, null, 0, v2, vcc_lo
	v_cmp_ne_u16_e32 vcc_lo, 0, v6
	s_wait_alu 0xfffd
	v_cndmask_b32_e64 v3, 0, 1, vcc_lo
	v_cmp_ne_u16_e32 vcc_lo, 0, v5
	s_wait_alu 0xfffd
	v_add_co_ci_u32_e64 v2, null, v2, v4, vcc_lo
	;; [unrolled: 6-line block ×3, first 2 shown]
	v_cmp_ne_u16_e32 vcc_lo, 0, v1
	s_wait_alu 0xfffd
	s_delay_alu instid0(VALU_DEP_2) | instskip(NEXT) | instid1(VALU_DEP_1)
	v_add_co_ci_u32_e64 v1, null, v2, v4, vcc_lo
	v_mov_b32_dpp v2, v1 quad_perm:[1,0,3,2] row_mask:0xf bank_mask:0xf
	s_delay_alu instid0(VALU_DEP_1) | instskip(NEXT) | instid1(VALU_DEP_1)
	v_add_nc_u32_e32 v1, v1, v2
	v_mov_b32_dpp v2, v1 quad_perm:[2,3,0,1] row_mask:0xf bank_mask:0xf
	s_delay_alu instid0(VALU_DEP_1) | instskip(NEXT) | instid1(VALU_DEP_1)
	v_add_nc_u32_e32 v1, v1, v2
	v_mov_b32_dpp v2, v1 row_ror:4 row_mask:0xf bank_mask:0xf
	s_delay_alu instid0(VALU_DEP_1) | instskip(NEXT) | instid1(VALU_DEP_1)
	v_add_nc_u32_e32 v1, v1, v2
	v_mov_b32_dpp v2, v1 row_ror:8 row_mask:0xf bank_mask:0xf
	s_delay_alu instid0(VALU_DEP_1)
	v_add_nc_u32_e32 v1, v1, v2
	ds_swizzle_b32 v2, v1 offset:swizzle(BROADCAST,32,15)
	s_wait_dscnt 0x0
	v_dual_mov_b32 v2, 0 :: v_dual_add_nc_u32 v1, v1, v2
	ds_bpermute_b32 v1, v2, v1 offset:124
	v_mbcnt_lo_u32_b32 v2, -1, 0
	s_delay_alu instid0(VALU_DEP_1)
	v_cmpx_eq_u32_e32 0, v2
	s_cbranch_execz .LBB862_519
; %bb.518:
	v_lshrrev_b32_e32 v3, 3, v0
	s_delay_alu instid0(VALU_DEP_1)
	v_and_b32_e32 v3, 28, v3
	s_wait_dscnt 0x0
	ds_store_b32 v3, v1 offset:224
.LBB862_519:
	s_or_b32 exec_lo, exec_lo, s3
	s_delay_alu instid0(SALU_CYCLE_1)
	s_mov_b32 s3, exec_lo
	s_wait_dscnt 0x0
	s_barrier_signal -1
	s_barrier_wait -1
	global_inv scope:SCOPE_SE
	v_cmpx_gt_u32_e32 32, v0
	s_cbranch_execz .LBB862_521
; %bb.520:
	v_lshl_or_b32 v1, v2, 2, 0xe0
	v_and_b32_e32 v3, 7, v2
	ds_load_b32 v1, v1
	v_cmp_ne_u32_e32 vcc_lo, 7, v3
	s_wait_alu 0xfffd
	v_add_co_ci_u32_e64 v4, null, 0, v2, vcc_lo
	v_cmp_gt_u32_e32 vcc_lo, 6, v3
	s_delay_alu instid0(VALU_DEP_2) | instskip(SKIP_2) | instid1(VALU_DEP_1)
	v_lshlrev_b32_e32 v4, 2, v4
	s_wait_alu 0xfffd
	v_cndmask_b32_e64 v3, 0, 2, vcc_lo
	v_add_lshl_u32 v3, v3, v2, 2
	v_lshlrev_b32_e32 v2, 2, v2
	s_wait_dscnt 0x0
	ds_bpermute_b32 v4, v4, v1
	v_or_b32_e32 v2, 16, v2
	s_wait_dscnt 0x0
	v_add_nc_u32_e32 v1, v4, v1
	ds_bpermute_b32 v3, v3, v1
	s_wait_dscnt 0x0
	v_add_nc_u32_e32 v1, v3, v1
	ds_bpermute_b32 v2, v2, v1
	s_wait_dscnt 0x0
	v_add_nc_u32_e32 v1, v2, v1
.LBB862_521:
	s_or_b32 exec_lo, exec_lo, s3
	s_mov_b32 s3, 0
	s_branch .LBB862_574
.LBB862_522:
                                        ; implicit-def: $vgpr1
	s_cbranch_execnz .LBB862_614
	s_branch .LBB862_623
.LBB862_523:
                                        ; implicit-def: $vgpr1
	s_cbranch_execz .LBB862_597
; %bb.524:
	s_cmp_eq_u32 s44, 4
	s_cbranch_scc0 .LBB862_532
; %bb.525:
	s_mov_b32 s35, 0
	s_lshl_b32 s2, s34, 10
	s_mov_b32 s3, s35
	s_lshr_b64 s[4:5], s[36:37], 10
	s_lshl_b64 s[6:7], s[2:3], 1
	s_cmp_lg_u64 s[4:5], s[34:35]
	s_add_nc_u64 s[4:5], s[40:41], s[6:7]
	s_cbranch_scc0 .LBB862_598
; %bb.526:
	v_lshlrev_b32_e32 v1, 1, v0
	s_mov_b32 s3, exec_lo
	s_clause 0x3
	global_load_u16 v2, v1, s[4:5]
	global_load_u16 v3, v1, s[4:5] offset:1024
	global_load_u16 v4, v1, s[4:5] offset:512
	;; [unrolled: 1-line block ×3, first 2 shown]
	s_wait_loadcnt 0x3
	v_and_b32_e32 v2, 0x7fff, v2
	s_wait_loadcnt 0x2
	v_and_b32_e32 v3, 0x7fff, v3
	s_wait_loadcnt 0x1
	v_and_b32_e32 v4, 0x7fff, v4
	s_wait_loadcnt 0x0
	v_and_b32_e32 v1, 0x7fff, v1
	v_cmp_ne_u16_e32 vcc_lo, 0, v2
	v_cndmask_b32_e64 v2, 0, 1, vcc_lo
	v_cmp_ne_u16_e32 vcc_lo, 0, v3
	s_wait_alu 0xfffd
	v_cndmask_b32_e64 v3, 0, 1, vcc_lo
	v_cmp_ne_u16_e32 vcc_lo, 0, v4
	s_wait_alu 0xfffd
	v_add_co_ci_u32_e64 v2, null, 0, v2, vcc_lo
	v_cmp_ne_u16_e32 vcc_lo, 0, v1
	s_wait_alu 0xfffd
	s_delay_alu instid0(VALU_DEP_2) | instskip(NEXT) | instid1(VALU_DEP_1)
	v_add_co_ci_u32_e64 v1, null, v2, v3, vcc_lo
	v_mov_b32_dpp v2, v1 quad_perm:[1,0,3,2] row_mask:0xf bank_mask:0xf
	s_delay_alu instid0(VALU_DEP_1) | instskip(NEXT) | instid1(VALU_DEP_1)
	v_add_nc_u32_e32 v1, v1, v2
	v_mov_b32_dpp v2, v1 quad_perm:[2,3,0,1] row_mask:0xf bank_mask:0xf
	s_delay_alu instid0(VALU_DEP_1) | instskip(NEXT) | instid1(VALU_DEP_1)
	v_add_nc_u32_e32 v1, v1, v2
	v_mov_b32_dpp v2, v1 row_ror:4 row_mask:0xf bank_mask:0xf
	s_delay_alu instid0(VALU_DEP_1) | instskip(NEXT) | instid1(VALU_DEP_1)
	v_add_nc_u32_e32 v1, v1, v2
	v_mov_b32_dpp v2, v1 row_ror:8 row_mask:0xf bank_mask:0xf
	s_delay_alu instid0(VALU_DEP_1)
	v_add_nc_u32_e32 v1, v1, v2
	ds_swizzle_b32 v2, v1 offset:swizzle(BROADCAST,32,15)
	s_wait_dscnt 0x0
	v_dual_mov_b32 v2, 0 :: v_dual_add_nc_u32 v1, v1, v2
	ds_bpermute_b32 v1, v2, v1 offset:124
	v_mbcnt_lo_u32_b32 v2, -1, 0
	s_delay_alu instid0(VALU_DEP_1)
	v_cmpx_eq_u32_e32 0, v2
	s_cbranch_execz .LBB862_528
; %bb.527:
	v_lshrrev_b32_e32 v3, 3, v0
	s_delay_alu instid0(VALU_DEP_1)
	v_and_b32_e32 v3, 28, v3
	s_wait_dscnt 0x0
	ds_store_b32 v3, v1 offset:160
.LBB862_528:
	s_or_b32 exec_lo, exec_lo, s3
	s_delay_alu instid0(SALU_CYCLE_1)
	s_mov_b32 s3, exec_lo
	s_wait_dscnt 0x0
	s_barrier_signal -1
	s_barrier_wait -1
	global_inv scope:SCOPE_SE
	v_cmpx_gt_u32_e32 32, v0
	s_cbranch_execz .LBB862_530
; %bb.529:
	v_and_b32_e32 v1, 7, v2
	s_delay_alu instid0(VALU_DEP_1)
	v_lshlrev_b32_e32 v3, 2, v1
	v_cmp_ne_u32_e32 vcc_lo, 7, v1
	ds_load_b32 v3, v3 offset:160
	s_wait_alu 0xfffd
	v_add_co_ci_u32_e64 v4, null, 0, v2, vcc_lo
	v_cmp_gt_u32_e32 vcc_lo, 6, v1
	s_delay_alu instid0(VALU_DEP_2) | instskip(SKIP_2) | instid1(VALU_DEP_1)
	v_lshlrev_b32_e32 v4, 2, v4
	s_wait_alu 0xfffd
	v_cndmask_b32_e64 v1, 0, 2, vcc_lo
	v_add_lshl_u32 v1, v1, v2, 2
	v_lshlrev_b32_e32 v2, 2, v2
	s_delay_alu instid0(VALU_DEP_1)
	v_or_b32_e32 v2, 16, v2
	s_wait_dscnt 0x0
	ds_bpermute_b32 v4, v4, v3
	s_wait_dscnt 0x0
	v_add_nc_u32_e32 v3, v4, v3
	ds_bpermute_b32 v1, v1, v3
	s_wait_dscnt 0x0
	v_add_nc_u32_e32 v1, v1, v3
	;; [unrolled: 3-line block ×3, first 2 shown]
.LBB862_530:
	s_or_b32 exec_lo, exec_lo, s3
	s_mov_b32 s3, 0
	s_branch .LBB862_599
.LBB862_531:
                                        ; implicit-def: $vgpr1
	s_branch .LBB862_597
.LBB862_532:
                                        ; implicit-def: $vgpr1
	s_branch .LBB862_623
.LBB862_533:
	s_mov_b32 s3, -1
                                        ; implicit-def: $vgpr1
.LBB862_534:
	s_delay_alu instid0(SALU_CYCLE_1)
	s_and_b32 vcc_lo, exec_lo, s3
	s_wait_alu 0xfffe
	s_cbranch_vccz .LBB862_572
; %bb.535:
	v_mov_b32_e32 v1, 0
	s_sub_co_i32 s18, s36, s2
	s_mov_b32 s2, exec_lo
	s_delay_alu instid0(VALU_DEP_1)
	v_dual_mov_b32 v2, v1 :: v_dual_mov_b32 v3, v1
	v_dual_mov_b32 v4, v1 :: v_dual_mov_b32 v5, v1
	;; [unrolled: 1-line block ×7, first 2 shown]
	v_mov_b32_e32 v16, v1
	v_cmpx_gt_u32_e64 s18, v0
	s_cbranch_execz .LBB862_537
; %bb.536:
	v_dual_mov_b32 v3, v1 :: v_dual_lshlrev_b32 v2, 1, v0
	v_dual_mov_b32 v14, v1 :: v_dual_mov_b32 v17, v1
	v_dual_mov_b32 v4, v1 :: v_dual_mov_b32 v5, v1
	global_load_u16 v2, v2, s[16:17]
	v_dual_mov_b32 v6, v1 :: v_dual_mov_b32 v7, v1
	v_dual_mov_b32 v8, v1 :: v_dual_mov_b32 v9, v1
	;; [unrolled: 1-line block ×5, first 2 shown]
	s_wait_loadcnt 0x0
	v_and_b32_e32 v2, 0x7fff, v2
	s_delay_alu instid0(VALU_DEP_1) | instskip(SKIP_2) | instid1(VALU_DEP_1)
	v_cmp_ne_u16_e32 vcc_lo, 0, v2
	s_wait_alu 0xfffd
	v_cndmask_b32_e64 v2, 0, 1, vcc_lo
	v_and_b32_e32 v2, 0xffff, v2
	s_delay_alu instid0(VALU_DEP_1)
	v_mov_b32_e32 v1, v2
	v_mov_b32_e32 v2, v3
	v_mov_b32_e32 v3, v4
	v_mov_b32_e32 v4, v5
	v_mov_b32_e32 v5, v6
	v_mov_b32_e32 v6, v7
	v_mov_b32_e32 v7, v8
	v_mov_b32_e32 v8, v9
	v_mov_b32_e32 v9, v10
	v_mov_b32_e32 v10, v11
	v_mov_b32_e32 v11, v12
	v_mov_b32_e32 v12, v13
	v_mov_b32_e32 v13, v14
	v_mov_b32_e32 v14, v15
	v_mov_b32_e32 v15, v16
	v_mov_b32_e32 v16, v17
.LBB862_537:
	s_or_b32 exec_lo, exec_lo, s2
	v_or_b32_e32 v17, 0x100, v0
	s_delay_alu instid0(VALU_DEP_1)
	v_cmp_gt_u32_e32 vcc_lo, s18, v17
	s_and_saveexec_b32 s3, vcc_lo
	s_cbranch_execz .LBB862_539
; %bb.538:
	v_lshlrev_b32_e32 v2, 1, v0
	global_load_u16 v2, v2, s[16:17] offset:512
	s_wait_loadcnt 0x0
	v_and_b32_e32 v2, 0x7fff, v2
	s_delay_alu instid0(VALU_DEP_1) | instskip(NEXT) | instid1(VALU_DEP_1)
	v_cmp_ne_u16_e64 s2, 0, v2
	v_cndmask_b32_e64 v2, 0, 1, s2
.LBB862_539:
	s_or_b32 exec_lo, exec_lo, s3
	v_or_b32_e32 v17, 0x200, v0
	s_delay_alu instid0(VALU_DEP_1)
	v_cmp_gt_u32_e64 s2, s18, v17
	s_and_saveexec_b32 s4, s2
	s_cbranch_execz .LBB862_541
; %bb.540:
	v_lshlrev_b32_e32 v3, 1, v0
	global_load_u16 v3, v3, s[16:17] offset:1024
	s_wait_loadcnt 0x0
	v_and_b32_e32 v3, 0x7fff, v3
	s_delay_alu instid0(VALU_DEP_1) | instskip(SKIP_1) | instid1(VALU_DEP_1)
	v_cmp_ne_u16_e64 s3, 0, v3
	s_wait_alu 0xf1ff
	v_cndmask_b32_e64 v3, 0, 1, s3
.LBB862_541:
	s_or_b32 exec_lo, exec_lo, s4
	v_or_b32_e32 v17, 0x300, v0
	s_delay_alu instid0(VALU_DEP_1)
	v_cmp_gt_u32_e64 s3, s18, v17
	s_and_saveexec_b32 s5, s3
	s_cbranch_execz .LBB862_543
; %bb.542:
	v_lshlrev_b32_e32 v4, 1, v0
	global_load_u16 v4, v4, s[16:17] offset:1536
	s_wait_loadcnt 0x0
	v_and_b32_e32 v4, 0x7fff, v4
	s_delay_alu instid0(VALU_DEP_1) | instskip(NEXT) | instid1(VALU_DEP_1)
	v_cmp_ne_u16_e64 s4, 0, v4
	v_cndmask_b32_e64 v4, 0, 1, s4
.LBB862_543:
	s_or_b32 exec_lo, exec_lo, s5
	v_or_b32_e32 v17, 0x400, v0
	s_delay_alu instid0(VALU_DEP_1)
	v_cmp_gt_u32_e64 s4, s18, v17
	s_and_saveexec_b32 s6, s4
	s_cbranch_execz .LBB862_545
; %bb.544:
	v_lshlrev_b32_e32 v5, 1, v0
	global_load_u16 v5, v5, s[16:17] offset:2048
	s_wait_loadcnt 0x0
	v_and_b32_e32 v5, 0x7fff, v5
	s_delay_alu instid0(VALU_DEP_1) | instskip(SKIP_1) | instid1(VALU_DEP_1)
	v_cmp_ne_u16_e64 s5, 0, v5
	s_wait_alu 0xf1ff
	v_cndmask_b32_e64 v5, 0, 1, s5
.LBB862_545:
	s_or_b32 exec_lo, exec_lo, s6
	v_or_b32_e32 v17, 0x500, v0
	s_delay_alu instid0(VALU_DEP_1)
	v_cmp_gt_u32_e64 s5, s18, v17
	s_and_saveexec_b32 s7, s5
	;; [unrolled: 31-line block ×6, first 2 shown]
	s_cbranch_execz .LBB862_563
; %bb.562:
	v_lshlrev_b32_e32 v14, 1, v0
	global_load_u16 v14, v14, s[16:17] offset:6656
	s_wait_loadcnt 0x0
	v_and_b32_e32 v14, 0x7fff, v14
	s_delay_alu instid0(VALU_DEP_1) | instskip(NEXT) | instid1(VALU_DEP_1)
	v_cmp_ne_u16_e64 s14, 0, v14
	v_cndmask_b32_e64 v14, 0, 1, s14
.LBB862_563:
	s_or_b32 exec_lo, exec_lo, s15
	v_or_b32_e32 v17, 0xe00, v0
	s_delay_alu instid0(VALU_DEP_1)
	v_cmp_gt_u32_e64 s14, s18, v17
	s_and_saveexec_b32 s19, s14
	s_cbranch_execz .LBB862_565
; %bb.564:
	v_lshlrev_b32_e32 v15, 1, v0
	global_load_u16 v15, v15, s[16:17] offset:7168
	s_wait_loadcnt 0x0
	v_and_b32_e32 v15, 0x7fff, v15
	s_delay_alu instid0(VALU_DEP_1) | instskip(SKIP_1) | instid1(VALU_DEP_1)
	v_cmp_ne_u16_e64 s15, 0, v15
	s_wait_alu 0xf1ff
	v_cndmask_b32_e64 v15, 0, 1, s15
.LBB862_565:
	s_wait_alu 0xfffe
	s_or_b32 exec_lo, exec_lo, s19
	v_or_b32_e32 v17, 0xf00, v0
	s_delay_alu instid0(VALU_DEP_1)
	v_cmp_gt_u32_e64 s15, s18, v17
	s_and_saveexec_b32 s19, s15
	s_cbranch_execz .LBB862_567
; %bb.566:
	v_lshlrev_b32_e32 v16, 1, v0
	global_load_u16 v16, v16, s[16:17] offset:7680
	s_wait_loadcnt 0x0
	v_and_b32_e32 v16, 0x7fff, v16
	s_delay_alu instid0(VALU_DEP_1) | instskip(NEXT) | instid1(VALU_DEP_1)
	v_cmp_ne_u16_e64 s16, 0, v16
	v_cndmask_b32_e64 v16, 0, 1, s16
.LBB862_567:
	s_wait_alu 0xfffe
	s_or_b32 exec_lo, exec_lo, s19
	v_cndmask_b32_e32 v2, 0, v2, vcc_lo
	v_cndmask_b32_e64 v3, 0, v3, s2
	v_cndmask_b32_e64 v4, 0, v4, s3
	s_min_u32 s2, s18, 0x100
	s_mov_b32 s3, exec_lo
	v_add_nc_u32_e32 v1, v2, v1
	v_cndmask_b32_e64 v2, 0, v5, s4
	v_cndmask_b32_e64 v5, 0, v6, s5
	;; [unrolled: 1-line block ×3, first 2 shown]
	s_delay_alu instid0(VALU_DEP_4) | instskip(SKIP_3) | instid1(VALU_DEP_4)
	v_add3_u32 v1, v1, v3, v4
	v_cndmask_b32_e64 v3, 0, v7, s6
	v_cndmask_b32_e64 v4, 0, v8, s7
	;; [unrolled: 1-line block ×3, first 2 shown]
	v_add3_u32 v1, v1, v2, v5
	v_cndmask_b32_e64 v2, 0, v9, s8
	v_cndmask_b32_e64 v5, 0, v10, s9
	s_delay_alu instid0(VALU_DEP_3) | instskip(SKIP_2) | instid1(VALU_DEP_3)
	v_add3_u32 v1, v1, v3, v4
	v_cndmask_b32_e64 v3, 0, v11, s10
	v_cndmask_b32_e64 v4, 0, v12, s11
	v_add3_u32 v1, v1, v2, v5
	v_mbcnt_lo_u32_b32 v2, -1, 0
	v_cndmask_b32_e64 v5, 0, v13, s12
	s_delay_alu instid0(VALU_DEP_3) | instskip(NEXT) | instid1(VALU_DEP_3)
	v_add3_u32 v1, v1, v3, v4
	v_cmp_ne_u32_e32 vcc_lo, 31, v2
	v_cndmask_b32_e64 v3, 0, v16, s15
	s_delay_alu instid0(VALU_DEP_3)
	v_add3_u32 v1, v1, v5, v6
	s_wait_alu 0xfffd
	v_add_co_ci_u32_e64 v4, null, 0, v2, vcc_lo
	v_add_nc_u32_e32 v5, 1, v2
	v_cmp_gt_u32_e32 vcc_lo, 30, v2
	v_add3_u32 v1, v1, v7, v3
	s_delay_alu instid0(VALU_DEP_4)
	v_lshlrev_b32_e32 v4, 2, v4
	s_wait_alu 0xfffd
	v_cndmask_b32_e64 v6, 0, 2, vcc_lo
	ds_bpermute_b32 v3, v4, v1
	v_and_b32_e32 v4, 0xe0, v0
	s_wait_alu 0xfffe
	s_delay_alu instid0(VALU_DEP_1) | instskip(NEXT) | instid1(VALU_DEP_1)
	v_sub_nc_u32_e64 v4, s2, v4 clamp
	v_cmp_lt_u32_e32 vcc_lo, v5, v4
	v_add_lshl_u32 v5, v6, v2, 2
	s_wait_dscnt 0x0
	s_wait_alu 0xfffd
	v_cndmask_b32_e32 v3, 0, v3, vcc_lo
	v_cmp_gt_u32_e32 vcc_lo, 28, v2
	s_delay_alu instid0(VALU_DEP_2) | instskip(SKIP_4) | instid1(VALU_DEP_1)
	v_add_nc_u32_e32 v1, v1, v3
	s_wait_alu 0xfffd
	v_cndmask_b32_e64 v6, 0, 4, vcc_lo
	ds_bpermute_b32 v3, v5, v1
	v_add_nc_u32_e32 v5, 2, v2
	v_cmp_lt_u32_e32 vcc_lo, v5, v4
	v_add_lshl_u32 v5, v6, v2, 2
	s_wait_dscnt 0x0
	s_wait_alu 0xfffd
	v_cndmask_b32_e32 v3, 0, v3, vcc_lo
	v_cmp_gt_u32_e32 vcc_lo, 24, v2
	s_delay_alu instid0(VALU_DEP_2) | instskip(SKIP_4) | instid1(VALU_DEP_1)
	v_add_nc_u32_e32 v1, v1, v3
	s_wait_alu 0xfffd
	v_cndmask_b32_e64 v6, 0, 8, vcc_lo
	ds_bpermute_b32 v3, v5, v1
	v_add_nc_u32_e32 v5, 4, v2
	v_cmp_lt_u32_e32 vcc_lo, v5, v4
	v_add_lshl_u32 v5, v6, v2, 2
	s_wait_dscnt 0x0
	s_wait_alu 0xfffd
	v_cndmask_b32_e32 v3, 0, v3, vcc_lo
	s_delay_alu instid0(VALU_DEP_1) | instskip(SKIP_3) | instid1(VALU_DEP_1)
	v_add_nc_u32_e32 v1, v1, v3
	v_lshlrev_b32_e32 v3, 2, v2
	ds_bpermute_b32 v5, v5, v1
	v_add_nc_u32_e32 v6, 8, v2
	v_cmp_lt_u32_e32 vcc_lo, v6, v4
	v_or_b32_e32 v6, 64, v3
	s_wait_dscnt 0x0
	s_wait_alu 0xfffd
	v_cndmask_b32_e32 v5, 0, v5, vcc_lo
	s_delay_alu instid0(VALU_DEP_1) | instskip(SKIP_2) | instid1(VALU_DEP_1)
	v_add_nc_u32_e32 v1, v1, v5
	ds_bpermute_b32 v5, v6, v1
	v_add_nc_u32_e32 v6, 16, v2
	v_cmp_lt_u32_e32 vcc_lo, v6, v4
	s_wait_dscnt 0x0
	s_wait_alu 0xfffd
	v_cndmask_b32_e32 v4, 0, v5, vcc_lo
	s_delay_alu instid0(VALU_DEP_1)
	v_add_nc_u32_e32 v1, v1, v4
	v_cmpx_eq_u32_e32 0, v2
; %bb.568:
	v_lshrrev_b32_e32 v4, 3, v0
	s_delay_alu instid0(VALU_DEP_1)
	v_and_b32_e32 v4, 28, v4
	ds_store_b32 v4, v1 offset:256
; %bb.569:
	s_or_b32 exec_lo, exec_lo, s3
	s_delay_alu instid0(SALU_CYCLE_1)
	s_mov_b32 s3, exec_lo
	s_wait_loadcnt_dscnt 0x0
	s_barrier_signal -1
	s_barrier_wait -1
	global_inv scope:SCOPE_SE
	v_cmpx_gt_u32_e32 8, v0
	s_cbranch_execz .LBB862_571
; %bb.570:
	ds_load_b32 v1, v3 offset:256
	v_and_b32_e32 v4, 7, v2
	s_add_co_i32 s2, s2, 31
	s_wait_alu 0xfffe
	s_lshr_b32 s2, s2, 5
	s_delay_alu instid0(VALU_DEP_1) | instskip(SKIP_4) | instid1(VALU_DEP_2)
	v_cmp_ne_u32_e32 vcc_lo, 7, v4
	v_add_nc_u32_e32 v6, 1, v4
	s_wait_alu 0xfffd
	v_add_co_ci_u32_e64 v5, null, 0, v2, vcc_lo
	v_cmp_gt_u32_e32 vcc_lo, 6, v4
	v_lshlrev_b32_e32 v5, 2, v5
	s_wait_alu 0xfffd
	v_cndmask_b32_e64 v7, 0, 2, vcc_lo
	s_wait_alu 0xfffe
	v_cmp_gt_u32_e32 vcc_lo, s2, v6
	s_wait_dscnt 0x0
	ds_bpermute_b32 v5, v5, v1
	v_add_lshl_u32 v2, v7, v2, 2
	s_wait_dscnt 0x0
	s_wait_alu 0xfffd
	v_cndmask_b32_e32 v5, 0, v5, vcc_lo
	s_delay_alu instid0(VALU_DEP_1)
	v_add_nc_u32_e32 v1, v5, v1
	v_add_nc_u32_e32 v5, 2, v4
	ds_bpermute_b32 v2, v2, v1
	v_cmp_gt_u32_e32 vcc_lo, s2, v5
	s_wait_dscnt 0x0
	s_wait_alu 0xfffd
	v_cndmask_b32_e32 v2, 0, v2, vcc_lo
	s_delay_alu instid0(VALU_DEP_1)
	v_add_nc_u32_e32 v1, v1, v2
	v_or_b32_e32 v2, 16, v3
	v_add_nc_u32_e32 v3, 4, v4
	ds_bpermute_b32 v2, v2, v1
	v_cmp_gt_u32_e32 vcc_lo, s2, v3
	s_wait_dscnt 0x0
	s_wait_alu 0xfffd
	v_cndmask_b32_e32 v2, 0, v2, vcc_lo
	s_delay_alu instid0(VALU_DEP_1)
	v_add_nc_u32_e32 v1, v1, v2
.LBB862_571:
	s_wait_alu 0xfffe
	s_or_b32 exec_lo, exec_lo, s3
.LBB862_572:
	v_cmp_eq_u32_e64 s2, 0, v0
	s_branch .LBB862_623
.LBB862_573:
	s_mov_b32 s3, -1
                                        ; implicit-def: $vgpr1
.LBB862_574:
	s_delay_alu instid0(SALU_CYCLE_1)
	s_and_b32 vcc_lo, exec_lo, s3
	s_wait_alu 0xfffe
	s_cbranch_vccz .LBB862_596
; %bb.575:
	v_mov_b32_e32 v1, 0
	s_sub_co_i32 s10, s36, s2
	s_mov_b32 s2, exec_lo
	s_delay_alu instid0(VALU_DEP_1)
	v_dual_mov_b32 v2, v1 :: v_dual_mov_b32 v3, v1
	v_dual_mov_b32 v4, v1 :: v_dual_mov_b32 v5, v1
	;; [unrolled: 1-line block ×3, first 2 shown]
	v_mov_b32_e32 v8, v1
	v_cmpx_gt_u32_e64 s10, v0
	s_cbranch_execz .LBB862_577
; %bb.576:
	v_dual_mov_b32 v3, v1 :: v_dual_lshlrev_b32 v2, 1, v0
	v_dual_mov_b32 v6, v1 :: v_dual_mov_b32 v9, v1
	v_dual_mov_b32 v4, v1 :: v_dual_mov_b32 v7, v1
	global_load_u16 v2, v2, s[8:9]
	v_dual_mov_b32 v8, v1 :: v_dual_mov_b32 v5, v1
	s_wait_loadcnt 0x0
	v_and_b32_e32 v2, 0x7fff, v2
	s_delay_alu instid0(VALU_DEP_1) | instskip(SKIP_2) | instid1(VALU_DEP_1)
	v_cmp_ne_u16_e32 vcc_lo, 0, v2
	s_wait_alu 0xfffd
	v_cndmask_b32_e64 v2, 0, 1, vcc_lo
	v_and_b32_e32 v2, 0xffff, v2
	s_delay_alu instid0(VALU_DEP_1)
	v_mov_b32_e32 v1, v2
	v_mov_b32_e32 v2, v3
	;; [unrolled: 1-line block ×8, first 2 shown]
.LBB862_577:
	s_or_b32 exec_lo, exec_lo, s2
	v_or_b32_e32 v9, 0x100, v0
	s_delay_alu instid0(VALU_DEP_1)
	v_cmp_gt_u32_e32 vcc_lo, s10, v9
	s_and_saveexec_b32 s3, vcc_lo
	s_cbranch_execz .LBB862_579
; %bb.578:
	v_lshlrev_b32_e32 v2, 1, v0
	global_load_u16 v2, v2, s[8:9] offset:512
	s_wait_loadcnt 0x0
	v_and_b32_e32 v2, 0x7fff, v2
	s_delay_alu instid0(VALU_DEP_1) | instskip(NEXT) | instid1(VALU_DEP_1)
	v_cmp_ne_u16_e64 s2, 0, v2
	v_cndmask_b32_e64 v2, 0, 1, s2
.LBB862_579:
	s_or_b32 exec_lo, exec_lo, s3
	v_or_b32_e32 v9, 0x200, v0
	s_delay_alu instid0(VALU_DEP_1)
	v_cmp_gt_u32_e64 s2, s10, v9
	s_and_saveexec_b32 s4, s2
	s_cbranch_execz .LBB862_581
; %bb.580:
	v_lshlrev_b32_e32 v3, 1, v0
	global_load_u16 v3, v3, s[8:9] offset:1024
	s_wait_loadcnt 0x0
	v_and_b32_e32 v3, 0x7fff, v3
	s_delay_alu instid0(VALU_DEP_1) | instskip(SKIP_1) | instid1(VALU_DEP_1)
	v_cmp_ne_u16_e64 s3, 0, v3
	s_wait_alu 0xf1ff
	v_cndmask_b32_e64 v3, 0, 1, s3
.LBB862_581:
	s_or_b32 exec_lo, exec_lo, s4
	v_or_b32_e32 v9, 0x300, v0
	s_delay_alu instid0(VALU_DEP_1)
	v_cmp_gt_u32_e64 s3, s10, v9
	s_and_saveexec_b32 s5, s3
	s_cbranch_execz .LBB862_583
; %bb.582:
	v_lshlrev_b32_e32 v4, 1, v0
	global_load_u16 v4, v4, s[8:9] offset:1536
	s_wait_loadcnt 0x0
	v_and_b32_e32 v4, 0x7fff, v4
	s_delay_alu instid0(VALU_DEP_1) | instskip(NEXT) | instid1(VALU_DEP_1)
	v_cmp_ne_u16_e64 s4, 0, v4
	v_cndmask_b32_e64 v4, 0, 1, s4
.LBB862_583:
	s_or_b32 exec_lo, exec_lo, s5
	v_or_b32_e32 v9, 0x400, v0
	s_delay_alu instid0(VALU_DEP_1)
	v_cmp_gt_u32_e64 s4, s10, v9
	s_and_saveexec_b32 s6, s4
	s_cbranch_execz .LBB862_585
; %bb.584:
	v_lshlrev_b32_e32 v5, 1, v0
	global_load_u16 v5, v5, s[8:9] offset:2048
	s_wait_loadcnt 0x0
	v_and_b32_e32 v5, 0x7fff, v5
	s_delay_alu instid0(VALU_DEP_1) | instskip(SKIP_1) | instid1(VALU_DEP_1)
	v_cmp_ne_u16_e64 s5, 0, v5
	s_wait_alu 0xf1ff
	v_cndmask_b32_e64 v5, 0, 1, s5
.LBB862_585:
	s_or_b32 exec_lo, exec_lo, s6
	v_or_b32_e32 v9, 0x500, v0
	s_delay_alu instid0(VALU_DEP_1)
	v_cmp_gt_u32_e64 s5, s10, v9
	s_and_saveexec_b32 s7, s5
	s_cbranch_execz .LBB862_587
; %bb.586:
	v_lshlrev_b32_e32 v6, 1, v0
	global_load_u16 v6, v6, s[8:9] offset:2560
	s_wait_loadcnt 0x0
	v_and_b32_e32 v6, 0x7fff, v6
	s_delay_alu instid0(VALU_DEP_1) | instskip(NEXT) | instid1(VALU_DEP_1)
	v_cmp_ne_u16_e64 s6, 0, v6
	v_cndmask_b32_e64 v6, 0, 1, s6
.LBB862_587:
	s_or_b32 exec_lo, exec_lo, s7
	v_or_b32_e32 v9, 0x600, v0
	s_delay_alu instid0(VALU_DEP_1)
	v_cmp_gt_u32_e64 s6, s10, v9
	s_and_saveexec_b32 s11, s6
	s_cbranch_execz .LBB862_589
; %bb.588:
	v_lshlrev_b32_e32 v7, 1, v0
	global_load_u16 v7, v7, s[8:9] offset:3072
	s_wait_loadcnt 0x0
	v_and_b32_e32 v7, 0x7fff, v7
	s_delay_alu instid0(VALU_DEP_1) | instskip(SKIP_1) | instid1(VALU_DEP_1)
	v_cmp_ne_u16_e64 s7, 0, v7
	s_wait_alu 0xf1ff
	v_cndmask_b32_e64 v7, 0, 1, s7
.LBB862_589:
	s_wait_alu 0xfffe
	s_or_b32 exec_lo, exec_lo, s11
	v_or_b32_e32 v9, 0x700, v0
	s_delay_alu instid0(VALU_DEP_1)
	v_cmp_gt_u32_e64 s7, s10, v9
	s_and_saveexec_b32 s11, s7
	s_cbranch_execz .LBB862_591
; %bb.590:
	v_lshlrev_b32_e32 v8, 1, v0
	global_load_u16 v8, v8, s[8:9] offset:3584
	s_wait_loadcnt 0x0
	v_and_b32_e32 v8, 0x7fff, v8
	s_delay_alu instid0(VALU_DEP_1) | instskip(NEXT) | instid1(VALU_DEP_1)
	v_cmp_ne_u16_e64 s8, 0, v8
	v_cndmask_b32_e64 v8, 0, 1, s8
.LBB862_591:
	s_wait_alu 0xfffe
	s_or_b32 exec_lo, exec_lo, s11
	v_cndmask_b32_e32 v2, 0, v2, vcc_lo
	v_cndmask_b32_e64 v3, 0, v3, s2
	v_cndmask_b32_e64 v4, 0, v4, s3
	;; [unrolled: 1-line block ×4, first 2 shown]
	v_add_nc_u32_e32 v1, v2, v1
	v_mbcnt_lo_u32_b32 v2, -1, 0
	v_cndmask_b32_e64 v7, 0, v7, s6
	s_min_u32 s2, s10, 0x100
	s_mov_b32 s3, exec_lo
	v_add3_u32 v1, v1, v3, v4
	v_cmp_ne_u32_e32 vcc_lo, 31, v2
	v_cndmask_b32_e64 v3, 0, v8, s7
	s_delay_alu instid0(VALU_DEP_3)
	v_add3_u32 v1, v1, v5, v6
	s_wait_alu 0xfffd
	v_add_co_ci_u32_e64 v4, null, 0, v2, vcc_lo
	v_add_nc_u32_e32 v5, 1, v2
	v_cmp_gt_u32_e32 vcc_lo, 30, v2
	v_add3_u32 v1, v1, v7, v3
	s_delay_alu instid0(VALU_DEP_4)
	v_lshlrev_b32_e32 v4, 2, v4
	s_wait_alu 0xfffd
	v_cndmask_b32_e64 v6, 0, 2, vcc_lo
	ds_bpermute_b32 v3, v4, v1
	v_and_b32_e32 v4, 0xe0, v0
	s_wait_alu 0xfffe
	s_delay_alu instid0(VALU_DEP_1) | instskip(NEXT) | instid1(VALU_DEP_1)
	v_sub_nc_u32_e64 v4, s2, v4 clamp
	v_cmp_lt_u32_e32 vcc_lo, v5, v4
	v_add_lshl_u32 v5, v6, v2, 2
	s_wait_dscnt 0x0
	s_wait_alu 0xfffd
	v_cndmask_b32_e32 v3, 0, v3, vcc_lo
	v_cmp_gt_u32_e32 vcc_lo, 28, v2
	s_delay_alu instid0(VALU_DEP_2) | instskip(SKIP_4) | instid1(VALU_DEP_1)
	v_add_nc_u32_e32 v1, v1, v3
	s_wait_alu 0xfffd
	v_cndmask_b32_e64 v6, 0, 4, vcc_lo
	ds_bpermute_b32 v3, v5, v1
	v_add_nc_u32_e32 v5, 2, v2
	v_cmp_lt_u32_e32 vcc_lo, v5, v4
	v_add_lshl_u32 v5, v6, v2, 2
	s_wait_dscnt 0x0
	s_wait_alu 0xfffd
	v_cndmask_b32_e32 v3, 0, v3, vcc_lo
	v_cmp_gt_u32_e32 vcc_lo, 24, v2
	s_delay_alu instid0(VALU_DEP_2) | instskip(SKIP_4) | instid1(VALU_DEP_1)
	v_add_nc_u32_e32 v1, v1, v3
	s_wait_alu 0xfffd
	v_cndmask_b32_e64 v6, 0, 8, vcc_lo
	ds_bpermute_b32 v3, v5, v1
	v_add_nc_u32_e32 v5, 4, v2
	v_cmp_lt_u32_e32 vcc_lo, v5, v4
	v_add_lshl_u32 v5, v6, v2, 2
	s_wait_dscnt 0x0
	s_wait_alu 0xfffd
	v_cndmask_b32_e32 v3, 0, v3, vcc_lo
	s_delay_alu instid0(VALU_DEP_1) | instskip(SKIP_3) | instid1(VALU_DEP_1)
	v_add_nc_u32_e32 v1, v1, v3
	v_lshlrev_b32_e32 v3, 2, v2
	ds_bpermute_b32 v5, v5, v1
	v_add_nc_u32_e32 v6, 8, v2
	v_cmp_lt_u32_e32 vcc_lo, v6, v4
	v_or_b32_e32 v6, 64, v3
	s_wait_dscnt 0x0
	s_wait_alu 0xfffd
	v_cndmask_b32_e32 v5, 0, v5, vcc_lo
	s_delay_alu instid0(VALU_DEP_1) | instskip(SKIP_2) | instid1(VALU_DEP_1)
	v_add_nc_u32_e32 v1, v1, v5
	ds_bpermute_b32 v5, v6, v1
	v_add_nc_u32_e32 v6, 16, v2
	v_cmp_lt_u32_e32 vcc_lo, v6, v4
	s_wait_dscnt 0x0
	s_wait_alu 0xfffd
	v_cndmask_b32_e32 v4, 0, v5, vcc_lo
	s_delay_alu instid0(VALU_DEP_1)
	v_add_nc_u32_e32 v1, v1, v4
	v_cmpx_eq_u32_e32 0, v2
; %bb.592:
	v_lshrrev_b32_e32 v4, 3, v0
	s_delay_alu instid0(VALU_DEP_1)
	v_and_b32_e32 v4, 28, v4
	ds_store_b32 v4, v1 offset:256
; %bb.593:
	s_or_b32 exec_lo, exec_lo, s3
	s_delay_alu instid0(SALU_CYCLE_1)
	s_mov_b32 s3, exec_lo
	s_wait_loadcnt_dscnt 0x0
	s_barrier_signal -1
	s_barrier_wait -1
	global_inv scope:SCOPE_SE
	v_cmpx_gt_u32_e32 8, v0
	s_cbranch_execz .LBB862_595
; %bb.594:
	ds_load_b32 v1, v3 offset:256
	v_and_b32_e32 v4, 7, v2
	s_add_co_i32 s2, s2, 31
	s_wait_alu 0xfffe
	s_lshr_b32 s2, s2, 5
	s_delay_alu instid0(VALU_DEP_1) | instskip(SKIP_4) | instid1(VALU_DEP_2)
	v_cmp_ne_u32_e32 vcc_lo, 7, v4
	v_add_nc_u32_e32 v6, 1, v4
	s_wait_alu 0xfffd
	v_add_co_ci_u32_e64 v5, null, 0, v2, vcc_lo
	v_cmp_gt_u32_e32 vcc_lo, 6, v4
	v_lshlrev_b32_e32 v5, 2, v5
	s_wait_alu 0xfffd
	v_cndmask_b32_e64 v7, 0, 2, vcc_lo
	s_wait_alu 0xfffe
	v_cmp_gt_u32_e32 vcc_lo, s2, v6
	s_wait_dscnt 0x0
	ds_bpermute_b32 v5, v5, v1
	v_add_lshl_u32 v2, v7, v2, 2
	s_wait_dscnt 0x0
	s_wait_alu 0xfffd
	v_cndmask_b32_e32 v5, 0, v5, vcc_lo
	s_delay_alu instid0(VALU_DEP_1)
	v_add_nc_u32_e32 v1, v5, v1
	v_add_nc_u32_e32 v5, 2, v4
	ds_bpermute_b32 v2, v2, v1
	v_cmp_gt_u32_e32 vcc_lo, s2, v5
	s_wait_dscnt 0x0
	s_wait_alu 0xfffd
	v_cndmask_b32_e32 v2, 0, v2, vcc_lo
	s_delay_alu instid0(VALU_DEP_1)
	v_add_nc_u32_e32 v1, v1, v2
	v_or_b32_e32 v2, 16, v3
	v_add_nc_u32_e32 v3, 4, v4
	ds_bpermute_b32 v2, v2, v1
	v_cmp_gt_u32_e32 vcc_lo, s2, v3
	s_wait_dscnt 0x0
	s_wait_alu 0xfffd
	v_cndmask_b32_e32 v2, 0, v2, vcc_lo
	s_delay_alu instid0(VALU_DEP_1)
	v_add_nc_u32_e32 v1, v1, v2
.LBB862_595:
	s_wait_alu 0xfffe
	s_or_b32 exec_lo, exec_lo, s3
.LBB862_596:
	v_cmp_eq_u32_e64 s2, 0, v0
.LBB862_597:
	s_branch .LBB862_623
.LBB862_598:
	s_mov_b32 s3, -1
                                        ; implicit-def: $vgpr1
.LBB862_599:
	s_delay_alu instid0(SALU_CYCLE_1)
	s_and_b32 vcc_lo, exec_lo, s3
	s_wait_alu 0xfffe
	s_cbranch_vccz .LBB862_613
; %bb.600:
	v_mov_b32_e32 v1, 0
	s_sub_co_i32 s6, s36, s2
	s_mov_b32 s2, exec_lo
	s_delay_alu instid0(VALU_DEP_1)
	v_dual_mov_b32 v2, v1 :: v_dual_mov_b32 v3, v1
	v_mov_b32_e32 v4, v1
	v_cmpx_gt_u32_e64 s6, v0
	s_cbranch_execz .LBB862_602
; %bb.601:
	v_dual_mov_b32 v3, v1 :: v_dual_lshlrev_b32 v2, 1, v0
	v_dual_mov_b32 v4, v1 :: v_dual_mov_b32 v5, v1
	global_load_u16 v2, v2, s[4:5]
	s_wait_loadcnt 0x0
	v_and_b32_e32 v2, 0x7fff, v2
	s_delay_alu instid0(VALU_DEP_1) | instskip(SKIP_2) | instid1(VALU_DEP_1)
	v_cmp_ne_u16_e32 vcc_lo, 0, v2
	s_wait_alu 0xfffd
	v_cndmask_b32_e64 v2, 0, 1, vcc_lo
	v_and_b32_e32 v2, 0xffff, v2
	s_delay_alu instid0(VALU_DEP_1)
	v_mov_b32_e32 v1, v2
	v_mov_b32_e32 v2, v3
	;; [unrolled: 1-line block ×4, first 2 shown]
.LBB862_602:
	s_or_b32 exec_lo, exec_lo, s2
	v_or_b32_e32 v5, 0x100, v0
	s_delay_alu instid0(VALU_DEP_1)
	v_cmp_gt_u32_e32 vcc_lo, s6, v5
	s_and_saveexec_b32 s3, vcc_lo
	s_cbranch_execz .LBB862_604
; %bb.603:
	v_lshlrev_b32_e32 v2, 1, v0
	global_load_u16 v2, v2, s[4:5] offset:512
	s_wait_loadcnt 0x0
	v_and_b32_e32 v2, 0x7fff, v2
	s_delay_alu instid0(VALU_DEP_1) | instskip(NEXT) | instid1(VALU_DEP_1)
	v_cmp_ne_u16_e64 s2, 0, v2
	v_cndmask_b32_e64 v2, 0, 1, s2
.LBB862_604:
	s_or_b32 exec_lo, exec_lo, s3
	v_or_b32_e32 v5, 0x200, v0
	s_delay_alu instid0(VALU_DEP_1)
	v_cmp_gt_u32_e64 s2, s6, v5
	s_and_saveexec_b32 s7, s2
	s_cbranch_execz .LBB862_606
; %bb.605:
	v_lshlrev_b32_e32 v3, 1, v0
	global_load_u16 v3, v3, s[4:5] offset:1024
	s_wait_loadcnt 0x0
	v_and_b32_e32 v3, 0x7fff, v3
	s_delay_alu instid0(VALU_DEP_1) | instskip(SKIP_1) | instid1(VALU_DEP_1)
	v_cmp_ne_u16_e64 s3, 0, v3
	s_wait_alu 0xf1ff
	v_cndmask_b32_e64 v3, 0, 1, s3
.LBB862_606:
	s_wait_alu 0xfffe
	s_or_b32 exec_lo, exec_lo, s7
	v_or_b32_e32 v5, 0x300, v0
	s_delay_alu instid0(VALU_DEP_1)
	v_cmp_gt_u32_e64 s3, s6, v5
	s_and_saveexec_b32 s7, s3
	s_cbranch_execz .LBB862_608
; %bb.607:
	v_lshlrev_b32_e32 v4, 1, v0
	global_load_u16 v4, v4, s[4:5] offset:1536
	s_wait_loadcnt 0x0
	v_and_b32_e32 v4, 0x7fff, v4
	s_delay_alu instid0(VALU_DEP_1) | instskip(NEXT) | instid1(VALU_DEP_1)
	v_cmp_ne_u16_e64 s4, 0, v4
	v_cndmask_b32_e64 v4, 0, 1, s4
.LBB862_608:
	s_wait_alu 0xfffe
	s_or_b32 exec_lo, exec_lo, s7
	v_cndmask_b32_e32 v5, 0, v2, vcc_lo
	v_mbcnt_lo_u32_b32 v2, -1, 0
	v_cndmask_b32_e64 v3, 0, v3, s2
	v_cndmask_b32_e64 v4, 0, v4, s3
	s_min_u32 s2, s6, 0x100
	v_add_nc_u32_e32 v1, v5, v1
	v_cmp_ne_u32_e32 vcc_lo, 31, v2
	s_mov_b32 s3, exec_lo
	s_delay_alu instid0(VALU_DEP_2) | instskip(SKIP_4) | instid1(VALU_DEP_3)
	v_add3_u32 v1, v1, v3, v4
	s_wait_alu 0xfffd
	v_add_co_ci_u32_e64 v5, null, 0, v2, vcc_lo
	v_and_b32_e32 v4, 0xe0, v0
	v_cmp_gt_u32_e32 vcc_lo, 30, v2
	v_lshlrev_b32_e32 v3, 2, v5
	v_add_nc_u32_e32 v5, 1, v2
	s_wait_alu 0xfffe
	v_sub_nc_u32_e64 v4, s2, v4 clamp
	s_wait_alu 0xfffd
	v_cndmask_b32_e64 v6, 0, 2, vcc_lo
	ds_bpermute_b32 v3, v3, v1
	v_cmp_lt_u32_e32 vcc_lo, v5, v4
	v_add_lshl_u32 v5, v6, v2, 2
	s_wait_dscnt 0x0
	s_wait_alu 0xfffd
	v_cndmask_b32_e32 v3, 0, v3, vcc_lo
	v_cmp_gt_u32_e32 vcc_lo, 28, v2
	s_delay_alu instid0(VALU_DEP_2) | instskip(SKIP_4) | instid1(VALU_DEP_1)
	v_add_nc_u32_e32 v1, v3, v1
	s_wait_alu 0xfffd
	v_cndmask_b32_e64 v6, 0, 4, vcc_lo
	ds_bpermute_b32 v3, v5, v1
	v_add_nc_u32_e32 v5, 2, v2
	v_cmp_lt_u32_e32 vcc_lo, v5, v4
	v_add_lshl_u32 v5, v6, v2, 2
	s_wait_dscnt 0x0
	s_wait_alu 0xfffd
	v_cndmask_b32_e32 v3, 0, v3, vcc_lo
	v_cmp_gt_u32_e32 vcc_lo, 24, v2
	s_delay_alu instid0(VALU_DEP_2) | instskip(SKIP_4) | instid1(VALU_DEP_1)
	v_add_nc_u32_e32 v1, v1, v3
	s_wait_alu 0xfffd
	v_cndmask_b32_e64 v6, 0, 8, vcc_lo
	ds_bpermute_b32 v3, v5, v1
	v_add_nc_u32_e32 v5, 4, v2
	v_cmp_lt_u32_e32 vcc_lo, v5, v4
	v_add_lshl_u32 v5, v6, v2, 2
	s_wait_dscnt 0x0
	s_wait_alu 0xfffd
	v_dual_cndmask_b32 v3, 0, v3 :: v_dual_add_nc_u32 v6, 8, v2
	s_delay_alu instid0(VALU_DEP_1) | instskip(NEXT) | instid1(VALU_DEP_2)
	v_cmp_lt_u32_e32 vcc_lo, v6, v4
	v_add_nc_u32_e32 v1, v1, v3
	v_lshlrev_b32_e32 v3, 2, v2
	ds_bpermute_b32 v5, v5, v1
	v_or_b32_e32 v6, 64, v3
	s_wait_dscnt 0x0
	s_wait_alu 0xfffd
	v_cndmask_b32_e32 v5, 0, v5, vcc_lo
	s_delay_alu instid0(VALU_DEP_1) | instskip(SKIP_2) | instid1(VALU_DEP_1)
	v_add_nc_u32_e32 v1, v1, v5
	ds_bpermute_b32 v5, v6, v1
	v_add_nc_u32_e32 v6, 16, v2
	v_cmp_lt_u32_e32 vcc_lo, v6, v4
	s_wait_dscnt 0x0
	s_wait_alu 0xfffd
	v_cndmask_b32_e32 v4, 0, v5, vcc_lo
	s_delay_alu instid0(VALU_DEP_1)
	v_add_nc_u32_e32 v1, v1, v4
	v_cmpx_eq_u32_e32 0, v2
; %bb.609:
	v_lshrrev_b32_e32 v4, 3, v0
	s_delay_alu instid0(VALU_DEP_1)
	v_and_b32_e32 v4, 28, v4
	ds_store_b32 v4, v1 offset:256
; %bb.610:
	s_or_b32 exec_lo, exec_lo, s3
	s_delay_alu instid0(SALU_CYCLE_1)
	s_mov_b32 s3, exec_lo
	s_wait_loadcnt_dscnt 0x0
	s_barrier_signal -1
	s_barrier_wait -1
	global_inv scope:SCOPE_SE
	v_cmpx_gt_u32_e32 8, v0
	s_cbranch_execz .LBB862_612
; %bb.611:
	ds_load_b32 v1, v3 offset:256
	v_and_b32_e32 v4, 7, v2
	s_add_co_i32 s2, s2, 31
	s_wait_alu 0xfffe
	s_lshr_b32 s2, s2, 5
	s_delay_alu instid0(VALU_DEP_1) | instskip(SKIP_4) | instid1(VALU_DEP_2)
	v_cmp_ne_u32_e32 vcc_lo, 7, v4
	v_add_nc_u32_e32 v6, 1, v4
	s_wait_alu 0xfffd
	v_add_co_ci_u32_e64 v5, null, 0, v2, vcc_lo
	v_cmp_gt_u32_e32 vcc_lo, 6, v4
	v_lshlrev_b32_e32 v5, 2, v5
	s_wait_alu 0xfffd
	v_cndmask_b32_e64 v7, 0, 2, vcc_lo
	s_wait_alu 0xfffe
	v_cmp_gt_u32_e32 vcc_lo, s2, v6
	s_wait_dscnt 0x0
	ds_bpermute_b32 v5, v5, v1
	v_add_lshl_u32 v2, v7, v2, 2
	s_wait_dscnt 0x0
	s_wait_alu 0xfffd
	v_cndmask_b32_e32 v5, 0, v5, vcc_lo
	s_delay_alu instid0(VALU_DEP_1)
	v_add_nc_u32_e32 v1, v5, v1
	v_add_nc_u32_e32 v5, 2, v4
	ds_bpermute_b32 v2, v2, v1
	v_cmp_gt_u32_e32 vcc_lo, s2, v5
	s_wait_dscnt 0x0
	s_wait_alu 0xfffd
	v_cndmask_b32_e32 v2, 0, v2, vcc_lo
	s_delay_alu instid0(VALU_DEP_1)
	v_add_nc_u32_e32 v1, v1, v2
	v_or_b32_e32 v2, 16, v3
	v_add_nc_u32_e32 v3, 4, v4
	ds_bpermute_b32 v2, v2, v1
	v_cmp_gt_u32_e32 vcc_lo, s2, v3
	s_wait_dscnt 0x0
	s_wait_alu 0xfffd
	v_cndmask_b32_e32 v2, 0, v2, vcc_lo
	s_delay_alu instid0(VALU_DEP_1)
	v_add_nc_u32_e32 v1, v1, v2
.LBB862_612:
	s_wait_alu 0xfffe
	s_or_b32 exec_lo, exec_lo, s3
.LBB862_613:
	v_cmp_eq_u32_e64 s2, 0, v0
	s_branch .LBB862_623
.LBB862_614:
	s_cmp_gt_i32 s44, 1
	s_cbranch_scc0 .LBB862_622
; %bb.615:
	s_cmp_eq_u32 s44, 2
	s_cbranch_scc0 .LBB862_626
; %bb.616:
	s_mov_b32 s35, 0
	s_lshl_b32 s4, s34, 9
	s_mov_b32 s5, s35
	s_lshr_b64 s[2:3], s[36:37], 9
	s_lshl_b64 s[6:7], s[4:5], 1
	s_cmp_lg_u64 s[2:3], s[34:35]
	s_add_nc_u64 s[2:3], s[40:41], s[6:7]
	s_cbranch_scc0 .LBB862_627
; %bb.617:
	v_lshlrev_b32_e32 v1, 1, v0
	s_mov_b32 s5, exec_lo
	s_clause 0x1
	global_load_u16 v2, v1, s[2:3]
	global_load_u16 v1, v1, s[2:3] offset:512
	s_wait_loadcnt 0x1
	v_and_b32_e32 v2, 0x7fff, v2
	s_wait_loadcnt 0x0
	v_and_b32_e32 v1, 0x7fff, v1
	s_delay_alu instid0(VALU_DEP_2) | instskip(SKIP_1) | instid1(VALU_DEP_3)
	v_cmp_ne_u16_e32 vcc_lo, 0, v2
	v_cndmask_b32_e64 v2, 0, 1, vcc_lo
	v_cmp_ne_u16_e32 vcc_lo, 0, v1
	s_wait_alu 0xfffd
	s_delay_alu instid0(VALU_DEP_2) | instskip(NEXT) | instid1(VALU_DEP_1)
	v_add_co_ci_u32_e64 v1, null, 0, v2, vcc_lo
	v_mov_b32_dpp v1, v1 quad_perm:[1,0,3,2] row_mask:0xf bank_mask:0xf
	s_delay_alu instid0(VALU_DEP_1) | instskip(NEXT) | instid1(VALU_DEP_1)
	v_add_co_ci_u32_e64 v1, null, v1, v2, vcc_lo
	v_mov_b32_dpp v2, v1 quad_perm:[2,3,0,1] row_mask:0xf bank_mask:0xf
	s_delay_alu instid0(VALU_DEP_1) | instskip(NEXT) | instid1(VALU_DEP_1)
	v_add_nc_u32_e32 v1, v1, v2
	v_mov_b32_dpp v2, v1 row_ror:4 row_mask:0xf bank_mask:0xf
	s_delay_alu instid0(VALU_DEP_1) | instskip(NEXT) | instid1(VALU_DEP_1)
	v_add_nc_u32_e32 v1, v1, v2
	v_mov_b32_dpp v2, v1 row_ror:8 row_mask:0xf bank_mask:0xf
	s_delay_alu instid0(VALU_DEP_1)
	v_add_nc_u32_e32 v1, v1, v2
	ds_swizzle_b32 v2, v1 offset:swizzle(BROADCAST,32,15)
	s_wait_dscnt 0x0
	v_dual_mov_b32 v2, 0 :: v_dual_add_nc_u32 v1, v1, v2
	ds_bpermute_b32 v1, v2, v1 offset:124
	v_mbcnt_lo_u32_b32 v2, -1, 0
	s_delay_alu instid0(VALU_DEP_1)
	v_cmpx_eq_u32_e32 0, v2
	s_cbranch_execz .LBB862_619
; %bb.618:
	v_lshrrev_b32_e32 v3, 3, v0
	s_delay_alu instid0(VALU_DEP_1)
	v_and_b32_e32 v3, 28, v3
	s_wait_dscnt 0x0
	ds_store_b32 v3, v1 offset:96
.LBB862_619:
	s_or_b32 exec_lo, exec_lo, s5
	s_delay_alu instid0(SALU_CYCLE_1)
	s_mov_b32 s5, exec_lo
	s_wait_dscnt 0x0
	s_barrier_signal -1
	s_barrier_wait -1
	global_inv scope:SCOPE_SE
	v_cmpx_gt_u32_e32 32, v0
	s_cbranch_execz .LBB862_621
; %bb.620:
	v_lshl_or_b32 v1, v2, 2, 0x60
	v_and_b32_e32 v3, 7, v2
	ds_load_b32 v1, v1
	v_cmp_ne_u32_e32 vcc_lo, 7, v3
	s_wait_alu 0xfffd
	v_add_co_ci_u32_e64 v4, null, 0, v2, vcc_lo
	v_cmp_gt_u32_e32 vcc_lo, 6, v3
	s_delay_alu instid0(VALU_DEP_2) | instskip(SKIP_2) | instid1(VALU_DEP_1)
	v_lshlrev_b32_e32 v4, 2, v4
	s_wait_alu 0xfffd
	v_cndmask_b32_e64 v3, 0, 2, vcc_lo
	v_add_lshl_u32 v3, v3, v2, 2
	v_lshlrev_b32_e32 v2, 2, v2
	s_wait_dscnt 0x0
	ds_bpermute_b32 v4, v4, v1
	v_or_b32_e32 v2, 16, v2
	s_wait_dscnt 0x0
	v_add_nc_u32_e32 v1, v4, v1
	ds_bpermute_b32 v3, v3, v1
	s_wait_dscnt 0x0
	v_add_nc_u32_e32 v1, v3, v1
	ds_bpermute_b32 v2, v2, v1
	s_wait_dscnt 0x0
	v_add_nc_u32_e32 v1, v2, v1
.LBB862_621:
	s_or_b32 exec_lo, exec_lo, s5
	s_mov_b32 s5, 0
	s_branch .LBB862_628
.LBB862_622:
                                        ; implicit-def: $vgpr1
	s_cbranch_execnz .LBB862_639
.LBB862_623:
	s_delay_alu instid0(VALU_DEP_1)
	s_and_saveexec_b32 s3, s2
	s_cbranch_execz .LBB862_625
.LBB862_624:
	s_load_b32 s2, s[0:1], 0x28
	s_lshl_b64 s[0:1], s[34:35], 2
	s_cmp_lg_u64 s[36:37], 0
	s_add_nc_u64 s[0:1], s[38:39], s[0:1]
	s_cselect_b32 vcc_lo, -1, 0
	s_wait_alu 0xfffe
	v_dual_cndmask_b32 v0, 0, v1 :: v_dual_mov_b32 v1, 0
	s_wait_kmcnt 0x0
	s_delay_alu instid0(VALU_DEP_1)
	v_add_nc_u32_e32 v0, s2, v0
	global_store_b32 v1, v0, s[0:1]
.LBB862_625:
	s_nop 0
	s_sendmsg sendmsg(MSG_DEALLOC_VGPRS)
	s_endpgm
.LBB862_626:
                                        ; implicit-def: $vgpr1
	s_branch .LBB862_623
.LBB862_627:
	s_mov_b32 s5, -1
                                        ; implicit-def: $vgpr1
.LBB862_628:
	s_delay_alu instid0(SALU_CYCLE_1)
	s_and_b32 vcc_lo, exec_lo, s5
	s_wait_alu 0xfffe
	s_cbranch_vccz .LBB862_638
; %bb.629:
	v_mov_b32_e32 v1, 0
	s_sub_co_i32 s4, s36, s4
	s_mov_b32 s5, exec_lo
	s_delay_alu instid0(VALU_DEP_1)
	v_mov_b32_e32 v2, v1
	v_cmpx_gt_u32_e64 s4, v0
	s_cbranch_execz .LBB862_631
; %bb.630:
	v_dual_mov_b32 v3, v1 :: v_dual_lshlrev_b32 v2, 1, v0
	global_load_u16 v2, v2, s[2:3]
	s_wait_loadcnt 0x0
	v_and_b32_e32 v2, 0x7fff, v2
	s_delay_alu instid0(VALU_DEP_1) | instskip(SKIP_2) | instid1(VALU_DEP_1)
	v_cmp_ne_u16_e32 vcc_lo, 0, v2
	s_wait_alu 0xfffd
	v_cndmask_b32_e64 v2, 0, 1, vcc_lo
	v_and_b32_e32 v2, 0xffff, v2
	s_delay_alu instid0(VALU_DEP_1)
	v_mov_b32_e32 v1, v2
	v_mov_b32_e32 v2, v3
.LBB862_631:
	s_or_b32 exec_lo, exec_lo, s5
	v_or_b32_e32 v3, 0x100, v0
	s_delay_alu instid0(VALU_DEP_1)
	v_cmp_gt_u32_e32 vcc_lo, s4, v3
	s_and_saveexec_b32 s5, vcc_lo
	s_cbranch_execz .LBB862_633
; %bb.632:
	v_lshlrev_b32_e32 v2, 1, v0
	global_load_u16 v2, v2, s[2:3] offset:512
	s_wait_loadcnt 0x0
	v_and_b32_e32 v2, 0x7fff, v2
	s_delay_alu instid0(VALU_DEP_1) | instskip(NEXT) | instid1(VALU_DEP_1)
	v_cmp_ne_u16_e64 s2, 0, v2
	v_cndmask_b32_e64 v2, 0, 1, s2
.LBB862_633:
	s_wait_alu 0xfffe
	s_or_b32 exec_lo, exec_lo, s5
	v_mbcnt_lo_u32_b32 v3, -1, 0
	s_delay_alu instid0(VALU_DEP_2) | instskip(SKIP_2) | instid1(VALU_DEP_2)
	v_cndmask_b32_e32 v2, 0, v2, vcc_lo
	s_min_u32 s2, s4, 0x100
	s_mov_b32 s3, exec_lo
	v_cmp_ne_u32_e32 vcc_lo, 31, v3
	v_add_nc_u32_e32 v5, 1, v3
	v_add_nc_u32_e32 v1, v2, v1
	s_wait_alu 0xfffd
	v_add_co_ci_u32_e64 v4, null, 0, v3, vcc_lo
	v_cmp_gt_u32_e32 vcc_lo, 30, v3
	s_delay_alu instid0(VALU_DEP_2)
	v_lshlrev_b32_e32 v2, 2, v4
	v_and_b32_e32 v4, 0xe0, v0
	s_wait_alu 0xfffd
	v_cndmask_b32_e64 v6, 0, 2, vcc_lo
	ds_bpermute_b32 v2, v2, v1
	s_wait_alu 0xfffe
	v_sub_nc_u32_e64 v4, s2, v4 clamp
	s_delay_alu instid0(VALU_DEP_1)
	v_cmp_lt_u32_e32 vcc_lo, v5, v4
	v_add_lshl_u32 v5, v6, v3, 2
	s_wait_dscnt 0x0
	s_wait_alu 0xfffd
	v_cndmask_b32_e32 v2, 0, v2, vcc_lo
	v_cmp_gt_u32_e32 vcc_lo, 28, v3
	s_delay_alu instid0(VALU_DEP_2) | instskip(SKIP_4) | instid1(VALU_DEP_1)
	v_add_nc_u32_e32 v1, v2, v1
	s_wait_alu 0xfffd
	v_cndmask_b32_e64 v6, 0, 4, vcc_lo
	ds_bpermute_b32 v2, v5, v1
	v_add_nc_u32_e32 v5, 2, v3
	v_cmp_lt_u32_e32 vcc_lo, v5, v4
	v_add_lshl_u32 v5, v6, v3, 2
	s_wait_dscnt 0x0
	s_wait_alu 0xfffd
	v_cndmask_b32_e32 v2, 0, v2, vcc_lo
	v_cmp_gt_u32_e32 vcc_lo, 24, v3
	s_delay_alu instid0(VALU_DEP_2) | instskip(SKIP_4) | instid1(VALU_DEP_1)
	v_add_nc_u32_e32 v1, v1, v2
	s_wait_alu 0xfffd
	v_cndmask_b32_e64 v6, 0, 8, vcc_lo
	ds_bpermute_b32 v2, v5, v1
	v_add_nc_u32_e32 v5, 4, v3
	v_cmp_lt_u32_e32 vcc_lo, v5, v4
	v_add_lshl_u32 v5, v6, v3, 2
	v_add_nc_u32_e32 v6, 8, v3
	s_wait_dscnt 0x0
	s_wait_alu 0xfffd
	v_cndmask_b32_e32 v2, 0, v2, vcc_lo
	s_delay_alu instid0(VALU_DEP_2) | instskip(NEXT) | instid1(VALU_DEP_2)
	v_cmp_lt_u32_e32 vcc_lo, v6, v4
	v_add_nc_u32_e32 v1, v1, v2
	v_lshlrev_b32_e32 v2, 2, v3
	ds_bpermute_b32 v5, v5, v1
	v_or_b32_e32 v6, 64, v2
	s_wait_dscnt 0x0
	s_wait_alu 0xfffd
	v_cndmask_b32_e32 v5, 0, v5, vcc_lo
	s_delay_alu instid0(VALU_DEP_1) | instskip(SKIP_2) | instid1(VALU_DEP_1)
	v_add_nc_u32_e32 v1, v1, v5
	ds_bpermute_b32 v5, v6, v1
	v_add_nc_u32_e32 v6, 16, v3
	v_cmp_lt_u32_e32 vcc_lo, v6, v4
	s_wait_dscnt 0x0
	s_wait_alu 0xfffd
	v_cndmask_b32_e32 v4, 0, v5, vcc_lo
	s_delay_alu instid0(VALU_DEP_1)
	v_add_nc_u32_e32 v1, v1, v4
	v_cmpx_eq_u32_e32 0, v3
; %bb.634:
	v_lshrrev_b32_e32 v4, 3, v0
	s_delay_alu instid0(VALU_DEP_1)
	v_and_b32_e32 v4, 28, v4
	ds_store_b32 v4, v1 offset:256
; %bb.635:
	s_or_b32 exec_lo, exec_lo, s3
	s_delay_alu instid0(SALU_CYCLE_1)
	s_mov_b32 s3, exec_lo
	s_wait_loadcnt_dscnt 0x0
	s_barrier_signal -1
	s_barrier_wait -1
	global_inv scope:SCOPE_SE
	v_cmpx_gt_u32_e32 8, v0
	s_cbranch_execz .LBB862_637
; %bb.636:
	ds_load_b32 v1, v2 offset:256
	v_and_b32_e32 v4, 7, v3
	s_add_co_i32 s2, s2, 31
	v_or_b32_e32 v2, 16, v2
	s_wait_alu 0xfffe
	s_lshr_b32 s2, s2, 5
	v_cmp_ne_u32_e32 vcc_lo, 7, v4
	v_add_nc_u32_e32 v6, 1, v4
	s_wait_alu 0xfffd
	v_add_co_ci_u32_e64 v5, null, 0, v3, vcc_lo
	v_cmp_gt_u32_e32 vcc_lo, 6, v4
	s_delay_alu instid0(VALU_DEP_2)
	v_lshlrev_b32_e32 v5, 2, v5
	s_wait_alu 0xfffd
	v_cndmask_b32_e64 v7, 0, 2, vcc_lo
	s_wait_alu 0xfffe
	v_cmp_gt_u32_e32 vcc_lo, s2, v6
	s_wait_dscnt 0x0
	ds_bpermute_b32 v5, v5, v1
	v_add_lshl_u32 v3, v7, v3, 2
	s_wait_dscnt 0x0
	s_wait_alu 0xfffd
	v_cndmask_b32_e32 v5, 0, v5, vcc_lo
	s_delay_alu instid0(VALU_DEP_1)
	v_add_nc_u32_e32 v1, v5, v1
	v_add_nc_u32_e32 v5, 2, v4
	ds_bpermute_b32 v3, v3, v1
	v_cmp_gt_u32_e32 vcc_lo, s2, v5
	s_wait_dscnt 0x0
	s_wait_alu 0xfffd
	v_cndmask_b32_e32 v3, 0, v3, vcc_lo
	s_delay_alu instid0(VALU_DEP_1)
	v_add_nc_u32_e32 v1, v1, v3
	v_add_nc_u32_e32 v3, 4, v4
	ds_bpermute_b32 v2, v2, v1
	v_cmp_gt_u32_e32 vcc_lo, s2, v3
	s_wait_dscnt 0x0
	s_wait_alu 0xfffd
	v_cndmask_b32_e32 v2, 0, v2, vcc_lo
	s_delay_alu instid0(VALU_DEP_1)
	v_add_nc_u32_e32 v1, v1, v2
.LBB862_637:
	s_wait_alu 0xfffe
	s_or_b32 exec_lo, exec_lo, s3
.LBB862_638:
	v_cmp_eq_u32_e64 s2, 0, v0
	s_branch .LBB862_623
.LBB862_639:
	s_cmp_eq_u32 s44, 1
	s_cbranch_scc0 .LBB862_647
; %bb.640:
	s_mov_b32 s3, 0
	v_mbcnt_lo_u32_b32 v2, -1, 0
	s_lshr_b64 s[4:5], s[36:37], 8
	s_mov_b32 s35, s3
	s_lshl_b32 s2, s34, 8
	s_cmp_lg_u64 s[4:5], s[34:35]
	s_cbranch_scc0 .LBB862_648
; %bb.641:
	v_lshlrev_b32_e32 v1, 1, v0
	s_lshl_b64 s[4:5], s[2:3], 1
	s_delay_alu instid0(SALU_CYCLE_1) | instskip(SKIP_4) | instid1(VALU_DEP_1)
	s_add_nc_u64 s[4:5], s[40:41], s[4:5]
	global_load_u16 v1, v1, s[4:5]
	s_mov_b32 s4, exec_lo
	s_wait_loadcnt 0x0
	v_and_b32_e32 v1, 0x7fff, v1
	v_cmp_ne_u16_e32 vcc_lo, 0, v1
	v_cndmask_b32_e64 v1, 0, 1, vcc_lo
	s_delay_alu instid0(VALU_DEP_1) | instskip(NEXT) | instid1(VALU_DEP_1)
	v_mov_b32_dpp v1, v1 quad_perm:[1,0,3,2] row_mask:0xf bank_mask:0xf
	v_add_co_ci_u32_e64 v3, null, 0, v1, vcc_lo
	s_delay_alu instid0(VALU_DEP_1) | instskip(NEXT) | instid1(VALU_DEP_1)
	v_mov_b32_dpp v3, v3 quad_perm:[2,3,0,1] row_mask:0xf bank_mask:0xf
	v_add_co_ci_u32_e64 v1, null, v3, v1, vcc_lo
	s_delay_alu instid0(VALU_DEP_1) | instskip(NEXT) | instid1(VALU_DEP_1)
	v_mov_b32_dpp v3, v1 row_ror:4 row_mask:0xf bank_mask:0xf
	v_add_nc_u32_e32 v1, v1, v3
	s_delay_alu instid0(VALU_DEP_1) | instskip(NEXT) | instid1(VALU_DEP_1)
	v_mov_b32_dpp v3, v1 row_ror:8 row_mask:0xf bank_mask:0xf
	v_add_nc_u32_e32 v1, v1, v3
	ds_swizzle_b32 v3, v1 offset:swizzle(BROADCAST,32,15)
	s_wait_dscnt 0x0
	v_add_nc_u32_e32 v1, v1, v3
	v_mov_b32_e32 v3, 0
	ds_bpermute_b32 v1, v3, v1 offset:124
	v_cmpx_eq_u32_e32 0, v2
	s_cbranch_execz .LBB862_643
; %bb.642:
	v_lshrrev_b32_e32 v3, 3, v0
	s_delay_alu instid0(VALU_DEP_1)
	v_and_b32_e32 v3, 28, v3
	s_wait_dscnt 0x0
	ds_store_b32 v3, v1 offset:64
.LBB862_643:
	s_or_b32 exec_lo, exec_lo, s4
	s_delay_alu instid0(SALU_CYCLE_1)
	s_mov_b32 s4, exec_lo
	s_wait_dscnt 0x0
	s_barrier_signal -1
	s_barrier_wait -1
	global_inv scope:SCOPE_SE
	v_cmpx_gt_u32_e32 32, v0
	s_cbranch_execz .LBB862_645
; %bb.644:
	v_and_b32_e32 v1, 7, v2
	s_delay_alu instid0(VALU_DEP_1)
	v_lshlrev_b32_e32 v3, 2, v1
	v_cmp_ne_u32_e32 vcc_lo, 7, v1
	ds_load_b32 v3, v3 offset:64
	s_wait_alu 0xfffd
	v_add_co_ci_u32_e64 v4, null, 0, v2, vcc_lo
	v_cmp_gt_u32_e32 vcc_lo, 6, v1
	s_delay_alu instid0(VALU_DEP_2) | instskip(SKIP_2) | instid1(VALU_DEP_1)
	v_lshlrev_b32_e32 v4, 2, v4
	s_wait_alu 0xfffd
	v_cndmask_b32_e64 v1, 0, 2, vcc_lo
	v_add_lshl_u32 v1, v1, v2, 2
	s_wait_dscnt 0x0
	ds_bpermute_b32 v4, v4, v3
	s_wait_dscnt 0x0
	v_add_nc_u32_e32 v3, v4, v3
	v_lshlrev_b32_e32 v4, 2, v2
	ds_bpermute_b32 v1, v1, v3
	s_wait_dscnt 0x0
	v_add_nc_u32_e32 v1, v1, v3
	v_or_b32_e32 v3, 16, v4
	ds_bpermute_b32 v3, v3, v1
	s_wait_dscnt 0x0
	v_add_nc_u32_e32 v1, v3, v1
.LBB862_645:
	s_or_b32 exec_lo, exec_lo, s4
.LBB862_646:
	v_cmp_eq_u32_e64 s2, 0, v0
	s_and_saveexec_b32 s3, s2
	s_cbranch_execnz .LBB862_624
	s_branch .LBB862_625
.LBB862_647:
                                        ; implicit-def: $vgpr1
                                        ; implicit-def: $sgpr34_sgpr35
	s_and_saveexec_b32 s3, s2
	s_cbranch_execz .LBB862_625
	s_branch .LBB862_624
.LBB862_648:
                                        ; implicit-def: $vgpr1
	s_cbranch_execz .LBB862_646
; %bb.649:
	s_sub_co_i32 s4, s36, s2
	s_mov_b32 s5, exec_lo
                                        ; implicit-def: $vgpr1
	v_cmpx_gt_u32_e64 s4, v0
	s_cbranch_execz .LBB862_651
; %bb.650:
	v_lshlrev_b32_e32 v1, 1, v0
	s_lshl_b64 s[2:3], s[2:3], 1
	s_delay_alu instid0(SALU_CYCLE_1) | instskip(SKIP_3) | instid1(VALU_DEP_1)
	s_add_nc_u64 s[2:3], s[40:41], s[2:3]
	global_load_u16 v1, v1, s[2:3]
	s_wait_loadcnt 0x0
	v_and_b32_e32 v1, 0x7fff, v1
	v_cmp_ne_u16_e32 vcc_lo, 0, v1
	v_cndmask_b32_e64 v1, 0, 1, vcc_lo
.LBB862_651:
	s_or_b32 exec_lo, exec_lo, s5
	v_cmp_ne_u32_e32 vcc_lo, 31, v2
	s_min_u32 s2, s4, 0x100
	v_add_nc_u32_e32 v5, 1, v2
	s_mov_b32 s3, exec_lo
	s_wait_alu 0xfffd
	v_add_co_ci_u32_e64 v3, null, 0, v2, vcc_lo
	v_cmp_gt_u32_e32 vcc_lo, 30, v2
	s_delay_alu instid0(VALU_DEP_2) | instskip(SKIP_4) | instid1(VALU_DEP_1)
	v_lshlrev_b32_e32 v3, 2, v3
	s_wait_alu 0xfffd
	v_cndmask_b32_e64 v6, 0, 2, vcc_lo
	ds_bpermute_b32 v3, v3, v1
	v_and_b32_e32 v4, 0xe0, v0
	v_sub_nc_u32_e64 v4, s2, v4 clamp
	s_delay_alu instid0(VALU_DEP_1)
	v_cmp_lt_u32_e32 vcc_lo, v5, v4
	v_add_lshl_u32 v5, v6, v2, 2
	s_wait_dscnt 0x0
	s_wait_alu 0xfffd
	v_cndmask_b32_e32 v3, 0, v3, vcc_lo
	v_cmp_gt_u32_e32 vcc_lo, 28, v2
	s_delay_alu instid0(VALU_DEP_2) | instskip(SKIP_4) | instid1(VALU_DEP_1)
	v_add_nc_u32_e32 v1, v3, v1
	s_wait_alu 0xfffd
	v_cndmask_b32_e64 v6, 0, 4, vcc_lo
	ds_bpermute_b32 v3, v5, v1
	v_add_nc_u32_e32 v5, 2, v2
	v_cmp_lt_u32_e32 vcc_lo, v5, v4
	v_add_lshl_u32 v5, v6, v2, 2
	s_wait_dscnt 0x0
	s_wait_alu 0xfffd
	v_cndmask_b32_e32 v3, 0, v3, vcc_lo
	v_cmp_gt_u32_e32 vcc_lo, 24, v2
	s_delay_alu instid0(VALU_DEP_2) | instskip(SKIP_4) | instid1(VALU_DEP_1)
	v_add_nc_u32_e32 v1, v1, v3
	s_wait_alu 0xfffd
	v_cndmask_b32_e64 v6, 0, 8, vcc_lo
	ds_bpermute_b32 v3, v5, v1
	v_add_nc_u32_e32 v5, 4, v2
	v_cmp_lt_u32_e32 vcc_lo, v5, v4
	v_add_lshl_u32 v5, v6, v2, 2
	s_wait_dscnt 0x0
	s_wait_alu 0xfffd
	v_dual_cndmask_b32 v3, 0, v3 :: v_dual_add_nc_u32 v6, 8, v2
	s_delay_alu instid0(VALU_DEP_1) | instskip(NEXT) | instid1(VALU_DEP_2)
	v_cmp_lt_u32_e32 vcc_lo, v6, v4
	v_add_nc_u32_e32 v1, v1, v3
	v_lshlrev_b32_e32 v3, 2, v2
	ds_bpermute_b32 v5, v5, v1
	v_or_b32_e32 v6, 64, v3
	s_wait_dscnt 0x0
	s_wait_alu 0xfffd
	v_cndmask_b32_e32 v5, 0, v5, vcc_lo
	s_delay_alu instid0(VALU_DEP_1) | instskip(SKIP_2) | instid1(VALU_DEP_1)
	v_add_nc_u32_e32 v1, v1, v5
	ds_bpermute_b32 v5, v6, v1
	v_add_nc_u32_e32 v6, 16, v2
	v_cmp_lt_u32_e32 vcc_lo, v6, v4
	s_wait_dscnt 0x0
	s_wait_alu 0xfffd
	v_cndmask_b32_e32 v4, 0, v5, vcc_lo
	s_delay_alu instid0(VALU_DEP_1)
	v_add_nc_u32_e32 v1, v1, v4
	v_cmpx_eq_u32_e32 0, v2
; %bb.652:
	v_lshrrev_b32_e32 v4, 3, v0
	s_delay_alu instid0(VALU_DEP_1)
	v_and_b32_e32 v4, 28, v4
	ds_store_b32 v4, v1 offset:256
; %bb.653:
	s_or_b32 exec_lo, exec_lo, s3
	s_delay_alu instid0(SALU_CYCLE_1)
	s_mov_b32 s3, exec_lo
	s_wait_loadcnt_dscnt 0x0
	s_barrier_signal -1
	s_barrier_wait -1
	global_inv scope:SCOPE_SE
	v_cmpx_gt_u32_e32 8, v0
	s_cbranch_execz .LBB862_655
; %bb.654:
	ds_load_b32 v1, v3 offset:256
	v_and_b32_e32 v4, 7, v2
	s_add_co_i32 s2, s2, 31
	s_wait_alu 0xfffe
	s_lshr_b32 s2, s2, 5
	s_delay_alu instid0(VALU_DEP_1) | instskip(SKIP_4) | instid1(VALU_DEP_2)
	v_cmp_ne_u32_e32 vcc_lo, 7, v4
	v_add_nc_u32_e32 v6, 1, v4
	s_wait_alu 0xfffd
	v_add_co_ci_u32_e64 v5, null, 0, v2, vcc_lo
	v_cmp_gt_u32_e32 vcc_lo, 6, v4
	v_lshlrev_b32_e32 v5, 2, v5
	s_wait_alu 0xfffd
	v_cndmask_b32_e64 v7, 0, 2, vcc_lo
	s_wait_alu 0xfffe
	v_cmp_gt_u32_e32 vcc_lo, s2, v6
	s_wait_dscnt 0x0
	ds_bpermute_b32 v5, v5, v1
	v_add_lshl_u32 v2, v7, v2, 2
	s_wait_dscnt 0x0
	s_wait_alu 0xfffd
	v_cndmask_b32_e32 v5, 0, v5, vcc_lo
	s_delay_alu instid0(VALU_DEP_1)
	v_add_nc_u32_e32 v1, v5, v1
	v_add_nc_u32_e32 v5, 2, v4
	ds_bpermute_b32 v2, v2, v1
	v_cmp_gt_u32_e32 vcc_lo, s2, v5
	s_wait_dscnt 0x0
	s_wait_alu 0xfffd
	v_cndmask_b32_e32 v2, 0, v2, vcc_lo
	s_delay_alu instid0(VALU_DEP_1)
	v_add_nc_u32_e32 v1, v1, v2
	v_or_b32_e32 v2, 16, v3
	v_add_nc_u32_e32 v3, 4, v4
	ds_bpermute_b32 v2, v2, v1
	v_cmp_gt_u32_e32 vcc_lo, s2, v3
	s_wait_dscnt 0x0
	s_wait_alu 0xfffd
	v_cndmask_b32_e32 v2, 0, v2, vcc_lo
	s_delay_alu instid0(VALU_DEP_1)
	v_add_nc_u32_e32 v1, v1, v2
.LBB862_655:
	s_wait_alu 0xfffe
	s_or_b32 exec_lo, exec_lo, s3
	v_cmp_eq_u32_e64 s2, 0, v0
	s_and_saveexec_b32 s3, s2
	s_cbranch_execnz .LBB862_624
	s_branch .LBB862_625
	.section	.rodata,"a",@progbits
	.p2align	6, 0x0
	.amdhsa_kernel _ZN7rocprim17ROCPRIM_400000_NS6detail17trampoline_kernelINS0_14default_configENS1_22reduce_config_selectorIbEEZNS1_11reduce_implILb1ES3_N6hipcub16HIPCUB_304000_NS22TransformInputIteratorIbN2at6native12_GLOBAL__N_19NonZeroOpIN3c104HalfEEEPKSF_lEEPiiNS8_6detail34convert_binary_result_type_wrapperINS8_3SumESJ_iEEEE10hipError_tPvRmT1_T2_T3_mT4_P12ihipStream_tbEUlT_E1_NS1_11comp_targetILNS1_3genE10ELNS1_11target_archE1201ELNS1_3gpuE5ELNS1_3repE0EEENS1_30default_config_static_selectorELNS0_4arch9wavefront6targetE0EEEvSS_
		.amdhsa_group_segment_fixed_size 288
		.amdhsa_private_segment_fixed_size 0
		.amdhsa_kernarg_size 48
		.amdhsa_user_sgpr_count 2
		.amdhsa_user_sgpr_dispatch_ptr 0
		.amdhsa_user_sgpr_queue_ptr 0
		.amdhsa_user_sgpr_kernarg_segment_ptr 1
		.amdhsa_user_sgpr_dispatch_id 0
		.amdhsa_user_sgpr_private_segment_size 0
		.amdhsa_wavefront_size32 1
		.amdhsa_uses_dynamic_stack 0
		.amdhsa_enable_private_segment 0
		.amdhsa_system_sgpr_workgroup_id_x 1
		.amdhsa_system_sgpr_workgroup_id_y 0
		.amdhsa_system_sgpr_workgroup_id_z 0
		.amdhsa_system_sgpr_workgroup_info 0
		.amdhsa_system_vgpr_workitem_id 0
		.amdhsa_next_free_vgpr 129
		.amdhsa_next_free_sgpr 47
		.amdhsa_reserve_vcc 1
		.amdhsa_float_round_mode_32 0
		.amdhsa_float_round_mode_16_64 0
		.amdhsa_float_denorm_mode_32 3
		.amdhsa_float_denorm_mode_16_64 3
		.amdhsa_fp16_overflow 0
		.amdhsa_workgroup_processor_mode 1
		.amdhsa_memory_ordered 1
		.amdhsa_forward_progress 1
		.amdhsa_inst_pref_size 255
		.amdhsa_round_robin_scheduling 0
		.amdhsa_exception_fp_ieee_invalid_op 0
		.amdhsa_exception_fp_denorm_src 0
		.amdhsa_exception_fp_ieee_div_zero 0
		.amdhsa_exception_fp_ieee_overflow 0
		.amdhsa_exception_fp_ieee_underflow 0
		.amdhsa_exception_fp_ieee_inexact 0
		.amdhsa_exception_int_div_zero 0
	.end_amdhsa_kernel
	.section	.text._ZN7rocprim17ROCPRIM_400000_NS6detail17trampoline_kernelINS0_14default_configENS1_22reduce_config_selectorIbEEZNS1_11reduce_implILb1ES3_N6hipcub16HIPCUB_304000_NS22TransformInputIteratorIbN2at6native12_GLOBAL__N_19NonZeroOpIN3c104HalfEEEPKSF_lEEPiiNS8_6detail34convert_binary_result_type_wrapperINS8_3SumESJ_iEEEE10hipError_tPvRmT1_T2_T3_mT4_P12ihipStream_tbEUlT_E1_NS1_11comp_targetILNS1_3genE10ELNS1_11target_archE1201ELNS1_3gpuE5ELNS1_3repE0EEENS1_30default_config_static_selectorELNS0_4arch9wavefront6targetE0EEEvSS_,"axG",@progbits,_ZN7rocprim17ROCPRIM_400000_NS6detail17trampoline_kernelINS0_14default_configENS1_22reduce_config_selectorIbEEZNS1_11reduce_implILb1ES3_N6hipcub16HIPCUB_304000_NS22TransformInputIteratorIbN2at6native12_GLOBAL__N_19NonZeroOpIN3c104HalfEEEPKSF_lEEPiiNS8_6detail34convert_binary_result_type_wrapperINS8_3SumESJ_iEEEE10hipError_tPvRmT1_T2_T3_mT4_P12ihipStream_tbEUlT_E1_NS1_11comp_targetILNS1_3genE10ELNS1_11target_archE1201ELNS1_3gpuE5ELNS1_3repE0EEENS1_30default_config_static_selectorELNS0_4arch9wavefront6targetE0EEEvSS_,comdat
.Lfunc_end862:
	.size	_ZN7rocprim17ROCPRIM_400000_NS6detail17trampoline_kernelINS0_14default_configENS1_22reduce_config_selectorIbEEZNS1_11reduce_implILb1ES3_N6hipcub16HIPCUB_304000_NS22TransformInputIteratorIbN2at6native12_GLOBAL__N_19NonZeroOpIN3c104HalfEEEPKSF_lEEPiiNS8_6detail34convert_binary_result_type_wrapperINS8_3SumESJ_iEEEE10hipError_tPvRmT1_T2_T3_mT4_P12ihipStream_tbEUlT_E1_NS1_11comp_targetILNS1_3genE10ELNS1_11target_archE1201ELNS1_3gpuE5ELNS1_3repE0EEENS1_30default_config_static_selectorELNS0_4arch9wavefront6targetE0EEEvSS_, .Lfunc_end862-_ZN7rocprim17ROCPRIM_400000_NS6detail17trampoline_kernelINS0_14default_configENS1_22reduce_config_selectorIbEEZNS1_11reduce_implILb1ES3_N6hipcub16HIPCUB_304000_NS22TransformInputIteratorIbN2at6native12_GLOBAL__N_19NonZeroOpIN3c104HalfEEEPKSF_lEEPiiNS8_6detail34convert_binary_result_type_wrapperINS8_3SumESJ_iEEEE10hipError_tPvRmT1_T2_T3_mT4_P12ihipStream_tbEUlT_E1_NS1_11comp_targetILNS1_3genE10ELNS1_11target_archE1201ELNS1_3gpuE5ELNS1_3repE0EEENS1_30default_config_static_selectorELNS0_4arch9wavefront6targetE0EEEvSS_
                                        ; -- End function
	.set _ZN7rocprim17ROCPRIM_400000_NS6detail17trampoline_kernelINS0_14default_configENS1_22reduce_config_selectorIbEEZNS1_11reduce_implILb1ES3_N6hipcub16HIPCUB_304000_NS22TransformInputIteratorIbN2at6native12_GLOBAL__N_19NonZeroOpIN3c104HalfEEEPKSF_lEEPiiNS8_6detail34convert_binary_result_type_wrapperINS8_3SumESJ_iEEEE10hipError_tPvRmT1_T2_T3_mT4_P12ihipStream_tbEUlT_E1_NS1_11comp_targetILNS1_3genE10ELNS1_11target_archE1201ELNS1_3gpuE5ELNS1_3repE0EEENS1_30default_config_static_selectorELNS0_4arch9wavefront6targetE0EEEvSS_.num_vgpr, 129
	.set _ZN7rocprim17ROCPRIM_400000_NS6detail17trampoline_kernelINS0_14default_configENS1_22reduce_config_selectorIbEEZNS1_11reduce_implILb1ES3_N6hipcub16HIPCUB_304000_NS22TransformInputIteratorIbN2at6native12_GLOBAL__N_19NonZeroOpIN3c104HalfEEEPKSF_lEEPiiNS8_6detail34convert_binary_result_type_wrapperINS8_3SumESJ_iEEEE10hipError_tPvRmT1_T2_T3_mT4_P12ihipStream_tbEUlT_E1_NS1_11comp_targetILNS1_3genE10ELNS1_11target_archE1201ELNS1_3gpuE5ELNS1_3repE0EEENS1_30default_config_static_selectorELNS0_4arch9wavefront6targetE0EEEvSS_.num_agpr, 0
	.set _ZN7rocprim17ROCPRIM_400000_NS6detail17trampoline_kernelINS0_14default_configENS1_22reduce_config_selectorIbEEZNS1_11reduce_implILb1ES3_N6hipcub16HIPCUB_304000_NS22TransformInputIteratorIbN2at6native12_GLOBAL__N_19NonZeroOpIN3c104HalfEEEPKSF_lEEPiiNS8_6detail34convert_binary_result_type_wrapperINS8_3SumESJ_iEEEE10hipError_tPvRmT1_T2_T3_mT4_P12ihipStream_tbEUlT_E1_NS1_11comp_targetILNS1_3genE10ELNS1_11target_archE1201ELNS1_3gpuE5ELNS1_3repE0EEENS1_30default_config_static_selectorELNS0_4arch9wavefront6targetE0EEEvSS_.numbered_sgpr, 47
	.set _ZN7rocprim17ROCPRIM_400000_NS6detail17trampoline_kernelINS0_14default_configENS1_22reduce_config_selectorIbEEZNS1_11reduce_implILb1ES3_N6hipcub16HIPCUB_304000_NS22TransformInputIteratorIbN2at6native12_GLOBAL__N_19NonZeroOpIN3c104HalfEEEPKSF_lEEPiiNS8_6detail34convert_binary_result_type_wrapperINS8_3SumESJ_iEEEE10hipError_tPvRmT1_T2_T3_mT4_P12ihipStream_tbEUlT_E1_NS1_11comp_targetILNS1_3genE10ELNS1_11target_archE1201ELNS1_3gpuE5ELNS1_3repE0EEENS1_30default_config_static_selectorELNS0_4arch9wavefront6targetE0EEEvSS_.num_named_barrier, 0
	.set _ZN7rocprim17ROCPRIM_400000_NS6detail17trampoline_kernelINS0_14default_configENS1_22reduce_config_selectorIbEEZNS1_11reduce_implILb1ES3_N6hipcub16HIPCUB_304000_NS22TransformInputIteratorIbN2at6native12_GLOBAL__N_19NonZeroOpIN3c104HalfEEEPKSF_lEEPiiNS8_6detail34convert_binary_result_type_wrapperINS8_3SumESJ_iEEEE10hipError_tPvRmT1_T2_T3_mT4_P12ihipStream_tbEUlT_E1_NS1_11comp_targetILNS1_3genE10ELNS1_11target_archE1201ELNS1_3gpuE5ELNS1_3repE0EEENS1_30default_config_static_selectorELNS0_4arch9wavefront6targetE0EEEvSS_.private_seg_size, 0
	.set _ZN7rocprim17ROCPRIM_400000_NS6detail17trampoline_kernelINS0_14default_configENS1_22reduce_config_selectorIbEEZNS1_11reduce_implILb1ES3_N6hipcub16HIPCUB_304000_NS22TransformInputIteratorIbN2at6native12_GLOBAL__N_19NonZeroOpIN3c104HalfEEEPKSF_lEEPiiNS8_6detail34convert_binary_result_type_wrapperINS8_3SumESJ_iEEEE10hipError_tPvRmT1_T2_T3_mT4_P12ihipStream_tbEUlT_E1_NS1_11comp_targetILNS1_3genE10ELNS1_11target_archE1201ELNS1_3gpuE5ELNS1_3repE0EEENS1_30default_config_static_selectorELNS0_4arch9wavefront6targetE0EEEvSS_.uses_vcc, 1
	.set _ZN7rocprim17ROCPRIM_400000_NS6detail17trampoline_kernelINS0_14default_configENS1_22reduce_config_selectorIbEEZNS1_11reduce_implILb1ES3_N6hipcub16HIPCUB_304000_NS22TransformInputIteratorIbN2at6native12_GLOBAL__N_19NonZeroOpIN3c104HalfEEEPKSF_lEEPiiNS8_6detail34convert_binary_result_type_wrapperINS8_3SumESJ_iEEEE10hipError_tPvRmT1_T2_T3_mT4_P12ihipStream_tbEUlT_E1_NS1_11comp_targetILNS1_3genE10ELNS1_11target_archE1201ELNS1_3gpuE5ELNS1_3repE0EEENS1_30default_config_static_selectorELNS0_4arch9wavefront6targetE0EEEvSS_.uses_flat_scratch, 0
	.set _ZN7rocprim17ROCPRIM_400000_NS6detail17trampoline_kernelINS0_14default_configENS1_22reduce_config_selectorIbEEZNS1_11reduce_implILb1ES3_N6hipcub16HIPCUB_304000_NS22TransformInputIteratorIbN2at6native12_GLOBAL__N_19NonZeroOpIN3c104HalfEEEPKSF_lEEPiiNS8_6detail34convert_binary_result_type_wrapperINS8_3SumESJ_iEEEE10hipError_tPvRmT1_T2_T3_mT4_P12ihipStream_tbEUlT_E1_NS1_11comp_targetILNS1_3genE10ELNS1_11target_archE1201ELNS1_3gpuE5ELNS1_3repE0EEENS1_30default_config_static_selectorELNS0_4arch9wavefront6targetE0EEEvSS_.has_dyn_sized_stack, 0
	.set _ZN7rocprim17ROCPRIM_400000_NS6detail17trampoline_kernelINS0_14default_configENS1_22reduce_config_selectorIbEEZNS1_11reduce_implILb1ES3_N6hipcub16HIPCUB_304000_NS22TransformInputIteratorIbN2at6native12_GLOBAL__N_19NonZeroOpIN3c104HalfEEEPKSF_lEEPiiNS8_6detail34convert_binary_result_type_wrapperINS8_3SumESJ_iEEEE10hipError_tPvRmT1_T2_T3_mT4_P12ihipStream_tbEUlT_E1_NS1_11comp_targetILNS1_3genE10ELNS1_11target_archE1201ELNS1_3gpuE5ELNS1_3repE0EEENS1_30default_config_static_selectorELNS0_4arch9wavefront6targetE0EEEvSS_.has_recursion, 0
	.set _ZN7rocprim17ROCPRIM_400000_NS6detail17trampoline_kernelINS0_14default_configENS1_22reduce_config_selectorIbEEZNS1_11reduce_implILb1ES3_N6hipcub16HIPCUB_304000_NS22TransformInputIteratorIbN2at6native12_GLOBAL__N_19NonZeroOpIN3c104HalfEEEPKSF_lEEPiiNS8_6detail34convert_binary_result_type_wrapperINS8_3SumESJ_iEEEE10hipError_tPvRmT1_T2_T3_mT4_P12ihipStream_tbEUlT_E1_NS1_11comp_targetILNS1_3genE10ELNS1_11target_archE1201ELNS1_3gpuE5ELNS1_3repE0EEENS1_30default_config_static_selectorELNS0_4arch9wavefront6targetE0EEEvSS_.has_indirect_call, 0
	.section	.AMDGPU.csdata,"",@progbits
; Kernel info:
; codeLenInByte = 42032
; TotalNumSgprs: 49
; NumVgprs: 129
; ScratchSize: 0
; MemoryBound: 0
; FloatMode: 240
; IeeeMode: 1
; LDSByteSize: 288 bytes/workgroup (compile time only)
; SGPRBlocks: 0
; VGPRBlocks: 16
; NumSGPRsForWavesPerEU: 49
; NumVGPRsForWavesPerEU: 129
; Occupancy: 10
; WaveLimiterHint : 1
; COMPUTE_PGM_RSRC2:SCRATCH_EN: 0
; COMPUTE_PGM_RSRC2:USER_SGPR: 2
; COMPUTE_PGM_RSRC2:TRAP_HANDLER: 0
; COMPUTE_PGM_RSRC2:TGID_X_EN: 1
; COMPUTE_PGM_RSRC2:TGID_Y_EN: 0
; COMPUTE_PGM_RSRC2:TGID_Z_EN: 0
; COMPUTE_PGM_RSRC2:TIDIG_COMP_CNT: 0
	.section	.text._ZN7rocprim17ROCPRIM_400000_NS6detail17trampoline_kernelINS0_14default_configENS1_22reduce_config_selectorIbEEZNS1_11reduce_implILb1ES3_N6hipcub16HIPCUB_304000_NS22TransformInputIteratorIbN2at6native12_GLOBAL__N_19NonZeroOpIN3c104HalfEEEPKSF_lEEPiiNS8_6detail34convert_binary_result_type_wrapperINS8_3SumESJ_iEEEE10hipError_tPvRmT1_T2_T3_mT4_P12ihipStream_tbEUlT_E1_NS1_11comp_targetILNS1_3genE10ELNS1_11target_archE1200ELNS1_3gpuE4ELNS1_3repE0EEENS1_30default_config_static_selectorELNS0_4arch9wavefront6targetE0EEEvSS_,"axG",@progbits,_ZN7rocprim17ROCPRIM_400000_NS6detail17trampoline_kernelINS0_14default_configENS1_22reduce_config_selectorIbEEZNS1_11reduce_implILb1ES3_N6hipcub16HIPCUB_304000_NS22TransformInputIteratorIbN2at6native12_GLOBAL__N_19NonZeroOpIN3c104HalfEEEPKSF_lEEPiiNS8_6detail34convert_binary_result_type_wrapperINS8_3SumESJ_iEEEE10hipError_tPvRmT1_T2_T3_mT4_P12ihipStream_tbEUlT_E1_NS1_11comp_targetILNS1_3genE10ELNS1_11target_archE1200ELNS1_3gpuE4ELNS1_3repE0EEENS1_30default_config_static_selectorELNS0_4arch9wavefront6targetE0EEEvSS_,comdat
	.globl	_ZN7rocprim17ROCPRIM_400000_NS6detail17trampoline_kernelINS0_14default_configENS1_22reduce_config_selectorIbEEZNS1_11reduce_implILb1ES3_N6hipcub16HIPCUB_304000_NS22TransformInputIteratorIbN2at6native12_GLOBAL__N_19NonZeroOpIN3c104HalfEEEPKSF_lEEPiiNS8_6detail34convert_binary_result_type_wrapperINS8_3SumESJ_iEEEE10hipError_tPvRmT1_T2_T3_mT4_P12ihipStream_tbEUlT_E1_NS1_11comp_targetILNS1_3genE10ELNS1_11target_archE1200ELNS1_3gpuE4ELNS1_3repE0EEENS1_30default_config_static_selectorELNS0_4arch9wavefront6targetE0EEEvSS_ ; -- Begin function _ZN7rocprim17ROCPRIM_400000_NS6detail17trampoline_kernelINS0_14default_configENS1_22reduce_config_selectorIbEEZNS1_11reduce_implILb1ES3_N6hipcub16HIPCUB_304000_NS22TransformInputIteratorIbN2at6native12_GLOBAL__N_19NonZeroOpIN3c104HalfEEEPKSF_lEEPiiNS8_6detail34convert_binary_result_type_wrapperINS8_3SumESJ_iEEEE10hipError_tPvRmT1_T2_T3_mT4_P12ihipStream_tbEUlT_E1_NS1_11comp_targetILNS1_3genE10ELNS1_11target_archE1200ELNS1_3gpuE4ELNS1_3repE0EEENS1_30default_config_static_selectorELNS0_4arch9wavefront6targetE0EEEvSS_
	.p2align	8
	.type	_ZN7rocprim17ROCPRIM_400000_NS6detail17trampoline_kernelINS0_14default_configENS1_22reduce_config_selectorIbEEZNS1_11reduce_implILb1ES3_N6hipcub16HIPCUB_304000_NS22TransformInputIteratorIbN2at6native12_GLOBAL__N_19NonZeroOpIN3c104HalfEEEPKSF_lEEPiiNS8_6detail34convert_binary_result_type_wrapperINS8_3SumESJ_iEEEE10hipError_tPvRmT1_T2_T3_mT4_P12ihipStream_tbEUlT_E1_NS1_11comp_targetILNS1_3genE10ELNS1_11target_archE1200ELNS1_3gpuE4ELNS1_3repE0EEENS1_30default_config_static_selectorELNS0_4arch9wavefront6targetE0EEEvSS_,@function
_ZN7rocprim17ROCPRIM_400000_NS6detail17trampoline_kernelINS0_14default_configENS1_22reduce_config_selectorIbEEZNS1_11reduce_implILb1ES3_N6hipcub16HIPCUB_304000_NS22TransformInputIteratorIbN2at6native12_GLOBAL__N_19NonZeroOpIN3c104HalfEEEPKSF_lEEPiiNS8_6detail34convert_binary_result_type_wrapperINS8_3SumESJ_iEEEE10hipError_tPvRmT1_T2_T3_mT4_P12ihipStream_tbEUlT_E1_NS1_11comp_targetILNS1_3genE10ELNS1_11target_archE1200ELNS1_3gpuE4ELNS1_3repE0EEENS1_30default_config_static_selectorELNS0_4arch9wavefront6targetE0EEEvSS_: ; @_ZN7rocprim17ROCPRIM_400000_NS6detail17trampoline_kernelINS0_14default_configENS1_22reduce_config_selectorIbEEZNS1_11reduce_implILb1ES3_N6hipcub16HIPCUB_304000_NS22TransformInputIteratorIbN2at6native12_GLOBAL__N_19NonZeroOpIN3c104HalfEEEPKSF_lEEPiiNS8_6detail34convert_binary_result_type_wrapperINS8_3SumESJ_iEEEE10hipError_tPvRmT1_T2_T3_mT4_P12ihipStream_tbEUlT_E1_NS1_11comp_targetILNS1_3genE10ELNS1_11target_archE1200ELNS1_3gpuE4ELNS1_3repE0EEENS1_30default_config_static_selectorELNS0_4arch9wavefront6targetE0EEEvSS_
; %bb.0:
	.section	.rodata,"a",@progbits
	.p2align	6, 0x0
	.amdhsa_kernel _ZN7rocprim17ROCPRIM_400000_NS6detail17trampoline_kernelINS0_14default_configENS1_22reduce_config_selectorIbEEZNS1_11reduce_implILb1ES3_N6hipcub16HIPCUB_304000_NS22TransformInputIteratorIbN2at6native12_GLOBAL__N_19NonZeroOpIN3c104HalfEEEPKSF_lEEPiiNS8_6detail34convert_binary_result_type_wrapperINS8_3SumESJ_iEEEE10hipError_tPvRmT1_T2_T3_mT4_P12ihipStream_tbEUlT_E1_NS1_11comp_targetILNS1_3genE10ELNS1_11target_archE1200ELNS1_3gpuE4ELNS1_3repE0EEENS1_30default_config_static_selectorELNS0_4arch9wavefront6targetE0EEEvSS_
		.amdhsa_group_segment_fixed_size 0
		.amdhsa_private_segment_fixed_size 0
		.amdhsa_kernarg_size 48
		.amdhsa_user_sgpr_count 2
		.amdhsa_user_sgpr_dispatch_ptr 0
		.amdhsa_user_sgpr_queue_ptr 0
		.amdhsa_user_sgpr_kernarg_segment_ptr 1
		.amdhsa_user_sgpr_dispatch_id 0
		.amdhsa_user_sgpr_private_segment_size 0
		.amdhsa_wavefront_size32 1
		.amdhsa_uses_dynamic_stack 0
		.amdhsa_enable_private_segment 0
		.amdhsa_system_sgpr_workgroup_id_x 1
		.amdhsa_system_sgpr_workgroup_id_y 0
		.amdhsa_system_sgpr_workgroup_id_z 0
		.amdhsa_system_sgpr_workgroup_info 0
		.amdhsa_system_vgpr_workitem_id 0
		.amdhsa_next_free_vgpr 1
		.amdhsa_next_free_sgpr 1
		.amdhsa_reserve_vcc 0
		.amdhsa_float_round_mode_32 0
		.amdhsa_float_round_mode_16_64 0
		.amdhsa_float_denorm_mode_32 3
		.amdhsa_float_denorm_mode_16_64 3
		.amdhsa_fp16_overflow 0
		.amdhsa_workgroup_processor_mode 1
		.amdhsa_memory_ordered 1
		.amdhsa_forward_progress 1
		.amdhsa_inst_pref_size 0
		.amdhsa_round_robin_scheduling 0
		.amdhsa_exception_fp_ieee_invalid_op 0
		.amdhsa_exception_fp_denorm_src 0
		.amdhsa_exception_fp_ieee_div_zero 0
		.amdhsa_exception_fp_ieee_overflow 0
		.amdhsa_exception_fp_ieee_underflow 0
		.amdhsa_exception_fp_ieee_inexact 0
		.amdhsa_exception_int_div_zero 0
	.end_amdhsa_kernel
	.section	.text._ZN7rocprim17ROCPRIM_400000_NS6detail17trampoline_kernelINS0_14default_configENS1_22reduce_config_selectorIbEEZNS1_11reduce_implILb1ES3_N6hipcub16HIPCUB_304000_NS22TransformInputIteratorIbN2at6native12_GLOBAL__N_19NonZeroOpIN3c104HalfEEEPKSF_lEEPiiNS8_6detail34convert_binary_result_type_wrapperINS8_3SumESJ_iEEEE10hipError_tPvRmT1_T2_T3_mT4_P12ihipStream_tbEUlT_E1_NS1_11comp_targetILNS1_3genE10ELNS1_11target_archE1200ELNS1_3gpuE4ELNS1_3repE0EEENS1_30default_config_static_selectorELNS0_4arch9wavefront6targetE0EEEvSS_,"axG",@progbits,_ZN7rocprim17ROCPRIM_400000_NS6detail17trampoline_kernelINS0_14default_configENS1_22reduce_config_selectorIbEEZNS1_11reduce_implILb1ES3_N6hipcub16HIPCUB_304000_NS22TransformInputIteratorIbN2at6native12_GLOBAL__N_19NonZeroOpIN3c104HalfEEEPKSF_lEEPiiNS8_6detail34convert_binary_result_type_wrapperINS8_3SumESJ_iEEEE10hipError_tPvRmT1_T2_T3_mT4_P12ihipStream_tbEUlT_E1_NS1_11comp_targetILNS1_3genE10ELNS1_11target_archE1200ELNS1_3gpuE4ELNS1_3repE0EEENS1_30default_config_static_selectorELNS0_4arch9wavefront6targetE0EEEvSS_,comdat
.Lfunc_end863:
	.size	_ZN7rocprim17ROCPRIM_400000_NS6detail17trampoline_kernelINS0_14default_configENS1_22reduce_config_selectorIbEEZNS1_11reduce_implILb1ES3_N6hipcub16HIPCUB_304000_NS22TransformInputIteratorIbN2at6native12_GLOBAL__N_19NonZeroOpIN3c104HalfEEEPKSF_lEEPiiNS8_6detail34convert_binary_result_type_wrapperINS8_3SumESJ_iEEEE10hipError_tPvRmT1_T2_T3_mT4_P12ihipStream_tbEUlT_E1_NS1_11comp_targetILNS1_3genE10ELNS1_11target_archE1200ELNS1_3gpuE4ELNS1_3repE0EEENS1_30default_config_static_selectorELNS0_4arch9wavefront6targetE0EEEvSS_, .Lfunc_end863-_ZN7rocprim17ROCPRIM_400000_NS6detail17trampoline_kernelINS0_14default_configENS1_22reduce_config_selectorIbEEZNS1_11reduce_implILb1ES3_N6hipcub16HIPCUB_304000_NS22TransformInputIteratorIbN2at6native12_GLOBAL__N_19NonZeroOpIN3c104HalfEEEPKSF_lEEPiiNS8_6detail34convert_binary_result_type_wrapperINS8_3SumESJ_iEEEE10hipError_tPvRmT1_T2_T3_mT4_P12ihipStream_tbEUlT_E1_NS1_11comp_targetILNS1_3genE10ELNS1_11target_archE1200ELNS1_3gpuE4ELNS1_3repE0EEENS1_30default_config_static_selectorELNS0_4arch9wavefront6targetE0EEEvSS_
                                        ; -- End function
	.set _ZN7rocprim17ROCPRIM_400000_NS6detail17trampoline_kernelINS0_14default_configENS1_22reduce_config_selectorIbEEZNS1_11reduce_implILb1ES3_N6hipcub16HIPCUB_304000_NS22TransformInputIteratorIbN2at6native12_GLOBAL__N_19NonZeroOpIN3c104HalfEEEPKSF_lEEPiiNS8_6detail34convert_binary_result_type_wrapperINS8_3SumESJ_iEEEE10hipError_tPvRmT1_T2_T3_mT4_P12ihipStream_tbEUlT_E1_NS1_11comp_targetILNS1_3genE10ELNS1_11target_archE1200ELNS1_3gpuE4ELNS1_3repE0EEENS1_30default_config_static_selectorELNS0_4arch9wavefront6targetE0EEEvSS_.num_vgpr, 0
	.set _ZN7rocprim17ROCPRIM_400000_NS6detail17trampoline_kernelINS0_14default_configENS1_22reduce_config_selectorIbEEZNS1_11reduce_implILb1ES3_N6hipcub16HIPCUB_304000_NS22TransformInputIteratorIbN2at6native12_GLOBAL__N_19NonZeroOpIN3c104HalfEEEPKSF_lEEPiiNS8_6detail34convert_binary_result_type_wrapperINS8_3SumESJ_iEEEE10hipError_tPvRmT1_T2_T3_mT4_P12ihipStream_tbEUlT_E1_NS1_11comp_targetILNS1_3genE10ELNS1_11target_archE1200ELNS1_3gpuE4ELNS1_3repE0EEENS1_30default_config_static_selectorELNS0_4arch9wavefront6targetE0EEEvSS_.num_agpr, 0
	.set _ZN7rocprim17ROCPRIM_400000_NS6detail17trampoline_kernelINS0_14default_configENS1_22reduce_config_selectorIbEEZNS1_11reduce_implILb1ES3_N6hipcub16HIPCUB_304000_NS22TransformInputIteratorIbN2at6native12_GLOBAL__N_19NonZeroOpIN3c104HalfEEEPKSF_lEEPiiNS8_6detail34convert_binary_result_type_wrapperINS8_3SumESJ_iEEEE10hipError_tPvRmT1_T2_T3_mT4_P12ihipStream_tbEUlT_E1_NS1_11comp_targetILNS1_3genE10ELNS1_11target_archE1200ELNS1_3gpuE4ELNS1_3repE0EEENS1_30default_config_static_selectorELNS0_4arch9wavefront6targetE0EEEvSS_.numbered_sgpr, 0
	.set _ZN7rocprim17ROCPRIM_400000_NS6detail17trampoline_kernelINS0_14default_configENS1_22reduce_config_selectorIbEEZNS1_11reduce_implILb1ES3_N6hipcub16HIPCUB_304000_NS22TransformInputIteratorIbN2at6native12_GLOBAL__N_19NonZeroOpIN3c104HalfEEEPKSF_lEEPiiNS8_6detail34convert_binary_result_type_wrapperINS8_3SumESJ_iEEEE10hipError_tPvRmT1_T2_T3_mT4_P12ihipStream_tbEUlT_E1_NS1_11comp_targetILNS1_3genE10ELNS1_11target_archE1200ELNS1_3gpuE4ELNS1_3repE0EEENS1_30default_config_static_selectorELNS0_4arch9wavefront6targetE0EEEvSS_.num_named_barrier, 0
	.set _ZN7rocprim17ROCPRIM_400000_NS6detail17trampoline_kernelINS0_14default_configENS1_22reduce_config_selectorIbEEZNS1_11reduce_implILb1ES3_N6hipcub16HIPCUB_304000_NS22TransformInputIteratorIbN2at6native12_GLOBAL__N_19NonZeroOpIN3c104HalfEEEPKSF_lEEPiiNS8_6detail34convert_binary_result_type_wrapperINS8_3SumESJ_iEEEE10hipError_tPvRmT1_T2_T3_mT4_P12ihipStream_tbEUlT_E1_NS1_11comp_targetILNS1_3genE10ELNS1_11target_archE1200ELNS1_3gpuE4ELNS1_3repE0EEENS1_30default_config_static_selectorELNS0_4arch9wavefront6targetE0EEEvSS_.private_seg_size, 0
	.set _ZN7rocprim17ROCPRIM_400000_NS6detail17trampoline_kernelINS0_14default_configENS1_22reduce_config_selectorIbEEZNS1_11reduce_implILb1ES3_N6hipcub16HIPCUB_304000_NS22TransformInputIteratorIbN2at6native12_GLOBAL__N_19NonZeroOpIN3c104HalfEEEPKSF_lEEPiiNS8_6detail34convert_binary_result_type_wrapperINS8_3SumESJ_iEEEE10hipError_tPvRmT1_T2_T3_mT4_P12ihipStream_tbEUlT_E1_NS1_11comp_targetILNS1_3genE10ELNS1_11target_archE1200ELNS1_3gpuE4ELNS1_3repE0EEENS1_30default_config_static_selectorELNS0_4arch9wavefront6targetE0EEEvSS_.uses_vcc, 0
	.set _ZN7rocprim17ROCPRIM_400000_NS6detail17trampoline_kernelINS0_14default_configENS1_22reduce_config_selectorIbEEZNS1_11reduce_implILb1ES3_N6hipcub16HIPCUB_304000_NS22TransformInputIteratorIbN2at6native12_GLOBAL__N_19NonZeroOpIN3c104HalfEEEPKSF_lEEPiiNS8_6detail34convert_binary_result_type_wrapperINS8_3SumESJ_iEEEE10hipError_tPvRmT1_T2_T3_mT4_P12ihipStream_tbEUlT_E1_NS1_11comp_targetILNS1_3genE10ELNS1_11target_archE1200ELNS1_3gpuE4ELNS1_3repE0EEENS1_30default_config_static_selectorELNS0_4arch9wavefront6targetE0EEEvSS_.uses_flat_scratch, 0
	.set _ZN7rocprim17ROCPRIM_400000_NS6detail17trampoline_kernelINS0_14default_configENS1_22reduce_config_selectorIbEEZNS1_11reduce_implILb1ES3_N6hipcub16HIPCUB_304000_NS22TransformInputIteratorIbN2at6native12_GLOBAL__N_19NonZeroOpIN3c104HalfEEEPKSF_lEEPiiNS8_6detail34convert_binary_result_type_wrapperINS8_3SumESJ_iEEEE10hipError_tPvRmT1_T2_T3_mT4_P12ihipStream_tbEUlT_E1_NS1_11comp_targetILNS1_3genE10ELNS1_11target_archE1200ELNS1_3gpuE4ELNS1_3repE0EEENS1_30default_config_static_selectorELNS0_4arch9wavefront6targetE0EEEvSS_.has_dyn_sized_stack, 0
	.set _ZN7rocprim17ROCPRIM_400000_NS6detail17trampoline_kernelINS0_14default_configENS1_22reduce_config_selectorIbEEZNS1_11reduce_implILb1ES3_N6hipcub16HIPCUB_304000_NS22TransformInputIteratorIbN2at6native12_GLOBAL__N_19NonZeroOpIN3c104HalfEEEPKSF_lEEPiiNS8_6detail34convert_binary_result_type_wrapperINS8_3SumESJ_iEEEE10hipError_tPvRmT1_T2_T3_mT4_P12ihipStream_tbEUlT_E1_NS1_11comp_targetILNS1_3genE10ELNS1_11target_archE1200ELNS1_3gpuE4ELNS1_3repE0EEENS1_30default_config_static_selectorELNS0_4arch9wavefront6targetE0EEEvSS_.has_recursion, 0
	.set _ZN7rocprim17ROCPRIM_400000_NS6detail17trampoline_kernelINS0_14default_configENS1_22reduce_config_selectorIbEEZNS1_11reduce_implILb1ES3_N6hipcub16HIPCUB_304000_NS22TransformInputIteratorIbN2at6native12_GLOBAL__N_19NonZeroOpIN3c104HalfEEEPKSF_lEEPiiNS8_6detail34convert_binary_result_type_wrapperINS8_3SumESJ_iEEEE10hipError_tPvRmT1_T2_T3_mT4_P12ihipStream_tbEUlT_E1_NS1_11comp_targetILNS1_3genE10ELNS1_11target_archE1200ELNS1_3gpuE4ELNS1_3repE0EEENS1_30default_config_static_selectorELNS0_4arch9wavefront6targetE0EEEvSS_.has_indirect_call, 0
	.section	.AMDGPU.csdata,"",@progbits
; Kernel info:
; codeLenInByte = 0
; TotalNumSgprs: 0
; NumVgprs: 0
; ScratchSize: 0
; MemoryBound: 0
; FloatMode: 240
; IeeeMode: 1
; LDSByteSize: 0 bytes/workgroup (compile time only)
; SGPRBlocks: 0
; VGPRBlocks: 0
; NumSGPRsForWavesPerEU: 1
; NumVGPRsForWavesPerEU: 1
; Occupancy: 16
; WaveLimiterHint : 0
; COMPUTE_PGM_RSRC2:SCRATCH_EN: 0
; COMPUTE_PGM_RSRC2:USER_SGPR: 2
; COMPUTE_PGM_RSRC2:TRAP_HANDLER: 0
; COMPUTE_PGM_RSRC2:TGID_X_EN: 1
; COMPUTE_PGM_RSRC2:TGID_Y_EN: 0
; COMPUTE_PGM_RSRC2:TGID_Z_EN: 0
; COMPUTE_PGM_RSRC2:TIDIG_COMP_CNT: 0
	.section	.text._ZN7rocprim17ROCPRIM_400000_NS6detail17trampoline_kernelINS0_14default_configENS1_22reduce_config_selectorIbEEZNS1_11reduce_implILb1ES3_N6hipcub16HIPCUB_304000_NS22TransformInputIteratorIbN2at6native12_GLOBAL__N_19NonZeroOpIN3c104HalfEEEPKSF_lEEPiiNS8_6detail34convert_binary_result_type_wrapperINS8_3SumESJ_iEEEE10hipError_tPvRmT1_T2_T3_mT4_P12ihipStream_tbEUlT_E1_NS1_11comp_targetILNS1_3genE9ELNS1_11target_archE1100ELNS1_3gpuE3ELNS1_3repE0EEENS1_30default_config_static_selectorELNS0_4arch9wavefront6targetE0EEEvSS_,"axG",@progbits,_ZN7rocprim17ROCPRIM_400000_NS6detail17trampoline_kernelINS0_14default_configENS1_22reduce_config_selectorIbEEZNS1_11reduce_implILb1ES3_N6hipcub16HIPCUB_304000_NS22TransformInputIteratorIbN2at6native12_GLOBAL__N_19NonZeroOpIN3c104HalfEEEPKSF_lEEPiiNS8_6detail34convert_binary_result_type_wrapperINS8_3SumESJ_iEEEE10hipError_tPvRmT1_T2_T3_mT4_P12ihipStream_tbEUlT_E1_NS1_11comp_targetILNS1_3genE9ELNS1_11target_archE1100ELNS1_3gpuE3ELNS1_3repE0EEENS1_30default_config_static_selectorELNS0_4arch9wavefront6targetE0EEEvSS_,comdat
	.globl	_ZN7rocprim17ROCPRIM_400000_NS6detail17trampoline_kernelINS0_14default_configENS1_22reduce_config_selectorIbEEZNS1_11reduce_implILb1ES3_N6hipcub16HIPCUB_304000_NS22TransformInputIteratorIbN2at6native12_GLOBAL__N_19NonZeroOpIN3c104HalfEEEPKSF_lEEPiiNS8_6detail34convert_binary_result_type_wrapperINS8_3SumESJ_iEEEE10hipError_tPvRmT1_T2_T3_mT4_P12ihipStream_tbEUlT_E1_NS1_11comp_targetILNS1_3genE9ELNS1_11target_archE1100ELNS1_3gpuE3ELNS1_3repE0EEENS1_30default_config_static_selectorELNS0_4arch9wavefront6targetE0EEEvSS_ ; -- Begin function _ZN7rocprim17ROCPRIM_400000_NS6detail17trampoline_kernelINS0_14default_configENS1_22reduce_config_selectorIbEEZNS1_11reduce_implILb1ES3_N6hipcub16HIPCUB_304000_NS22TransformInputIteratorIbN2at6native12_GLOBAL__N_19NonZeroOpIN3c104HalfEEEPKSF_lEEPiiNS8_6detail34convert_binary_result_type_wrapperINS8_3SumESJ_iEEEE10hipError_tPvRmT1_T2_T3_mT4_P12ihipStream_tbEUlT_E1_NS1_11comp_targetILNS1_3genE9ELNS1_11target_archE1100ELNS1_3gpuE3ELNS1_3repE0EEENS1_30default_config_static_selectorELNS0_4arch9wavefront6targetE0EEEvSS_
	.p2align	8
	.type	_ZN7rocprim17ROCPRIM_400000_NS6detail17trampoline_kernelINS0_14default_configENS1_22reduce_config_selectorIbEEZNS1_11reduce_implILb1ES3_N6hipcub16HIPCUB_304000_NS22TransformInputIteratorIbN2at6native12_GLOBAL__N_19NonZeroOpIN3c104HalfEEEPKSF_lEEPiiNS8_6detail34convert_binary_result_type_wrapperINS8_3SumESJ_iEEEE10hipError_tPvRmT1_T2_T3_mT4_P12ihipStream_tbEUlT_E1_NS1_11comp_targetILNS1_3genE9ELNS1_11target_archE1100ELNS1_3gpuE3ELNS1_3repE0EEENS1_30default_config_static_selectorELNS0_4arch9wavefront6targetE0EEEvSS_,@function
_ZN7rocprim17ROCPRIM_400000_NS6detail17trampoline_kernelINS0_14default_configENS1_22reduce_config_selectorIbEEZNS1_11reduce_implILb1ES3_N6hipcub16HIPCUB_304000_NS22TransformInputIteratorIbN2at6native12_GLOBAL__N_19NonZeroOpIN3c104HalfEEEPKSF_lEEPiiNS8_6detail34convert_binary_result_type_wrapperINS8_3SumESJ_iEEEE10hipError_tPvRmT1_T2_T3_mT4_P12ihipStream_tbEUlT_E1_NS1_11comp_targetILNS1_3genE9ELNS1_11target_archE1100ELNS1_3gpuE3ELNS1_3repE0EEENS1_30default_config_static_selectorELNS0_4arch9wavefront6targetE0EEEvSS_: ; @_ZN7rocprim17ROCPRIM_400000_NS6detail17trampoline_kernelINS0_14default_configENS1_22reduce_config_selectorIbEEZNS1_11reduce_implILb1ES3_N6hipcub16HIPCUB_304000_NS22TransformInputIteratorIbN2at6native12_GLOBAL__N_19NonZeroOpIN3c104HalfEEEPKSF_lEEPiiNS8_6detail34convert_binary_result_type_wrapperINS8_3SumESJ_iEEEE10hipError_tPvRmT1_T2_T3_mT4_P12ihipStream_tbEUlT_E1_NS1_11comp_targetILNS1_3genE9ELNS1_11target_archE1100ELNS1_3gpuE3ELNS1_3repE0EEENS1_30default_config_static_selectorELNS0_4arch9wavefront6targetE0EEEvSS_
; %bb.0:
	.section	.rodata,"a",@progbits
	.p2align	6, 0x0
	.amdhsa_kernel _ZN7rocprim17ROCPRIM_400000_NS6detail17trampoline_kernelINS0_14default_configENS1_22reduce_config_selectorIbEEZNS1_11reduce_implILb1ES3_N6hipcub16HIPCUB_304000_NS22TransformInputIteratorIbN2at6native12_GLOBAL__N_19NonZeroOpIN3c104HalfEEEPKSF_lEEPiiNS8_6detail34convert_binary_result_type_wrapperINS8_3SumESJ_iEEEE10hipError_tPvRmT1_T2_T3_mT4_P12ihipStream_tbEUlT_E1_NS1_11comp_targetILNS1_3genE9ELNS1_11target_archE1100ELNS1_3gpuE3ELNS1_3repE0EEENS1_30default_config_static_selectorELNS0_4arch9wavefront6targetE0EEEvSS_
		.amdhsa_group_segment_fixed_size 0
		.amdhsa_private_segment_fixed_size 0
		.amdhsa_kernarg_size 48
		.amdhsa_user_sgpr_count 2
		.amdhsa_user_sgpr_dispatch_ptr 0
		.amdhsa_user_sgpr_queue_ptr 0
		.amdhsa_user_sgpr_kernarg_segment_ptr 1
		.amdhsa_user_sgpr_dispatch_id 0
		.amdhsa_user_sgpr_private_segment_size 0
		.amdhsa_wavefront_size32 1
		.amdhsa_uses_dynamic_stack 0
		.amdhsa_enable_private_segment 0
		.amdhsa_system_sgpr_workgroup_id_x 1
		.amdhsa_system_sgpr_workgroup_id_y 0
		.amdhsa_system_sgpr_workgroup_id_z 0
		.amdhsa_system_sgpr_workgroup_info 0
		.amdhsa_system_vgpr_workitem_id 0
		.amdhsa_next_free_vgpr 1
		.amdhsa_next_free_sgpr 1
		.amdhsa_reserve_vcc 0
		.amdhsa_float_round_mode_32 0
		.amdhsa_float_round_mode_16_64 0
		.amdhsa_float_denorm_mode_32 3
		.amdhsa_float_denorm_mode_16_64 3
		.amdhsa_fp16_overflow 0
		.amdhsa_workgroup_processor_mode 1
		.amdhsa_memory_ordered 1
		.amdhsa_forward_progress 1
		.amdhsa_inst_pref_size 0
		.amdhsa_round_robin_scheduling 0
		.amdhsa_exception_fp_ieee_invalid_op 0
		.amdhsa_exception_fp_denorm_src 0
		.amdhsa_exception_fp_ieee_div_zero 0
		.amdhsa_exception_fp_ieee_overflow 0
		.amdhsa_exception_fp_ieee_underflow 0
		.amdhsa_exception_fp_ieee_inexact 0
		.amdhsa_exception_int_div_zero 0
	.end_amdhsa_kernel
	.section	.text._ZN7rocprim17ROCPRIM_400000_NS6detail17trampoline_kernelINS0_14default_configENS1_22reduce_config_selectorIbEEZNS1_11reduce_implILb1ES3_N6hipcub16HIPCUB_304000_NS22TransformInputIteratorIbN2at6native12_GLOBAL__N_19NonZeroOpIN3c104HalfEEEPKSF_lEEPiiNS8_6detail34convert_binary_result_type_wrapperINS8_3SumESJ_iEEEE10hipError_tPvRmT1_T2_T3_mT4_P12ihipStream_tbEUlT_E1_NS1_11comp_targetILNS1_3genE9ELNS1_11target_archE1100ELNS1_3gpuE3ELNS1_3repE0EEENS1_30default_config_static_selectorELNS0_4arch9wavefront6targetE0EEEvSS_,"axG",@progbits,_ZN7rocprim17ROCPRIM_400000_NS6detail17trampoline_kernelINS0_14default_configENS1_22reduce_config_selectorIbEEZNS1_11reduce_implILb1ES3_N6hipcub16HIPCUB_304000_NS22TransformInputIteratorIbN2at6native12_GLOBAL__N_19NonZeroOpIN3c104HalfEEEPKSF_lEEPiiNS8_6detail34convert_binary_result_type_wrapperINS8_3SumESJ_iEEEE10hipError_tPvRmT1_T2_T3_mT4_P12ihipStream_tbEUlT_E1_NS1_11comp_targetILNS1_3genE9ELNS1_11target_archE1100ELNS1_3gpuE3ELNS1_3repE0EEENS1_30default_config_static_selectorELNS0_4arch9wavefront6targetE0EEEvSS_,comdat
.Lfunc_end864:
	.size	_ZN7rocprim17ROCPRIM_400000_NS6detail17trampoline_kernelINS0_14default_configENS1_22reduce_config_selectorIbEEZNS1_11reduce_implILb1ES3_N6hipcub16HIPCUB_304000_NS22TransformInputIteratorIbN2at6native12_GLOBAL__N_19NonZeroOpIN3c104HalfEEEPKSF_lEEPiiNS8_6detail34convert_binary_result_type_wrapperINS8_3SumESJ_iEEEE10hipError_tPvRmT1_T2_T3_mT4_P12ihipStream_tbEUlT_E1_NS1_11comp_targetILNS1_3genE9ELNS1_11target_archE1100ELNS1_3gpuE3ELNS1_3repE0EEENS1_30default_config_static_selectorELNS0_4arch9wavefront6targetE0EEEvSS_, .Lfunc_end864-_ZN7rocprim17ROCPRIM_400000_NS6detail17trampoline_kernelINS0_14default_configENS1_22reduce_config_selectorIbEEZNS1_11reduce_implILb1ES3_N6hipcub16HIPCUB_304000_NS22TransformInputIteratorIbN2at6native12_GLOBAL__N_19NonZeroOpIN3c104HalfEEEPKSF_lEEPiiNS8_6detail34convert_binary_result_type_wrapperINS8_3SumESJ_iEEEE10hipError_tPvRmT1_T2_T3_mT4_P12ihipStream_tbEUlT_E1_NS1_11comp_targetILNS1_3genE9ELNS1_11target_archE1100ELNS1_3gpuE3ELNS1_3repE0EEENS1_30default_config_static_selectorELNS0_4arch9wavefront6targetE0EEEvSS_
                                        ; -- End function
	.set _ZN7rocprim17ROCPRIM_400000_NS6detail17trampoline_kernelINS0_14default_configENS1_22reduce_config_selectorIbEEZNS1_11reduce_implILb1ES3_N6hipcub16HIPCUB_304000_NS22TransformInputIteratorIbN2at6native12_GLOBAL__N_19NonZeroOpIN3c104HalfEEEPKSF_lEEPiiNS8_6detail34convert_binary_result_type_wrapperINS8_3SumESJ_iEEEE10hipError_tPvRmT1_T2_T3_mT4_P12ihipStream_tbEUlT_E1_NS1_11comp_targetILNS1_3genE9ELNS1_11target_archE1100ELNS1_3gpuE3ELNS1_3repE0EEENS1_30default_config_static_selectorELNS0_4arch9wavefront6targetE0EEEvSS_.num_vgpr, 0
	.set _ZN7rocprim17ROCPRIM_400000_NS6detail17trampoline_kernelINS0_14default_configENS1_22reduce_config_selectorIbEEZNS1_11reduce_implILb1ES3_N6hipcub16HIPCUB_304000_NS22TransformInputIteratorIbN2at6native12_GLOBAL__N_19NonZeroOpIN3c104HalfEEEPKSF_lEEPiiNS8_6detail34convert_binary_result_type_wrapperINS8_3SumESJ_iEEEE10hipError_tPvRmT1_T2_T3_mT4_P12ihipStream_tbEUlT_E1_NS1_11comp_targetILNS1_3genE9ELNS1_11target_archE1100ELNS1_3gpuE3ELNS1_3repE0EEENS1_30default_config_static_selectorELNS0_4arch9wavefront6targetE0EEEvSS_.num_agpr, 0
	.set _ZN7rocprim17ROCPRIM_400000_NS6detail17trampoline_kernelINS0_14default_configENS1_22reduce_config_selectorIbEEZNS1_11reduce_implILb1ES3_N6hipcub16HIPCUB_304000_NS22TransformInputIteratorIbN2at6native12_GLOBAL__N_19NonZeroOpIN3c104HalfEEEPKSF_lEEPiiNS8_6detail34convert_binary_result_type_wrapperINS8_3SumESJ_iEEEE10hipError_tPvRmT1_T2_T3_mT4_P12ihipStream_tbEUlT_E1_NS1_11comp_targetILNS1_3genE9ELNS1_11target_archE1100ELNS1_3gpuE3ELNS1_3repE0EEENS1_30default_config_static_selectorELNS0_4arch9wavefront6targetE0EEEvSS_.numbered_sgpr, 0
	.set _ZN7rocprim17ROCPRIM_400000_NS6detail17trampoline_kernelINS0_14default_configENS1_22reduce_config_selectorIbEEZNS1_11reduce_implILb1ES3_N6hipcub16HIPCUB_304000_NS22TransformInputIteratorIbN2at6native12_GLOBAL__N_19NonZeroOpIN3c104HalfEEEPKSF_lEEPiiNS8_6detail34convert_binary_result_type_wrapperINS8_3SumESJ_iEEEE10hipError_tPvRmT1_T2_T3_mT4_P12ihipStream_tbEUlT_E1_NS1_11comp_targetILNS1_3genE9ELNS1_11target_archE1100ELNS1_3gpuE3ELNS1_3repE0EEENS1_30default_config_static_selectorELNS0_4arch9wavefront6targetE0EEEvSS_.num_named_barrier, 0
	.set _ZN7rocprim17ROCPRIM_400000_NS6detail17trampoline_kernelINS0_14default_configENS1_22reduce_config_selectorIbEEZNS1_11reduce_implILb1ES3_N6hipcub16HIPCUB_304000_NS22TransformInputIteratorIbN2at6native12_GLOBAL__N_19NonZeroOpIN3c104HalfEEEPKSF_lEEPiiNS8_6detail34convert_binary_result_type_wrapperINS8_3SumESJ_iEEEE10hipError_tPvRmT1_T2_T3_mT4_P12ihipStream_tbEUlT_E1_NS1_11comp_targetILNS1_3genE9ELNS1_11target_archE1100ELNS1_3gpuE3ELNS1_3repE0EEENS1_30default_config_static_selectorELNS0_4arch9wavefront6targetE0EEEvSS_.private_seg_size, 0
	.set _ZN7rocprim17ROCPRIM_400000_NS6detail17trampoline_kernelINS0_14default_configENS1_22reduce_config_selectorIbEEZNS1_11reduce_implILb1ES3_N6hipcub16HIPCUB_304000_NS22TransformInputIteratorIbN2at6native12_GLOBAL__N_19NonZeroOpIN3c104HalfEEEPKSF_lEEPiiNS8_6detail34convert_binary_result_type_wrapperINS8_3SumESJ_iEEEE10hipError_tPvRmT1_T2_T3_mT4_P12ihipStream_tbEUlT_E1_NS1_11comp_targetILNS1_3genE9ELNS1_11target_archE1100ELNS1_3gpuE3ELNS1_3repE0EEENS1_30default_config_static_selectorELNS0_4arch9wavefront6targetE0EEEvSS_.uses_vcc, 0
	.set _ZN7rocprim17ROCPRIM_400000_NS6detail17trampoline_kernelINS0_14default_configENS1_22reduce_config_selectorIbEEZNS1_11reduce_implILb1ES3_N6hipcub16HIPCUB_304000_NS22TransformInputIteratorIbN2at6native12_GLOBAL__N_19NonZeroOpIN3c104HalfEEEPKSF_lEEPiiNS8_6detail34convert_binary_result_type_wrapperINS8_3SumESJ_iEEEE10hipError_tPvRmT1_T2_T3_mT4_P12ihipStream_tbEUlT_E1_NS1_11comp_targetILNS1_3genE9ELNS1_11target_archE1100ELNS1_3gpuE3ELNS1_3repE0EEENS1_30default_config_static_selectorELNS0_4arch9wavefront6targetE0EEEvSS_.uses_flat_scratch, 0
	.set _ZN7rocprim17ROCPRIM_400000_NS6detail17trampoline_kernelINS0_14default_configENS1_22reduce_config_selectorIbEEZNS1_11reduce_implILb1ES3_N6hipcub16HIPCUB_304000_NS22TransformInputIteratorIbN2at6native12_GLOBAL__N_19NonZeroOpIN3c104HalfEEEPKSF_lEEPiiNS8_6detail34convert_binary_result_type_wrapperINS8_3SumESJ_iEEEE10hipError_tPvRmT1_T2_T3_mT4_P12ihipStream_tbEUlT_E1_NS1_11comp_targetILNS1_3genE9ELNS1_11target_archE1100ELNS1_3gpuE3ELNS1_3repE0EEENS1_30default_config_static_selectorELNS0_4arch9wavefront6targetE0EEEvSS_.has_dyn_sized_stack, 0
	.set _ZN7rocprim17ROCPRIM_400000_NS6detail17trampoline_kernelINS0_14default_configENS1_22reduce_config_selectorIbEEZNS1_11reduce_implILb1ES3_N6hipcub16HIPCUB_304000_NS22TransformInputIteratorIbN2at6native12_GLOBAL__N_19NonZeroOpIN3c104HalfEEEPKSF_lEEPiiNS8_6detail34convert_binary_result_type_wrapperINS8_3SumESJ_iEEEE10hipError_tPvRmT1_T2_T3_mT4_P12ihipStream_tbEUlT_E1_NS1_11comp_targetILNS1_3genE9ELNS1_11target_archE1100ELNS1_3gpuE3ELNS1_3repE0EEENS1_30default_config_static_selectorELNS0_4arch9wavefront6targetE0EEEvSS_.has_recursion, 0
	.set _ZN7rocprim17ROCPRIM_400000_NS6detail17trampoline_kernelINS0_14default_configENS1_22reduce_config_selectorIbEEZNS1_11reduce_implILb1ES3_N6hipcub16HIPCUB_304000_NS22TransformInputIteratorIbN2at6native12_GLOBAL__N_19NonZeroOpIN3c104HalfEEEPKSF_lEEPiiNS8_6detail34convert_binary_result_type_wrapperINS8_3SumESJ_iEEEE10hipError_tPvRmT1_T2_T3_mT4_P12ihipStream_tbEUlT_E1_NS1_11comp_targetILNS1_3genE9ELNS1_11target_archE1100ELNS1_3gpuE3ELNS1_3repE0EEENS1_30default_config_static_selectorELNS0_4arch9wavefront6targetE0EEEvSS_.has_indirect_call, 0
	.section	.AMDGPU.csdata,"",@progbits
; Kernel info:
; codeLenInByte = 0
; TotalNumSgprs: 0
; NumVgprs: 0
; ScratchSize: 0
; MemoryBound: 0
; FloatMode: 240
; IeeeMode: 1
; LDSByteSize: 0 bytes/workgroup (compile time only)
; SGPRBlocks: 0
; VGPRBlocks: 0
; NumSGPRsForWavesPerEU: 1
; NumVGPRsForWavesPerEU: 1
; Occupancy: 16
; WaveLimiterHint : 0
; COMPUTE_PGM_RSRC2:SCRATCH_EN: 0
; COMPUTE_PGM_RSRC2:USER_SGPR: 2
; COMPUTE_PGM_RSRC2:TRAP_HANDLER: 0
; COMPUTE_PGM_RSRC2:TGID_X_EN: 1
; COMPUTE_PGM_RSRC2:TGID_Y_EN: 0
; COMPUTE_PGM_RSRC2:TGID_Z_EN: 0
; COMPUTE_PGM_RSRC2:TIDIG_COMP_CNT: 0
	.section	.text._ZN7rocprim17ROCPRIM_400000_NS6detail17trampoline_kernelINS0_14default_configENS1_22reduce_config_selectorIbEEZNS1_11reduce_implILb1ES3_N6hipcub16HIPCUB_304000_NS22TransformInputIteratorIbN2at6native12_GLOBAL__N_19NonZeroOpIN3c104HalfEEEPKSF_lEEPiiNS8_6detail34convert_binary_result_type_wrapperINS8_3SumESJ_iEEEE10hipError_tPvRmT1_T2_T3_mT4_P12ihipStream_tbEUlT_E1_NS1_11comp_targetILNS1_3genE8ELNS1_11target_archE1030ELNS1_3gpuE2ELNS1_3repE0EEENS1_30default_config_static_selectorELNS0_4arch9wavefront6targetE0EEEvSS_,"axG",@progbits,_ZN7rocprim17ROCPRIM_400000_NS6detail17trampoline_kernelINS0_14default_configENS1_22reduce_config_selectorIbEEZNS1_11reduce_implILb1ES3_N6hipcub16HIPCUB_304000_NS22TransformInputIteratorIbN2at6native12_GLOBAL__N_19NonZeroOpIN3c104HalfEEEPKSF_lEEPiiNS8_6detail34convert_binary_result_type_wrapperINS8_3SumESJ_iEEEE10hipError_tPvRmT1_T2_T3_mT4_P12ihipStream_tbEUlT_E1_NS1_11comp_targetILNS1_3genE8ELNS1_11target_archE1030ELNS1_3gpuE2ELNS1_3repE0EEENS1_30default_config_static_selectorELNS0_4arch9wavefront6targetE0EEEvSS_,comdat
	.globl	_ZN7rocprim17ROCPRIM_400000_NS6detail17trampoline_kernelINS0_14default_configENS1_22reduce_config_selectorIbEEZNS1_11reduce_implILb1ES3_N6hipcub16HIPCUB_304000_NS22TransformInputIteratorIbN2at6native12_GLOBAL__N_19NonZeroOpIN3c104HalfEEEPKSF_lEEPiiNS8_6detail34convert_binary_result_type_wrapperINS8_3SumESJ_iEEEE10hipError_tPvRmT1_T2_T3_mT4_P12ihipStream_tbEUlT_E1_NS1_11comp_targetILNS1_3genE8ELNS1_11target_archE1030ELNS1_3gpuE2ELNS1_3repE0EEENS1_30default_config_static_selectorELNS0_4arch9wavefront6targetE0EEEvSS_ ; -- Begin function _ZN7rocprim17ROCPRIM_400000_NS6detail17trampoline_kernelINS0_14default_configENS1_22reduce_config_selectorIbEEZNS1_11reduce_implILb1ES3_N6hipcub16HIPCUB_304000_NS22TransformInputIteratorIbN2at6native12_GLOBAL__N_19NonZeroOpIN3c104HalfEEEPKSF_lEEPiiNS8_6detail34convert_binary_result_type_wrapperINS8_3SumESJ_iEEEE10hipError_tPvRmT1_T2_T3_mT4_P12ihipStream_tbEUlT_E1_NS1_11comp_targetILNS1_3genE8ELNS1_11target_archE1030ELNS1_3gpuE2ELNS1_3repE0EEENS1_30default_config_static_selectorELNS0_4arch9wavefront6targetE0EEEvSS_
	.p2align	8
	.type	_ZN7rocprim17ROCPRIM_400000_NS6detail17trampoline_kernelINS0_14default_configENS1_22reduce_config_selectorIbEEZNS1_11reduce_implILb1ES3_N6hipcub16HIPCUB_304000_NS22TransformInputIteratorIbN2at6native12_GLOBAL__N_19NonZeroOpIN3c104HalfEEEPKSF_lEEPiiNS8_6detail34convert_binary_result_type_wrapperINS8_3SumESJ_iEEEE10hipError_tPvRmT1_T2_T3_mT4_P12ihipStream_tbEUlT_E1_NS1_11comp_targetILNS1_3genE8ELNS1_11target_archE1030ELNS1_3gpuE2ELNS1_3repE0EEENS1_30default_config_static_selectorELNS0_4arch9wavefront6targetE0EEEvSS_,@function
_ZN7rocprim17ROCPRIM_400000_NS6detail17trampoline_kernelINS0_14default_configENS1_22reduce_config_selectorIbEEZNS1_11reduce_implILb1ES3_N6hipcub16HIPCUB_304000_NS22TransformInputIteratorIbN2at6native12_GLOBAL__N_19NonZeroOpIN3c104HalfEEEPKSF_lEEPiiNS8_6detail34convert_binary_result_type_wrapperINS8_3SumESJ_iEEEE10hipError_tPvRmT1_T2_T3_mT4_P12ihipStream_tbEUlT_E1_NS1_11comp_targetILNS1_3genE8ELNS1_11target_archE1030ELNS1_3gpuE2ELNS1_3repE0EEENS1_30default_config_static_selectorELNS0_4arch9wavefront6targetE0EEEvSS_: ; @_ZN7rocprim17ROCPRIM_400000_NS6detail17trampoline_kernelINS0_14default_configENS1_22reduce_config_selectorIbEEZNS1_11reduce_implILb1ES3_N6hipcub16HIPCUB_304000_NS22TransformInputIteratorIbN2at6native12_GLOBAL__N_19NonZeroOpIN3c104HalfEEEPKSF_lEEPiiNS8_6detail34convert_binary_result_type_wrapperINS8_3SumESJ_iEEEE10hipError_tPvRmT1_T2_T3_mT4_P12ihipStream_tbEUlT_E1_NS1_11comp_targetILNS1_3genE8ELNS1_11target_archE1030ELNS1_3gpuE2ELNS1_3repE0EEENS1_30default_config_static_selectorELNS0_4arch9wavefront6targetE0EEEvSS_
; %bb.0:
	.section	.rodata,"a",@progbits
	.p2align	6, 0x0
	.amdhsa_kernel _ZN7rocprim17ROCPRIM_400000_NS6detail17trampoline_kernelINS0_14default_configENS1_22reduce_config_selectorIbEEZNS1_11reduce_implILb1ES3_N6hipcub16HIPCUB_304000_NS22TransformInputIteratorIbN2at6native12_GLOBAL__N_19NonZeroOpIN3c104HalfEEEPKSF_lEEPiiNS8_6detail34convert_binary_result_type_wrapperINS8_3SumESJ_iEEEE10hipError_tPvRmT1_T2_T3_mT4_P12ihipStream_tbEUlT_E1_NS1_11comp_targetILNS1_3genE8ELNS1_11target_archE1030ELNS1_3gpuE2ELNS1_3repE0EEENS1_30default_config_static_selectorELNS0_4arch9wavefront6targetE0EEEvSS_
		.amdhsa_group_segment_fixed_size 0
		.amdhsa_private_segment_fixed_size 0
		.amdhsa_kernarg_size 48
		.amdhsa_user_sgpr_count 2
		.amdhsa_user_sgpr_dispatch_ptr 0
		.amdhsa_user_sgpr_queue_ptr 0
		.amdhsa_user_sgpr_kernarg_segment_ptr 1
		.amdhsa_user_sgpr_dispatch_id 0
		.amdhsa_user_sgpr_private_segment_size 0
		.amdhsa_wavefront_size32 1
		.amdhsa_uses_dynamic_stack 0
		.amdhsa_enable_private_segment 0
		.amdhsa_system_sgpr_workgroup_id_x 1
		.amdhsa_system_sgpr_workgroup_id_y 0
		.amdhsa_system_sgpr_workgroup_id_z 0
		.amdhsa_system_sgpr_workgroup_info 0
		.amdhsa_system_vgpr_workitem_id 0
		.amdhsa_next_free_vgpr 1
		.amdhsa_next_free_sgpr 1
		.amdhsa_reserve_vcc 0
		.amdhsa_float_round_mode_32 0
		.amdhsa_float_round_mode_16_64 0
		.amdhsa_float_denorm_mode_32 3
		.amdhsa_float_denorm_mode_16_64 3
		.amdhsa_fp16_overflow 0
		.amdhsa_workgroup_processor_mode 1
		.amdhsa_memory_ordered 1
		.amdhsa_forward_progress 1
		.amdhsa_inst_pref_size 0
		.amdhsa_round_robin_scheduling 0
		.amdhsa_exception_fp_ieee_invalid_op 0
		.amdhsa_exception_fp_denorm_src 0
		.amdhsa_exception_fp_ieee_div_zero 0
		.amdhsa_exception_fp_ieee_overflow 0
		.amdhsa_exception_fp_ieee_underflow 0
		.amdhsa_exception_fp_ieee_inexact 0
		.amdhsa_exception_int_div_zero 0
	.end_amdhsa_kernel
	.section	.text._ZN7rocprim17ROCPRIM_400000_NS6detail17trampoline_kernelINS0_14default_configENS1_22reduce_config_selectorIbEEZNS1_11reduce_implILb1ES3_N6hipcub16HIPCUB_304000_NS22TransformInputIteratorIbN2at6native12_GLOBAL__N_19NonZeroOpIN3c104HalfEEEPKSF_lEEPiiNS8_6detail34convert_binary_result_type_wrapperINS8_3SumESJ_iEEEE10hipError_tPvRmT1_T2_T3_mT4_P12ihipStream_tbEUlT_E1_NS1_11comp_targetILNS1_3genE8ELNS1_11target_archE1030ELNS1_3gpuE2ELNS1_3repE0EEENS1_30default_config_static_selectorELNS0_4arch9wavefront6targetE0EEEvSS_,"axG",@progbits,_ZN7rocprim17ROCPRIM_400000_NS6detail17trampoline_kernelINS0_14default_configENS1_22reduce_config_selectorIbEEZNS1_11reduce_implILb1ES3_N6hipcub16HIPCUB_304000_NS22TransformInputIteratorIbN2at6native12_GLOBAL__N_19NonZeroOpIN3c104HalfEEEPKSF_lEEPiiNS8_6detail34convert_binary_result_type_wrapperINS8_3SumESJ_iEEEE10hipError_tPvRmT1_T2_T3_mT4_P12ihipStream_tbEUlT_E1_NS1_11comp_targetILNS1_3genE8ELNS1_11target_archE1030ELNS1_3gpuE2ELNS1_3repE0EEENS1_30default_config_static_selectorELNS0_4arch9wavefront6targetE0EEEvSS_,comdat
.Lfunc_end865:
	.size	_ZN7rocprim17ROCPRIM_400000_NS6detail17trampoline_kernelINS0_14default_configENS1_22reduce_config_selectorIbEEZNS1_11reduce_implILb1ES3_N6hipcub16HIPCUB_304000_NS22TransformInputIteratorIbN2at6native12_GLOBAL__N_19NonZeroOpIN3c104HalfEEEPKSF_lEEPiiNS8_6detail34convert_binary_result_type_wrapperINS8_3SumESJ_iEEEE10hipError_tPvRmT1_T2_T3_mT4_P12ihipStream_tbEUlT_E1_NS1_11comp_targetILNS1_3genE8ELNS1_11target_archE1030ELNS1_3gpuE2ELNS1_3repE0EEENS1_30default_config_static_selectorELNS0_4arch9wavefront6targetE0EEEvSS_, .Lfunc_end865-_ZN7rocprim17ROCPRIM_400000_NS6detail17trampoline_kernelINS0_14default_configENS1_22reduce_config_selectorIbEEZNS1_11reduce_implILb1ES3_N6hipcub16HIPCUB_304000_NS22TransformInputIteratorIbN2at6native12_GLOBAL__N_19NonZeroOpIN3c104HalfEEEPKSF_lEEPiiNS8_6detail34convert_binary_result_type_wrapperINS8_3SumESJ_iEEEE10hipError_tPvRmT1_T2_T3_mT4_P12ihipStream_tbEUlT_E1_NS1_11comp_targetILNS1_3genE8ELNS1_11target_archE1030ELNS1_3gpuE2ELNS1_3repE0EEENS1_30default_config_static_selectorELNS0_4arch9wavefront6targetE0EEEvSS_
                                        ; -- End function
	.set _ZN7rocprim17ROCPRIM_400000_NS6detail17trampoline_kernelINS0_14default_configENS1_22reduce_config_selectorIbEEZNS1_11reduce_implILb1ES3_N6hipcub16HIPCUB_304000_NS22TransformInputIteratorIbN2at6native12_GLOBAL__N_19NonZeroOpIN3c104HalfEEEPKSF_lEEPiiNS8_6detail34convert_binary_result_type_wrapperINS8_3SumESJ_iEEEE10hipError_tPvRmT1_T2_T3_mT4_P12ihipStream_tbEUlT_E1_NS1_11comp_targetILNS1_3genE8ELNS1_11target_archE1030ELNS1_3gpuE2ELNS1_3repE0EEENS1_30default_config_static_selectorELNS0_4arch9wavefront6targetE0EEEvSS_.num_vgpr, 0
	.set _ZN7rocprim17ROCPRIM_400000_NS6detail17trampoline_kernelINS0_14default_configENS1_22reduce_config_selectorIbEEZNS1_11reduce_implILb1ES3_N6hipcub16HIPCUB_304000_NS22TransformInputIteratorIbN2at6native12_GLOBAL__N_19NonZeroOpIN3c104HalfEEEPKSF_lEEPiiNS8_6detail34convert_binary_result_type_wrapperINS8_3SumESJ_iEEEE10hipError_tPvRmT1_T2_T3_mT4_P12ihipStream_tbEUlT_E1_NS1_11comp_targetILNS1_3genE8ELNS1_11target_archE1030ELNS1_3gpuE2ELNS1_3repE0EEENS1_30default_config_static_selectorELNS0_4arch9wavefront6targetE0EEEvSS_.num_agpr, 0
	.set _ZN7rocprim17ROCPRIM_400000_NS6detail17trampoline_kernelINS0_14default_configENS1_22reduce_config_selectorIbEEZNS1_11reduce_implILb1ES3_N6hipcub16HIPCUB_304000_NS22TransformInputIteratorIbN2at6native12_GLOBAL__N_19NonZeroOpIN3c104HalfEEEPKSF_lEEPiiNS8_6detail34convert_binary_result_type_wrapperINS8_3SumESJ_iEEEE10hipError_tPvRmT1_T2_T3_mT4_P12ihipStream_tbEUlT_E1_NS1_11comp_targetILNS1_3genE8ELNS1_11target_archE1030ELNS1_3gpuE2ELNS1_3repE0EEENS1_30default_config_static_selectorELNS0_4arch9wavefront6targetE0EEEvSS_.numbered_sgpr, 0
	.set _ZN7rocprim17ROCPRIM_400000_NS6detail17trampoline_kernelINS0_14default_configENS1_22reduce_config_selectorIbEEZNS1_11reduce_implILb1ES3_N6hipcub16HIPCUB_304000_NS22TransformInputIteratorIbN2at6native12_GLOBAL__N_19NonZeroOpIN3c104HalfEEEPKSF_lEEPiiNS8_6detail34convert_binary_result_type_wrapperINS8_3SumESJ_iEEEE10hipError_tPvRmT1_T2_T3_mT4_P12ihipStream_tbEUlT_E1_NS1_11comp_targetILNS1_3genE8ELNS1_11target_archE1030ELNS1_3gpuE2ELNS1_3repE0EEENS1_30default_config_static_selectorELNS0_4arch9wavefront6targetE0EEEvSS_.num_named_barrier, 0
	.set _ZN7rocprim17ROCPRIM_400000_NS6detail17trampoline_kernelINS0_14default_configENS1_22reduce_config_selectorIbEEZNS1_11reduce_implILb1ES3_N6hipcub16HIPCUB_304000_NS22TransformInputIteratorIbN2at6native12_GLOBAL__N_19NonZeroOpIN3c104HalfEEEPKSF_lEEPiiNS8_6detail34convert_binary_result_type_wrapperINS8_3SumESJ_iEEEE10hipError_tPvRmT1_T2_T3_mT4_P12ihipStream_tbEUlT_E1_NS1_11comp_targetILNS1_3genE8ELNS1_11target_archE1030ELNS1_3gpuE2ELNS1_3repE0EEENS1_30default_config_static_selectorELNS0_4arch9wavefront6targetE0EEEvSS_.private_seg_size, 0
	.set _ZN7rocprim17ROCPRIM_400000_NS6detail17trampoline_kernelINS0_14default_configENS1_22reduce_config_selectorIbEEZNS1_11reduce_implILb1ES3_N6hipcub16HIPCUB_304000_NS22TransformInputIteratorIbN2at6native12_GLOBAL__N_19NonZeroOpIN3c104HalfEEEPKSF_lEEPiiNS8_6detail34convert_binary_result_type_wrapperINS8_3SumESJ_iEEEE10hipError_tPvRmT1_T2_T3_mT4_P12ihipStream_tbEUlT_E1_NS1_11comp_targetILNS1_3genE8ELNS1_11target_archE1030ELNS1_3gpuE2ELNS1_3repE0EEENS1_30default_config_static_selectorELNS0_4arch9wavefront6targetE0EEEvSS_.uses_vcc, 0
	.set _ZN7rocprim17ROCPRIM_400000_NS6detail17trampoline_kernelINS0_14default_configENS1_22reduce_config_selectorIbEEZNS1_11reduce_implILb1ES3_N6hipcub16HIPCUB_304000_NS22TransformInputIteratorIbN2at6native12_GLOBAL__N_19NonZeroOpIN3c104HalfEEEPKSF_lEEPiiNS8_6detail34convert_binary_result_type_wrapperINS8_3SumESJ_iEEEE10hipError_tPvRmT1_T2_T3_mT4_P12ihipStream_tbEUlT_E1_NS1_11comp_targetILNS1_3genE8ELNS1_11target_archE1030ELNS1_3gpuE2ELNS1_3repE0EEENS1_30default_config_static_selectorELNS0_4arch9wavefront6targetE0EEEvSS_.uses_flat_scratch, 0
	.set _ZN7rocprim17ROCPRIM_400000_NS6detail17trampoline_kernelINS0_14default_configENS1_22reduce_config_selectorIbEEZNS1_11reduce_implILb1ES3_N6hipcub16HIPCUB_304000_NS22TransformInputIteratorIbN2at6native12_GLOBAL__N_19NonZeroOpIN3c104HalfEEEPKSF_lEEPiiNS8_6detail34convert_binary_result_type_wrapperINS8_3SumESJ_iEEEE10hipError_tPvRmT1_T2_T3_mT4_P12ihipStream_tbEUlT_E1_NS1_11comp_targetILNS1_3genE8ELNS1_11target_archE1030ELNS1_3gpuE2ELNS1_3repE0EEENS1_30default_config_static_selectorELNS0_4arch9wavefront6targetE0EEEvSS_.has_dyn_sized_stack, 0
	.set _ZN7rocprim17ROCPRIM_400000_NS6detail17trampoline_kernelINS0_14default_configENS1_22reduce_config_selectorIbEEZNS1_11reduce_implILb1ES3_N6hipcub16HIPCUB_304000_NS22TransformInputIteratorIbN2at6native12_GLOBAL__N_19NonZeroOpIN3c104HalfEEEPKSF_lEEPiiNS8_6detail34convert_binary_result_type_wrapperINS8_3SumESJ_iEEEE10hipError_tPvRmT1_T2_T3_mT4_P12ihipStream_tbEUlT_E1_NS1_11comp_targetILNS1_3genE8ELNS1_11target_archE1030ELNS1_3gpuE2ELNS1_3repE0EEENS1_30default_config_static_selectorELNS0_4arch9wavefront6targetE0EEEvSS_.has_recursion, 0
	.set _ZN7rocprim17ROCPRIM_400000_NS6detail17trampoline_kernelINS0_14default_configENS1_22reduce_config_selectorIbEEZNS1_11reduce_implILb1ES3_N6hipcub16HIPCUB_304000_NS22TransformInputIteratorIbN2at6native12_GLOBAL__N_19NonZeroOpIN3c104HalfEEEPKSF_lEEPiiNS8_6detail34convert_binary_result_type_wrapperINS8_3SumESJ_iEEEE10hipError_tPvRmT1_T2_T3_mT4_P12ihipStream_tbEUlT_E1_NS1_11comp_targetILNS1_3genE8ELNS1_11target_archE1030ELNS1_3gpuE2ELNS1_3repE0EEENS1_30default_config_static_selectorELNS0_4arch9wavefront6targetE0EEEvSS_.has_indirect_call, 0
	.section	.AMDGPU.csdata,"",@progbits
; Kernel info:
; codeLenInByte = 0
; TotalNumSgprs: 0
; NumVgprs: 0
; ScratchSize: 0
; MemoryBound: 0
; FloatMode: 240
; IeeeMode: 1
; LDSByteSize: 0 bytes/workgroup (compile time only)
; SGPRBlocks: 0
; VGPRBlocks: 0
; NumSGPRsForWavesPerEU: 1
; NumVGPRsForWavesPerEU: 1
; Occupancy: 16
; WaveLimiterHint : 0
; COMPUTE_PGM_RSRC2:SCRATCH_EN: 0
; COMPUTE_PGM_RSRC2:USER_SGPR: 2
; COMPUTE_PGM_RSRC2:TRAP_HANDLER: 0
; COMPUTE_PGM_RSRC2:TGID_X_EN: 1
; COMPUTE_PGM_RSRC2:TGID_Y_EN: 0
; COMPUTE_PGM_RSRC2:TGID_Z_EN: 0
; COMPUTE_PGM_RSRC2:TIDIG_COMP_CNT: 0
	.section	.text._ZN7rocprim17ROCPRIM_400000_NS6detail17trampoline_kernelINS0_14default_configENS1_25partition_config_selectorILNS1_17partition_subalgoE5ElNS0_10empty_typeEbEEZZNS1_14partition_implILS5_5ELb0ES3_mN6hipcub16HIPCUB_304000_NS21CountingInputIteratorIllEEPS6_NSA_22TransformInputIteratorIbN2at6native12_GLOBAL__N_19NonZeroOpIN3c104HalfEEEPKSK_lEENS0_5tupleIJPlS6_EEENSP_IJSD_SD_EEES6_PiJS6_EEE10hipError_tPvRmT3_T4_T5_T6_T7_T9_mT8_P12ihipStream_tbDpT10_ENKUlT_T0_E_clISt17integral_constantIbLb0EES1D_EEDaS18_S19_EUlS18_E_NS1_11comp_targetILNS1_3genE0ELNS1_11target_archE4294967295ELNS1_3gpuE0ELNS1_3repE0EEENS1_30default_config_static_selectorELNS0_4arch9wavefront6targetE0EEEvT1_,"axG",@progbits,_ZN7rocprim17ROCPRIM_400000_NS6detail17trampoline_kernelINS0_14default_configENS1_25partition_config_selectorILNS1_17partition_subalgoE5ElNS0_10empty_typeEbEEZZNS1_14partition_implILS5_5ELb0ES3_mN6hipcub16HIPCUB_304000_NS21CountingInputIteratorIllEEPS6_NSA_22TransformInputIteratorIbN2at6native12_GLOBAL__N_19NonZeroOpIN3c104HalfEEEPKSK_lEENS0_5tupleIJPlS6_EEENSP_IJSD_SD_EEES6_PiJS6_EEE10hipError_tPvRmT3_T4_T5_T6_T7_T9_mT8_P12ihipStream_tbDpT10_ENKUlT_T0_E_clISt17integral_constantIbLb0EES1D_EEDaS18_S19_EUlS18_E_NS1_11comp_targetILNS1_3genE0ELNS1_11target_archE4294967295ELNS1_3gpuE0ELNS1_3repE0EEENS1_30default_config_static_selectorELNS0_4arch9wavefront6targetE0EEEvT1_,comdat
	.globl	_ZN7rocprim17ROCPRIM_400000_NS6detail17trampoline_kernelINS0_14default_configENS1_25partition_config_selectorILNS1_17partition_subalgoE5ElNS0_10empty_typeEbEEZZNS1_14partition_implILS5_5ELb0ES3_mN6hipcub16HIPCUB_304000_NS21CountingInputIteratorIllEEPS6_NSA_22TransformInputIteratorIbN2at6native12_GLOBAL__N_19NonZeroOpIN3c104HalfEEEPKSK_lEENS0_5tupleIJPlS6_EEENSP_IJSD_SD_EEES6_PiJS6_EEE10hipError_tPvRmT3_T4_T5_T6_T7_T9_mT8_P12ihipStream_tbDpT10_ENKUlT_T0_E_clISt17integral_constantIbLb0EES1D_EEDaS18_S19_EUlS18_E_NS1_11comp_targetILNS1_3genE0ELNS1_11target_archE4294967295ELNS1_3gpuE0ELNS1_3repE0EEENS1_30default_config_static_selectorELNS0_4arch9wavefront6targetE0EEEvT1_ ; -- Begin function _ZN7rocprim17ROCPRIM_400000_NS6detail17trampoline_kernelINS0_14default_configENS1_25partition_config_selectorILNS1_17partition_subalgoE5ElNS0_10empty_typeEbEEZZNS1_14partition_implILS5_5ELb0ES3_mN6hipcub16HIPCUB_304000_NS21CountingInputIteratorIllEEPS6_NSA_22TransformInputIteratorIbN2at6native12_GLOBAL__N_19NonZeroOpIN3c104HalfEEEPKSK_lEENS0_5tupleIJPlS6_EEENSP_IJSD_SD_EEES6_PiJS6_EEE10hipError_tPvRmT3_T4_T5_T6_T7_T9_mT8_P12ihipStream_tbDpT10_ENKUlT_T0_E_clISt17integral_constantIbLb0EES1D_EEDaS18_S19_EUlS18_E_NS1_11comp_targetILNS1_3genE0ELNS1_11target_archE4294967295ELNS1_3gpuE0ELNS1_3repE0EEENS1_30default_config_static_selectorELNS0_4arch9wavefront6targetE0EEEvT1_
	.p2align	8
	.type	_ZN7rocprim17ROCPRIM_400000_NS6detail17trampoline_kernelINS0_14default_configENS1_25partition_config_selectorILNS1_17partition_subalgoE5ElNS0_10empty_typeEbEEZZNS1_14partition_implILS5_5ELb0ES3_mN6hipcub16HIPCUB_304000_NS21CountingInputIteratorIllEEPS6_NSA_22TransformInputIteratorIbN2at6native12_GLOBAL__N_19NonZeroOpIN3c104HalfEEEPKSK_lEENS0_5tupleIJPlS6_EEENSP_IJSD_SD_EEES6_PiJS6_EEE10hipError_tPvRmT3_T4_T5_T6_T7_T9_mT8_P12ihipStream_tbDpT10_ENKUlT_T0_E_clISt17integral_constantIbLb0EES1D_EEDaS18_S19_EUlS18_E_NS1_11comp_targetILNS1_3genE0ELNS1_11target_archE4294967295ELNS1_3gpuE0ELNS1_3repE0EEENS1_30default_config_static_selectorELNS0_4arch9wavefront6targetE0EEEvT1_,@function
_ZN7rocprim17ROCPRIM_400000_NS6detail17trampoline_kernelINS0_14default_configENS1_25partition_config_selectorILNS1_17partition_subalgoE5ElNS0_10empty_typeEbEEZZNS1_14partition_implILS5_5ELb0ES3_mN6hipcub16HIPCUB_304000_NS21CountingInputIteratorIllEEPS6_NSA_22TransformInputIteratorIbN2at6native12_GLOBAL__N_19NonZeroOpIN3c104HalfEEEPKSK_lEENS0_5tupleIJPlS6_EEENSP_IJSD_SD_EEES6_PiJS6_EEE10hipError_tPvRmT3_T4_T5_T6_T7_T9_mT8_P12ihipStream_tbDpT10_ENKUlT_T0_E_clISt17integral_constantIbLb0EES1D_EEDaS18_S19_EUlS18_E_NS1_11comp_targetILNS1_3genE0ELNS1_11target_archE4294967295ELNS1_3gpuE0ELNS1_3repE0EEENS1_30default_config_static_selectorELNS0_4arch9wavefront6targetE0EEEvT1_: ; @_ZN7rocprim17ROCPRIM_400000_NS6detail17trampoline_kernelINS0_14default_configENS1_25partition_config_selectorILNS1_17partition_subalgoE5ElNS0_10empty_typeEbEEZZNS1_14partition_implILS5_5ELb0ES3_mN6hipcub16HIPCUB_304000_NS21CountingInputIteratorIllEEPS6_NSA_22TransformInputIteratorIbN2at6native12_GLOBAL__N_19NonZeroOpIN3c104HalfEEEPKSK_lEENS0_5tupleIJPlS6_EEENSP_IJSD_SD_EEES6_PiJS6_EEE10hipError_tPvRmT3_T4_T5_T6_T7_T9_mT8_P12ihipStream_tbDpT10_ENKUlT_T0_E_clISt17integral_constantIbLb0EES1D_EEDaS18_S19_EUlS18_E_NS1_11comp_targetILNS1_3genE0ELNS1_11target_archE4294967295ELNS1_3gpuE0ELNS1_3repE0EEENS1_30default_config_static_selectorELNS0_4arch9wavefront6targetE0EEEvT1_
; %bb.0:
	.section	.rodata,"a",@progbits
	.p2align	6, 0x0
	.amdhsa_kernel _ZN7rocprim17ROCPRIM_400000_NS6detail17trampoline_kernelINS0_14default_configENS1_25partition_config_selectorILNS1_17partition_subalgoE5ElNS0_10empty_typeEbEEZZNS1_14partition_implILS5_5ELb0ES3_mN6hipcub16HIPCUB_304000_NS21CountingInputIteratorIllEEPS6_NSA_22TransformInputIteratorIbN2at6native12_GLOBAL__N_19NonZeroOpIN3c104HalfEEEPKSK_lEENS0_5tupleIJPlS6_EEENSP_IJSD_SD_EEES6_PiJS6_EEE10hipError_tPvRmT3_T4_T5_T6_T7_T9_mT8_P12ihipStream_tbDpT10_ENKUlT_T0_E_clISt17integral_constantIbLb0EES1D_EEDaS18_S19_EUlS18_E_NS1_11comp_targetILNS1_3genE0ELNS1_11target_archE4294967295ELNS1_3gpuE0ELNS1_3repE0EEENS1_30default_config_static_selectorELNS0_4arch9wavefront6targetE0EEEvT1_
		.amdhsa_group_segment_fixed_size 0
		.amdhsa_private_segment_fixed_size 0
		.amdhsa_kernarg_size 120
		.amdhsa_user_sgpr_count 2
		.amdhsa_user_sgpr_dispatch_ptr 0
		.amdhsa_user_sgpr_queue_ptr 0
		.amdhsa_user_sgpr_kernarg_segment_ptr 1
		.amdhsa_user_sgpr_dispatch_id 0
		.amdhsa_user_sgpr_private_segment_size 0
		.amdhsa_wavefront_size32 1
		.amdhsa_uses_dynamic_stack 0
		.amdhsa_enable_private_segment 0
		.amdhsa_system_sgpr_workgroup_id_x 1
		.amdhsa_system_sgpr_workgroup_id_y 0
		.amdhsa_system_sgpr_workgroup_id_z 0
		.amdhsa_system_sgpr_workgroup_info 0
		.amdhsa_system_vgpr_workitem_id 0
		.amdhsa_next_free_vgpr 1
		.amdhsa_next_free_sgpr 1
		.amdhsa_reserve_vcc 0
		.amdhsa_float_round_mode_32 0
		.amdhsa_float_round_mode_16_64 0
		.amdhsa_float_denorm_mode_32 3
		.amdhsa_float_denorm_mode_16_64 3
		.amdhsa_fp16_overflow 0
		.amdhsa_workgroup_processor_mode 1
		.amdhsa_memory_ordered 1
		.amdhsa_forward_progress 1
		.amdhsa_inst_pref_size 0
		.amdhsa_round_robin_scheduling 0
		.amdhsa_exception_fp_ieee_invalid_op 0
		.amdhsa_exception_fp_denorm_src 0
		.amdhsa_exception_fp_ieee_div_zero 0
		.amdhsa_exception_fp_ieee_overflow 0
		.amdhsa_exception_fp_ieee_underflow 0
		.amdhsa_exception_fp_ieee_inexact 0
		.amdhsa_exception_int_div_zero 0
	.end_amdhsa_kernel
	.section	.text._ZN7rocprim17ROCPRIM_400000_NS6detail17trampoline_kernelINS0_14default_configENS1_25partition_config_selectorILNS1_17partition_subalgoE5ElNS0_10empty_typeEbEEZZNS1_14partition_implILS5_5ELb0ES3_mN6hipcub16HIPCUB_304000_NS21CountingInputIteratorIllEEPS6_NSA_22TransformInputIteratorIbN2at6native12_GLOBAL__N_19NonZeroOpIN3c104HalfEEEPKSK_lEENS0_5tupleIJPlS6_EEENSP_IJSD_SD_EEES6_PiJS6_EEE10hipError_tPvRmT3_T4_T5_T6_T7_T9_mT8_P12ihipStream_tbDpT10_ENKUlT_T0_E_clISt17integral_constantIbLb0EES1D_EEDaS18_S19_EUlS18_E_NS1_11comp_targetILNS1_3genE0ELNS1_11target_archE4294967295ELNS1_3gpuE0ELNS1_3repE0EEENS1_30default_config_static_selectorELNS0_4arch9wavefront6targetE0EEEvT1_,"axG",@progbits,_ZN7rocprim17ROCPRIM_400000_NS6detail17trampoline_kernelINS0_14default_configENS1_25partition_config_selectorILNS1_17partition_subalgoE5ElNS0_10empty_typeEbEEZZNS1_14partition_implILS5_5ELb0ES3_mN6hipcub16HIPCUB_304000_NS21CountingInputIteratorIllEEPS6_NSA_22TransformInputIteratorIbN2at6native12_GLOBAL__N_19NonZeroOpIN3c104HalfEEEPKSK_lEENS0_5tupleIJPlS6_EEENSP_IJSD_SD_EEES6_PiJS6_EEE10hipError_tPvRmT3_T4_T5_T6_T7_T9_mT8_P12ihipStream_tbDpT10_ENKUlT_T0_E_clISt17integral_constantIbLb0EES1D_EEDaS18_S19_EUlS18_E_NS1_11comp_targetILNS1_3genE0ELNS1_11target_archE4294967295ELNS1_3gpuE0ELNS1_3repE0EEENS1_30default_config_static_selectorELNS0_4arch9wavefront6targetE0EEEvT1_,comdat
.Lfunc_end866:
	.size	_ZN7rocprim17ROCPRIM_400000_NS6detail17trampoline_kernelINS0_14default_configENS1_25partition_config_selectorILNS1_17partition_subalgoE5ElNS0_10empty_typeEbEEZZNS1_14partition_implILS5_5ELb0ES3_mN6hipcub16HIPCUB_304000_NS21CountingInputIteratorIllEEPS6_NSA_22TransformInputIteratorIbN2at6native12_GLOBAL__N_19NonZeroOpIN3c104HalfEEEPKSK_lEENS0_5tupleIJPlS6_EEENSP_IJSD_SD_EEES6_PiJS6_EEE10hipError_tPvRmT3_T4_T5_T6_T7_T9_mT8_P12ihipStream_tbDpT10_ENKUlT_T0_E_clISt17integral_constantIbLb0EES1D_EEDaS18_S19_EUlS18_E_NS1_11comp_targetILNS1_3genE0ELNS1_11target_archE4294967295ELNS1_3gpuE0ELNS1_3repE0EEENS1_30default_config_static_selectorELNS0_4arch9wavefront6targetE0EEEvT1_, .Lfunc_end866-_ZN7rocprim17ROCPRIM_400000_NS6detail17trampoline_kernelINS0_14default_configENS1_25partition_config_selectorILNS1_17partition_subalgoE5ElNS0_10empty_typeEbEEZZNS1_14partition_implILS5_5ELb0ES3_mN6hipcub16HIPCUB_304000_NS21CountingInputIteratorIllEEPS6_NSA_22TransformInputIteratorIbN2at6native12_GLOBAL__N_19NonZeroOpIN3c104HalfEEEPKSK_lEENS0_5tupleIJPlS6_EEENSP_IJSD_SD_EEES6_PiJS6_EEE10hipError_tPvRmT3_T4_T5_T6_T7_T9_mT8_P12ihipStream_tbDpT10_ENKUlT_T0_E_clISt17integral_constantIbLb0EES1D_EEDaS18_S19_EUlS18_E_NS1_11comp_targetILNS1_3genE0ELNS1_11target_archE4294967295ELNS1_3gpuE0ELNS1_3repE0EEENS1_30default_config_static_selectorELNS0_4arch9wavefront6targetE0EEEvT1_
                                        ; -- End function
	.set _ZN7rocprim17ROCPRIM_400000_NS6detail17trampoline_kernelINS0_14default_configENS1_25partition_config_selectorILNS1_17partition_subalgoE5ElNS0_10empty_typeEbEEZZNS1_14partition_implILS5_5ELb0ES3_mN6hipcub16HIPCUB_304000_NS21CountingInputIteratorIllEEPS6_NSA_22TransformInputIteratorIbN2at6native12_GLOBAL__N_19NonZeroOpIN3c104HalfEEEPKSK_lEENS0_5tupleIJPlS6_EEENSP_IJSD_SD_EEES6_PiJS6_EEE10hipError_tPvRmT3_T4_T5_T6_T7_T9_mT8_P12ihipStream_tbDpT10_ENKUlT_T0_E_clISt17integral_constantIbLb0EES1D_EEDaS18_S19_EUlS18_E_NS1_11comp_targetILNS1_3genE0ELNS1_11target_archE4294967295ELNS1_3gpuE0ELNS1_3repE0EEENS1_30default_config_static_selectorELNS0_4arch9wavefront6targetE0EEEvT1_.num_vgpr, 0
	.set _ZN7rocprim17ROCPRIM_400000_NS6detail17trampoline_kernelINS0_14default_configENS1_25partition_config_selectorILNS1_17partition_subalgoE5ElNS0_10empty_typeEbEEZZNS1_14partition_implILS5_5ELb0ES3_mN6hipcub16HIPCUB_304000_NS21CountingInputIteratorIllEEPS6_NSA_22TransformInputIteratorIbN2at6native12_GLOBAL__N_19NonZeroOpIN3c104HalfEEEPKSK_lEENS0_5tupleIJPlS6_EEENSP_IJSD_SD_EEES6_PiJS6_EEE10hipError_tPvRmT3_T4_T5_T6_T7_T9_mT8_P12ihipStream_tbDpT10_ENKUlT_T0_E_clISt17integral_constantIbLb0EES1D_EEDaS18_S19_EUlS18_E_NS1_11comp_targetILNS1_3genE0ELNS1_11target_archE4294967295ELNS1_3gpuE0ELNS1_3repE0EEENS1_30default_config_static_selectorELNS0_4arch9wavefront6targetE0EEEvT1_.num_agpr, 0
	.set _ZN7rocprim17ROCPRIM_400000_NS6detail17trampoline_kernelINS0_14default_configENS1_25partition_config_selectorILNS1_17partition_subalgoE5ElNS0_10empty_typeEbEEZZNS1_14partition_implILS5_5ELb0ES3_mN6hipcub16HIPCUB_304000_NS21CountingInputIteratorIllEEPS6_NSA_22TransformInputIteratorIbN2at6native12_GLOBAL__N_19NonZeroOpIN3c104HalfEEEPKSK_lEENS0_5tupleIJPlS6_EEENSP_IJSD_SD_EEES6_PiJS6_EEE10hipError_tPvRmT3_T4_T5_T6_T7_T9_mT8_P12ihipStream_tbDpT10_ENKUlT_T0_E_clISt17integral_constantIbLb0EES1D_EEDaS18_S19_EUlS18_E_NS1_11comp_targetILNS1_3genE0ELNS1_11target_archE4294967295ELNS1_3gpuE0ELNS1_3repE0EEENS1_30default_config_static_selectorELNS0_4arch9wavefront6targetE0EEEvT1_.numbered_sgpr, 0
	.set _ZN7rocprim17ROCPRIM_400000_NS6detail17trampoline_kernelINS0_14default_configENS1_25partition_config_selectorILNS1_17partition_subalgoE5ElNS0_10empty_typeEbEEZZNS1_14partition_implILS5_5ELb0ES3_mN6hipcub16HIPCUB_304000_NS21CountingInputIteratorIllEEPS6_NSA_22TransformInputIteratorIbN2at6native12_GLOBAL__N_19NonZeroOpIN3c104HalfEEEPKSK_lEENS0_5tupleIJPlS6_EEENSP_IJSD_SD_EEES6_PiJS6_EEE10hipError_tPvRmT3_T4_T5_T6_T7_T9_mT8_P12ihipStream_tbDpT10_ENKUlT_T0_E_clISt17integral_constantIbLb0EES1D_EEDaS18_S19_EUlS18_E_NS1_11comp_targetILNS1_3genE0ELNS1_11target_archE4294967295ELNS1_3gpuE0ELNS1_3repE0EEENS1_30default_config_static_selectorELNS0_4arch9wavefront6targetE0EEEvT1_.num_named_barrier, 0
	.set _ZN7rocprim17ROCPRIM_400000_NS6detail17trampoline_kernelINS0_14default_configENS1_25partition_config_selectorILNS1_17partition_subalgoE5ElNS0_10empty_typeEbEEZZNS1_14partition_implILS5_5ELb0ES3_mN6hipcub16HIPCUB_304000_NS21CountingInputIteratorIllEEPS6_NSA_22TransformInputIteratorIbN2at6native12_GLOBAL__N_19NonZeroOpIN3c104HalfEEEPKSK_lEENS0_5tupleIJPlS6_EEENSP_IJSD_SD_EEES6_PiJS6_EEE10hipError_tPvRmT3_T4_T5_T6_T7_T9_mT8_P12ihipStream_tbDpT10_ENKUlT_T0_E_clISt17integral_constantIbLb0EES1D_EEDaS18_S19_EUlS18_E_NS1_11comp_targetILNS1_3genE0ELNS1_11target_archE4294967295ELNS1_3gpuE0ELNS1_3repE0EEENS1_30default_config_static_selectorELNS0_4arch9wavefront6targetE0EEEvT1_.private_seg_size, 0
	.set _ZN7rocprim17ROCPRIM_400000_NS6detail17trampoline_kernelINS0_14default_configENS1_25partition_config_selectorILNS1_17partition_subalgoE5ElNS0_10empty_typeEbEEZZNS1_14partition_implILS5_5ELb0ES3_mN6hipcub16HIPCUB_304000_NS21CountingInputIteratorIllEEPS6_NSA_22TransformInputIteratorIbN2at6native12_GLOBAL__N_19NonZeroOpIN3c104HalfEEEPKSK_lEENS0_5tupleIJPlS6_EEENSP_IJSD_SD_EEES6_PiJS6_EEE10hipError_tPvRmT3_T4_T5_T6_T7_T9_mT8_P12ihipStream_tbDpT10_ENKUlT_T0_E_clISt17integral_constantIbLb0EES1D_EEDaS18_S19_EUlS18_E_NS1_11comp_targetILNS1_3genE0ELNS1_11target_archE4294967295ELNS1_3gpuE0ELNS1_3repE0EEENS1_30default_config_static_selectorELNS0_4arch9wavefront6targetE0EEEvT1_.uses_vcc, 0
	.set _ZN7rocprim17ROCPRIM_400000_NS6detail17trampoline_kernelINS0_14default_configENS1_25partition_config_selectorILNS1_17partition_subalgoE5ElNS0_10empty_typeEbEEZZNS1_14partition_implILS5_5ELb0ES3_mN6hipcub16HIPCUB_304000_NS21CountingInputIteratorIllEEPS6_NSA_22TransformInputIteratorIbN2at6native12_GLOBAL__N_19NonZeroOpIN3c104HalfEEEPKSK_lEENS0_5tupleIJPlS6_EEENSP_IJSD_SD_EEES6_PiJS6_EEE10hipError_tPvRmT3_T4_T5_T6_T7_T9_mT8_P12ihipStream_tbDpT10_ENKUlT_T0_E_clISt17integral_constantIbLb0EES1D_EEDaS18_S19_EUlS18_E_NS1_11comp_targetILNS1_3genE0ELNS1_11target_archE4294967295ELNS1_3gpuE0ELNS1_3repE0EEENS1_30default_config_static_selectorELNS0_4arch9wavefront6targetE0EEEvT1_.uses_flat_scratch, 0
	.set _ZN7rocprim17ROCPRIM_400000_NS6detail17trampoline_kernelINS0_14default_configENS1_25partition_config_selectorILNS1_17partition_subalgoE5ElNS0_10empty_typeEbEEZZNS1_14partition_implILS5_5ELb0ES3_mN6hipcub16HIPCUB_304000_NS21CountingInputIteratorIllEEPS6_NSA_22TransformInputIteratorIbN2at6native12_GLOBAL__N_19NonZeroOpIN3c104HalfEEEPKSK_lEENS0_5tupleIJPlS6_EEENSP_IJSD_SD_EEES6_PiJS6_EEE10hipError_tPvRmT3_T4_T5_T6_T7_T9_mT8_P12ihipStream_tbDpT10_ENKUlT_T0_E_clISt17integral_constantIbLb0EES1D_EEDaS18_S19_EUlS18_E_NS1_11comp_targetILNS1_3genE0ELNS1_11target_archE4294967295ELNS1_3gpuE0ELNS1_3repE0EEENS1_30default_config_static_selectorELNS0_4arch9wavefront6targetE0EEEvT1_.has_dyn_sized_stack, 0
	.set _ZN7rocprim17ROCPRIM_400000_NS6detail17trampoline_kernelINS0_14default_configENS1_25partition_config_selectorILNS1_17partition_subalgoE5ElNS0_10empty_typeEbEEZZNS1_14partition_implILS5_5ELb0ES3_mN6hipcub16HIPCUB_304000_NS21CountingInputIteratorIllEEPS6_NSA_22TransformInputIteratorIbN2at6native12_GLOBAL__N_19NonZeroOpIN3c104HalfEEEPKSK_lEENS0_5tupleIJPlS6_EEENSP_IJSD_SD_EEES6_PiJS6_EEE10hipError_tPvRmT3_T4_T5_T6_T7_T9_mT8_P12ihipStream_tbDpT10_ENKUlT_T0_E_clISt17integral_constantIbLb0EES1D_EEDaS18_S19_EUlS18_E_NS1_11comp_targetILNS1_3genE0ELNS1_11target_archE4294967295ELNS1_3gpuE0ELNS1_3repE0EEENS1_30default_config_static_selectorELNS0_4arch9wavefront6targetE0EEEvT1_.has_recursion, 0
	.set _ZN7rocprim17ROCPRIM_400000_NS6detail17trampoline_kernelINS0_14default_configENS1_25partition_config_selectorILNS1_17partition_subalgoE5ElNS0_10empty_typeEbEEZZNS1_14partition_implILS5_5ELb0ES3_mN6hipcub16HIPCUB_304000_NS21CountingInputIteratorIllEEPS6_NSA_22TransformInputIteratorIbN2at6native12_GLOBAL__N_19NonZeroOpIN3c104HalfEEEPKSK_lEENS0_5tupleIJPlS6_EEENSP_IJSD_SD_EEES6_PiJS6_EEE10hipError_tPvRmT3_T4_T5_T6_T7_T9_mT8_P12ihipStream_tbDpT10_ENKUlT_T0_E_clISt17integral_constantIbLb0EES1D_EEDaS18_S19_EUlS18_E_NS1_11comp_targetILNS1_3genE0ELNS1_11target_archE4294967295ELNS1_3gpuE0ELNS1_3repE0EEENS1_30default_config_static_selectorELNS0_4arch9wavefront6targetE0EEEvT1_.has_indirect_call, 0
	.section	.AMDGPU.csdata,"",@progbits
; Kernel info:
; codeLenInByte = 0
; TotalNumSgprs: 0
; NumVgprs: 0
; ScratchSize: 0
; MemoryBound: 0
; FloatMode: 240
; IeeeMode: 1
; LDSByteSize: 0 bytes/workgroup (compile time only)
; SGPRBlocks: 0
; VGPRBlocks: 0
; NumSGPRsForWavesPerEU: 1
; NumVGPRsForWavesPerEU: 1
; Occupancy: 16
; WaveLimiterHint : 0
; COMPUTE_PGM_RSRC2:SCRATCH_EN: 0
; COMPUTE_PGM_RSRC2:USER_SGPR: 2
; COMPUTE_PGM_RSRC2:TRAP_HANDLER: 0
; COMPUTE_PGM_RSRC2:TGID_X_EN: 1
; COMPUTE_PGM_RSRC2:TGID_Y_EN: 0
; COMPUTE_PGM_RSRC2:TGID_Z_EN: 0
; COMPUTE_PGM_RSRC2:TIDIG_COMP_CNT: 0
	.section	.text._ZN7rocprim17ROCPRIM_400000_NS6detail17trampoline_kernelINS0_14default_configENS1_25partition_config_selectorILNS1_17partition_subalgoE5ElNS0_10empty_typeEbEEZZNS1_14partition_implILS5_5ELb0ES3_mN6hipcub16HIPCUB_304000_NS21CountingInputIteratorIllEEPS6_NSA_22TransformInputIteratorIbN2at6native12_GLOBAL__N_19NonZeroOpIN3c104HalfEEEPKSK_lEENS0_5tupleIJPlS6_EEENSP_IJSD_SD_EEES6_PiJS6_EEE10hipError_tPvRmT3_T4_T5_T6_T7_T9_mT8_P12ihipStream_tbDpT10_ENKUlT_T0_E_clISt17integral_constantIbLb0EES1D_EEDaS18_S19_EUlS18_E_NS1_11comp_targetILNS1_3genE5ELNS1_11target_archE942ELNS1_3gpuE9ELNS1_3repE0EEENS1_30default_config_static_selectorELNS0_4arch9wavefront6targetE0EEEvT1_,"axG",@progbits,_ZN7rocprim17ROCPRIM_400000_NS6detail17trampoline_kernelINS0_14default_configENS1_25partition_config_selectorILNS1_17partition_subalgoE5ElNS0_10empty_typeEbEEZZNS1_14partition_implILS5_5ELb0ES3_mN6hipcub16HIPCUB_304000_NS21CountingInputIteratorIllEEPS6_NSA_22TransformInputIteratorIbN2at6native12_GLOBAL__N_19NonZeroOpIN3c104HalfEEEPKSK_lEENS0_5tupleIJPlS6_EEENSP_IJSD_SD_EEES6_PiJS6_EEE10hipError_tPvRmT3_T4_T5_T6_T7_T9_mT8_P12ihipStream_tbDpT10_ENKUlT_T0_E_clISt17integral_constantIbLb0EES1D_EEDaS18_S19_EUlS18_E_NS1_11comp_targetILNS1_3genE5ELNS1_11target_archE942ELNS1_3gpuE9ELNS1_3repE0EEENS1_30default_config_static_selectorELNS0_4arch9wavefront6targetE0EEEvT1_,comdat
	.globl	_ZN7rocprim17ROCPRIM_400000_NS6detail17trampoline_kernelINS0_14default_configENS1_25partition_config_selectorILNS1_17partition_subalgoE5ElNS0_10empty_typeEbEEZZNS1_14partition_implILS5_5ELb0ES3_mN6hipcub16HIPCUB_304000_NS21CountingInputIteratorIllEEPS6_NSA_22TransformInputIteratorIbN2at6native12_GLOBAL__N_19NonZeroOpIN3c104HalfEEEPKSK_lEENS0_5tupleIJPlS6_EEENSP_IJSD_SD_EEES6_PiJS6_EEE10hipError_tPvRmT3_T4_T5_T6_T7_T9_mT8_P12ihipStream_tbDpT10_ENKUlT_T0_E_clISt17integral_constantIbLb0EES1D_EEDaS18_S19_EUlS18_E_NS1_11comp_targetILNS1_3genE5ELNS1_11target_archE942ELNS1_3gpuE9ELNS1_3repE0EEENS1_30default_config_static_selectorELNS0_4arch9wavefront6targetE0EEEvT1_ ; -- Begin function _ZN7rocprim17ROCPRIM_400000_NS6detail17trampoline_kernelINS0_14default_configENS1_25partition_config_selectorILNS1_17partition_subalgoE5ElNS0_10empty_typeEbEEZZNS1_14partition_implILS5_5ELb0ES3_mN6hipcub16HIPCUB_304000_NS21CountingInputIteratorIllEEPS6_NSA_22TransformInputIteratorIbN2at6native12_GLOBAL__N_19NonZeroOpIN3c104HalfEEEPKSK_lEENS0_5tupleIJPlS6_EEENSP_IJSD_SD_EEES6_PiJS6_EEE10hipError_tPvRmT3_T4_T5_T6_T7_T9_mT8_P12ihipStream_tbDpT10_ENKUlT_T0_E_clISt17integral_constantIbLb0EES1D_EEDaS18_S19_EUlS18_E_NS1_11comp_targetILNS1_3genE5ELNS1_11target_archE942ELNS1_3gpuE9ELNS1_3repE0EEENS1_30default_config_static_selectorELNS0_4arch9wavefront6targetE0EEEvT1_
	.p2align	8
	.type	_ZN7rocprim17ROCPRIM_400000_NS6detail17trampoline_kernelINS0_14default_configENS1_25partition_config_selectorILNS1_17partition_subalgoE5ElNS0_10empty_typeEbEEZZNS1_14partition_implILS5_5ELb0ES3_mN6hipcub16HIPCUB_304000_NS21CountingInputIteratorIllEEPS6_NSA_22TransformInputIteratorIbN2at6native12_GLOBAL__N_19NonZeroOpIN3c104HalfEEEPKSK_lEENS0_5tupleIJPlS6_EEENSP_IJSD_SD_EEES6_PiJS6_EEE10hipError_tPvRmT3_T4_T5_T6_T7_T9_mT8_P12ihipStream_tbDpT10_ENKUlT_T0_E_clISt17integral_constantIbLb0EES1D_EEDaS18_S19_EUlS18_E_NS1_11comp_targetILNS1_3genE5ELNS1_11target_archE942ELNS1_3gpuE9ELNS1_3repE0EEENS1_30default_config_static_selectorELNS0_4arch9wavefront6targetE0EEEvT1_,@function
_ZN7rocprim17ROCPRIM_400000_NS6detail17trampoline_kernelINS0_14default_configENS1_25partition_config_selectorILNS1_17partition_subalgoE5ElNS0_10empty_typeEbEEZZNS1_14partition_implILS5_5ELb0ES3_mN6hipcub16HIPCUB_304000_NS21CountingInputIteratorIllEEPS6_NSA_22TransformInputIteratorIbN2at6native12_GLOBAL__N_19NonZeroOpIN3c104HalfEEEPKSK_lEENS0_5tupleIJPlS6_EEENSP_IJSD_SD_EEES6_PiJS6_EEE10hipError_tPvRmT3_T4_T5_T6_T7_T9_mT8_P12ihipStream_tbDpT10_ENKUlT_T0_E_clISt17integral_constantIbLb0EES1D_EEDaS18_S19_EUlS18_E_NS1_11comp_targetILNS1_3genE5ELNS1_11target_archE942ELNS1_3gpuE9ELNS1_3repE0EEENS1_30default_config_static_selectorELNS0_4arch9wavefront6targetE0EEEvT1_: ; @_ZN7rocprim17ROCPRIM_400000_NS6detail17trampoline_kernelINS0_14default_configENS1_25partition_config_selectorILNS1_17partition_subalgoE5ElNS0_10empty_typeEbEEZZNS1_14partition_implILS5_5ELb0ES3_mN6hipcub16HIPCUB_304000_NS21CountingInputIteratorIllEEPS6_NSA_22TransformInputIteratorIbN2at6native12_GLOBAL__N_19NonZeroOpIN3c104HalfEEEPKSK_lEENS0_5tupleIJPlS6_EEENSP_IJSD_SD_EEES6_PiJS6_EEE10hipError_tPvRmT3_T4_T5_T6_T7_T9_mT8_P12ihipStream_tbDpT10_ENKUlT_T0_E_clISt17integral_constantIbLb0EES1D_EEDaS18_S19_EUlS18_E_NS1_11comp_targetILNS1_3genE5ELNS1_11target_archE942ELNS1_3gpuE9ELNS1_3repE0EEENS1_30default_config_static_selectorELNS0_4arch9wavefront6targetE0EEEvT1_
; %bb.0:
	.section	.rodata,"a",@progbits
	.p2align	6, 0x0
	.amdhsa_kernel _ZN7rocprim17ROCPRIM_400000_NS6detail17trampoline_kernelINS0_14default_configENS1_25partition_config_selectorILNS1_17partition_subalgoE5ElNS0_10empty_typeEbEEZZNS1_14partition_implILS5_5ELb0ES3_mN6hipcub16HIPCUB_304000_NS21CountingInputIteratorIllEEPS6_NSA_22TransformInputIteratorIbN2at6native12_GLOBAL__N_19NonZeroOpIN3c104HalfEEEPKSK_lEENS0_5tupleIJPlS6_EEENSP_IJSD_SD_EEES6_PiJS6_EEE10hipError_tPvRmT3_T4_T5_T6_T7_T9_mT8_P12ihipStream_tbDpT10_ENKUlT_T0_E_clISt17integral_constantIbLb0EES1D_EEDaS18_S19_EUlS18_E_NS1_11comp_targetILNS1_3genE5ELNS1_11target_archE942ELNS1_3gpuE9ELNS1_3repE0EEENS1_30default_config_static_selectorELNS0_4arch9wavefront6targetE0EEEvT1_
		.amdhsa_group_segment_fixed_size 0
		.amdhsa_private_segment_fixed_size 0
		.amdhsa_kernarg_size 120
		.amdhsa_user_sgpr_count 2
		.amdhsa_user_sgpr_dispatch_ptr 0
		.amdhsa_user_sgpr_queue_ptr 0
		.amdhsa_user_sgpr_kernarg_segment_ptr 1
		.amdhsa_user_sgpr_dispatch_id 0
		.amdhsa_user_sgpr_private_segment_size 0
		.amdhsa_wavefront_size32 1
		.amdhsa_uses_dynamic_stack 0
		.amdhsa_enable_private_segment 0
		.amdhsa_system_sgpr_workgroup_id_x 1
		.amdhsa_system_sgpr_workgroup_id_y 0
		.amdhsa_system_sgpr_workgroup_id_z 0
		.amdhsa_system_sgpr_workgroup_info 0
		.amdhsa_system_vgpr_workitem_id 0
		.amdhsa_next_free_vgpr 1
		.amdhsa_next_free_sgpr 1
		.amdhsa_reserve_vcc 0
		.amdhsa_float_round_mode_32 0
		.amdhsa_float_round_mode_16_64 0
		.amdhsa_float_denorm_mode_32 3
		.amdhsa_float_denorm_mode_16_64 3
		.amdhsa_fp16_overflow 0
		.amdhsa_workgroup_processor_mode 1
		.amdhsa_memory_ordered 1
		.amdhsa_forward_progress 1
		.amdhsa_inst_pref_size 0
		.amdhsa_round_robin_scheduling 0
		.amdhsa_exception_fp_ieee_invalid_op 0
		.amdhsa_exception_fp_denorm_src 0
		.amdhsa_exception_fp_ieee_div_zero 0
		.amdhsa_exception_fp_ieee_overflow 0
		.amdhsa_exception_fp_ieee_underflow 0
		.amdhsa_exception_fp_ieee_inexact 0
		.amdhsa_exception_int_div_zero 0
	.end_amdhsa_kernel
	.section	.text._ZN7rocprim17ROCPRIM_400000_NS6detail17trampoline_kernelINS0_14default_configENS1_25partition_config_selectorILNS1_17partition_subalgoE5ElNS0_10empty_typeEbEEZZNS1_14partition_implILS5_5ELb0ES3_mN6hipcub16HIPCUB_304000_NS21CountingInputIteratorIllEEPS6_NSA_22TransformInputIteratorIbN2at6native12_GLOBAL__N_19NonZeroOpIN3c104HalfEEEPKSK_lEENS0_5tupleIJPlS6_EEENSP_IJSD_SD_EEES6_PiJS6_EEE10hipError_tPvRmT3_T4_T5_T6_T7_T9_mT8_P12ihipStream_tbDpT10_ENKUlT_T0_E_clISt17integral_constantIbLb0EES1D_EEDaS18_S19_EUlS18_E_NS1_11comp_targetILNS1_3genE5ELNS1_11target_archE942ELNS1_3gpuE9ELNS1_3repE0EEENS1_30default_config_static_selectorELNS0_4arch9wavefront6targetE0EEEvT1_,"axG",@progbits,_ZN7rocprim17ROCPRIM_400000_NS6detail17trampoline_kernelINS0_14default_configENS1_25partition_config_selectorILNS1_17partition_subalgoE5ElNS0_10empty_typeEbEEZZNS1_14partition_implILS5_5ELb0ES3_mN6hipcub16HIPCUB_304000_NS21CountingInputIteratorIllEEPS6_NSA_22TransformInputIteratorIbN2at6native12_GLOBAL__N_19NonZeroOpIN3c104HalfEEEPKSK_lEENS0_5tupleIJPlS6_EEENSP_IJSD_SD_EEES6_PiJS6_EEE10hipError_tPvRmT3_T4_T5_T6_T7_T9_mT8_P12ihipStream_tbDpT10_ENKUlT_T0_E_clISt17integral_constantIbLb0EES1D_EEDaS18_S19_EUlS18_E_NS1_11comp_targetILNS1_3genE5ELNS1_11target_archE942ELNS1_3gpuE9ELNS1_3repE0EEENS1_30default_config_static_selectorELNS0_4arch9wavefront6targetE0EEEvT1_,comdat
.Lfunc_end867:
	.size	_ZN7rocprim17ROCPRIM_400000_NS6detail17trampoline_kernelINS0_14default_configENS1_25partition_config_selectorILNS1_17partition_subalgoE5ElNS0_10empty_typeEbEEZZNS1_14partition_implILS5_5ELb0ES3_mN6hipcub16HIPCUB_304000_NS21CountingInputIteratorIllEEPS6_NSA_22TransformInputIteratorIbN2at6native12_GLOBAL__N_19NonZeroOpIN3c104HalfEEEPKSK_lEENS0_5tupleIJPlS6_EEENSP_IJSD_SD_EEES6_PiJS6_EEE10hipError_tPvRmT3_T4_T5_T6_T7_T9_mT8_P12ihipStream_tbDpT10_ENKUlT_T0_E_clISt17integral_constantIbLb0EES1D_EEDaS18_S19_EUlS18_E_NS1_11comp_targetILNS1_3genE5ELNS1_11target_archE942ELNS1_3gpuE9ELNS1_3repE0EEENS1_30default_config_static_selectorELNS0_4arch9wavefront6targetE0EEEvT1_, .Lfunc_end867-_ZN7rocprim17ROCPRIM_400000_NS6detail17trampoline_kernelINS0_14default_configENS1_25partition_config_selectorILNS1_17partition_subalgoE5ElNS0_10empty_typeEbEEZZNS1_14partition_implILS5_5ELb0ES3_mN6hipcub16HIPCUB_304000_NS21CountingInputIteratorIllEEPS6_NSA_22TransformInputIteratorIbN2at6native12_GLOBAL__N_19NonZeroOpIN3c104HalfEEEPKSK_lEENS0_5tupleIJPlS6_EEENSP_IJSD_SD_EEES6_PiJS6_EEE10hipError_tPvRmT3_T4_T5_T6_T7_T9_mT8_P12ihipStream_tbDpT10_ENKUlT_T0_E_clISt17integral_constantIbLb0EES1D_EEDaS18_S19_EUlS18_E_NS1_11comp_targetILNS1_3genE5ELNS1_11target_archE942ELNS1_3gpuE9ELNS1_3repE0EEENS1_30default_config_static_selectorELNS0_4arch9wavefront6targetE0EEEvT1_
                                        ; -- End function
	.set _ZN7rocprim17ROCPRIM_400000_NS6detail17trampoline_kernelINS0_14default_configENS1_25partition_config_selectorILNS1_17partition_subalgoE5ElNS0_10empty_typeEbEEZZNS1_14partition_implILS5_5ELb0ES3_mN6hipcub16HIPCUB_304000_NS21CountingInputIteratorIllEEPS6_NSA_22TransformInputIteratorIbN2at6native12_GLOBAL__N_19NonZeroOpIN3c104HalfEEEPKSK_lEENS0_5tupleIJPlS6_EEENSP_IJSD_SD_EEES6_PiJS6_EEE10hipError_tPvRmT3_T4_T5_T6_T7_T9_mT8_P12ihipStream_tbDpT10_ENKUlT_T0_E_clISt17integral_constantIbLb0EES1D_EEDaS18_S19_EUlS18_E_NS1_11comp_targetILNS1_3genE5ELNS1_11target_archE942ELNS1_3gpuE9ELNS1_3repE0EEENS1_30default_config_static_selectorELNS0_4arch9wavefront6targetE0EEEvT1_.num_vgpr, 0
	.set _ZN7rocprim17ROCPRIM_400000_NS6detail17trampoline_kernelINS0_14default_configENS1_25partition_config_selectorILNS1_17partition_subalgoE5ElNS0_10empty_typeEbEEZZNS1_14partition_implILS5_5ELb0ES3_mN6hipcub16HIPCUB_304000_NS21CountingInputIteratorIllEEPS6_NSA_22TransformInputIteratorIbN2at6native12_GLOBAL__N_19NonZeroOpIN3c104HalfEEEPKSK_lEENS0_5tupleIJPlS6_EEENSP_IJSD_SD_EEES6_PiJS6_EEE10hipError_tPvRmT3_T4_T5_T6_T7_T9_mT8_P12ihipStream_tbDpT10_ENKUlT_T0_E_clISt17integral_constantIbLb0EES1D_EEDaS18_S19_EUlS18_E_NS1_11comp_targetILNS1_3genE5ELNS1_11target_archE942ELNS1_3gpuE9ELNS1_3repE0EEENS1_30default_config_static_selectorELNS0_4arch9wavefront6targetE0EEEvT1_.num_agpr, 0
	.set _ZN7rocprim17ROCPRIM_400000_NS6detail17trampoline_kernelINS0_14default_configENS1_25partition_config_selectorILNS1_17partition_subalgoE5ElNS0_10empty_typeEbEEZZNS1_14partition_implILS5_5ELb0ES3_mN6hipcub16HIPCUB_304000_NS21CountingInputIteratorIllEEPS6_NSA_22TransformInputIteratorIbN2at6native12_GLOBAL__N_19NonZeroOpIN3c104HalfEEEPKSK_lEENS0_5tupleIJPlS6_EEENSP_IJSD_SD_EEES6_PiJS6_EEE10hipError_tPvRmT3_T4_T5_T6_T7_T9_mT8_P12ihipStream_tbDpT10_ENKUlT_T0_E_clISt17integral_constantIbLb0EES1D_EEDaS18_S19_EUlS18_E_NS1_11comp_targetILNS1_3genE5ELNS1_11target_archE942ELNS1_3gpuE9ELNS1_3repE0EEENS1_30default_config_static_selectorELNS0_4arch9wavefront6targetE0EEEvT1_.numbered_sgpr, 0
	.set _ZN7rocprim17ROCPRIM_400000_NS6detail17trampoline_kernelINS0_14default_configENS1_25partition_config_selectorILNS1_17partition_subalgoE5ElNS0_10empty_typeEbEEZZNS1_14partition_implILS5_5ELb0ES3_mN6hipcub16HIPCUB_304000_NS21CountingInputIteratorIllEEPS6_NSA_22TransformInputIteratorIbN2at6native12_GLOBAL__N_19NonZeroOpIN3c104HalfEEEPKSK_lEENS0_5tupleIJPlS6_EEENSP_IJSD_SD_EEES6_PiJS6_EEE10hipError_tPvRmT3_T4_T5_T6_T7_T9_mT8_P12ihipStream_tbDpT10_ENKUlT_T0_E_clISt17integral_constantIbLb0EES1D_EEDaS18_S19_EUlS18_E_NS1_11comp_targetILNS1_3genE5ELNS1_11target_archE942ELNS1_3gpuE9ELNS1_3repE0EEENS1_30default_config_static_selectorELNS0_4arch9wavefront6targetE0EEEvT1_.num_named_barrier, 0
	.set _ZN7rocprim17ROCPRIM_400000_NS6detail17trampoline_kernelINS0_14default_configENS1_25partition_config_selectorILNS1_17partition_subalgoE5ElNS0_10empty_typeEbEEZZNS1_14partition_implILS5_5ELb0ES3_mN6hipcub16HIPCUB_304000_NS21CountingInputIteratorIllEEPS6_NSA_22TransformInputIteratorIbN2at6native12_GLOBAL__N_19NonZeroOpIN3c104HalfEEEPKSK_lEENS0_5tupleIJPlS6_EEENSP_IJSD_SD_EEES6_PiJS6_EEE10hipError_tPvRmT3_T4_T5_T6_T7_T9_mT8_P12ihipStream_tbDpT10_ENKUlT_T0_E_clISt17integral_constantIbLb0EES1D_EEDaS18_S19_EUlS18_E_NS1_11comp_targetILNS1_3genE5ELNS1_11target_archE942ELNS1_3gpuE9ELNS1_3repE0EEENS1_30default_config_static_selectorELNS0_4arch9wavefront6targetE0EEEvT1_.private_seg_size, 0
	.set _ZN7rocprim17ROCPRIM_400000_NS6detail17trampoline_kernelINS0_14default_configENS1_25partition_config_selectorILNS1_17partition_subalgoE5ElNS0_10empty_typeEbEEZZNS1_14partition_implILS5_5ELb0ES3_mN6hipcub16HIPCUB_304000_NS21CountingInputIteratorIllEEPS6_NSA_22TransformInputIteratorIbN2at6native12_GLOBAL__N_19NonZeroOpIN3c104HalfEEEPKSK_lEENS0_5tupleIJPlS6_EEENSP_IJSD_SD_EEES6_PiJS6_EEE10hipError_tPvRmT3_T4_T5_T6_T7_T9_mT8_P12ihipStream_tbDpT10_ENKUlT_T0_E_clISt17integral_constantIbLb0EES1D_EEDaS18_S19_EUlS18_E_NS1_11comp_targetILNS1_3genE5ELNS1_11target_archE942ELNS1_3gpuE9ELNS1_3repE0EEENS1_30default_config_static_selectorELNS0_4arch9wavefront6targetE0EEEvT1_.uses_vcc, 0
	.set _ZN7rocprim17ROCPRIM_400000_NS6detail17trampoline_kernelINS0_14default_configENS1_25partition_config_selectorILNS1_17partition_subalgoE5ElNS0_10empty_typeEbEEZZNS1_14partition_implILS5_5ELb0ES3_mN6hipcub16HIPCUB_304000_NS21CountingInputIteratorIllEEPS6_NSA_22TransformInputIteratorIbN2at6native12_GLOBAL__N_19NonZeroOpIN3c104HalfEEEPKSK_lEENS0_5tupleIJPlS6_EEENSP_IJSD_SD_EEES6_PiJS6_EEE10hipError_tPvRmT3_T4_T5_T6_T7_T9_mT8_P12ihipStream_tbDpT10_ENKUlT_T0_E_clISt17integral_constantIbLb0EES1D_EEDaS18_S19_EUlS18_E_NS1_11comp_targetILNS1_3genE5ELNS1_11target_archE942ELNS1_3gpuE9ELNS1_3repE0EEENS1_30default_config_static_selectorELNS0_4arch9wavefront6targetE0EEEvT1_.uses_flat_scratch, 0
	.set _ZN7rocprim17ROCPRIM_400000_NS6detail17trampoline_kernelINS0_14default_configENS1_25partition_config_selectorILNS1_17partition_subalgoE5ElNS0_10empty_typeEbEEZZNS1_14partition_implILS5_5ELb0ES3_mN6hipcub16HIPCUB_304000_NS21CountingInputIteratorIllEEPS6_NSA_22TransformInputIteratorIbN2at6native12_GLOBAL__N_19NonZeroOpIN3c104HalfEEEPKSK_lEENS0_5tupleIJPlS6_EEENSP_IJSD_SD_EEES6_PiJS6_EEE10hipError_tPvRmT3_T4_T5_T6_T7_T9_mT8_P12ihipStream_tbDpT10_ENKUlT_T0_E_clISt17integral_constantIbLb0EES1D_EEDaS18_S19_EUlS18_E_NS1_11comp_targetILNS1_3genE5ELNS1_11target_archE942ELNS1_3gpuE9ELNS1_3repE0EEENS1_30default_config_static_selectorELNS0_4arch9wavefront6targetE0EEEvT1_.has_dyn_sized_stack, 0
	.set _ZN7rocprim17ROCPRIM_400000_NS6detail17trampoline_kernelINS0_14default_configENS1_25partition_config_selectorILNS1_17partition_subalgoE5ElNS0_10empty_typeEbEEZZNS1_14partition_implILS5_5ELb0ES3_mN6hipcub16HIPCUB_304000_NS21CountingInputIteratorIllEEPS6_NSA_22TransformInputIteratorIbN2at6native12_GLOBAL__N_19NonZeroOpIN3c104HalfEEEPKSK_lEENS0_5tupleIJPlS6_EEENSP_IJSD_SD_EEES6_PiJS6_EEE10hipError_tPvRmT3_T4_T5_T6_T7_T9_mT8_P12ihipStream_tbDpT10_ENKUlT_T0_E_clISt17integral_constantIbLb0EES1D_EEDaS18_S19_EUlS18_E_NS1_11comp_targetILNS1_3genE5ELNS1_11target_archE942ELNS1_3gpuE9ELNS1_3repE0EEENS1_30default_config_static_selectorELNS0_4arch9wavefront6targetE0EEEvT1_.has_recursion, 0
	.set _ZN7rocprim17ROCPRIM_400000_NS6detail17trampoline_kernelINS0_14default_configENS1_25partition_config_selectorILNS1_17partition_subalgoE5ElNS0_10empty_typeEbEEZZNS1_14partition_implILS5_5ELb0ES3_mN6hipcub16HIPCUB_304000_NS21CountingInputIteratorIllEEPS6_NSA_22TransformInputIteratorIbN2at6native12_GLOBAL__N_19NonZeroOpIN3c104HalfEEEPKSK_lEENS0_5tupleIJPlS6_EEENSP_IJSD_SD_EEES6_PiJS6_EEE10hipError_tPvRmT3_T4_T5_T6_T7_T9_mT8_P12ihipStream_tbDpT10_ENKUlT_T0_E_clISt17integral_constantIbLb0EES1D_EEDaS18_S19_EUlS18_E_NS1_11comp_targetILNS1_3genE5ELNS1_11target_archE942ELNS1_3gpuE9ELNS1_3repE0EEENS1_30default_config_static_selectorELNS0_4arch9wavefront6targetE0EEEvT1_.has_indirect_call, 0
	.section	.AMDGPU.csdata,"",@progbits
; Kernel info:
; codeLenInByte = 0
; TotalNumSgprs: 0
; NumVgprs: 0
; ScratchSize: 0
; MemoryBound: 0
; FloatMode: 240
; IeeeMode: 1
; LDSByteSize: 0 bytes/workgroup (compile time only)
; SGPRBlocks: 0
; VGPRBlocks: 0
; NumSGPRsForWavesPerEU: 1
; NumVGPRsForWavesPerEU: 1
; Occupancy: 16
; WaveLimiterHint : 0
; COMPUTE_PGM_RSRC2:SCRATCH_EN: 0
; COMPUTE_PGM_RSRC2:USER_SGPR: 2
; COMPUTE_PGM_RSRC2:TRAP_HANDLER: 0
; COMPUTE_PGM_RSRC2:TGID_X_EN: 1
; COMPUTE_PGM_RSRC2:TGID_Y_EN: 0
; COMPUTE_PGM_RSRC2:TGID_Z_EN: 0
; COMPUTE_PGM_RSRC2:TIDIG_COMP_CNT: 0
	.section	.text._ZN7rocprim17ROCPRIM_400000_NS6detail17trampoline_kernelINS0_14default_configENS1_25partition_config_selectorILNS1_17partition_subalgoE5ElNS0_10empty_typeEbEEZZNS1_14partition_implILS5_5ELb0ES3_mN6hipcub16HIPCUB_304000_NS21CountingInputIteratorIllEEPS6_NSA_22TransformInputIteratorIbN2at6native12_GLOBAL__N_19NonZeroOpIN3c104HalfEEEPKSK_lEENS0_5tupleIJPlS6_EEENSP_IJSD_SD_EEES6_PiJS6_EEE10hipError_tPvRmT3_T4_T5_T6_T7_T9_mT8_P12ihipStream_tbDpT10_ENKUlT_T0_E_clISt17integral_constantIbLb0EES1D_EEDaS18_S19_EUlS18_E_NS1_11comp_targetILNS1_3genE4ELNS1_11target_archE910ELNS1_3gpuE8ELNS1_3repE0EEENS1_30default_config_static_selectorELNS0_4arch9wavefront6targetE0EEEvT1_,"axG",@progbits,_ZN7rocprim17ROCPRIM_400000_NS6detail17trampoline_kernelINS0_14default_configENS1_25partition_config_selectorILNS1_17partition_subalgoE5ElNS0_10empty_typeEbEEZZNS1_14partition_implILS5_5ELb0ES3_mN6hipcub16HIPCUB_304000_NS21CountingInputIteratorIllEEPS6_NSA_22TransformInputIteratorIbN2at6native12_GLOBAL__N_19NonZeroOpIN3c104HalfEEEPKSK_lEENS0_5tupleIJPlS6_EEENSP_IJSD_SD_EEES6_PiJS6_EEE10hipError_tPvRmT3_T4_T5_T6_T7_T9_mT8_P12ihipStream_tbDpT10_ENKUlT_T0_E_clISt17integral_constantIbLb0EES1D_EEDaS18_S19_EUlS18_E_NS1_11comp_targetILNS1_3genE4ELNS1_11target_archE910ELNS1_3gpuE8ELNS1_3repE0EEENS1_30default_config_static_selectorELNS0_4arch9wavefront6targetE0EEEvT1_,comdat
	.globl	_ZN7rocprim17ROCPRIM_400000_NS6detail17trampoline_kernelINS0_14default_configENS1_25partition_config_selectorILNS1_17partition_subalgoE5ElNS0_10empty_typeEbEEZZNS1_14partition_implILS5_5ELb0ES3_mN6hipcub16HIPCUB_304000_NS21CountingInputIteratorIllEEPS6_NSA_22TransformInputIteratorIbN2at6native12_GLOBAL__N_19NonZeroOpIN3c104HalfEEEPKSK_lEENS0_5tupleIJPlS6_EEENSP_IJSD_SD_EEES6_PiJS6_EEE10hipError_tPvRmT3_T4_T5_T6_T7_T9_mT8_P12ihipStream_tbDpT10_ENKUlT_T0_E_clISt17integral_constantIbLb0EES1D_EEDaS18_S19_EUlS18_E_NS1_11comp_targetILNS1_3genE4ELNS1_11target_archE910ELNS1_3gpuE8ELNS1_3repE0EEENS1_30default_config_static_selectorELNS0_4arch9wavefront6targetE0EEEvT1_ ; -- Begin function _ZN7rocprim17ROCPRIM_400000_NS6detail17trampoline_kernelINS0_14default_configENS1_25partition_config_selectorILNS1_17partition_subalgoE5ElNS0_10empty_typeEbEEZZNS1_14partition_implILS5_5ELb0ES3_mN6hipcub16HIPCUB_304000_NS21CountingInputIteratorIllEEPS6_NSA_22TransformInputIteratorIbN2at6native12_GLOBAL__N_19NonZeroOpIN3c104HalfEEEPKSK_lEENS0_5tupleIJPlS6_EEENSP_IJSD_SD_EEES6_PiJS6_EEE10hipError_tPvRmT3_T4_T5_T6_T7_T9_mT8_P12ihipStream_tbDpT10_ENKUlT_T0_E_clISt17integral_constantIbLb0EES1D_EEDaS18_S19_EUlS18_E_NS1_11comp_targetILNS1_3genE4ELNS1_11target_archE910ELNS1_3gpuE8ELNS1_3repE0EEENS1_30default_config_static_selectorELNS0_4arch9wavefront6targetE0EEEvT1_
	.p2align	8
	.type	_ZN7rocprim17ROCPRIM_400000_NS6detail17trampoline_kernelINS0_14default_configENS1_25partition_config_selectorILNS1_17partition_subalgoE5ElNS0_10empty_typeEbEEZZNS1_14partition_implILS5_5ELb0ES3_mN6hipcub16HIPCUB_304000_NS21CountingInputIteratorIllEEPS6_NSA_22TransformInputIteratorIbN2at6native12_GLOBAL__N_19NonZeroOpIN3c104HalfEEEPKSK_lEENS0_5tupleIJPlS6_EEENSP_IJSD_SD_EEES6_PiJS6_EEE10hipError_tPvRmT3_T4_T5_T6_T7_T9_mT8_P12ihipStream_tbDpT10_ENKUlT_T0_E_clISt17integral_constantIbLb0EES1D_EEDaS18_S19_EUlS18_E_NS1_11comp_targetILNS1_3genE4ELNS1_11target_archE910ELNS1_3gpuE8ELNS1_3repE0EEENS1_30default_config_static_selectorELNS0_4arch9wavefront6targetE0EEEvT1_,@function
_ZN7rocprim17ROCPRIM_400000_NS6detail17trampoline_kernelINS0_14default_configENS1_25partition_config_selectorILNS1_17partition_subalgoE5ElNS0_10empty_typeEbEEZZNS1_14partition_implILS5_5ELb0ES3_mN6hipcub16HIPCUB_304000_NS21CountingInputIteratorIllEEPS6_NSA_22TransformInputIteratorIbN2at6native12_GLOBAL__N_19NonZeroOpIN3c104HalfEEEPKSK_lEENS0_5tupleIJPlS6_EEENSP_IJSD_SD_EEES6_PiJS6_EEE10hipError_tPvRmT3_T4_T5_T6_T7_T9_mT8_P12ihipStream_tbDpT10_ENKUlT_T0_E_clISt17integral_constantIbLb0EES1D_EEDaS18_S19_EUlS18_E_NS1_11comp_targetILNS1_3genE4ELNS1_11target_archE910ELNS1_3gpuE8ELNS1_3repE0EEENS1_30default_config_static_selectorELNS0_4arch9wavefront6targetE0EEEvT1_: ; @_ZN7rocprim17ROCPRIM_400000_NS6detail17trampoline_kernelINS0_14default_configENS1_25partition_config_selectorILNS1_17partition_subalgoE5ElNS0_10empty_typeEbEEZZNS1_14partition_implILS5_5ELb0ES3_mN6hipcub16HIPCUB_304000_NS21CountingInputIteratorIllEEPS6_NSA_22TransformInputIteratorIbN2at6native12_GLOBAL__N_19NonZeroOpIN3c104HalfEEEPKSK_lEENS0_5tupleIJPlS6_EEENSP_IJSD_SD_EEES6_PiJS6_EEE10hipError_tPvRmT3_T4_T5_T6_T7_T9_mT8_P12ihipStream_tbDpT10_ENKUlT_T0_E_clISt17integral_constantIbLb0EES1D_EEDaS18_S19_EUlS18_E_NS1_11comp_targetILNS1_3genE4ELNS1_11target_archE910ELNS1_3gpuE8ELNS1_3repE0EEENS1_30default_config_static_selectorELNS0_4arch9wavefront6targetE0EEEvT1_
; %bb.0:
	.section	.rodata,"a",@progbits
	.p2align	6, 0x0
	.amdhsa_kernel _ZN7rocprim17ROCPRIM_400000_NS6detail17trampoline_kernelINS0_14default_configENS1_25partition_config_selectorILNS1_17partition_subalgoE5ElNS0_10empty_typeEbEEZZNS1_14partition_implILS5_5ELb0ES3_mN6hipcub16HIPCUB_304000_NS21CountingInputIteratorIllEEPS6_NSA_22TransformInputIteratorIbN2at6native12_GLOBAL__N_19NonZeroOpIN3c104HalfEEEPKSK_lEENS0_5tupleIJPlS6_EEENSP_IJSD_SD_EEES6_PiJS6_EEE10hipError_tPvRmT3_T4_T5_T6_T7_T9_mT8_P12ihipStream_tbDpT10_ENKUlT_T0_E_clISt17integral_constantIbLb0EES1D_EEDaS18_S19_EUlS18_E_NS1_11comp_targetILNS1_3genE4ELNS1_11target_archE910ELNS1_3gpuE8ELNS1_3repE0EEENS1_30default_config_static_selectorELNS0_4arch9wavefront6targetE0EEEvT1_
		.amdhsa_group_segment_fixed_size 0
		.amdhsa_private_segment_fixed_size 0
		.amdhsa_kernarg_size 120
		.amdhsa_user_sgpr_count 2
		.amdhsa_user_sgpr_dispatch_ptr 0
		.amdhsa_user_sgpr_queue_ptr 0
		.amdhsa_user_sgpr_kernarg_segment_ptr 1
		.amdhsa_user_sgpr_dispatch_id 0
		.amdhsa_user_sgpr_private_segment_size 0
		.amdhsa_wavefront_size32 1
		.amdhsa_uses_dynamic_stack 0
		.amdhsa_enable_private_segment 0
		.amdhsa_system_sgpr_workgroup_id_x 1
		.amdhsa_system_sgpr_workgroup_id_y 0
		.amdhsa_system_sgpr_workgroup_id_z 0
		.amdhsa_system_sgpr_workgroup_info 0
		.amdhsa_system_vgpr_workitem_id 0
		.amdhsa_next_free_vgpr 1
		.amdhsa_next_free_sgpr 1
		.amdhsa_reserve_vcc 0
		.amdhsa_float_round_mode_32 0
		.amdhsa_float_round_mode_16_64 0
		.amdhsa_float_denorm_mode_32 3
		.amdhsa_float_denorm_mode_16_64 3
		.amdhsa_fp16_overflow 0
		.amdhsa_workgroup_processor_mode 1
		.amdhsa_memory_ordered 1
		.amdhsa_forward_progress 1
		.amdhsa_inst_pref_size 0
		.amdhsa_round_robin_scheduling 0
		.amdhsa_exception_fp_ieee_invalid_op 0
		.amdhsa_exception_fp_denorm_src 0
		.amdhsa_exception_fp_ieee_div_zero 0
		.amdhsa_exception_fp_ieee_overflow 0
		.amdhsa_exception_fp_ieee_underflow 0
		.amdhsa_exception_fp_ieee_inexact 0
		.amdhsa_exception_int_div_zero 0
	.end_amdhsa_kernel
	.section	.text._ZN7rocprim17ROCPRIM_400000_NS6detail17trampoline_kernelINS0_14default_configENS1_25partition_config_selectorILNS1_17partition_subalgoE5ElNS0_10empty_typeEbEEZZNS1_14partition_implILS5_5ELb0ES3_mN6hipcub16HIPCUB_304000_NS21CountingInputIteratorIllEEPS6_NSA_22TransformInputIteratorIbN2at6native12_GLOBAL__N_19NonZeroOpIN3c104HalfEEEPKSK_lEENS0_5tupleIJPlS6_EEENSP_IJSD_SD_EEES6_PiJS6_EEE10hipError_tPvRmT3_T4_T5_T6_T7_T9_mT8_P12ihipStream_tbDpT10_ENKUlT_T0_E_clISt17integral_constantIbLb0EES1D_EEDaS18_S19_EUlS18_E_NS1_11comp_targetILNS1_3genE4ELNS1_11target_archE910ELNS1_3gpuE8ELNS1_3repE0EEENS1_30default_config_static_selectorELNS0_4arch9wavefront6targetE0EEEvT1_,"axG",@progbits,_ZN7rocprim17ROCPRIM_400000_NS6detail17trampoline_kernelINS0_14default_configENS1_25partition_config_selectorILNS1_17partition_subalgoE5ElNS0_10empty_typeEbEEZZNS1_14partition_implILS5_5ELb0ES3_mN6hipcub16HIPCUB_304000_NS21CountingInputIteratorIllEEPS6_NSA_22TransformInputIteratorIbN2at6native12_GLOBAL__N_19NonZeroOpIN3c104HalfEEEPKSK_lEENS0_5tupleIJPlS6_EEENSP_IJSD_SD_EEES6_PiJS6_EEE10hipError_tPvRmT3_T4_T5_T6_T7_T9_mT8_P12ihipStream_tbDpT10_ENKUlT_T0_E_clISt17integral_constantIbLb0EES1D_EEDaS18_S19_EUlS18_E_NS1_11comp_targetILNS1_3genE4ELNS1_11target_archE910ELNS1_3gpuE8ELNS1_3repE0EEENS1_30default_config_static_selectorELNS0_4arch9wavefront6targetE0EEEvT1_,comdat
.Lfunc_end868:
	.size	_ZN7rocprim17ROCPRIM_400000_NS6detail17trampoline_kernelINS0_14default_configENS1_25partition_config_selectorILNS1_17partition_subalgoE5ElNS0_10empty_typeEbEEZZNS1_14partition_implILS5_5ELb0ES3_mN6hipcub16HIPCUB_304000_NS21CountingInputIteratorIllEEPS6_NSA_22TransformInputIteratorIbN2at6native12_GLOBAL__N_19NonZeroOpIN3c104HalfEEEPKSK_lEENS0_5tupleIJPlS6_EEENSP_IJSD_SD_EEES6_PiJS6_EEE10hipError_tPvRmT3_T4_T5_T6_T7_T9_mT8_P12ihipStream_tbDpT10_ENKUlT_T0_E_clISt17integral_constantIbLb0EES1D_EEDaS18_S19_EUlS18_E_NS1_11comp_targetILNS1_3genE4ELNS1_11target_archE910ELNS1_3gpuE8ELNS1_3repE0EEENS1_30default_config_static_selectorELNS0_4arch9wavefront6targetE0EEEvT1_, .Lfunc_end868-_ZN7rocprim17ROCPRIM_400000_NS6detail17trampoline_kernelINS0_14default_configENS1_25partition_config_selectorILNS1_17partition_subalgoE5ElNS0_10empty_typeEbEEZZNS1_14partition_implILS5_5ELb0ES3_mN6hipcub16HIPCUB_304000_NS21CountingInputIteratorIllEEPS6_NSA_22TransformInputIteratorIbN2at6native12_GLOBAL__N_19NonZeroOpIN3c104HalfEEEPKSK_lEENS0_5tupleIJPlS6_EEENSP_IJSD_SD_EEES6_PiJS6_EEE10hipError_tPvRmT3_T4_T5_T6_T7_T9_mT8_P12ihipStream_tbDpT10_ENKUlT_T0_E_clISt17integral_constantIbLb0EES1D_EEDaS18_S19_EUlS18_E_NS1_11comp_targetILNS1_3genE4ELNS1_11target_archE910ELNS1_3gpuE8ELNS1_3repE0EEENS1_30default_config_static_selectorELNS0_4arch9wavefront6targetE0EEEvT1_
                                        ; -- End function
	.set _ZN7rocprim17ROCPRIM_400000_NS6detail17trampoline_kernelINS0_14default_configENS1_25partition_config_selectorILNS1_17partition_subalgoE5ElNS0_10empty_typeEbEEZZNS1_14partition_implILS5_5ELb0ES3_mN6hipcub16HIPCUB_304000_NS21CountingInputIteratorIllEEPS6_NSA_22TransformInputIteratorIbN2at6native12_GLOBAL__N_19NonZeroOpIN3c104HalfEEEPKSK_lEENS0_5tupleIJPlS6_EEENSP_IJSD_SD_EEES6_PiJS6_EEE10hipError_tPvRmT3_T4_T5_T6_T7_T9_mT8_P12ihipStream_tbDpT10_ENKUlT_T0_E_clISt17integral_constantIbLb0EES1D_EEDaS18_S19_EUlS18_E_NS1_11comp_targetILNS1_3genE4ELNS1_11target_archE910ELNS1_3gpuE8ELNS1_3repE0EEENS1_30default_config_static_selectorELNS0_4arch9wavefront6targetE0EEEvT1_.num_vgpr, 0
	.set _ZN7rocprim17ROCPRIM_400000_NS6detail17trampoline_kernelINS0_14default_configENS1_25partition_config_selectorILNS1_17partition_subalgoE5ElNS0_10empty_typeEbEEZZNS1_14partition_implILS5_5ELb0ES3_mN6hipcub16HIPCUB_304000_NS21CountingInputIteratorIllEEPS6_NSA_22TransformInputIteratorIbN2at6native12_GLOBAL__N_19NonZeroOpIN3c104HalfEEEPKSK_lEENS0_5tupleIJPlS6_EEENSP_IJSD_SD_EEES6_PiJS6_EEE10hipError_tPvRmT3_T4_T5_T6_T7_T9_mT8_P12ihipStream_tbDpT10_ENKUlT_T0_E_clISt17integral_constantIbLb0EES1D_EEDaS18_S19_EUlS18_E_NS1_11comp_targetILNS1_3genE4ELNS1_11target_archE910ELNS1_3gpuE8ELNS1_3repE0EEENS1_30default_config_static_selectorELNS0_4arch9wavefront6targetE0EEEvT1_.num_agpr, 0
	.set _ZN7rocprim17ROCPRIM_400000_NS6detail17trampoline_kernelINS0_14default_configENS1_25partition_config_selectorILNS1_17partition_subalgoE5ElNS0_10empty_typeEbEEZZNS1_14partition_implILS5_5ELb0ES3_mN6hipcub16HIPCUB_304000_NS21CountingInputIteratorIllEEPS6_NSA_22TransformInputIteratorIbN2at6native12_GLOBAL__N_19NonZeroOpIN3c104HalfEEEPKSK_lEENS0_5tupleIJPlS6_EEENSP_IJSD_SD_EEES6_PiJS6_EEE10hipError_tPvRmT3_T4_T5_T6_T7_T9_mT8_P12ihipStream_tbDpT10_ENKUlT_T0_E_clISt17integral_constantIbLb0EES1D_EEDaS18_S19_EUlS18_E_NS1_11comp_targetILNS1_3genE4ELNS1_11target_archE910ELNS1_3gpuE8ELNS1_3repE0EEENS1_30default_config_static_selectorELNS0_4arch9wavefront6targetE0EEEvT1_.numbered_sgpr, 0
	.set _ZN7rocprim17ROCPRIM_400000_NS6detail17trampoline_kernelINS0_14default_configENS1_25partition_config_selectorILNS1_17partition_subalgoE5ElNS0_10empty_typeEbEEZZNS1_14partition_implILS5_5ELb0ES3_mN6hipcub16HIPCUB_304000_NS21CountingInputIteratorIllEEPS6_NSA_22TransformInputIteratorIbN2at6native12_GLOBAL__N_19NonZeroOpIN3c104HalfEEEPKSK_lEENS0_5tupleIJPlS6_EEENSP_IJSD_SD_EEES6_PiJS6_EEE10hipError_tPvRmT3_T4_T5_T6_T7_T9_mT8_P12ihipStream_tbDpT10_ENKUlT_T0_E_clISt17integral_constantIbLb0EES1D_EEDaS18_S19_EUlS18_E_NS1_11comp_targetILNS1_3genE4ELNS1_11target_archE910ELNS1_3gpuE8ELNS1_3repE0EEENS1_30default_config_static_selectorELNS0_4arch9wavefront6targetE0EEEvT1_.num_named_barrier, 0
	.set _ZN7rocprim17ROCPRIM_400000_NS6detail17trampoline_kernelINS0_14default_configENS1_25partition_config_selectorILNS1_17partition_subalgoE5ElNS0_10empty_typeEbEEZZNS1_14partition_implILS5_5ELb0ES3_mN6hipcub16HIPCUB_304000_NS21CountingInputIteratorIllEEPS6_NSA_22TransformInputIteratorIbN2at6native12_GLOBAL__N_19NonZeroOpIN3c104HalfEEEPKSK_lEENS0_5tupleIJPlS6_EEENSP_IJSD_SD_EEES6_PiJS6_EEE10hipError_tPvRmT3_T4_T5_T6_T7_T9_mT8_P12ihipStream_tbDpT10_ENKUlT_T0_E_clISt17integral_constantIbLb0EES1D_EEDaS18_S19_EUlS18_E_NS1_11comp_targetILNS1_3genE4ELNS1_11target_archE910ELNS1_3gpuE8ELNS1_3repE0EEENS1_30default_config_static_selectorELNS0_4arch9wavefront6targetE0EEEvT1_.private_seg_size, 0
	.set _ZN7rocprim17ROCPRIM_400000_NS6detail17trampoline_kernelINS0_14default_configENS1_25partition_config_selectorILNS1_17partition_subalgoE5ElNS0_10empty_typeEbEEZZNS1_14partition_implILS5_5ELb0ES3_mN6hipcub16HIPCUB_304000_NS21CountingInputIteratorIllEEPS6_NSA_22TransformInputIteratorIbN2at6native12_GLOBAL__N_19NonZeroOpIN3c104HalfEEEPKSK_lEENS0_5tupleIJPlS6_EEENSP_IJSD_SD_EEES6_PiJS6_EEE10hipError_tPvRmT3_T4_T5_T6_T7_T9_mT8_P12ihipStream_tbDpT10_ENKUlT_T0_E_clISt17integral_constantIbLb0EES1D_EEDaS18_S19_EUlS18_E_NS1_11comp_targetILNS1_3genE4ELNS1_11target_archE910ELNS1_3gpuE8ELNS1_3repE0EEENS1_30default_config_static_selectorELNS0_4arch9wavefront6targetE0EEEvT1_.uses_vcc, 0
	.set _ZN7rocprim17ROCPRIM_400000_NS6detail17trampoline_kernelINS0_14default_configENS1_25partition_config_selectorILNS1_17partition_subalgoE5ElNS0_10empty_typeEbEEZZNS1_14partition_implILS5_5ELb0ES3_mN6hipcub16HIPCUB_304000_NS21CountingInputIteratorIllEEPS6_NSA_22TransformInputIteratorIbN2at6native12_GLOBAL__N_19NonZeroOpIN3c104HalfEEEPKSK_lEENS0_5tupleIJPlS6_EEENSP_IJSD_SD_EEES6_PiJS6_EEE10hipError_tPvRmT3_T4_T5_T6_T7_T9_mT8_P12ihipStream_tbDpT10_ENKUlT_T0_E_clISt17integral_constantIbLb0EES1D_EEDaS18_S19_EUlS18_E_NS1_11comp_targetILNS1_3genE4ELNS1_11target_archE910ELNS1_3gpuE8ELNS1_3repE0EEENS1_30default_config_static_selectorELNS0_4arch9wavefront6targetE0EEEvT1_.uses_flat_scratch, 0
	.set _ZN7rocprim17ROCPRIM_400000_NS6detail17trampoline_kernelINS0_14default_configENS1_25partition_config_selectorILNS1_17partition_subalgoE5ElNS0_10empty_typeEbEEZZNS1_14partition_implILS5_5ELb0ES3_mN6hipcub16HIPCUB_304000_NS21CountingInputIteratorIllEEPS6_NSA_22TransformInputIteratorIbN2at6native12_GLOBAL__N_19NonZeroOpIN3c104HalfEEEPKSK_lEENS0_5tupleIJPlS6_EEENSP_IJSD_SD_EEES6_PiJS6_EEE10hipError_tPvRmT3_T4_T5_T6_T7_T9_mT8_P12ihipStream_tbDpT10_ENKUlT_T0_E_clISt17integral_constantIbLb0EES1D_EEDaS18_S19_EUlS18_E_NS1_11comp_targetILNS1_3genE4ELNS1_11target_archE910ELNS1_3gpuE8ELNS1_3repE0EEENS1_30default_config_static_selectorELNS0_4arch9wavefront6targetE0EEEvT1_.has_dyn_sized_stack, 0
	.set _ZN7rocprim17ROCPRIM_400000_NS6detail17trampoline_kernelINS0_14default_configENS1_25partition_config_selectorILNS1_17partition_subalgoE5ElNS0_10empty_typeEbEEZZNS1_14partition_implILS5_5ELb0ES3_mN6hipcub16HIPCUB_304000_NS21CountingInputIteratorIllEEPS6_NSA_22TransformInputIteratorIbN2at6native12_GLOBAL__N_19NonZeroOpIN3c104HalfEEEPKSK_lEENS0_5tupleIJPlS6_EEENSP_IJSD_SD_EEES6_PiJS6_EEE10hipError_tPvRmT3_T4_T5_T6_T7_T9_mT8_P12ihipStream_tbDpT10_ENKUlT_T0_E_clISt17integral_constantIbLb0EES1D_EEDaS18_S19_EUlS18_E_NS1_11comp_targetILNS1_3genE4ELNS1_11target_archE910ELNS1_3gpuE8ELNS1_3repE0EEENS1_30default_config_static_selectorELNS0_4arch9wavefront6targetE0EEEvT1_.has_recursion, 0
	.set _ZN7rocprim17ROCPRIM_400000_NS6detail17trampoline_kernelINS0_14default_configENS1_25partition_config_selectorILNS1_17partition_subalgoE5ElNS0_10empty_typeEbEEZZNS1_14partition_implILS5_5ELb0ES3_mN6hipcub16HIPCUB_304000_NS21CountingInputIteratorIllEEPS6_NSA_22TransformInputIteratorIbN2at6native12_GLOBAL__N_19NonZeroOpIN3c104HalfEEEPKSK_lEENS0_5tupleIJPlS6_EEENSP_IJSD_SD_EEES6_PiJS6_EEE10hipError_tPvRmT3_T4_T5_T6_T7_T9_mT8_P12ihipStream_tbDpT10_ENKUlT_T0_E_clISt17integral_constantIbLb0EES1D_EEDaS18_S19_EUlS18_E_NS1_11comp_targetILNS1_3genE4ELNS1_11target_archE910ELNS1_3gpuE8ELNS1_3repE0EEENS1_30default_config_static_selectorELNS0_4arch9wavefront6targetE0EEEvT1_.has_indirect_call, 0
	.section	.AMDGPU.csdata,"",@progbits
; Kernel info:
; codeLenInByte = 0
; TotalNumSgprs: 0
; NumVgprs: 0
; ScratchSize: 0
; MemoryBound: 0
; FloatMode: 240
; IeeeMode: 1
; LDSByteSize: 0 bytes/workgroup (compile time only)
; SGPRBlocks: 0
; VGPRBlocks: 0
; NumSGPRsForWavesPerEU: 1
; NumVGPRsForWavesPerEU: 1
; Occupancy: 16
; WaveLimiterHint : 0
; COMPUTE_PGM_RSRC2:SCRATCH_EN: 0
; COMPUTE_PGM_RSRC2:USER_SGPR: 2
; COMPUTE_PGM_RSRC2:TRAP_HANDLER: 0
; COMPUTE_PGM_RSRC2:TGID_X_EN: 1
; COMPUTE_PGM_RSRC2:TGID_Y_EN: 0
; COMPUTE_PGM_RSRC2:TGID_Z_EN: 0
; COMPUTE_PGM_RSRC2:TIDIG_COMP_CNT: 0
	.section	.text._ZN7rocprim17ROCPRIM_400000_NS6detail17trampoline_kernelINS0_14default_configENS1_25partition_config_selectorILNS1_17partition_subalgoE5ElNS0_10empty_typeEbEEZZNS1_14partition_implILS5_5ELb0ES3_mN6hipcub16HIPCUB_304000_NS21CountingInputIteratorIllEEPS6_NSA_22TransformInputIteratorIbN2at6native12_GLOBAL__N_19NonZeroOpIN3c104HalfEEEPKSK_lEENS0_5tupleIJPlS6_EEENSP_IJSD_SD_EEES6_PiJS6_EEE10hipError_tPvRmT3_T4_T5_T6_T7_T9_mT8_P12ihipStream_tbDpT10_ENKUlT_T0_E_clISt17integral_constantIbLb0EES1D_EEDaS18_S19_EUlS18_E_NS1_11comp_targetILNS1_3genE3ELNS1_11target_archE908ELNS1_3gpuE7ELNS1_3repE0EEENS1_30default_config_static_selectorELNS0_4arch9wavefront6targetE0EEEvT1_,"axG",@progbits,_ZN7rocprim17ROCPRIM_400000_NS6detail17trampoline_kernelINS0_14default_configENS1_25partition_config_selectorILNS1_17partition_subalgoE5ElNS0_10empty_typeEbEEZZNS1_14partition_implILS5_5ELb0ES3_mN6hipcub16HIPCUB_304000_NS21CountingInputIteratorIllEEPS6_NSA_22TransformInputIteratorIbN2at6native12_GLOBAL__N_19NonZeroOpIN3c104HalfEEEPKSK_lEENS0_5tupleIJPlS6_EEENSP_IJSD_SD_EEES6_PiJS6_EEE10hipError_tPvRmT3_T4_T5_T6_T7_T9_mT8_P12ihipStream_tbDpT10_ENKUlT_T0_E_clISt17integral_constantIbLb0EES1D_EEDaS18_S19_EUlS18_E_NS1_11comp_targetILNS1_3genE3ELNS1_11target_archE908ELNS1_3gpuE7ELNS1_3repE0EEENS1_30default_config_static_selectorELNS0_4arch9wavefront6targetE0EEEvT1_,comdat
	.globl	_ZN7rocprim17ROCPRIM_400000_NS6detail17trampoline_kernelINS0_14default_configENS1_25partition_config_selectorILNS1_17partition_subalgoE5ElNS0_10empty_typeEbEEZZNS1_14partition_implILS5_5ELb0ES3_mN6hipcub16HIPCUB_304000_NS21CountingInputIteratorIllEEPS6_NSA_22TransformInputIteratorIbN2at6native12_GLOBAL__N_19NonZeroOpIN3c104HalfEEEPKSK_lEENS0_5tupleIJPlS6_EEENSP_IJSD_SD_EEES6_PiJS6_EEE10hipError_tPvRmT3_T4_T5_T6_T7_T9_mT8_P12ihipStream_tbDpT10_ENKUlT_T0_E_clISt17integral_constantIbLb0EES1D_EEDaS18_S19_EUlS18_E_NS1_11comp_targetILNS1_3genE3ELNS1_11target_archE908ELNS1_3gpuE7ELNS1_3repE0EEENS1_30default_config_static_selectorELNS0_4arch9wavefront6targetE0EEEvT1_ ; -- Begin function _ZN7rocprim17ROCPRIM_400000_NS6detail17trampoline_kernelINS0_14default_configENS1_25partition_config_selectorILNS1_17partition_subalgoE5ElNS0_10empty_typeEbEEZZNS1_14partition_implILS5_5ELb0ES3_mN6hipcub16HIPCUB_304000_NS21CountingInputIteratorIllEEPS6_NSA_22TransformInputIteratorIbN2at6native12_GLOBAL__N_19NonZeroOpIN3c104HalfEEEPKSK_lEENS0_5tupleIJPlS6_EEENSP_IJSD_SD_EEES6_PiJS6_EEE10hipError_tPvRmT3_T4_T5_T6_T7_T9_mT8_P12ihipStream_tbDpT10_ENKUlT_T0_E_clISt17integral_constantIbLb0EES1D_EEDaS18_S19_EUlS18_E_NS1_11comp_targetILNS1_3genE3ELNS1_11target_archE908ELNS1_3gpuE7ELNS1_3repE0EEENS1_30default_config_static_selectorELNS0_4arch9wavefront6targetE0EEEvT1_
	.p2align	8
	.type	_ZN7rocprim17ROCPRIM_400000_NS6detail17trampoline_kernelINS0_14default_configENS1_25partition_config_selectorILNS1_17partition_subalgoE5ElNS0_10empty_typeEbEEZZNS1_14partition_implILS5_5ELb0ES3_mN6hipcub16HIPCUB_304000_NS21CountingInputIteratorIllEEPS6_NSA_22TransformInputIteratorIbN2at6native12_GLOBAL__N_19NonZeroOpIN3c104HalfEEEPKSK_lEENS0_5tupleIJPlS6_EEENSP_IJSD_SD_EEES6_PiJS6_EEE10hipError_tPvRmT3_T4_T5_T6_T7_T9_mT8_P12ihipStream_tbDpT10_ENKUlT_T0_E_clISt17integral_constantIbLb0EES1D_EEDaS18_S19_EUlS18_E_NS1_11comp_targetILNS1_3genE3ELNS1_11target_archE908ELNS1_3gpuE7ELNS1_3repE0EEENS1_30default_config_static_selectorELNS0_4arch9wavefront6targetE0EEEvT1_,@function
_ZN7rocprim17ROCPRIM_400000_NS6detail17trampoline_kernelINS0_14default_configENS1_25partition_config_selectorILNS1_17partition_subalgoE5ElNS0_10empty_typeEbEEZZNS1_14partition_implILS5_5ELb0ES3_mN6hipcub16HIPCUB_304000_NS21CountingInputIteratorIllEEPS6_NSA_22TransformInputIteratorIbN2at6native12_GLOBAL__N_19NonZeroOpIN3c104HalfEEEPKSK_lEENS0_5tupleIJPlS6_EEENSP_IJSD_SD_EEES6_PiJS6_EEE10hipError_tPvRmT3_T4_T5_T6_T7_T9_mT8_P12ihipStream_tbDpT10_ENKUlT_T0_E_clISt17integral_constantIbLb0EES1D_EEDaS18_S19_EUlS18_E_NS1_11comp_targetILNS1_3genE3ELNS1_11target_archE908ELNS1_3gpuE7ELNS1_3repE0EEENS1_30default_config_static_selectorELNS0_4arch9wavefront6targetE0EEEvT1_: ; @_ZN7rocprim17ROCPRIM_400000_NS6detail17trampoline_kernelINS0_14default_configENS1_25partition_config_selectorILNS1_17partition_subalgoE5ElNS0_10empty_typeEbEEZZNS1_14partition_implILS5_5ELb0ES3_mN6hipcub16HIPCUB_304000_NS21CountingInputIteratorIllEEPS6_NSA_22TransformInputIteratorIbN2at6native12_GLOBAL__N_19NonZeroOpIN3c104HalfEEEPKSK_lEENS0_5tupleIJPlS6_EEENSP_IJSD_SD_EEES6_PiJS6_EEE10hipError_tPvRmT3_T4_T5_T6_T7_T9_mT8_P12ihipStream_tbDpT10_ENKUlT_T0_E_clISt17integral_constantIbLb0EES1D_EEDaS18_S19_EUlS18_E_NS1_11comp_targetILNS1_3genE3ELNS1_11target_archE908ELNS1_3gpuE7ELNS1_3repE0EEENS1_30default_config_static_selectorELNS0_4arch9wavefront6targetE0EEEvT1_
; %bb.0:
	.section	.rodata,"a",@progbits
	.p2align	6, 0x0
	.amdhsa_kernel _ZN7rocprim17ROCPRIM_400000_NS6detail17trampoline_kernelINS0_14default_configENS1_25partition_config_selectorILNS1_17partition_subalgoE5ElNS0_10empty_typeEbEEZZNS1_14partition_implILS5_5ELb0ES3_mN6hipcub16HIPCUB_304000_NS21CountingInputIteratorIllEEPS6_NSA_22TransformInputIteratorIbN2at6native12_GLOBAL__N_19NonZeroOpIN3c104HalfEEEPKSK_lEENS0_5tupleIJPlS6_EEENSP_IJSD_SD_EEES6_PiJS6_EEE10hipError_tPvRmT3_T4_T5_T6_T7_T9_mT8_P12ihipStream_tbDpT10_ENKUlT_T0_E_clISt17integral_constantIbLb0EES1D_EEDaS18_S19_EUlS18_E_NS1_11comp_targetILNS1_3genE3ELNS1_11target_archE908ELNS1_3gpuE7ELNS1_3repE0EEENS1_30default_config_static_selectorELNS0_4arch9wavefront6targetE0EEEvT1_
		.amdhsa_group_segment_fixed_size 0
		.amdhsa_private_segment_fixed_size 0
		.amdhsa_kernarg_size 120
		.amdhsa_user_sgpr_count 2
		.amdhsa_user_sgpr_dispatch_ptr 0
		.amdhsa_user_sgpr_queue_ptr 0
		.amdhsa_user_sgpr_kernarg_segment_ptr 1
		.amdhsa_user_sgpr_dispatch_id 0
		.amdhsa_user_sgpr_private_segment_size 0
		.amdhsa_wavefront_size32 1
		.amdhsa_uses_dynamic_stack 0
		.amdhsa_enable_private_segment 0
		.amdhsa_system_sgpr_workgroup_id_x 1
		.amdhsa_system_sgpr_workgroup_id_y 0
		.amdhsa_system_sgpr_workgroup_id_z 0
		.amdhsa_system_sgpr_workgroup_info 0
		.amdhsa_system_vgpr_workitem_id 0
		.amdhsa_next_free_vgpr 1
		.amdhsa_next_free_sgpr 1
		.amdhsa_reserve_vcc 0
		.amdhsa_float_round_mode_32 0
		.amdhsa_float_round_mode_16_64 0
		.amdhsa_float_denorm_mode_32 3
		.amdhsa_float_denorm_mode_16_64 3
		.amdhsa_fp16_overflow 0
		.amdhsa_workgroup_processor_mode 1
		.amdhsa_memory_ordered 1
		.amdhsa_forward_progress 1
		.amdhsa_inst_pref_size 0
		.amdhsa_round_robin_scheduling 0
		.amdhsa_exception_fp_ieee_invalid_op 0
		.amdhsa_exception_fp_denorm_src 0
		.amdhsa_exception_fp_ieee_div_zero 0
		.amdhsa_exception_fp_ieee_overflow 0
		.amdhsa_exception_fp_ieee_underflow 0
		.amdhsa_exception_fp_ieee_inexact 0
		.amdhsa_exception_int_div_zero 0
	.end_amdhsa_kernel
	.section	.text._ZN7rocprim17ROCPRIM_400000_NS6detail17trampoline_kernelINS0_14default_configENS1_25partition_config_selectorILNS1_17partition_subalgoE5ElNS0_10empty_typeEbEEZZNS1_14partition_implILS5_5ELb0ES3_mN6hipcub16HIPCUB_304000_NS21CountingInputIteratorIllEEPS6_NSA_22TransformInputIteratorIbN2at6native12_GLOBAL__N_19NonZeroOpIN3c104HalfEEEPKSK_lEENS0_5tupleIJPlS6_EEENSP_IJSD_SD_EEES6_PiJS6_EEE10hipError_tPvRmT3_T4_T5_T6_T7_T9_mT8_P12ihipStream_tbDpT10_ENKUlT_T0_E_clISt17integral_constantIbLb0EES1D_EEDaS18_S19_EUlS18_E_NS1_11comp_targetILNS1_3genE3ELNS1_11target_archE908ELNS1_3gpuE7ELNS1_3repE0EEENS1_30default_config_static_selectorELNS0_4arch9wavefront6targetE0EEEvT1_,"axG",@progbits,_ZN7rocprim17ROCPRIM_400000_NS6detail17trampoline_kernelINS0_14default_configENS1_25partition_config_selectorILNS1_17partition_subalgoE5ElNS0_10empty_typeEbEEZZNS1_14partition_implILS5_5ELb0ES3_mN6hipcub16HIPCUB_304000_NS21CountingInputIteratorIllEEPS6_NSA_22TransformInputIteratorIbN2at6native12_GLOBAL__N_19NonZeroOpIN3c104HalfEEEPKSK_lEENS0_5tupleIJPlS6_EEENSP_IJSD_SD_EEES6_PiJS6_EEE10hipError_tPvRmT3_T4_T5_T6_T7_T9_mT8_P12ihipStream_tbDpT10_ENKUlT_T0_E_clISt17integral_constantIbLb0EES1D_EEDaS18_S19_EUlS18_E_NS1_11comp_targetILNS1_3genE3ELNS1_11target_archE908ELNS1_3gpuE7ELNS1_3repE0EEENS1_30default_config_static_selectorELNS0_4arch9wavefront6targetE0EEEvT1_,comdat
.Lfunc_end869:
	.size	_ZN7rocprim17ROCPRIM_400000_NS6detail17trampoline_kernelINS0_14default_configENS1_25partition_config_selectorILNS1_17partition_subalgoE5ElNS0_10empty_typeEbEEZZNS1_14partition_implILS5_5ELb0ES3_mN6hipcub16HIPCUB_304000_NS21CountingInputIteratorIllEEPS6_NSA_22TransformInputIteratorIbN2at6native12_GLOBAL__N_19NonZeroOpIN3c104HalfEEEPKSK_lEENS0_5tupleIJPlS6_EEENSP_IJSD_SD_EEES6_PiJS6_EEE10hipError_tPvRmT3_T4_T5_T6_T7_T9_mT8_P12ihipStream_tbDpT10_ENKUlT_T0_E_clISt17integral_constantIbLb0EES1D_EEDaS18_S19_EUlS18_E_NS1_11comp_targetILNS1_3genE3ELNS1_11target_archE908ELNS1_3gpuE7ELNS1_3repE0EEENS1_30default_config_static_selectorELNS0_4arch9wavefront6targetE0EEEvT1_, .Lfunc_end869-_ZN7rocprim17ROCPRIM_400000_NS6detail17trampoline_kernelINS0_14default_configENS1_25partition_config_selectorILNS1_17partition_subalgoE5ElNS0_10empty_typeEbEEZZNS1_14partition_implILS5_5ELb0ES3_mN6hipcub16HIPCUB_304000_NS21CountingInputIteratorIllEEPS6_NSA_22TransformInputIteratorIbN2at6native12_GLOBAL__N_19NonZeroOpIN3c104HalfEEEPKSK_lEENS0_5tupleIJPlS6_EEENSP_IJSD_SD_EEES6_PiJS6_EEE10hipError_tPvRmT3_T4_T5_T6_T7_T9_mT8_P12ihipStream_tbDpT10_ENKUlT_T0_E_clISt17integral_constantIbLb0EES1D_EEDaS18_S19_EUlS18_E_NS1_11comp_targetILNS1_3genE3ELNS1_11target_archE908ELNS1_3gpuE7ELNS1_3repE0EEENS1_30default_config_static_selectorELNS0_4arch9wavefront6targetE0EEEvT1_
                                        ; -- End function
	.set _ZN7rocprim17ROCPRIM_400000_NS6detail17trampoline_kernelINS0_14default_configENS1_25partition_config_selectorILNS1_17partition_subalgoE5ElNS0_10empty_typeEbEEZZNS1_14partition_implILS5_5ELb0ES3_mN6hipcub16HIPCUB_304000_NS21CountingInputIteratorIllEEPS6_NSA_22TransformInputIteratorIbN2at6native12_GLOBAL__N_19NonZeroOpIN3c104HalfEEEPKSK_lEENS0_5tupleIJPlS6_EEENSP_IJSD_SD_EEES6_PiJS6_EEE10hipError_tPvRmT3_T4_T5_T6_T7_T9_mT8_P12ihipStream_tbDpT10_ENKUlT_T0_E_clISt17integral_constantIbLb0EES1D_EEDaS18_S19_EUlS18_E_NS1_11comp_targetILNS1_3genE3ELNS1_11target_archE908ELNS1_3gpuE7ELNS1_3repE0EEENS1_30default_config_static_selectorELNS0_4arch9wavefront6targetE0EEEvT1_.num_vgpr, 0
	.set _ZN7rocprim17ROCPRIM_400000_NS6detail17trampoline_kernelINS0_14default_configENS1_25partition_config_selectorILNS1_17partition_subalgoE5ElNS0_10empty_typeEbEEZZNS1_14partition_implILS5_5ELb0ES3_mN6hipcub16HIPCUB_304000_NS21CountingInputIteratorIllEEPS6_NSA_22TransformInputIteratorIbN2at6native12_GLOBAL__N_19NonZeroOpIN3c104HalfEEEPKSK_lEENS0_5tupleIJPlS6_EEENSP_IJSD_SD_EEES6_PiJS6_EEE10hipError_tPvRmT3_T4_T5_T6_T7_T9_mT8_P12ihipStream_tbDpT10_ENKUlT_T0_E_clISt17integral_constantIbLb0EES1D_EEDaS18_S19_EUlS18_E_NS1_11comp_targetILNS1_3genE3ELNS1_11target_archE908ELNS1_3gpuE7ELNS1_3repE0EEENS1_30default_config_static_selectorELNS0_4arch9wavefront6targetE0EEEvT1_.num_agpr, 0
	.set _ZN7rocprim17ROCPRIM_400000_NS6detail17trampoline_kernelINS0_14default_configENS1_25partition_config_selectorILNS1_17partition_subalgoE5ElNS0_10empty_typeEbEEZZNS1_14partition_implILS5_5ELb0ES3_mN6hipcub16HIPCUB_304000_NS21CountingInputIteratorIllEEPS6_NSA_22TransformInputIteratorIbN2at6native12_GLOBAL__N_19NonZeroOpIN3c104HalfEEEPKSK_lEENS0_5tupleIJPlS6_EEENSP_IJSD_SD_EEES6_PiJS6_EEE10hipError_tPvRmT3_T4_T5_T6_T7_T9_mT8_P12ihipStream_tbDpT10_ENKUlT_T0_E_clISt17integral_constantIbLb0EES1D_EEDaS18_S19_EUlS18_E_NS1_11comp_targetILNS1_3genE3ELNS1_11target_archE908ELNS1_3gpuE7ELNS1_3repE0EEENS1_30default_config_static_selectorELNS0_4arch9wavefront6targetE0EEEvT1_.numbered_sgpr, 0
	.set _ZN7rocprim17ROCPRIM_400000_NS6detail17trampoline_kernelINS0_14default_configENS1_25partition_config_selectorILNS1_17partition_subalgoE5ElNS0_10empty_typeEbEEZZNS1_14partition_implILS5_5ELb0ES3_mN6hipcub16HIPCUB_304000_NS21CountingInputIteratorIllEEPS6_NSA_22TransformInputIteratorIbN2at6native12_GLOBAL__N_19NonZeroOpIN3c104HalfEEEPKSK_lEENS0_5tupleIJPlS6_EEENSP_IJSD_SD_EEES6_PiJS6_EEE10hipError_tPvRmT3_T4_T5_T6_T7_T9_mT8_P12ihipStream_tbDpT10_ENKUlT_T0_E_clISt17integral_constantIbLb0EES1D_EEDaS18_S19_EUlS18_E_NS1_11comp_targetILNS1_3genE3ELNS1_11target_archE908ELNS1_3gpuE7ELNS1_3repE0EEENS1_30default_config_static_selectorELNS0_4arch9wavefront6targetE0EEEvT1_.num_named_barrier, 0
	.set _ZN7rocprim17ROCPRIM_400000_NS6detail17trampoline_kernelINS0_14default_configENS1_25partition_config_selectorILNS1_17partition_subalgoE5ElNS0_10empty_typeEbEEZZNS1_14partition_implILS5_5ELb0ES3_mN6hipcub16HIPCUB_304000_NS21CountingInputIteratorIllEEPS6_NSA_22TransformInputIteratorIbN2at6native12_GLOBAL__N_19NonZeroOpIN3c104HalfEEEPKSK_lEENS0_5tupleIJPlS6_EEENSP_IJSD_SD_EEES6_PiJS6_EEE10hipError_tPvRmT3_T4_T5_T6_T7_T9_mT8_P12ihipStream_tbDpT10_ENKUlT_T0_E_clISt17integral_constantIbLb0EES1D_EEDaS18_S19_EUlS18_E_NS1_11comp_targetILNS1_3genE3ELNS1_11target_archE908ELNS1_3gpuE7ELNS1_3repE0EEENS1_30default_config_static_selectorELNS0_4arch9wavefront6targetE0EEEvT1_.private_seg_size, 0
	.set _ZN7rocprim17ROCPRIM_400000_NS6detail17trampoline_kernelINS0_14default_configENS1_25partition_config_selectorILNS1_17partition_subalgoE5ElNS0_10empty_typeEbEEZZNS1_14partition_implILS5_5ELb0ES3_mN6hipcub16HIPCUB_304000_NS21CountingInputIteratorIllEEPS6_NSA_22TransformInputIteratorIbN2at6native12_GLOBAL__N_19NonZeroOpIN3c104HalfEEEPKSK_lEENS0_5tupleIJPlS6_EEENSP_IJSD_SD_EEES6_PiJS6_EEE10hipError_tPvRmT3_T4_T5_T6_T7_T9_mT8_P12ihipStream_tbDpT10_ENKUlT_T0_E_clISt17integral_constantIbLb0EES1D_EEDaS18_S19_EUlS18_E_NS1_11comp_targetILNS1_3genE3ELNS1_11target_archE908ELNS1_3gpuE7ELNS1_3repE0EEENS1_30default_config_static_selectorELNS0_4arch9wavefront6targetE0EEEvT1_.uses_vcc, 0
	.set _ZN7rocprim17ROCPRIM_400000_NS6detail17trampoline_kernelINS0_14default_configENS1_25partition_config_selectorILNS1_17partition_subalgoE5ElNS0_10empty_typeEbEEZZNS1_14partition_implILS5_5ELb0ES3_mN6hipcub16HIPCUB_304000_NS21CountingInputIteratorIllEEPS6_NSA_22TransformInputIteratorIbN2at6native12_GLOBAL__N_19NonZeroOpIN3c104HalfEEEPKSK_lEENS0_5tupleIJPlS6_EEENSP_IJSD_SD_EEES6_PiJS6_EEE10hipError_tPvRmT3_T4_T5_T6_T7_T9_mT8_P12ihipStream_tbDpT10_ENKUlT_T0_E_clISt17integral_constantIbLb0EES1D_EEDaS18_S19_EUlS18_E_NS1_11comp_targetILNS1_3genE3ELNS1_11target_archE908ELNS1_3gpuE7ELNS1_3repE0EEENS1_30default_config_static_selectorELNS0_4arch9wavefront6targetE0EEEvT1_.uses_flat_scratch, 0
	.set _ZN7rocprim17ROCPRIM_400000_NS6detail17trampoline_kernelINS0_14default_configENS1_25partition_config_selectorILNS1_17partition_subalgoE5ElNS0_10empty_typeEbEEZZNS1_14partition_implILS5_5ELb0ES3_mN6hipcub16HIPCUB_304000_NS21CountingInputIteratorIllEEPS6_NSA_22TransformInputIteratorIbN2at6native12_GLOBAL__N_19NonZeroOpIN3c104HalfEEEPKSK_lEENS0_5tupleIJPlS6_EEENSP_IJSD_SD_EEES6_PiJS6_EEE10hipError_tPvRmT3_T4_T5_T6_T7_T9_mT8_P12ihipStream_tbDpT10_ENKUlT_T0_E_clISt17integral_constantIbLb0EES1D_EEDaS18_S19_EUlS18_E_NS1_11comp_targetILNS1_3genE3ELNS1_11target_archE908ELNS1_3gpuE7ELNS1_3repE0EEENS1_30default_config_static_selectorELNS0_4arch9wavefront6targetE0EEEvT1_.has_dyn_sized_stack, 0
	.set _ZN7rocprim17ROCPRIM_400000_NS6detail17trampoline_kernelINS0_14default_configENS1_25partition_config_selectorILNS1_17partition_subalgoE5ElNS0_10empty_typeEbEEZZNS1_14partition_implILS5_5ELb0ES3_mN6hipcub16HIPCUB_304000_NS21CountingInputIteratorIllEEPS6_NSA_22TransformInputIteratorIbN2at6native12_GLOBAL__N_19NonZeroOpIN3c104HalfEEEPKSK_lEENS0_5tupleIJPlS6_EEENSP_IJSD_SD_EEES6_PiJS6_EEE10hipError_tPvRmT3_T4_T5_T6_T7_T9_mT8_P12ihipStream_tbDpT10_ENKUlT_T0_E_clISt17integral_constantIbLb0EES1D_EEDaS18_S19_EUlS18_E_NS1_11comp_targetILNS1_3genE3ELNS1_11target_archE908ELNS1_3gpuE7ELNS1_3repE0EEENS1_30default_config_static_selectorELNS0_4arch9wavefront6targetE0EEEvT1_.has_recursion, 0
	.set _ZN7rocprim17ROCPRIM_400000_NS6detail17trampoline_kernelINS0_14default_configENS1_25partition_config_selectorILNS1_17partition_subalgoE5ElNS0_10empty_typeEbEEZZNS1_14partition_implILS5_5ELb0ES3_mN6hipcub16HIPCUB_304000_NS21CountingInputIteratorIllEEPS6_NSA_22TransformInputIteratorIbN2at6native12_GLOBAL__N_19NonZeroOpIN3c104HalfEEEPKSK_lEENS0_5tupleIJPlS6_EEENSP_IJSD_SD_EEES6_PiJS6_EEE10hipError_tPvRmT3_T4_T5_T6_T7_T9_mT8_P12ihipStream_tbDpT10_ENKUlT_T0_E_clISt17integral_constantIbLb0EES1D_EEDaS18_S19_EUlS18_E_NS1_11comp_targetILNS1_3genE3ELNS1_11target_archE908ELNS1_3gpuE7ELNS1_3repE0EEENS1_30default_config_static_selectorELNS0_4arch9wavefront6targetE0EEEvT1_.has_indirect_call, 0
	.section	.AMDGPU.csdata,"",@progbits
; Kernel info:
; codeLenInByte = 0
; TotalNumSgprs: 0
; NumVgprs: 0
; ScratchSize: 0
; MemoryBound: 0
; FloatMode: 240
; IeeeMode: 1
; LDSByteSize: 0 bytes/workgroup (compile time only)
; SGPRBlocks: 0
; VGPRBlocks: 0
; NumSGPRsForWavesPerEU: 1
; NumVGPRsForWavesPerEU: 1
; Occupancy: 16
; WaveLimiterHint : 0
; COMPUTE_PGM_RSRC2:SCRATCH_EN: 0
; COMPUTE_PGM_RSRC2:USER_SGPR: 2
; COMPUTE_PGM_RSRC2:TRAP_HANDLER: 0
; COMPUTE_PGM_RSRC2:TGID_X_EN: 1
; COMPUTE_PGM_RSRC2:TGID_Y_EN: 0
; COMPUTE_PGM_RSRC2:TGID_Z_EN: 0
; COMPUTE_PGM_RSRC2:TIDIG_COMP_CNT: 0
	.section	.text._ZN7rocprim17ROCPRIM_400000_NS6detail17trampoline_kernelINS0_14default_configENS1_25partition_config_selectorILNS1_17partition_subalgoE5ElNS0_10empty_typeEbEEZZNS1_14partition_implILS5_5ELb0ES3_mN6hipcub16HIPCUB_304000_NS21CountingInputIteratorIllEEPS6_NSA_22TransformInputIteratorIbN2at6native12_GLOBAL__N_19NonZeroOpIN3c104HalfEEEPKSK_lEENS0_5tupleIJPlS6_EEENSP_IJSD_SD_EEES6_PiJS6_EEE10hipError_tPvRmT3_T4_T5_T6_T7_T9_mT8_P12ihipStream_tbDpT10_ENKUlT_T0_E_clISt17integral_constantIbLb0EES1D_EEDaS18_S19_EUlS18_E_NS1_11comp_targetILNS1_3genE2ELNS1_11target_archE906ELNS1_3gpuE6ELNS1_3repE0EEENS1_30default_config_static_selectorELNS0_4arch9wavefront6targetE0EEEvT1_,"axG",@progbits,_ZN7rocprim17ROCPRIM_400000_NS6detail17trampoline_kernelINS0_14default_configENS1_25partition_config_selectorILNS1_17partition_subalgoE5ElNS0_10empty_typeEbEEZZNS1_14partition_implILS5_5ELb0ES3_mN6hipcub16HIPCUB_304000_NS21CountingInputIteratorIllEEPS6_NSA_22TransformInputIteratorIbN2at6native12_GLOBAL__N_19NonZeroOpIN3c104HalfEEEPKSK_lEENS0_5tupleIJPlS6_EEENSP_IJSD_SD_EEES6_PiJS6_EEE10hipError_tPvRmT3_T4_T5_T6_T7_T9_mT8_P12ihipStream_tbDpT10_ENKUlT_T0_E_clISt17integral_constantIbLb0EES1D_EEDaS18_S19_EUlS18_E_NS1_11comp_targetILNS1_3genE2ELNS1_11target_archE906ELNS1_3gpuE6ELNS1_3repE0EEENS1_30default_config_static_selectorELNS0_4arch9wavefront6targetE0EEEvT1_,comdat
	.globl	_ZN7rocprim17ROCPRIM_400000_NS6detail17trampoline_kernelINS0_14default_configENS1_25partition_config_selectorILNS1_17partition_subalgoE5ElNS0_10empty_typeEbEEZZNS1_14partition_implILS5_5ELb0ES3_mN6hipcub16HIPCUB_304000_NS21CountingInputIteratorIllEEPS6_NSA_22TransformInputIteratorIbN2at6native12_GLOBAL__N_19NonZeroOpIN3c104HalfEEEPKSK_lEENS0_5tupleIJPlS6_EEENSP_IJSD_SD_EEES6_PiJS6_EEE10hipError_tPvRmT3_T4_T5_T6_T7_T9_mT8_P12ihipStream_tbDpT10_ENKUlT_T0_E_clISt17integral_constantIbLb0EES1D_EEDaS18_S19_EUlS18_E_NS1_11comp_targetILNS1_3genE2ELNS1_11target_archE906ELNS1_3gpuE6ELNS1_3repE0EEENS1_30default_config_static_selectorELNS0_4arch9wavefront6targetE0EEEvT1_ ; -- Begin function _ZN7rocprim17ROCPRIM_400000_NS6detail17trampoline_kernelINS0_14default_configENS1_25partition_config_selectorILNS1_17partition_subalgoE5ElNS0_10empty_typeEbEEZZNS1_14partition_implILS5_5ELb0ES3_mN6hipcub16HIPCUB_304000_NS21CountingInputIteratorIllEEPS6_NSA_22TransformInputIteratorIbN2at6native12_GLOBAL__N_19NonZeroOpIN3c104HalfEEEPKSK_lEENS0_5tupleIJPlS6_EEENSP_IJSD_SD_EEES6_PiJS6_EEE10hipError_tPvRmT3_T4_T5_T6_T7_T9_mT8_P12ihipStream_tbDpT10_ENKUlT_T0_E_clISt17integral_constantIbLb0EES1D_EEDaS18_S19_EUlS18_E_NS1_11comp_targetILNS1_3genE2ELNS1_11target_archE906ELNS1_3gpuE6ELNS1_3repE0EEENS1_30default_config_static_selectorELNS0_4arch9wavefront6targetE0EEEvT1_
	.p2align	8
	.type	_ZN7rocprim17ROCPRIM_400000_NS6detail17trampoline_kernelINS0_14default_configENS1_25partition_config_selectorILNS1_17partition_subalgoE5ElNS0_10empty_typeEbEEZZNS1_14partition_implILS5_5ELb0ES3_mN6hipcub16HIPCUB_304000_NS21CountingInputIteratorIllEEPS6_NSA_22TransformInputIteratorIbN2at6native12_GLOBAL__N_19NonZeroOpIN3c104HalfEEEPKSK_lEENS0_5tupleIJPlS6_EEENSP_IJSD_SD_EEES6_PiJS6_EEE10hipError_tPvRmT3_T4_T5_T6_T7_T9_mT8_P12ihipStream_tbDpT10_ENKUlT_T0_E_clISt17integral_constantIbLb0EES1D_EEDaS18_S19_EUlS18_E_NS1_11comp_targetILNS1_3genE2ELNS1_11target_archE906ELNS1_3gpuE6ELNS1_3repE0EEENS1_30default_config_static_selectorELNS0_4arch9wavefront6targetE0EEEvT1_,@function
_ZN7rocprim17ROCPRIM_400000_NS6detail17trampoline_kernelINS0_14default_configENS1_25partition_config_selectorILNS1_17partition_subalgoE5ElNS0_10empty_typeEbEEZZNS1_14partition_implILS5_5ELb0ES3_mN6hipcub16HIPCUB_304000_NS21CountingInputIteratorIllEEPS6_NSA_22TransformInputIteratorIbN2at6native12_GLOBAL__N_19NonZeroOpIN3c104HalfEEEPKSK_lEENS0_5tupleIJPlS6_EEENSP_IJSD_SD_EEES6_PiJS6_EEE10hipError_tPvRmT3_T4_T5_T6_T7_T9_mT8_P12ihipStream_tbDpT10_ENKUlT_T0_E_clISt17integral_constantIbLb0EES1D_EEDaS18_S19_EUlS18_E_NS1_11comp_targetILNS1_3genE2ELNS1_11target_archE906ELNS1_3gpuE6ELNS1_3repE0EEENS1_30default_config_static_selectorELNS0_4arch9wavefront6targetE0EEEvT1_: ; @_ZN7rocprim17ROCPRIM_400000_NS6detail17trampoline_kernelINS0_14default_configENS1_25partition_config_selectorILNS1_17partition_subalgoE5ElNS0_10empty_typeEbEEZZNS1_14partition_implILS5_5ELb0ES3_mN6hipcub16HIPCUB_304000_NS21CountingInputIteratorIllEEPS6_NSA_22TransformInputIteratorIbN2at6native12_GLOBAL__N_19NonZeroOpIN3c104HalfEEEPKSK_lEENS0_5tupleIJPlS6_EEENSP_IJSD_SD_EEES6_PiJS6_EEE10hipError_tPvRmT3_T4_T5_T6_T7_T9_mT8_P12ihipStream_tbDpT10_ENKUlT_T0_E_clISt17integral_constantIbLb0EES1D_EEDaS18_S19_EUlS18_E_NS1_11comp_targetILNS1_3genE2ELNS1_11target_archE906ELNS1_3gpuE6ELNS1_3repE0EEENS1_30default_config_static_selectorELNS0_4arch9wavefront6targetE0EEEvT1_
; %bb.0:
	.section	.rodata,"a",@progbits
	.p2align	6, 0x0
	.amdhsa_kernel _ZN7rocprim17ROCPRIM_400000_NS6detail17trampoline_kernelINS0_14default_configENS1_25partition_config_selectorILNS1_17partition_subalgoE5ElNS0_10empty_typeEbEEZZNS1_14partition_implILS5_5ELb0ES3_mN6hipcub16HIPCUB_304000_NS21CountingInputIteratorIllEEPS6_NSA_22TransformInputIteratorIbN2at6native12_GLOBAL__N_19NonZeroOpIN3c104HalfEEEPKSK_lEENS0_5tupleIJPlS6_EEENSP_IJSD_SD_EEES6_PiJS6_EEE10hipError_tPvRmT3_T4_T5_T6_T7_T9_mT8_P12ihipStream_tbDpT10_ENKUlT_T0_E_clISt17integral_constantIbLb0EES1D_EEDaS18_S19_EUlS18_E_NS1_11comp_targetILNS1_3genE2ELNS1_11target_archE906ELNS1_3gpuE6ELNS1_3repE0EEENS1_30default_config_static_selectorELNS0_4arch9wavefront6targetE0EEEvT1_
		.amdhsa_group_segment_fixed_size 0
		.amdhsa_private_segment_fixed_size 0
		.amdhsa_kernarg_size 120
		.amdhsa_user_sgpr_count 2
		.amdhsa_user_sgpr_dispatch_ptr 0
		.amdhsa_user_sgpr_queue_ptr 0
		.amdhsa_user_sgpr_kernarg_segment_ptr 1
		.amdhsa_user_sgpr_dispatch_id 0
		.amdhsa_user_sgpr_private_segment_size 0
		.amdhsa_wavefront_size32 1
		.amdhsa_uses_dynamic_stack 0
		.amdhsa_enable_private_segment 0
		.amdhsa_system_sgpr_workgroup_id_x 1
		.amdhsa_system_sgpr_workgroup_id_y 0
		.amdhsa_system_sgpr_workgroup_id_z 0
		.amdhsa_system_sgpr_workgroup_info 0
		.amdhsa_system_vgpr_workitem_id 0
		.amdhsa_next_free_vgpr 1
		.amdhsa_next_free_sgpr 1
		.amdhsa_reserve_vcc 0
		.amdhsa_float_round_mode_32 0
		.amdhsa_float_round_mode_16_64 0
		.amdhsa_float_denorm_mode_32 3
		.amdhsa_float_denorm_mode_16_64 3
		.amdhsa_fp16_overflow 0
		.amdhsa_workgroup_processor_mode 1
		.amdhsa_memory_ordered 1
		.amdhsa_forward_progress 1
		.amdhsa_inst_pref_size 0
		.amdhsa_round_robin_scheduling 0
		.amdhsa_exception_fp_ieee_invalid_op 0
		.amdhsa_exception_fp_denorm_src 0
		.amdhsa_exception_fp_ieee_div_zero 0
		.amdhsa_exception_fp_ieee_overflow 0
		.amdhsa_exception_fp_ieee_underflow 0
		.amdhsa_exception_fp_ieee_inexact 0
		.amdhsa_exception_int_div_zero 0
	.end_amdhsa_kernel
	.section	.text._ZN7rocprim17ROCPRIM_400000_NS6detail17trampoline_kernelINS0_14default_configENS1_25partition_config_selectorILNS1_17partition_subalgoE5ElNS0_10empty_typeEbEEZZNS1_14partition_implILS5_5ELb0ES3_mN6hipcub16HIPCUB_304000_NS21CountingInputIteratorIllEEPS6_NSA_22TransformInputIteratorIbN2at6native12_GLOBAL__N_19NonZeroOpIN3c104HalfEEEPKSK_lEENS0_5tupleIJPlS6_EEENSP_IJSD_SD_EEES6_PiJS6_EEE10hipError_tPvRmT3_T4_T5_T6_T7_T9_mT8_P12ihipStream_tbDpT10_ENKUlT_T0_E_clISt17integral_constantIbLb0EES1D_EEDaS18_S19_EUlS18_E_NS1_11comp_targetILNS1_3genE2ELNS1_11target_archE906ELNS1_3gpuE6ELNS1_3repE0EEENS1_30default_config_static_selectorELNS0_4arch9wavefront6targetE0EEEvT1_,"axG",@progbits,_ZN7rocprim17ROCPRIM_400000_NS6detail17trampoline_kernelINS0_14default_configENS1_25partition_config_selectorILNS1_17partition_subalgoE5ElNS0_10empty_typeEbEEZZNS1_14partition_implILS5_5ELb0ES3_mN6hipcub16HIPCUB_304000_NS21CountingInputIteratorIllEEPS6_NSA_22TransformInputIteratorIbN2at6native12_GLOBAL__N_19NonZeroOpIN3c104HalfEEEPKSK_lEENS0_5tupleIJPlS6_EEENSP_IJSD_SD_EEES6_PiJS6_EEE10hipError_tPvRmT3_T4_T5_T6_T7_T9_mT8_P12ihipStream_tbDpT10_ENKUlT_T0_E_clISt17integral_constantIbLb0EES1D_EEDaS18_S19_EUlS18_E_NS1_11comp_targetILNS1_3genE2ELNS1_11target_archE906ELNS1_3gpuE6ELNS1_3repE0EEENS1_30default_config_static_selectorELNS0_4arch9wavefront6targetE0EEEvT1_,comdat
.Lfunc_end870:
	.size	_ZN7rocprim17ROCPRIM_400000_NS6detail17trampoline_kernelINS0_14default_configENS1_25partition_config_selectorILNS1_17partition_subalgoE5ElNS0_10empty_typeEbEEZZNS1_14partition_implILS5_5ELb0ES3_mN6hipcub16HIPCUB_304000_NS21CountingInputIteratorIllEEPS6_NSA_22TransformInputIteratorIbN2at6native12_GLOBAL__N_19NonZeroOpIN3c104HalfEEEPKSK_lEENS0_5tupleIJPlS6_EEENSP_IJSD_SD_EEES6_PiJS6_EEE10hipError_tPvRmT3_T4_T5_T6_T7_T9_mT8_P12ihipStream_tbDpT10_ENKUlT_T0_E_clISt17integral_constantIbLb0EES1D_EEDaS18_S19_EUlS18_E_NS1_11comp_targetILNS1_3genE2ELNS1_11target_archE906ELNS1_3gpuE6ELNS1_3repE0EEENS1_30default_config_static_selectorELNS0_4arch9wavefront6targetE0EEEvT1_, .Lfunc_end870-_ZN7rocprim17ROCPRIM_400000_NS6detail17trampoline_kernelINS0_14default_configENS1_25partition_config_selectorILNS1_17partition_subalgoE5ElNS0_10empty_typeEbEEZZNS1_14partition_implILS5_5ELb0ES3_mN6hipcub16HIPCUB_304000_NS21CountingInputIteratorIllEEPS6_NSA_22TransformInputIteratorIbN2at6native12_GLOBAL__N_19NonZeroOpIN3c104HalfEEEPKSK_lEENS0_5tupleIJPlS6_EEENSP_IJSD_SD_EEES6_PiJS6_EEE10hipError_tPvRmT3_T4_T5_T6_T7_T9_mT8_P12ihipStream_tbDpT10_ENKUlT_T0_E_clISt17integral_constantIbLb0EES1D_EEDaS18_S19_EUlS18_E_NS1_11comp_targetILNS1_3genE2ELNS1_11target_archE906ELNS1_3gpuE6ELNS1_3repE0EEENS1_30default_config_static_selectorELNS0_4arch9wavefront6targetE0EEEvT1_
                                        ; -- End function
	.set _ZN7rocprim17ROCPRIM_400000_NS6detail17trampoline_kernelINS0_14default_configENS1_25partition_config_selectorILNS1_17partition_subalgoE5ElNS0_10empty_typeEbEEZZNS1_14partition_implILS5_5ELb0ES3_mN6hipcub16HIPCUB_304000_NS21CountingInputIteratorIllEEPS6_NSA_22TransformInputIteratorIbN2at6native12_GLOBAL__N_19NonZeroOpIN3c104HalfEEEPKSK_lEENS0_5tupleIJPlS6_EEENSP_IJSD_SD_EEES6_PiJS6_EEE10hipError_tPvRmT3_T4_T5_T6_T7_T9_mT8_P12ihipStream_tbDpT10_ENKUlT_T0_E_clISt17integral_constantIbLb0EES1D_EEDaS18_S19_EUlS18_E_NS1_11comp_targetILNS1_3genE2ELNS1_11target_archE906ELNS1_3gpuE6ELNS1_3repE0EEENS1_30default_config_static_selectorELNS0_4arch9wavefront6targetE0EEEvT1_.num_vgpr, 0
	.set _ZN7rocprim17ROCPRIM_400000_NS6detail17trampoline_kernelINS0_14default_configENS1_25partition_config_selectorILNS1_17partition_subalgoE5ElNS0_10empty_typeEbEEZZNS1_14partition_implILS5_5ELb0ES3_mN6hipcub16HIPCUB_304000_NS21CountingInputIteratorIllEEPS6_NSA_22TransformInputIteratorIbN2at6native12_GLOBAL__N_19NonZeroOpIN3c104HalfEEEPKSK_lEENS0_5tupleIJPlS6_EEENSP_IJSD_SD_EEES6_PiJS6_EEE10hipError_tPvRmT3_T4_T5_T6_T7_T9_mT8_P12ihipStream_tbDpT10_ENKUlT_T0_E_clISt17integral_constantIbLb0EES1D_EEDaS18_S19_EUlS18_E_NS1_11comp_targetILNS1_3genE2ELNS1_11target_archE906ELNS1_3gpuE6ELNS1_3repE0EEENS1_30default_config_static_selectorELNS0_4arch9wavefront6targetE0EEEvT1_.num_agpr, 0
	.set _ZN7rocprim17ROCPRIM_400000_NS6detail17trampoline_kernelINS0_14default_configENS1_25partition_config_selectorILNS1_17partition_subalgoE5ElNS0_10empty_typeEbEEZZNS1_14partition_implILS5_5ELb0ES3_mN6hipcub16HIPCUB_304000_NS21CountingInputIteratorIllEEPS6_NSA_22TransformInputIteratorIbN2at6native12_GLOBAL__N_19NonZeroOpIN3c104HalfEEEPKSK_lEENS0_5tupleIJPlS6_EEENSP_IJSD_SD_EEES6_PiJS6_EEE10hipError_tPvRmT3_T4_T5_T6_T7_T9_mT8_P12ihipStream_tbDpT10_ENKUlT_T0_E_clISt17integral_constantIbLb0EES1D_EEDaS18_S19_EUlS18_E_NS1_11comp_targetILNS1_3genE2ELNS1_11target_archE906ELNS1_3gpuE6ELNS1_3repE0EEENS1_30default_config_static_selectorELNS0_4arch9wavefront6targetE0EEEvT1_.numbered_sgpr, 0
	.set _ZN7rocprim17ROCPRIM_400000_NS6detail17trampoline_kernelINS0_14default_configENS1_25partition_config_selectorILNS1_17partition_subalgoE5ElNS0_10empty_typeEbEEZZNS1_14partition_implILS5_5ELb0ES3_mN6hipcub16HIPCUB_304000_NS21CountingInputIteratorIllEEPS6_NSA_22TransformInputIteratorIbN2at6native12_GLOBAL__N_19NonZeroOpIN3c104HalfEEEPKSK_lEENS0_5tupleIJPlS6_EEENSP_IJSD_SD_EEES6_PiJS6_EEE10hipError_tPvRmT3_T4_T5_T6_T7_T9_mT8_P12ihipStream_tbDpT10_ENKUlT_T0_E_clISt17integral_constantIbLb0EES1D_EEDaS18_S19_EUlS18_E_NS1_11comp_targetILNS1_3genE2ELNS1_11target_archE906ELNS1_3gpuE6ELNS1_3repE0EEENS1_30default_config_static_selectorELNS0_4arch9wavefront6targetE0EEEvT1_.num_named_barrier, 0
	.set _ZN7rocprim17ROCPRIM_400000_NS6detail17trampoline_kernelINS0_14default_configENS1_25partition_config_selectorILNS1_17partition_subalgoE5ElNS0_10empty_typeEbEEZZNS1_14partition_implILS5_5ELb0ES3_mN6hipcub16HIPCUB_304000_NS21CountingInputIteratorIllEEPS6_NSA_22TransformInputIteratorIbN2at6native12_GLOBAL__N_19NonZeroOpIN3c104HalfEEEPKSK_lEENS0_5tupleIJPlS6_EEENSP_IJSD_SD_EEES6_PiJS6_EEE10hipError_tPvRmT3_T4_T5_T6_T7_T9_mT8_P12ihipStream_tbDpT10_ENKUlT_T0_E_clISt17integral_constantIbLb0EES1D_EEDaS18_S19_EUlS18_E_NS1_11comp_targetILNS1_3genE2ELNS1_11target_archE906ELNS1_3gpuE6ELNS1_3repE0EEENS1_30default_config_static_selectorELNS0_4arch9wavefront6targetE0EEEvT1_.private_seg_size, 0
	.set _ZN7rocprim17ROCPRIM_400000_NS6detail17trampoline_kernelINS0_14default_configENS1_25partition_config_selectorILNS1_17partition_subalgoE5ElNS0_10empty_typeEbEEZZNS1_14partition_implILS5_5ELb0ES3_mN6hipcub16HIPCUB_304000_NS21CountingInputIteratorIllEEPS6_NSA_22TransformInputIteratorIbN2at6native12_GLOBAL__N_19NonZeroOpIN3c104HalfEEEPKSK_lEENS0_5tupleIJPlS6_EEENSP_IJSD_SD_EEES6_PiJS6_EEE10hipError_tPvRmT3_T4_T5_T6_T7_T9_mT8_P12ihipStream_tbDpT10_ENKUlT_T0_E_clISt17integral_constantIbLb0EES1D_EEDaS18_S19_EUlS18_E_NS1_11comp_targetILNS1_3genE2ELNS1_11target_archE906ELNS1_3gpuE6ELNS1_3repE0EEENS1_30default_config_static_selectorELNS0_4arch9wavefront6targetE0EEEvT1_.uses_vcc, 0
	.set _ZN7rocprim17ROCPRIM_400000_NS6detail17trampoline_kernelINS0_14default_configENS1_25partition_config_selectorILNS1_17partition_subalgoE5ElNS0_10empty_typeEbEEZZNS1_14partition_implILS5_5ELb0ES3_mN6hipcub16HIPCUB_304000_NS21CountingInputIteratorIllEEPS6_NSA_22TransformInputIteratorIbN2at6native12_GLOBAL__N_19NonZeroOpIN3c104HalfEEEPKSK_lEENS0_5tupleIJPlS6_EEENSP_IJSD_SD_EEES6_PiJS6_EEE10hipError_tPvRmT3_T4_T5_T6_T7_T9_mT8_P12ihipStream_tbDpT10_ENKUlT_T0_E_clISt17integral_constantIbLb0EES1D_EEDaS18_S19_EUlS18_E_NS1_11comp_targetILNS1_3genE2ELNS1_11target_archE906ELNS1_3gpuE6ELNS1_3repE0EEENS1_30default_config_static_selectorELNS0_4arch9wavefront6targetE0EEEvT1_.uses_flat_scratch, 0
	.set _ZN7rocprim17ROCPRIM_400000_NS6detail17trampoline_kernelINS0_14default_configENS1_25partition_config_selectorILNS1_17partition_subalgoE5ElNS0_10empty_typeEbEEZZNS1_14partition_implILS5_5ELb0ES3_mN6hipcub16HIPCUB_304000_NS21CountingInputIteratorIllEEPS6_NSA_22TransformInputIteratorIbN2at6native12_GLOBAL__N_19NonZeroOpIN3c104HalfEEEPKSK_lEENS0_5tupleIJPlS6_EEENSP_IJSD_SD_EEES6_PiJS6_EEE10hipError_tPvRmT3_T4_T5_T6_T7_T9_mT8_P12ihipStream_tbDpT10_ENKUlT_T0_E_clISt17integral_constantIbLb0EES1D_EEDaS18_S19_EUlS18_E_NS1_11comp_targetILNS1_3genE2ELNS1_11target_archE906ELNS1_3gpuE6ELNS1_3repE0EEENS1_30default_config_static_selectorELNS0_4arch9wavefront6targetE0EEEvT1_.has_dyn_sized_stack, 0
	.set _ZN7rocprim17ROCPRIM_400000_NS6detail17trampoline_kernelINS0_14default_configENS1_25partition_config_selectorILNS1_17partition_subalgoE5ElNS0_10empty_typeEbEEZZNS1_14partition_implILS5_5ELb0ES3_mN6hipcub16HIPCUB_304000_NS21CountingInputIteratorIllEEPS6_NSA_22TransformInputIteratorIbN2at6native12_GLOBAL__N_19NonZeroOpIN3c104HalfEEEPKSK_lEENS0_5tupleIJPlS6_EEENSP_IJSD_SD_EEES6_PiJS6_EEE10hipError_tPvRmT3_T4_T5_T6_T7_T9_mT8_P12ihipStream_tbDpT10_ENKUlT_T0_E_clISt17integral_constantIbLb0EES1D_EEDaS18_S19_EUlS18_E_NS1_11comp_targetILNS1_3genE2ELNS1_11target_archE906ELNS1_3gpuE6ELNS1_3repE0EEENS1_30default_config_static_selectorELNS0_4arch9wavefront6targetE0EEEvT1_.has_recursion, 0
	.set _ZN7rocprim17ROCPRIM_400000_NS6detail17trampoline_kernelINS0_14default_configENS1_25partition_config_selectorILNS1_17partition_subalgoE5ElNS0_10empty_typeEbEEZZNS1_14partition_implILS5_5ELb0ES3_mN6hipcub16HIPCUB_304000_NS21CountingInputIteratorIllEEPS6_NSA_22TransformInputIteratorIbN2at6native12_GLOBAL__N_19NonZeroOpIN3c104HalfEEEPKSK_lEENS0_5tupleIJPlS6_EEENSP_IJSD_SD_EEES6_PiJS6_EEE10hipError_tPvRmT3_T4_T5_T6_T7_T9_mT8_P12ihipStream_tbDpT10_ENKUlT_T0_E_clISt17integral_constantIbLb0EES1D_EEDaS18_S19_EUlS18_E_NS1_11comp_targetILNS1_3genE2ELNS1_11target_archE906ELNS1_3gpuE6ELNS1_3repE0EEENS1_30default_config_static_selectorELNS0_4arch9wavefront6targetE0EEEvT1_.has_indirect_call, 0
	.section	.AMDGPU.csdata,"",@progbits
; Kernel info:
; codeLenInByte = 0
; TotalNumSgprs: 0
; NumVgprs: 0
; ScratchSize: 0
; MemoryBound: 0
; FloatMode: 240
; IeeeMode: 1
; LDSByteSize: 0 bytes/workgroup (compile time only)
; SGPRBlocks: 0
; VGPRBlocks: 0
; NumSGPRsForWavesPerEU: 1
; NumVGPRsForWavesPerEU: 1
; Occupancy: 16
; WaveLimiterHint : 0
; COMPUTE_PGM_RSRC2:SCRATCH_EN: 0
; COMPUTE_PGM_RSRC2:USER_SGPR: 2
; COMPUTE_PGM_RSRC2:TRAP_HANDLER: 0
; COMPUTE_PGM_RSRC2:TGID_X_EN: 1
; COMPUTE_PGM_RSRC2:TGID_Y_EN: 0
; COMPUTE_PGM_RSRC2:TGID_Z_EN: 0
; COMPUTE_PGM_RSRC2:TIDIG_COMP_CNT: 0
	.section	.text._ZN7rocprim17ROCPRIM_400000_NS6detail17trampoline_kernelINS0_14default_configENS1_25partition_config_selectorILNS1_17partition_subalgoE5ElNS0_10empty_typeEbEEZZNS1_14partition_implILS5_5ELb0ES3_mN6hipcub16HIPCUB_304000_NS21CountingInputIteratorIllEEPS6_NSA_22TransformInputIteratorIbN2at6native12_GLOBAL__N_19NonZeroOpIN3c104HalfEEEPKSK_lEENS0_5tupleIJPlS6_EEENSP_IJSD_SD_EEES6_PiJS6_EEE10hipError_tPvRmT3_T4_T5_T6_T7_T9_mT8_P12ihipStream_tbDpT10_ENKUlT_T0_E_clISt17integral_constantIbLb0EES1D_EEDaS18_S19_EUlS18_E_NS1_11comp_targetILNS1_3genE10ELNS1_11target_archE1200ELNS1_3gpuE4ELNS1_3repE0EEENS1_30default_config_static_selectorELNS0_4arch9wavefront6targetE0EEEvT1_,"axG",@progbits,_ZN7rocprim17ROCPRIM_400000_NS6detail17trampoline_kernelINS0_14default_configENS1_25partition_config_selectorILNS1_17partition_subalgoE5ElNS0_10empty_typeEbEEZZNS1_14partition_implILS5_5ELb0ES3_mN6hipcub16HIPCUB_304000_NS21CountingInputIteratorIllEEPS6_NSA_22TransformInputIteratorIbN2at6native12_GLOBAL__N_19NonZeroOpIN3c104HalfEEEPKSK_lEENS0_5tupleIJPlS6_EEENSP_IJSD_SD_EEES6_PiJS6_EEE10hipError_tPvRmT3_T4_T5_T6_T7_T9_mT8_P12ihipStream_tbDpT10_ENKUlT_T0_E_clISt17integral_constantIbLb0EES1D_EEDaS18_S19_EUlS18_E_NS1_11comp_targetILNS1_3genE10ELNS1_11target_archE1200ELNS1_3gpuE4ELNS1_3repE0EEENS1_30default_config_static_selectorELNS0_4arch9wavefront6targetE0EEEvT1_,comdat
	.globl	_ZN7rocprim17ROCPRIM_400000_NS6detail17trampoline_kernelINS0_14default_configENS1_25partition_config_selectorILNS1_17partition_subalgoE5ElNS0_10empty_typeEbEEZZNS1_14partition_implILS5_5ELb0ES3_mN6hipcub16HIPCUB_304000_NS21CountingInputIteratorIllEEPS6_NSA_22TransformInputIteratorIbN2at6native12_GLOBAL__N_19NonZeroOpIN3c104HalfEEEPKSK_lEENS0_5tupleIJPlS6_EEENSP_IJSD_SD_EEES6_PiJS6_EEE10hipError_tPvRmT3_T4_T5_T6_T7_T9_mT8_P12ihipStream_tbDpT10_ENKUlT_T0_E_clISt17integral_constantIbLb0EES1D_EEDaS18_S19_EUlS18_E_NS1_11comp_targetILNS1_3genE10ELNS1_11target_archE1200ELNS1_3gpuE4ELNS1_3repE0EEENS1_30default_config_static_selectorELNS0_4arch9wavefront6targetE0EEEvT1_ ; -- Begin function _ZN7rocprim17ROCPRIM_400000_NS6detail17trampoline_kernelINS0_14default_configENS1_25partition_config_selectorILNS1_17partition_subalgoE5ElNS0_10empty_typeEbEEZZNS1_14partition_implILS5_5ELb0ES3_mN6hipcub16HIPCUB_304000_NS21CountingInputIteratorIllEEPS6_NSA_22TransformInputIteratorIbN2at6native12_GLOBAL__N_19NonZeroOpIN3c104HalfEEEPKSK_lEENS0_5tupleIJPlS6_EEENSP_IJSD_SD_EEES6_PiJS6_EEE10hipError_tPvRmT3_T4_T5_T6_T7_T9_mT8_P12ihipStream_tbDpT10_ENKUlT_T0_E_clISt17integral_constantIbLb0EES1D_EEDaS18_S19_EUlS18_E_NS1_11comp_targetILNS1_3genE10ELNS1_11target_archE1200ELNS1_3gpuE4ELNS1_3repE0EEENS1_30default_config_static_selectorELNS0_4arch9wavefront6targetE0EEEvT1_
	.p2align	8
	.type	_ZN7rocprim17ROCPRIM_400000_NS6detail17trampoline_kernelINS0_14default_configENS1_25partition_config_selectorILNS1_17partition_subalgoE5ElNS0_10empty_typeEbEEZZNS1_14partition_implILS5_5ELb0ES3_mN6hipcub16HIPCUB_304000_NS21CountingInputIteratorIllEEPS6_NSA_22TransformInputIteratorIbN2at6native12_GLOBAL__N_19NonZeroOpIN3c104HalfEEEPKSK_lEENS0_5tupleIJPlS6_EEENSP_IJSD_SD_EEES6_PiJS6_EEE10hipError_tPvRmT3_T4_T5_T6_T7_T9_mT8_P12ihipStream_tbDpT10_ENKUlT_T0_E_clISt17integral_constantIbLb0EES1D_EEDaS18_S19_EUlS18_E_NS1_11comp_targetILNS1_3genE10ELNS1_11target_archE1200ELNS1_3gpuE4ELNS1_3repE0EEENS1_30default_config_static_selectorELNS0_4arch9wavefront6targetE0EEEvT1_,@function
_ZN7rocprim17ROCPRIM_400000_NS6detail17trampoline_kernelINS0_14default_configENS1_25partition_config_selectorILNS1_17partition_subalgoE5ElNS0_10empty_typeEbEEZZNS1_14partition_implILS5_5ELb0ES3_mN6hipcub16HIPCUB_304000_NS21CountingInputIteratorIllEEPS6_NSA_22TransformInputIteratorIbN2at6native12_GLOBAL__N_19NonZeroOpIN3c104HalfEEEPKSK_lEENS0_5tupleIJPlS6_EEENSP_IJSD_SD_EEES6_PiJS6_EEE10hipError_tPvRmT3_T4_T5_T6_T7_T9_mT8_P12ihipStream_tbDpT10_ENKUlT_T0_E_clISt17integral_constantIbLb0EES1D_EEDaS18_S19_EUlS18_E_NS1_11comp_targetILNS1_3genE10ELNS1_11target_archE1200ELNS1_3gpuE4ELNS1_3repE0EEENS1_30default_config_static_selectorELNS0_4arch9wavefront6targetE0EEEvT1_: ; @_ZN7rocprim17ROCPRIM_400000_NS6detail17trampoline_kernelINS0_14default_configENS1_25partition_config_selectorILNS1_17partition_subalgoE5ElNS0_10empty_typeEbEEZZNS1_14partition_implILS5_5ELb0ES3_mN6hipcub16HIPCUB_304000_NS21CountingInputIteratorIllEEPS6_NSA_22TransformInputIteratorIbN2at6native12_GLOBAL__N_19NonZeroOpIN3c104HalfEEEPKSK_lEENS0_5tupleIJPlS6_EEENSP_IJSD_SD_EEES6_PiJS6_EEE10hipError_tPvRmT3_T4_T5_T6_T7_T9_mT8_P12ihipStream_tbDpT10_ENKUlT_T0_E_clISt17integral_constantIbLb0EES1D_EEDaS18_S19_EUlS18_E_NS1_11comp_targetILNS1_3genE10ELNS1_11target_archE1200ELNS1_3gpuE4ELNS1_3repE0EEENS1_30default_config_static_selectorELNS0_4arch9wavefront6targetE0EEEvT1_
; %bb.0:
	s_clause 0x3
	s_load_b128 s[8:11], s[0:1], 0x48
	s_load_b32 s16, s[0:1], 0x70
	s_load_b128 s[4:7], s[0:1], 0x8
	s_load_b64 s[2:3], s[0:1], 0x58
	s_mov_b32 s13, 0
	s_lshl_b32 s12, ttmp9, 10
	s_mov_b32 s15, s13
	v_lshrrev_b32_e32 v12, 2, v0
	v_or_b32_e32 v9, 0x200, v0
	v_or_b32_e32 v10, 0x300, v0
	v_and_b32_e32 v11, 0xf8, v0
	s_mov_b32 s19, -1
	s_wait_kmcnt 0x0
	s_load_b64 s[10:11], s[10:11], 0x0
	s_lshl_b32 s14, s16, 10
	s_add_co_i32 s16, s16, -1
	s_add_nc_u64 s[14:15], s[6:7], s[14:15]
	s_lshl_b32 s17, s16, 10
	v_cmp_le_u64_e64 s14, s[2:3], s[14:15]
	s_add_co_i32 s3, s6, s17
	s_cmp_eq_u32 ttmp9, s16
	s_add_nc_u64 s[4:5], s[6:7], s[4:5]
	s_cselect_b32 s16, -1, 0
	s_delay_alu instid0(SALU_CYCLE_1) | instskip(SKIP_2) | instid1(SALU_CYCLE_1)
	s_and_b32 s14, s16, s14
	s_wait_alu 0xfffe
	s_xor_b32 s17, s14, -1
	s_and_b32 vcc_lo, exec_lo, s17
	s_cbranch_vccz .LBB871_2
; %bb.1:
	v_or_b32_e32 v7, 0x100, v0
	v_or_b32_e32 v1, s12, v0
	v_lshrrev_b32_e32 v8, 2, v9
	v_lshrrev_b32_e32 v13, 2, v10
	v_and_b32_e32 v14, 56, v12
	v_lshrrev_b32_e32 v7, 2, v7
	v_add_co_u32 v1, s14, s4, v1
	s_wait_alu 0xf1ff
	v_add_co_ci_u32_e64 v2, null, s5, 0, s14
	v_lshlrev_b32_e32 v15, 3, v0
	v_and_b32_e32 v16, 0x78, v7
	v_add_co_u32 v3, vcc_lo, 0x100, v1
	v_and_b32_e32 v17, 0xb8, v8
	v_and_b32_e32 v13, 0xf8, v13
	v_add_co_ci_u32_e64 v4, null, 0, v2, vcc_lo
	v_add_co_u32 v5, vcc_lo, 0x200, v1
	v_add_nc_u32_e32 v14, v14, v15
	s_wait_alu 0xfffd
	v_add_co_ci_u32_e64 v6, null, 0, v2, vcc_lo
	v_add_co_u32 v7, vcc_lo, 0x300, v1
	v_add_nc_u32_e32 v16, v16, v15
	v_add_nc_u32_e32 v17, v17, v15
	s_wait_alu 0xfffd
	v_add_co_ci_u32_e64 v8, null, 0, v2, vcc_lo
	v_add_nc_u32_e32 v13, v13, v15
	ds_store_b64 v14, v[1:2]
	ds_store_b64 v16, v[3:4] offset:2048
	ds_store_b64 v17, v[5:6] offset:4096
	;; [unrolled: 1-line block ×3, first 2 shown]
	v_lshl_add_u32 v1, v0, 5, v11
	s_wait_dscnt 0x0
	s_barrier_signal -1
	s_barrier_wait -1
	global_inv scope:SCOPE_SE
	ds_load_2addr_b64 v[5:8], v1 offset1:1
	ds_load_2addr_b64 v[1:4], v1 offset0:2 offset1:3
	s_mov_b32 s19, s13
	s_branch .LBB871_3
.LBB871_2:
                                        ; implicit-def: $vgpr3_vgpr4
                                        ; implicit-def: $vgpr7_vgpr8
.LBB871_3:
	s_load_b64 s[14:15], s[0:1], 0x20
	s_sub_co_i32 s18, s2, s3
	s_and_not1_b32 vcc_lo, exec_lo, s19
	v_cmp_gt_u32_e64 s2, s18, v0
	s_wait_alu 0xfffe
	s_cbranch_vccnz .LBB871_5
; %bb.4:
	s_wait_dscnt 0x1
	v_or_b32_e32 v7, 0x100, v0
	s_add_nc_u64 s[4:5], s[4:5], s[12:13]
	v_lshrrev_b32_e32 v14, 2, v9
	s_wait_dscnt 0x0
	s_wait_alu 0xfffe
	v_add_co_u32 v1, s3, s4, v0
	s_wait_alu 0xf1ff
	v_add_co_ci_u32_e64 v2, null, s5, 0, s3
	v_add_co_u32 v3, s3, s4, v7
	s_wait_alu 0xf1ff
	v_add_co_ci_u32_e64 v4, null, s5, 0, s3
	v_cmp_gt_u32_e32 vcc_lo, s18, v7
	v_add_co_u32 v13, s3, s4, v10
	s_wait_alu 0xf1ff
	v_add_co_ci_u32_e64 v8, null, s5, 0, s3
	s_wait_alu 0xfffd
	v_dual_cndmask_b32 v4, 0, v4 :: v_dual_cndmask_b32 v3, 0, v3
	v_cmp_gt_u32_e32 vcc_lo, s18, v10
	v_lshrrev_b32_e32 v7, 2, v7
	v_lshrrev_b32_e32 v15, 2, v10
	v_cndmask_b32_e64 v2, 0, v2, s2
	v_cndmask_b32_e64 v1, 0, v1, s2
	v_add_co_u32 v5, s2, s4, v9
	v_and_b32_e32 v12, 56, v12
	v_lshlrev_b32_e32 v16, 3, v0
	s_wait_alu 0xfffd
	v_dual_cndmask_b32 v8, 0, v8 :: v_dual_and_b32 v17, 0x78, v7
	s_wait_alu 0xf1ff
	v_add_co_ci_u32_e64 v6, null, s5, 0, s2
	v_cmp_gt_u32_e64 s2, s18, v9
	v_and_b32_e32 v14, 0xb8, v14
	v_and_b32_e32 v15, 0xf8, v15
	v_dual_cndmask_b32 v7, 0, v13 :: v_dual_add_nc_u32 v12, v12, v16
	v_add_nc_u32_e32 v13, v17, v16
	s_wait_alu 0xf1ff
	v_cndmask_b32_e64 v6, 0, v6, s2
	v_cndmask_b32_e64 v5, 0, v5, s2
	v_add_nc_u32_e32 v14, v14, v16
	v_add_nc_u32_e32 v15, v15, v16
	ds_store_b64 v12, v[1:2]
	ds_store_b64 v13, v[3:4] offset:2048
	ds_store_b64 v14, v[5:6] offset:4096
	;; [unrolled: 1-line block ×3, first 2 shown]
	v_lshl_add_u32 v1, v0, 5, v11
	s_wait_loadcnt_dscnt 0x0
	s_barrier_signal -1
	s_barrier_wait -1
	global_inv scope:SCOPE_SE
	ds_load_2addr_b64 v[5:8], v1 offset1:1
	ds_load_2addr_b64 v[1:4], v1 offset0:2 offset1:3
.LBB871_5:
	s_lshl_b64 s[2:3], s[6:7], 1
	v_lshlrev_b32_e32 v11, 1, v0
	v_lshrrev_b32_e32 v26, 5, v0
	s_wait_kmcnt 0x0
	s_wait_alu 0xfffe
	s_add_nc_u64 s[2:3], s[14:15], s[2:3]
	s_lshl_b64 s[4:5], s[12:13], 1
	s_and_b32 vcc_lo, exec_lo, s17
	s_wait_alu 0xfffe
	s_add_nc_u64 s[2:3], s[2:3], s[4:5]
	s_mov_b32 s4, -1
	s_wait_loadcnt_dscnt 0x0
	s_barrier_signal -1
	s_barrier_wait -1
	global_inv scope:SCOPE_SE
	s_cbranch_vccz .LBB871_7
; %bb.6:
	s_clause 0x3
	global_load_u16 v12, v11, s[2:3]
	global_load_u16 v13, v11, s[2:3] offset:512
	global_load_u16 v14, v11, s[2:3] offset:1024
	;; [unrolled: 1-line block ×3, first 2 shown]
	v_or_b32_e32 v16, 0x100, v0
	v_lshrrev_b32_e32 v17, 5, v9
	v_lshrrev_b32_e32 v18, 5, v10
	v_and_b32_e32 v19, 4, v26
	s_mov_b32 s4, 0
	v_lshrrev_b32_e32 v16, 5, v16
	v_and_b32_e32 v17, 20, v17
	v_and_b32_e32 v18, 28, v18
	v_add_nc_u32_e32 v19, v19, v0
	s_delay_alu instid0(VALU_DEP_4) | instskip(NEXT) | instid1(VALU_DEP_4)
	v_and_b32_e32 v16, 12, v16
	v_add_nc_u32_e32 v17, v17, v0
	s_delay_alu instid0(VALU_DEP_4) | instskip(NEXT) | instid1(VALU_DEP_3)
	v_add_nc_u32_e32 v18, v18, v0
	v_add_nc_u32_e32 v16, v16, v0
	s_wait_loadcnt 0x3
	v_and_b32_e32 v12, 0x7fff, v12
	s_wait_loadcnt 0x2
	v_and_b32_e32 v13, 0x7fff, v13
	;; [unrolled: 2-line block ×4, first 2 shown]
	v_cmp_ne_u16_e32 vcc_lo, 0, v12
	s_wait_alu 0xfffd
	v_cndmask_b32_e64 v12, 0, 1, vcc_lo
	v_cmp_ne_u16_e32 vcc_lo, 0, v13
	s_wait_alu 0xfffd
	v_cndmask_b32_e64 v13, 0, 1, vcc_lo
	;; [unrolled: 3-line block ×4, first 2 shown]
	ds_store_b8 v19, v12
	ds_store_b8 v16, v13 offset:256
	ds_store_b8 v17, v14 offset:512
	;; [unrolled: 1-line block ×3, first 2 shown]
	s_wait_dscnt 0x0
	s_barrier_signal -1
	s_barrier_wait -1
.LBB871_7:
	s_wait_alu 0xfffe
	s_and_not1_b32 vcc_lo, exec_lo, s4
	s_wait_alu 0xfffe
	s_cbranch_vccnz .LBB871_15
; %bb.8:
	v_dual_mov_b32 v12, 0 :: v_dual_mov_b32 v13, 0
	s_mov_b32 s4, exec_lo
	v_cmpx_gt_u32_e64 s18, v0
	s_cbranch_execz .LBB871_10
; %bb.9:
	global_load_u16 v12, v11, s[2:3]
	s_wait_loadcnt 0x0
	v_and_b32_e32 v12, 0x7fff, v12
	s_delay_alu instid0(VALU_DEP_1)
	v_cmp_ne_u16_e32 vcc_lo, 0, v12
	s_wait_alu 0xfffd
	v_cndmask_b32_e64 v12, 0, 1, vcc_lo
	v_cndmask_b32_e64 v13, 0, 1, vcc_lo
.LBB871_10:
	s_wait_alu 0xfffe
	s_or_b32 exec_lo, exec_lo, s4
	v_or_b32_e32 v14, 0x100, v0
	s_mov_b32 s4, exec_lo
	s_delay_alu instid0(VALU_DEP_1)
	v_cmpx_gt_u32_e64 s18, v14
	s_cbranch_execnz .LBB871_129
; %bb.11:
	s_wait_alu 0xfffe
	s_or_b32 exec_lo, exec_lo, s4
	s_delay_alu instid0(SALU_CYCLE_1)
	s_mov_b32 s4, exec_lo
	v_cmpx_gt_u32_e64 s18, v9
	s_cbranch_execnz .LBB871_130
.LBB871_12:
	s_wait_alu 0xfffe
	s_or_b32 exec_lo, exec_lo, s4
	s_delay_alu instid0(SALU_CYCLE_1)
	s_mov_b32 s4, exec_lo
	v_cmpx_gt_u32_e64 s18, v10
	s_cbranch_execz .LBB871_14
.LBB871_13:
	global_load_u16 v11, v11, s[2:3] offset:1536
	v_lshrrev_b32_e32 v15, 16, v13
	s_wait_loadcnt 0x0
	v_and_b32_e32 v11, 0x7fff, v11
	s_delay_alu instid0(VALU_DEP_1) | instskip(SKIP_2) | instid1(VALU_DEP_1)
	v_cmp_ne_u16_e32 vcc_lo, 0, v11
	s_wait_alu 0xfffd
	v_cndmask_b32_e64 v11, 0, 1, vcc_lo
	v_lshlrev_b16 v11, 8, v11
	s_delay_alu instid0(VALU_DEP_1) | instskip(NEXT) | instid1(VALU_DEP_1)
	v_or_b32_e32 v11, v15, v11
	v_lshlrev_b32_e32 v11, 16, v11
	s_delay_alu instid0(VALU_DEP_1)
	v_and_or_b32 v13, 0xffff, v13, v11
.LBB871_14:
	s_wait_alu 0xfffe
	s_or_b32 exec_lo, exec_lo, s4
	v_lshrrev_b32_e32 v11, 5, v14
	v_lshrrev_b32_e32 v9, 5, v9
	;; [unrolled: 1-line block ×3, first 2 shown]
	v_and_b32_e32 v14, 4, v26
	v_lshrrev_b32_e32 v15, 8, v13
	v_and_b32_e32 v11, 12, v11
	v_and_b32_e32 v9, 28, v9
	;; [unrolled: 1-line block ×3, first 2 shown]
	v_add_nc_u32_e32 v14, v14, v0
	v_lshrrev_b32_e32 v16, 24, v13
	v_add_nc_u32_e32 v11, v11, v0
	v_add_nc_u32_e32 v9, v9, v0
	;; [unrolled: 1-line block ×3, first 2 shown]
	ds_store_b8 v14, v12
	ds_store_b8 v11, v15 offset:256
	ds_store_b8_d16_hi v9, v13 offset:512
	ds_store_b8 v10, v16 offset:768
	s_wait_loadcnt_dscnt 0x0
	s_barrier_signal -1
	s_barrier_wait -1
.LBB871_15:
	v_lshrrev_b32_e32 v9, 3, v0
	s_wait_loadcnt 0x0
	global_inv scope:SCOPE_SE
	s_load_b64 s[6:7], s[0:1], 0x68
	v_mbcnt_lo_u32_b32 v31, -1, 0
	s_cmp_lg_u32 ttmp9, 0
	v_dual_mov_b32 v10, 0 :: v_dual_and_b32 v9, 28, v9
	s_mov_b32 s3, -1
	s_delay_alu instid0(VALU_DEP_2) | instskip(NEXT) | instid1(VALU_DEP_2)
	v_and_b32_e32 v32, 15, v31
	v_lshl_add_u32 v9, v0, 2, v9
	ds_load_b32 v27, v9
	s_wait_loadcnt_dscnt 0x0
	s_barrier_signal -1
	s_barrier_wait -1
	global_inv scope:SCOPE_SE
	v_and_b32_e32 v30, 0xff, v27
	v_bfe_u32 v29, v27, 8, 8
	v_bfe_u32 v28, v27, 16, 8
	v_lshrrev_b32_e32 v25, 24, v27
	s_delay_alu instid0(VALU_DEP_2) | instskip(NEXT) | instid1(VALU_DEP_1)
	v_add3_u32 v9, v29, v30, v28
	v_add_co_u32 v17, s2, v9, v25
	s_wait_alu 0xf1ff
	v_add_co_ci_u32_e64 v18, null, 0, 0, s2
	v_cmp_ne_u32_e64 s2, 0, v32
	s_cbranch_scc0 .LBB871_72
; %bb.16:
	v_mov_b32_e32 v11, v17
	v_mov_b32_dpp v9, v17 row_shr:1 row_mask:0xf bank_mask:0xf
	v_mov_b32_dpp v14, v10 row_shr:1 row_mask:0xf bank_mask:0xf
	v_dual_mov_b32 v13, v17 :: v_dual_mov_b32 v12, v18
	s_and_saveexec_b32 s3, s2
; %bb.17:
	s_delay_alu instid0(VALU_DEP_3) | instskip(SKIP_2) | instid1(VALU_DEP_2)
	v_add_co_u32 v13, vcc_lo, v17, v9
	s_wait_alu 0xfffd
	v_add_co_ci_u32_e64 v10, null, 0, v18, vcc_lo
	v_add_co_u32 v9, vcc_lo, 0, v13
	s_wait_alu 0xfffd
	s_delay_alu instid0(VALU_DEP_2) | instskip(NEXT) | instid1(VALU_DEP_1)
	v_add_co_ci_u32_e64 v10, null, v14, v10, vcc_lo
	v_dual_mov_b32 v12, v10 :: v_dual_mov_b32 v11, v9
; %bb.18:
	s_wait_alu 0xfffe
	s_or_b32 exec_lo, exec_lo, s3
	v_mov_b32_dpp v9, v13 row_shr:2 row_mask:0xf bank_mask:0xf
	v_mov_b32_dpp v14, v10 row_shr:2 row_mask:0xf bank_mask:0xf
	s_mov_b32 s3, exec_lo
	v_cmpx_lt_u32_e32 1, v32
; %bb.19:
	s_delay_alu instid0(VALU_DEP_3) | instskip(SKIP_2) | instid1(VALU_DEP_2)
	v_add_co_u32 v13, vcc_lo, v11, v9
	s_wait_alu 0xfffd
	v_add_co_ci_u32_e64 v10, null, 0, v12, vcc_lo
	v_add_co_u32 v9, vcc_lo, 0, v13
	s_wait_alu 0xfffd
	s_delay_alu instid0(VALU_DEP_2) | instskip(NEXT) | instid1(VALU_DEP_1)
	v_add_co_ci_u32_e64 v10, null, v14, v10, vcc_lo
	v_dual_mov_b32 v12, v10 :: v_dual_mov_b32 v11, v9
; %bb.20:
	s_wait_alu 0xfffe
	s_or_b32 exec_lo, exec_lo, s3
	v_mov_b32_dpp v9, v13 row_shr:4 row_mask:0xf bank_mask:0xf
	v_mov_b32_dpp v14, v10 row_shr:4 row_mask:0xf bank_mask:0xf
	s_mov_b32 s3, exec_lo
	v_cmpx_lt_u32_e32 3, v32
	;; [unrolled: 17-line block ×3, first 2 shown]
; %bb.23:
	s_delay_alu instid0(VALU_DEP_3) | instskip(SKIP_2) | instid1(VALU_DEP_2)
	v_add_co_u32 v13, vcc_lo, v11, v14
	s_wait_alu 0xfffd
	v_add_co_ci_u32_e64 v10, null, 0, v12, vcc_lo
	v_add_co_u32 v11, vcc_lo, 0, v13
	s_wait_alu 0xfffd
	s_delay_alu instid0(VALU_DEP_2) | instskip(NEXT) | instid1(VALU_DEP_1)
	v_add_co_ci_u32_e64 v12, null, v9, v10, vcc_lo
	v_mov_b32_e32 v10, v12
; %bb.24:
	s_wait_alu 0xfffe
	s_or_b32 exec_lo, exec_lo, s3
	ds_swizzle_b32 v9, v13 offset:swizzle(BROADCAST,32,15)
	ds_swizzle_b32 v14, v10 offset:swizzle(BROADCAST,32,15)
	v_and_b32_e32 v15, 16, v31
	s_mov_b32 s3, exec_lo
	s_delay_alu instid0(VALU_DEP_1)
	v_cmpx_ne_u32_e32 0, v15
	s_cbranch_execz .LBB871_26
; %bb.25:
	s_wait_dscnt 0x1
	v_add_co_u32 v13, vcc_lo, v11, v9
	s_wait_alu 0xfffd
	v_add_co_ci_u32_e64 v10, null, 0, v12, vcc_lo
	s_delay_alu instid0(VALU_DEP_2) | instskip(SKIP_2) | instid1(VALU_DEP_2)
	v_add_co_u32 v9, vcc_lo, 0, v13
	s_wait_dscnt 0x0
	s_wait_alu 0xfffd
	v_add_co_ci_u32_e64 v10, null, v14, v10, vcc_lo
	s_delay_alu instid0(VALU_DEP_1)
	v_dual_mov_b32 v12, v10 :: v_dual_mov_b32 v11, v9
.LBB871_26:
	s_wait_alu 0xfffe
	s_or_b32 exec_lo, exec_lo, s3
	s_wait_dscnt 0x1
	v_or_b32_e32 v9, 31, v0
	s_mov_b32 s3, exec_lo
	s_delay_alu instid0(VALU_DEP_1)
	v_cmpx_eq_u32_e64 v0, v9
; %bb.27:
	v_lshlrev_b32_e32 v9, 3, v26
	ds_store_b64 v9, v[11:12]
; %bb.28:
	s_wait_alu 0xfffe
	s_or_b32 exec_lo, exec_lo, s3
	s_delay_alu instid0(SALU_CYCLE_1)
	s_mov_b32 s3, exec_lo
	s_wait_loadcnt_dscnt 0x0
	s_barrier_signal -1
	s_barrier_wait -1
	global_inv scope:SCOPE_SE
	v_cmpx_gt_u32_e32 8, v0
	s_cbranch_execz .LBB871_36
; %bb.29:
	v_lshlrev_b32_e32 v9, 3, v0
	s_mov_b32 s4, exec_lo
	ds_load_b64 v[11:12], v9
	s_wait_dscnt 0x0
	v_dual_mov_b32 v15, v11 :: v_dual_and_b32 v14, 7, v31
	v_mov_b32_dpp v19, v11 row_shr:1 row_mask:0xf bank_mask:0xf
	v_mov_b32_dpp v16, v12 row_shr:1 row_mask:0xf bank_mask:0xf
	s_delay_alu instid0(VALU_DEP_3)
	v_cmpx_ne_u32_e32 0, v14
; %bb.30:
	s_delay_alu instid0(VALU_DEP_3) | instskip(SKIP_2) | instid1(VALU_DEP_2)
	v_add_co_u32 v15, vcc_lo, v11, v19
	s_wait_alu 0xfffd
	v_add_co_ci_u32_e64 v12, null, 0, v12, vcc_lo
	v_add_co_u32 v11, vcc_lo, 0, v15
	s_wait_alu 0xfffd
	s_delay_alu instid0(VALU_DEP_2)
	v_add_co_ci_u32_e64 v12, null, v16, v12, vcc_lo
; %bb.31:
	s_wait_alu 0xfffe
	s_or_b32 exec_lo, exec_lo, s4
	v_mov_b32_dpp v19, v15 row_shr:2 row_mask:0xf bank_mask:0xf
	s_delay_alu instid0(VALU_DEP_2)
	v_mov_b32_dpp v16, v12 row_shr:2 row_mask:0xf bank_mask:0xf
	s_mov_b32 s4, exec_lo
	v_cmpx_lt_u32_e32 1, v14
; %bb.32:
	s_delay_alu instid0(VALU_DEP_3) | instskip(SKIP_2) | instid1(VALU_DEP_2)
	v_add_co_u32 v15, vcc_lo, v11, v19
	s_wait_alu 0xfffd
	v_add_co_ci_u32_e64 v12, null, 0, v12, vcc_lo
	v_add_co_u32 v11, vcc_lo, 0, v15
	s_wait_alu 0xfffd
	s_delay_alu instid0(VALU_DEP_2)
	v_add_co_ci_u32_e64 v12, null, v16, v12, vcc_lo
; %bb.33:
	s_wait_alu 0xfffe
	s_or_b32 exec_lo, exec_lo, s4
	v_mov_b32_dpp v16, v15 row_shr:4 row_mask:0xf bank_mask:0xf
	s_delay_alu instid0(VALU_DEP_2)
	v_mov_b32_dpp v15, v12 row_shr:4 row_mask:0xf bank_mask:0xf
	s_mov_b32 s4, exec_lo
	v_cmpx_lt_u32_e32 3, v14
; %bb.34:
	s_delay_alu instid0(VALU_DEP_3) | instskip(SKIP_2) | instid1(VALU_DEP_2)
	v_add_co_u32 v11, vcc_lo, v11, v16
	s_wait_alu 0xfffd
	v_add_co_ci_u32_e64 v12, null, 0, v12, vcc_lo
	v_add_co_u32 v11, vcc_lo, v11, 0
	s_wait_alu 0xfffd
	s_delay_alu instid0(VALU_DEP_2)
	v_add_co_ci_u32_e64 v12, null, v12, v15, vcc_lo
; %bb.35:
	s_wait_alu 0xfffe
	s_or_b32 exec_lo, exec_lo, s4
	ds_store_b64 v9, v[11:12]
.LBB871_36:
	s_wait_alu 0xfffe
	s_or_b32 exec_lo, exec_lo, s3
	s_delay_alu instid0(SALU_CYCLE_1)
	s_mov_b32 s4, exec_lo
	v_cmp_gt_u32_e32 vcc_lo, 32, v0
	s_wait_loadcnt_dscnt 0x0
	s_barrier_signal -1
	s_barrier_wait -1
	global_inv scope:SCOPE_SE
                                        ; implicit-def: $vgpr19_vgpr20
	v_cmpx_lt_u32_e32 31, v0
	s_cbranch_execz .LBB871_38
; %bb.37:
	v_lshl_add_u32 v9, v26, 3, -8
	ds_load_b64 v[19:20], v9
	s_wait_dscnt 0x0
	v_add_co_u32 v13, s3, v13, v19
	s_wait_alu 0xf1ff
	v_add_co_ci_u32_e64 v10, null, v10, v20, s3
.LBB871_38:
	s_wait_alu 0xfffe
	s_or_b32 exec_lo, exec_lo, s4
	v_sub_co_u32 v9, s3, v31, 1
	s_delay_alu instid0(VALU_DEP_1) | instskip(SKIP_1) | instid1(VALU_DEP_1)
	v_cmp_gt_i32_e64 s4, 0, v9
	s_wait_alu 0xf1ff
	v_cndmask_b32_e64 v9, v9, v31, s4
	s_delay_alu instid0(VALU_DEP_1)
	v_lshlrev_b32_e32 v9, 2, v9
	ds_bpermute_b32 v33, v9, v13
	ds_bpermute_b32 v34, v9, v10
	s_and_saveexec_b32 s4, vcc_lo
	s_cbranch_execz .LBB871_77
; %bb.39:
	v_mov_b32_e32 v12, 0
	ds_load_b64 v[9:10], v12 offset:56
	s_and_saveexec_b32 s5, s3
	s_cbranch_execz .LBB871_41
; %bb.40:
	s_add_co_i32 s12, ttmp9, 32
	s_wait_alu 0xfffe
	s_lshl_b64 s[12:13], s[12:13], 4
	s_wait_kmcnt 0x0
	s_wait_alu 0xfffe
	s_add_nc_u64 s[12:13], s[6:7], s[12:13]
	s_wait_alu 0xfffe
	v_dual_mov_b32 v11, 1 :: v_dual_mov_b32 v14, s13
	v_mov_b32_e32 v13, s12
	s_wait_dscnt 0x0
	;;#ASMSTART
	global_store_b128 v[13:14], v[9:12] off scope:SCOPE_DEV	
s_wait_storecnt 0x0
	;;#ASMEND
.LBB871_41:
	s_wait_alu 0xfffe
	s_or_b32 exec_lo, exec_lo, s5
	v_xad_u32 v21, v31, -1, ttmp9
	s_mov_b32 s12, 0
	s_mov_b32 s5, exec_lo
	s_delay_alu instid0(VALU_DEP_1) | instskip(NEXT) | instid1(VALU_DEP_1)
	v_add_nc_u32_e32 v11, 32, v21
	v_lshlrev_b64_e32 v[11:12], 4, v[11:12]
	s_wait_kmcnt 0x0
	s_delay_alu instid0(VALU_DEP_1) | instskip(SKIP_1) | instid1(VALU_DEP_2)
	v_add_co_u32 v11, vcc_lo, s6, v11
	s_wait_alu 0xfffd
	v_add_co_ci_u32_e64 v12, null, s7, v12, vcc_lo
	;;#ASMSTART
	global_load_b128 v[13:16], v[11:12] off scope:SCOPE_DEV	
s_wait_loadcnt 0x0
	;;#ASMEND
	v_and_b32_e32 v16, 0xff, v15
	s_delay_alu instid0(VALU_DEP_1)
	v_cmpx_eq_u16_e32 0, v16
	s_cbranch_execz .LBB871_44
.LBB871_42:                             ; =>This Inner Loop Header: Depth=1
	;;#ASMSTART
	global_load_b128 v[13:16], v[11:12] off scope:SCOPE_DEV	
s_wait_loadcnt 0x0
	;;#ASMEND
	v_and_b32_e32 v16, 0xff, v15
	s_delay_alu instid0(VALU_DEP_1)
	v_cmp_ne_u16_e32 vcc_lo, 0, v16
	s_wait_alu 0xfffe
	s_or_b32 s12, vcc_lo, s12
	s_wait_alu 0xfffe
	s_and_not1_b32 exec_lo, exec_lo, s12
	s_cbranch_execnz .LBB871_42
; %bb.43:
	s_or_b32 exec_lo, exec_lo, s12
.LBB871_44:
	s_wait_alu 0xfffe
	s_or_b32 exec_lo, exec_lo, s5
	v_cmp_ne_u32_e32 vcc_lo, 31, v31
	v_and_b32_e32 v12, 0xff, v15
	v_lshlrev_b32_e64 v36, v31, -1
	s_mov_b32 s5, exec_lo
	s_wait_alu 0xfffd
	v_add_co_ci_u32_e64 v11, null, 0, v31, vcc_lo
	v_cmp_eq_u16_e32 vcc_lo, 2, v12
	s_delay_alu instid0(VALU_DEP_2)
	v_dual_mov_b32 v12, v13 :: v_dual_lshlrev_b32 v35, 2, v11
	s_wait_alu 0xfffd
	v_and_or_b32 v11, vcc_lo, v36, 0x80000000
	ds_bpermute_b32 v22, v35, v13
	ds_bpermute_b32 v16, v35, v14
	v_ctz_i32_b32_e32 v11, v11
	s_delay_alu instid0(VALU_DEP_1)
	v_cmpx_lt_u32_e64 v31, v11
	s_cbranch_execz .LBB871_46
; %bb.45:
	s_wait_dscnt 0x1
	v_add_co_u32 v12, vcc_lo, v13, v22
	s_wait_alu 0xfffd
	v_add_co_ci_u32_e64 v14, null, 0, v14, vcc_lo
	s_delay_alu instid0(VALU_DEP_2) | instskip(SKIP_2) | instid1(VALU_DEP_2)
	v_add_co_u32 v13, vcc_lo, 0, v12
	s_wait_dscnt 0x0
	s_wait_alu 0xfffd
	v_add_co_ci_u32_e64 v14, null, v16, v14, vcc_lo
.LBB871_46:
	s_wait_alu 0xfffe
	s_or_b32 exec_lo, exec_lo, s5
	v_cmp_gt_u32_e32 vcc_lo, 30, v31
	v_add_nc_u32_e32 v38, 2, v31
	s_mov_b32 s5, exec_lo
	s_wait_dscnt 0x0
	s_wait_alu 0xfffd
	v_cndmask_b32_e64 v16, 0, 2, vcc_lo
	s_delay_alu instid0(VALU_DEP_1)
	v_add_lshl_u32 v37, v16, v31, 2
	ds_bpermute_b32 v22, v37, v12
	ds_bpermute_b32 v16, v37, v14
	v_cmpx_le_u32_e64 v38, v11
	s_cbranch_execz .LBB871_48
; %bb.47:
	s_wait_dscnt 0x1
	v_add_co_u32 v12, vcc_lo, v13, v22
	s_wait_alu 0xfffd
	v_add_co_ci_u32_e64 v14, null, 0, v14, vcc_lo
	s_delay_alu instid0(VALU_DEP_2) | instskip(SKIP_2) | instid1(VALU_DEP_2)
	v_add_co_u32 v13, vcc_lo, 0, v12
	s_wait_dscnt 0x0
	s_wait_alu 0xfffd
	v_add_co_ci_u32_e64 v14, null, v16, v14, vcc_lo
.LBB871_48:
	s_wait_alu 0xfffe
	s_or_b32 exec_lo, exec_lo, s5
	v_cmp_gt_u32_e32 vcc_lo, 28, v31
	v_add_nc_u32_e32 v40, 4, v31
	s_mov_b32 s5, exec_lo
	s_wait_dscnt 0x0
	s_wait_alu 0xfffd
	v_cndmask_b32_e64 v16, 0, 4, vcc_lo
	s_delay_alu instid0(VALU_DEP_1)
	v_add_lshl_u32 v39, v16, v31, 2
	ds_bpermute_b32 v22, v39, v12
	ds_bpermute_b32 v16, v39, v14
	v_cmpx_le_u32_e64 v40, v11
	;; [unrolled: 25-line block ×3, first 2 shown]
	s_cbranch_execz .LBB871_52
; %bb.51:
	s_wait_dscnt 0x1
	v_add_co_u32 v12, vcc_lo, v13, v22
	s_wait_alu 0xfffd
	v_add_co_ci_u32_e64 v14, null, 0, v14, vcc_lo
	s_delay_alu instid0(VALU_DEP_2) | instskip(SKIP_2) | instid1(VALU_DEP_2)
	v_add_co_u32 v13, vcc_lo, 0, v12
	s_wait_dscnt 0x0
	s_wait_alu 0xfffd
	v_add_co_ci_u32_e64 v14, null, v16, v14, vcc_lo
.LBB871_52:
	s_wait_alu 0xfffe
	s_or_b32 exec_lo, exec_lo, s5
	v_lshl_or_b32 v43, v31, 2, 64
	v_add_nc_u32_e32 v44, 16, v31
	s_mov_b32 s5, exec_lo
	s_wait_dscnt 0x0
	ds_bpermute_b32 v16, v43, v12
	ds_bpermute_b32 v12, v43, v14
	v_cmpx_le_u32_e64 v44, v11
	s_cbranch_execz .LBB871_54
; %bb.53:
	s_wait_dscnt 0x1
	v_add_co_u32 v11, vcc_lo, v13, v16
	s_wait_alu 0xfffd
	v_add_co_ci_u32_e64 v14, null, 0, v14, vcc_lo
	s_delay_alu instid0(VALU_DEP_2) | instskip(SKIP_2) | instid1(VALU_DEP_2)
	v_add_co_u32 v13, vcc_lo, v11, 0
	s_wait_dscnt 0x0
	s_wait_alu 0xfffd
	v_add_co_ci_u32_e64 v14, null, v14, v12, vcc_lo
.LBB871_54:
	s_wait_alu 0xfffe
	s_or_b32 exec_lo, exec_lo, s5
	v_mov_b32_e32 v22, 0
	s_branch .LBB871_57
.LBB871_55:                             ;   in Loop: Header=BB871_57 Depth=1
	s_wait_alu 0xfffe
	s_or_b32 exec_lo, exec_lo, s5
	v_add_co_u32 v13, vcc_lo, v13, v11
	v_subrev_nc_u32_e32 v21, 32, v21
	s_wait_alu 0xfffd
	v_add_co_ci_u32_e64 v14, null, v14, v12, vcc_lo
	s_mov_b32 s5, 0
.LBB871_56:                             ;   in Loop: Header=BB871_57 Depth=1
	s_wait_alu 0xfffe
	s_and_b32 vcc_lo, exec_lo, s5
	s_wait_alu 0xfffe
	s_cbranch_vccnz .LBB871_73
.LBB871_57:                             ; =>This Loop Header: Depth=1
                                        ;     Child Loop BB871_60 Depth 2
	v_and_b32_e32 v11, 0xff, v15
	s_mov_b32 s5, -1
	s_delay_alu instid0(VALU_DEP_1)
	v_cmp_ne_u16_e32 vcc_lo, 2, v11
	s_wait_dscnt 0x0
	v_dual_mov_b32 v11, v13 :: v_dual_mov_b32 v12, v14
                                        ; implicit-def: $vgpr13_vgpr14
	s_cmp_lg_u32 vcc_lo, exec_lo
	s_cbranch_scc1 .LBB871_56
; %bb.58:                               ;   in Loop: Header=BB871_57 Depth=1
	v_lshlrev_b64_e32 v[13:14], 4, v[21:22]
	s_mov_b32 s5, exec_lo
	s_delay_alu instid0(VALU_DEP_1) | instskip(SKIP_1) | instid1(VALU_DEP_2)
	v_add_co_u32 v23, vcc_lo, s6, v13
	s_wait_alu 0xfffd
	v_add_co_ci_u32_e64 v24, null, s7, v14, vcc_lo
	;;#ASMSTART
	global_load_b128 v[13:16], v[23:24] off scope:SCOPE_DEV	
s_wait_loadcnt 0x0
	;;#ASMEND
	v_and_b32_e32 v16, 0xff, v15
	s_delay_alu instid0(VALU_DEP_1)
	v_cmpx_eq_u16_e32 0, v16
	s_cbranch_execz .LBB871_62
; %bb.59:                               ;   in Loop: Header=BB871_57 Depth=1
	s_mov_b32 s12, 0
.LBB871_60:                             ;   Parent Loop BB871_57 Depth=1
                                        ; =>  This Inner Loop Header: Depth=2
	;;#ASMSTART
	global_load_b128 v[13:16], v[23:24] off scope:SCOPE_DEV	
s_wait_loadcnt 0x0
	;;#ASMEND
	v_and_b32_e32 v16, 0xff, v15
	s_delay_alu instid0(VALU_DEP_1)
	v_cmp_ne_u16_e32 vcc_lo, 0, v16
	s_wait_alu 0xfffe
	s_or_b32 s12, vcc_lo, s12
	s_wait_alu 0xfffe
	s_and_not1_b32 exec_lo, exec_lo, s12
	s_cbranch_execnz .LBB871_60
; %bb.61:                               ;   in Loop: Header=BB871_57 Depth=1
	s_or_b32 exec_lo, exec_lo, s12
.LBB871_62:                             ;   in Loop: Header=BB871_57 Depth=1
	s_wait_alu 0xfffe
	s_or_b32 exec_lo, exec_lo, s5
	v_dual_mov_b32 v23, v13 :: v_dual_and_b32 v16, 0xff, v15
	ds_bpermute_b32 v45, v35, v13
	ds_bpermute_b32 v24, v35, v14
	s_mov_b32 s5, exec_lo
	v_cmp_eq_u16_e32 vcc_lo, 2, v16
	s_wait_alu 0xfffd
	v_and_or_b32 v16, vcc_lo, v36, 0x80000000
	s_delay_alu instid0(VALU_DEP_1) | instskip(NEXT) | instid1(VALU_DEP_1)
	v_ctz_i32_b32_e32 v16, v16
	v_cmpx_lt_u32_e64 v31, v16
	s_cbranch_execz .LBB871_64
; %bb.63:                               ;   in Loop: Header=BB871_57 Depth=1
	s_wait_dscnt 0x1
	v_add_co_u32 v23, vcc_lo, v13, v45
	s_wait_alu 0xfffd
	v_add_co_ci_u32_e64 v14, null, 0, v14, vcc_lo
	s_delay_alu instid0(VALU_DEP_2) | instskip(SKIP_2) | instid1(VALU_DEP_2)
	v_add_co_u32 v13, vcc_lo, 0, v23
	s_wait_dscnt 0x0
	s_wait_alu 0xfffd
	v_add_co_ci_u32_e64 v14, null, v24, v14, vcc_lo
.LBB871_64:                             ;   in Loop: Header=BB871_57 Depth=1
	s_wait_alu 0xfffe
	s_or_b32 exec_lo, exec_lo, s5
	s_wait_dscnt 0x1
	ds_bpermute_b32 v45, v37, v23
	s_wait_dscnt 0x1
	ds_bpermute_b32 v24, v37, v14
	s_mov_b32 s5, exec_lo
	v_cmpx_le_u32_e64 v38, v16
	s_cbranch_execz .LBB871_66
; %bb.65:                               ;   in Loop: Header=BB871_57 Depth=1
	s_wait_dscnt 0x1
	v_add_co_u32 v23, vcc_lo, v13, v45
	s_wait_alu 0xfffd
	v_add_co_ci_u32_e64 v14, null, 0, v14, vcc_lo
	s_delay_alu instid0(VALU_DEP_2) | instskip(SKIP_2) | instid1(VALU_DEP_2)
	v_add_co_u32 v13, vcc_lo, 0, v23
	s_wait_dscnt 0x0
	s_wait_alu 0xfffd
	v_add_co_ci_u32_e64 v14, null, v24, v14, vcc_lo
.LBB871_66:                             ;   in Loop: Header=BB871_57 Depth=1
	s_wait_alu 0xfffe
	s_or_b32 exec_lo, exec_lo, s5
	s_wait_dscnt 0x1
	ds_bpermute_b32 v45, v39, v23
	s_wait_dscnt 0x1
	ds_bpermute_b32 v24, v39, v14
	s_mov_b32 s5, exec_lo
	v_cmpx_le_u32_e64 v40, v16
	;; [unrolled: 20-line block ×3, first 2 shown]
	s_cbranch_execz .LBB871_70
; %bb.69:                               ;   in Loop: Header=BB871_57 Depth=1
	s_wait_dscnt 0x1
	v_add_co_u32 v23, vcc_lo, v13, v45
	s_wait_alu 0xfffd
	v_add_co_ci_u32_e64 v14, null, 0, v14, vcc_lo
	s_delay_alu instid0(VALU_DEP_2) | instskip(SKIP_2) | instid1(VALU_DEP_2)
	v_add_co_u32 v13, vcc_lo, 0, v23
	s_wait_dscnt 0x0
	s_wait_alu 0xfffd
	v_add_co_ci_u32_e64 v14, null, v24, v14, vcc_lo
.LBB871_70:                             ;   in Loop: Header=BB871_57 Depth=1
	s_wait_alu 0xfffe
	s_or_b32 exec_lo, exec_lo, s5
	s_wait_dscnt 0x0
	ds_bpermute_b32 v24, v43, v23
	ds_bpermute_b32 v23, v43, v14
	s_mov_b32 s5, exec_lo
	v_cmpx_le_u32_e64 v44, v16
	s_cbranch_execz .LBB871_55
; %bb.71:                               ;   in Loop: Header=BB871_57 Depth=1
	s_wait_dscnt 0x1
	v_add_co_u32 v13, vcc_lo, v13, v24
	s_wait_alu 0xfffd
	v_add_co_ci_u32_e64 v14, null, 0, v14, vcc_lo
	s_delay_alu instid0(VALU_DEP_2) | instskip(SKIP_2) | instid1(VALU_DEP_2)
	v_add_co_u32 v13, vcc_lo, v13, 0
	s_wait_dscnt 0x0
	s_wait_alu 0xfffd
	v_add_co_ci_u32_e64 v14, null, v14, v23, vcc_lo
	s_branch .LBB871_55
.LBB871_72:
                                        ; implicit-def: $vgpr15_vgpr16
                                        ; implicit-def: $vgpr13_vgpr14
                                        ; implicit-def: $vgpr19_vgpr20
                                        ; implicit-def: $vgpr21_vgpr22
                                        ; implicit-def: $vgpr11_vgpr12
	s_load_b64 s[4:5], s[0:1], 0x30
	s_and_b32 vcc_lo, exec_lo, s3
	s_wait_alu 0xfffe
	s_cbranch_vccnz .LBB871_78
	s_branch .LBB871_103
.LBB871_73:
	s_and_saveexec_b32 s5, s3
	s_cbranch_execz .LBB871_75
; %bb.74:
	s_add_co_i32 s12, ttmp9, 32
	s_mov_b32 s13, 0
	v_add_co_u32 v13, vcc_lo, v11, v9
	s_wait_alu 0xfffe
	s_lshl_b64 s[12:13], s[12:13], 4
	v_dual_mov_b32 v15, 2 :: v_dual_mov_b32 v16, 0
	s_wait_alu 0xfffe
	s_add_nc_u64 s[12:13], s[6:7], s[12:13]
	s_wait_alu 0xfffd
	v_add_co_ci_u32_e64 v14, null, v12, v10, vcc_lo
	s_wait_alu 0xfffe
	v_dual_mov_b32 v22, s13 :: v_dual_mov_b32 v21, s12
	;;#ASMSTART
	global_store_b128 v[21:22], v[13:16] off scope:SCOPE_DEV	
s_wait_storecnt 0x0
	;;#ASMEND
	ds_store_b128 v16, v[9:12] offset:8448
.LBB871_75:
	s_wait_alu 0xfffe
	s_or_b32 exec_lo, exec_lo, s5
	v_cmp_eq_u32_e32 vcc_lo, 0, v0
	s_and_b32 exec_lo, exec_lo, vcc_lo
; %bb.76:
	v_mov_b32_e32 v9, 0
	ds_store_b64 v9, v[11:12] offset:56
.LBB871_77:
	s_wait_alu 0xfffe
	s_or_b32 exec_lo, exec_lo, s4
	s_wait_dscnt 0x1
	v_cndmask_b32_e64 v10, v33, v19, s3
	v_cmp_ne_u32_e32 vcc_lo, 0, v0
	v_mov_b32_e32 v9, 0
	s_wait_loadcnt_dscnt 0x0
	s_barrier_signal -1
	s_barrier_wait -1
	global_inv scope:SCOPE_SE
	s_wait_alu 0xfffd
	v_cndmask_b32_e32 v16, 0, v10, vcc_lo
	ds_load_b64 v[13:14], v9 offset:56
	v_cndmask_b32_e64 v11, v34, v20, s3
	s_wait_loadcnt_dscnt 0x0
	s_barrier_signal -1
	s_barrier_wait -1
	global_inv scope:SCOPE_SE
	v_cndmask_b32_e32 v15, 0, v11, vcc_lo
	ds_load_b128 v[9:12], v9 offset:8448
	v_add_co_u32 v21, vcc_lo, v13, v16
	s_wait_alu 0xfffd
	v_add_co_ci_u32_e64 v22, null, v14, v15, vcc_lo
	s_delay_alu instid0(VALU_DEP_2) | instskip(SKIP_1) | instid1(VALU_DEP_2)
	v_add_co_u32 v19, vcc_lo, v21, v30
	s_wait_alu 0xfffd
	v_add_co_ci_u32_e64 v20, null, 0, v22, vcc_lo
	s_delay_alu instid0(VALU_DEP_2) | instskip(SKIP_1) | instid1(VALU_DEP_2)
	;; [unrolled: 4-line block ×3, first 2 shown]
	v_add_co_u32 v15, vcc_lo, v13, v28
	s_wait_alu 0xfffd
	v_add_co_ci_u32_e64 v16, null, 0, v14, vcc_lo
	s_load_b64 s[4:5], s[0:1], 0x30
	s_branch .LBB871_103
.LBB871_78:
	s_wait_dscnt 0x0
	v_dual_mov_b32 v10, 0 :: v_dual_mov_b32 v11, v17
	v_mov_b32_dpp v12, v17 row_shr:1 row_mask:0xf bank_mask:0xf
	s_delay_alu instid0(VALU_DEP_2)
	v_mov_b32_dpp v9, v10 row_shr:1 row_mask:0xf bank_mask:0xf
	s_and_saveexec_b32 s0, s2
; %bb.79:
	s_delay_alu instid0(VALU_DEP_2) | instskip(SKIP_2) | instid1(VALU_DEP_2)
	v_add_co_u32 v11, vcc_lo, v17, v12
	s_wait_alu 0xfffd
	v_add_co_ci_u32_e64 v10, null, 0, v18, vcc_lo
	v_add_co_u32 v17, vcc_lo, 0, v11
	s_wait_alu 0xfffd
	s_delay_alu instid0(VALU_DEP_2) | instskip(NEXT) | instid1(VALU_DEP_1)
	v_add_co_ci_u32_e64 v18, null, v9, v10, vcc_lo
	v_mov_b32_e32 v10, v18
; %bb.80:
	s_or_b32 exec_lo, exec_lo, s0
	v_mov_b32_dpp v9, v11 row_shr:2 row_mask:0xf bank_mask:0xf
	s_delay_alu instid0(VALU_DEP_2)
	v_mov_b32_dpp v12, v10 row_shr:2 row_mask:0xf bank_mask:0xf
	s_mov_b32 s0, exec_lo
	v_cmpx_lt_u32_e32 1, v32
; %bb.81:
	s_delay_alu instid0(VALU_DEP_3) | instskip(SKIP_2) | instid1(VALU_DEP_2)
	v_add_co_u32 v11, vcc_lo, v17, v9
	s_wait_alu 0xfffd
	v_add_co_ci_u32_e64 v10, null, 0, v18, vcc_lo
	v_add_co_u32 v9, vcc_lo, 0, v11
	s_wait_alu 0xfffd
	s_delay_alu instid0(VALU_DEP_2) | instskip(NEXT) | instid1(VALU_DEP_1)
	v_add_co_ci_u32_e64 v10, null, v12, v10, vcc_lo
	v_dual_mov_b32 v18, v10 :: v_dual_mov_b32 v17, v9
; %bb.82:
	s_or_b32 exec_lo, exec_lo, s0
	v_mov_b32_dpp v9, v11 row_shr:4 row_mask:0xf bank_mask:0xf
	v_mov_b32_dpp v12, v10 row_shr:4 row_mask:0xf bank_mask:0xf
	s_mov_b32 s0, exec_lo
	v_cmpx_lt_u32_e32 3, v32
; %bb.83:
	s_delay_alu instid0(VALU_DEP_3) | instskip(SKIP_2) | instid1(VALU_DEP_2)
	v_add_co_u32 v11, vcc_lo, v17, v9
	s_wait_alu 0xfffd
	v_add_co_ci_u32_e64 v10, null, 0, v18, vcc_lo
	v_add_co_u32 v9, vcc_lo, 0, v11
	s_wait_alu 0xfffd
	s_delay_alu instid0(VALU_DEP_2) | instskip(NEXT) | instid1(VALU_DEP_1)
	v_add_co_ci_u32_e64 v10, null, v12, v10, vcc_lo
	v_dual_mov_b32 v18, v10 :: v_dual_mov_b32 v17, v9
; %bb.84:
	s_or_b32 exec_lo, exec_lo, s0
	v_mov_b32_dpp v12, v11 row_shr:8 row_mask:0xf bank_mask:0xf
	v_mov_b32_dpp v9, v10 row_shr:8 row_mask:0xf bank_mask:0xf
	s_mov_b32 s0, exec_lo
	v_cmpx_lt_u32_e32 7, v32
; %bb.85:
	s_delay_alu instid0(VALU_DEP_3) | instskip(SKIP_2) | instid1(VALU_DEP_2)
	v_add_co_u32 v11, vcc_lo, v17, v12
	s_wait_alu 0xfffd
	v_add_co_ci_u32_e64 v10, null, 0, v18, vcc_lo
	v_add_co_u32 v17, vcc_lo, 0, v11
	s_wait_alu 0xfffd
	s_delay_alu instid0(VALU_DEP_2) | instskip(NEXT) | instid1(VALU_DEP_1)
	v_add_co_ci_u32_e64 v18, null, v9, v10, vcc_lo
	v_mov_b32_e32 v10, v18
; %bb.86:
	s_or_b32 exec_lo, exec_lo, s0
	ds_swizzle_b32 v11, v11 offset:swizzle(BROADCAST,32,15)
	ds_swizzle_b32 v9, v10 offset:swizzle(BROADCAST,32,15)
	v_and_b32_e32 v10, 16, v31
	s_mov_b32 s0, exec_lo
	s_delay_alu instid0(VALU_DEP_1)
	v_cmpx_ne_u32_e32 0, v10
	s_cbranch_execz .LBB871_88
; %bb.87:
	s_wait_dscnt 0x1
	v_add_co_u32 v10, vcc_lo, v17, v11
	s_wait_alu 0xfffd
	v_add_co_ci_u32_e64 v11, null, 0, v18, vcc_lo
	s_delay_alu instid0(VALU_DEP_2) | instskip(SKIP_2) | instid1(VALU_DEP_2)
	v_add_co_u32 v17, vcc_lo, v10, 0
	s_wait_dscnt 0x0
	s_wait_alu 0xfffd
	v_add_co_ci_u32_e64 v18, null, v11, v9, vcc_lo
.LBB871_88:
	s_or_b32 exec_lo, exec_lo, s0
	s_wait_dscnt 0x0
	v_or_b32_e32 v9, 31, v0
	s_mov_b32 s0, exec_lo
	s_delay_alu instid0(VALU_DEP_1)
	v_cmpx_eq_u32_e64 v0, v9
; %bb.89:
	v_lshlrev_b32_e32 v9, 3, v26
	ds_store_b64 v9, v[17:18]
; %bb.90:
	s_or_b32 exec_lo, exec_lo, s0
	s_delay_alu instid0(SALU_CYCLE_1)
	s_mov_b32 s0, exec_lo
	s_wait_loadcnt_dscnt 0x0
	s_barrier_signal -1
	s_barrier_wait -1
	global_inv scope:SCOPE_SE
	v_cmpx_gt_u32_e32 8, v0
	s_cbranch_execz .LBB871_98
; %bb.91:
	v_lshlrev_b32_e32 v11, 3, v0
	s_mov_b32 s1, exec_lo
	ds_load_b64 v[9:10], v11
	s_wait_dscnt 0x0
	v_dual_mov_b32 v13, v9 :: v_dual_and_b32 v12, 7, v31
	v_mov_b32_dpp v15, v9 row_shr:1 row_mask:0xf bank_mask:0xf
	v_mov_b32_dpp v14, v10 row_shr:1 row_mask:0xf bank_mask:0xf
	s_delay_alu instid0(VALU_DEP_3)
	v_cmpx_ne_u32_e32 0, v12
; %bb.92:
	s_delay_alu instid0(VALU_DEP_3) | instskip(SKIP_2) | instid1(VALU_DEP_2)
	v_add_co_u32 v13, vcc_lo, v9, v15
	s_wait_alu 0xfffd
	v_add_co_ci_u32_e64 v10, null, 0, v10, vcc_lo
	v_add_co_u32 v9, vcc_lo, 0, v13
	s_wait_alu 0xfffd
	s_delay_alu instid0(VALU_DEP_2)
	v_add_co_ci_u32_e64 v10, null, v14, v10, vcc_lo
; %bb.93:
	s_or_b32 exec_lo, exec_lo, s1
	v_mov_b32_dpp v15, v13 row_shr:2 row_mask:0xf bank_mask:0xf
	s_delay_alu instid0(VALU_DEP_2)
	v_mov_b32_dpp v14, v10 row_shr:2 row_mask:0xf bank_mask:0xf
	s_mov_b32 s1, exec_lo
	v_cmpx_lt_u32_e32 1, v12
; %bb.94:
	s_delay_alu instid0(VALU_DEP_3) | instskip(SKIP_2) | instid1(VALU_DEP_2)
	v_add_co_u32 v13, vcc_lo, v9, v15
	s_wait_alu 0xfffd
	v_add_co_ci_u32_e64 v10, null, 0, v10, vcc_lo
	v_add_co_u32 v9, vcc_lo, 0, v13
	s_wait_alu 0xfffd
	s_delay_alu instid0(VALU_DEP_2)
	v_add_co_ci_u32_e64 v10, null, v14, v10, vcc_lo
; %bb.95:
	s_or_b32 exec_lo, exec_lo, s1
	v_mov_b32_dpp v14, v13 row_shr:4 row_mask:0xf bank_mask:0xf
	s_delay_alu instid0(VALU_DEP_2)
	v_mov_b32_dpp v13, v10 row_shr:4 row_mask:0xf bank_mask:0xf
	s_mov_b32 s1, exec_lo
	v_cmpx_lt_u32_e32 3, v12
; %bb.96:
	s_delay_alu instid0(VALU_DEP_3) | instskip(SKIP_2) | instid1(VALU_DEP_2)
	v_add_co_u32 v9, vcc_lo, v9, v14
	s_wait_alu 0xfffd
	v_add_co_ci_u32_e64 v10, null, 0, v10, vcc_lo
	v_add_co_u32 v9, vcc_lo, v9, 0
	s_wait_alu 0xfffd
	s_delay_alu instid0(VALU_DEP_2)
	v_add_co_ci_u32_e64 v10, null, v10, v13, vcc_lo
; %bb.97:
	s_or_b32 exec_lo, exec_lo, s1
	ds_store_b64 v11, v[9:10]
.LBB871_98:
	s_or_b32 exec_lo, exec_lo, s0
	v_mov_b32_e32 v13, 0
	v_mov_b32_e32 v14, 0
	s_mov_b32 s0, exec_lo
	s_wait_loadcnt_dscnt 0x0
	s_barrier_signal -1
	s_barrier_wait -1
	global_inv scope:SCOPE_SE
	v_cmpx_lt_u32_e32 31, v0
; %bb.99:
	v_lshl_add_u32 v9, v26, 3, -8
	ds_load_b64 v[13:14], v9
; %bb.100:
	s_or_b32 exec_lo, exec_lo, s0
	v_sub_co_u32 v9, vcc_lo, v31, 1
	v_mov_b32_e32 v12, 0
	s_delay_alu instid0(VALU_DEP_2) | instskip(NEXT) | instid1(VALU_DEP_1)
	v_cmp_gt_i32_e64 s0, 0, v9
	v_cndmask_b32_e64 v9, v9, v31, s0
	s_wait_dscnt 0x0
	v_add_co_u32 v10, s0, v13, v17
	s_wait_alu 0xf1ff
	v_add_co_ci_u32_e64 v11, null, v14, v18, s0
	v_lshlrev_b32_e32 v9, 2, v9
	v_cmp_eq_u32_e64 s0, 0, v0
	ds_bpermute_b32 v15, v9, v10
	ds_bpermute_b32 v16, v9, v11
	ds_load_b64 v[9:10], v12 offset:56
	s_and_saveexec_b32 s1, s0
	s_cbranch_execz .LBB871_102
; %bb.101:
	s_wait_kmcnt 0x0
	s_add_nc_u64 s[2:3], s[6:7], 0x200
	s_wait_alu 0xfffe
	v_dual_mov_b32 v11, 2 :: v_dual_mov_b32 v18, s3
	v_mov_b32_e32 v17, s2
	s_wait_dscnt 0x0
	;;#ASMSTART
	global_store_b128 v[17:18], v[9:12] off scope:SCOPE_DEV	
s_wait_storecnt 0x0
	;;#ASMEND
.LBB871_102:
	s_wait_alu 0xfffe
	s_or_b32 exec_lo, exec_lo, s1
	s_wait_dscnt 0x1
	s_wait_alu 0xfffd
	v_dual_cndmask_b32 v11, v15, v13 :: v_dual_cndmask_b32 v12, v16, v14
	s_wait_loadcnt_dscnt 0x0
	s_barrier_signal -1
	s_barrier_wait -1
	s_delay_alu instid0(VALU_DEP_1)
	v_cndmask_b32_e64 v21, v11, 0, s0
	v_cndmask_b32_e64 v22, v12, 0, s0
	v_mov_b32_e32 v11, 0
	v_mov_b32_e32 v12, 0
	global_inv scope:SCOPE_SE
	v_add_co_u32 v19, vcc_lo, v21, v30
	s_wait_alu 0xfffd
	v_add_co_ci_u32_e64 v20, null, 0, v22, vcc_lo
	s_delay_alu instid0(VALU_DEP_2) | instskip(SKIP_1) | instid1(VALU_DEP_2)
	v_add_co_u32 v13, vcc_lo, v19, v29
	s_wait_alu 0xfffd
	v_add_co_ci_u32_e64 v14, null, 0, v20, vcc_lo
	s_delay_alu instid0(VALU_DEP_2) | instskip(SKIP_1) | instid1(VALU_DEP_2)
	v_add_co_u32 v15, vcc_lo, v13, v28
	s_wait_alu 0xfffd
	v_add_co_ci_u32_e64 v16, null, 0, v14, vcc_lo
.LBB871_103:
	v_and_b32_e32 v26, 1, v27
	s_wait_dscnt 0x0
	v_cmp_gt_u64_e32 vcc_lo, 0x101, v[9:10]
	v_lshrrev_b32_e32 v23, 16, v27
	v_lshrrev_b32_e32 v24, 8, v27
	s_mov_b32 s1, -1
	v_cmp_eq_u32_e64 s0, 1, v26
	s_cbranch_vccnz .LBB871_107
; %bb.104:
	s_wait_alu 0xfffe
	s_and_b32 vcc_lo, exec_lo, s1
	s_wait_alu 0xfffe
	s_cbranch_vccnz .LBB871_116
.LBB871_105:
	v_cmp_eq_u32_e32 vcc_lo, 0, v0
	s_and_b32 s0, vcc_lo, s16
	s_wait_alu 0xfffe
	s_and_saveexec_b32 s1, s0
	s_cbranch_execnz .LBB871_128
.LBB871_106:
	s_endpgm
.LBB871_107:
	v_add_co_u32 v17, vcc_lo, v11, v9
	s_wait_alu 0xfffd
	v_add_co_ci_u32_e64 v18, null, v12, v10, vcc_lo
	s_delay_alu instid0(VALU_DEP_1)
	v_cmp_lt_u64_e32 vcc_lo, v[21:22], v[17:18]
	s_or_b32 s1, s17, vcc_lo
	s_wait_alu 0xfffe
	s_and_b32 s1, s1, s0
	s_wait_alu 0xfffe
	s_and_saveexec_b32 s0, s1
	s_cbranch_execz .LBB871_109
; %bb.108:
	v_lshlrev_b64_e32 v[27:28], 3, v[21:22]
	s_lshl_b64 s[2:3], s[10:11], 3
	s_wait_kmcnt 0x0
	s_wait_alu 0xfffe
	s_add_nc_u64 s[2:3], s[4:5], s[2:3]
	s_wait_alu 0xfffe
	v_add_co_u32 v27, vcc_lo, s2, v27
	s_wait_alu 0xfffd
	v_add_co_ci_u32_e64 v28, null, s3, v28, vcc_lo
	global_store_b64 v[27:28], v[5:6], off
.LBB871_109:
	s_wait_alu 0xfffe
	s_or_b32 exec_lo, exec_lo, s0
	v_and_b32_e32 v22, 1, v24
	v_cmp_lt_u64_e32 vcc_lo, v[19:20], v[17:18]
	s_delay_alu instid0(VALU_DEP_2)
	v_cmp_eq_u32_e64 s0, 1, v22
	s_or_b32 s1, s17, vcc_lo
	s_wait_alu 0xfffe
	s_and_b32 s1, s1, s0
	s_wait_alu 0xfffe
	s_and_saveexec_b32 s0, s1
	s_cbranch_execz .LBB871_111
; %bb.110:
	v_lshlrev_b64_e32 v[27:28], 3, v[19:20]
	s_lshl_b64 s[2:3], s[10:11], 3
	s_wait_kmcnt 0x0
	s_wait_alu 0xfffe
	s_add_nc_u64 s[2:3], s[4:5], s[2:3]
	s_wait_alu 0xfffe
	v_add_co_u32 v27, vcc_lo, s2, v27
	s_wait_alu 0xfffd
	v_add_co_ci_u32_e64 v28, null, s3, v28, vcc_lo
	global_store_b64 v[27:28], v[7:8], off
.LBB871_111:
	s_wait_alu 0xfffe
	s_or_b32 exec_lo, exec_lo, s0
	v_and_b32_e32 v20, 1, v23
	v_cmp_lt_u64_e32 vcc_lo, v[13:14], v[17:18]
	s_delay_alu instid0(VALU_DEP_2)
	v_cmp_eq_u32_e64 s0, 1, v20
	;; [unrolled: 24-line block ×3, first 2 shown]
	s_or_b32 s1, s17, vcc_lo
	s_wait_alu 0xfffe
	s_and_b32 s1, s1, s0
	s_wait_alu 0xfffe
	s_and_saveexec_b32 s0, s1
	s_cbranch_execz .LBB871_115
; %bb.114:
	v_lshlrev_b64_e32 v[16:17], 3, v[15:16]
	s_lshl_b64 s[2:3], s[10:11], 3
	s_wait_kmcnt 0x0
	s_wait_alu 0xfffe
	s_add_nc_u64 s[2:3], s[4:5], s[2:3]
	s_wait_alu 0xfffe
	v_add_co_u32 v16, vcc_lo, s2, v16
	s_wait_alu 0xfffd
	v_add_co_ci_u32_e64 v17, null, s3, v17, vcc_lo
	global_store_b64 v[16:17], v[3:4], off
.LBB871_115:
	s_wait_alu 0xfffe
	s_or_b32 exec_lo, exec_lo, s0
	s_branch .LBB871_105
.LBB871_116:
	s_mov_b32 s0, exec_lo
	v_cmpx_eq_u32_e32 1, v26
; %bb.117:
	v_sub_nc_u32_e32 v14, v21, v11
	s_delay_alu instid0(VALU_DEP_1)
	v_lshlrev_b32_e32 v14, 3, v14
	ds_store_b64 v14, v[5:6]
; %bb.118:
	s_wait_alu 0xfffe
	s_or_b32 exec_lo, exec_lo, s0
	v_and_b32_e32 v5, 1, v24
	s_mov_b32 s0, exec_lo
	s_delay_alu instid0(VALU_DEP_1)
	v_cmpx_eq_u32_e32 1, v5
; %bb.119:
	v_sub_nc_u32_e32 v5, v19, v11
	s_delay_alu instid0(VALU_DEP_1)
	v_lshlrev_b32_e32 v5, 3, v5
	ds_store_b64 v5, v[7:8]
; %bb.120:
	s_wait_alu 0xfffe
	s_or_b32 exec_lo, exec_lo, s0
	v_and_b32_e32 v5, 1, v23
	s_mov_b32 s0, exec_lo
	s_delay_alu instid0(VALU_DEP_1)
	;; [unrolled: 12-line block ×3, first 2 shown]
	v_cmpx_eq_u32_e32 1, v1
; %bb.123:
	v_sub_nc_u32_e32 v1, v15, v11
	s_delay_alu instid0(VALU_DEP_1)
	v_lshlrev_b32_e32 v1, 3, v1
	ds_store_b64 v1, v[3:4]
; %bb.124:
	s_wait_alu 0xfffe
	s_or_b32 exec_lo, exec_lo, s0
	v_mov_b32_e32 v3, 0
	s_mov_b32 s1, exec_lo
	s_wait_storecnt 0x0
	s_wait_loadcnt_dscnt 0x0
	s_barrier_signal -1
	s_barrier_wait -1
	v_mov_b32_e32 v1, v3
	global_inv scope:SCOPE_SE
	v_cmpx_gt_u64_e64 v[9:10], v[0:1]
	s_cbranch_execz .LBB871_127
; %bb.125:
	v_lshlrev_b64_e32 v[4:5], 3, v[11:12]
	s_lshl_b64 s[2:3], s[10:11], 3
	v_or_b32_e32 v2, 0x100, v0
	s_wait_kmcnt 0x0
	s_delay_alu instid0(VALU_DEP_2) | instskip(SKIP_3) | instid1(VALU_DEP_2)
	v_add_co_u32 v4, vcc_lo, s4, v4
	s_wait_alu 0xfffd
	v_add_co_ci_u32_e64 v5, null, s5, v5, vcc_lo
	s_wait_alu 0xfffe
	v_add_co_u32 v6, vcc_lo, v4, s2
	s_wait_alu 0xfffd
	s_delay_alu instid0(VALU_DEP_2)
	v_add_co_ci_u32_e64 v7, null, s3, v5, vcc_lo
	v_dual_mov_b32 v5, v1 :: v_dual_mov_b32 v4, v0
	s_mov_b32 s2, 0
.LBB871_126:                            ; =>This Inner Loop Header: Depth=1
	s_delay_alu instid0(VALU_DEP_1) | instskip(NEXT) | instid1(VALU_DEP_2)
	v_lshlrev_b32_e32 v1, 3, v4
	v_lshlrev_b64_e32 v[15:16], 3, v[4:5]
	v_dual_mov_b32 v5, v3 :: v_dual_mov_b32 v4, v2
	v_cmp_le_u64_e32 vcc_lo, v[9:10], v[2:3]
	ds_load_b64 v[13:14], v1
	v_add_nc_u32_e32 v2, 0x100, v2
	v_add_co_u32 v15, s0, v6, v15
	s_wait_alu 0xf1ff
	v_add_co_ci_u32_e64 v16, null, v7, v16, s0
	s_wait_alu 0xfffe
	s_or_b32 s2, vcc_lo, s2
	s_wait_dscnt 0x0
	global_store_b64 v[15:16], v[13:14], off
	s_wait_alu 0xfffe
	s_and_not1_b32 exec_lo, exec_lo, s2
	s_cbranch_execnz .LBB871_126
.LBB871_127:
	s_wait_alu 0xfffe
	s_or_b32 exec_lo, exec_lo, s1
	v_cmp_eq_u32_e32 vcc_lo, 0, v0
	s_and_b32 s0, vcc_lo, s16
	s_wait_alu 0xfffe
	s_and_saveexec_b32 s1, s0
	s_cbranch_execz .LBB871_106
.LBB871_128:
	v_add_co_u32 v0, vcc_lo, v11, v9
	s_wait_alu 0xfffd
	v_add_co_ci_u32_e64 v1, null, v12, v10, vcc_lo
	v_mov_b32_e32 v2, 0
	s_delay_alu instid0(VALU_DEP_3) | instskip(SKIP_1) | instid1(VALU_DEP_3)
	v_add_co_u32 v0, vcc_lo, v0, s10
	s_wait_alu 0xfffd
	v_add_co_ci_u32_e64 v1, null, s11, v1, vcc_lo
	global_store_b64 v2, v[0:1], s[8:9]
	s_endpgm
.LBB871_129:
	global_load_u16 v15, v11, s[2:3] offset:512
	s_wait_loadcnt 0x0
	v_and_b32_e32 v15, 0x7fff, v15
	s_delay_alu instid0(VALU_DEP_1) | instskip(SKIP_2) | instid1(VALU_DEP_1)
	v_cmp_ne_u16_e32 vcc_lo, 0, v15
	s_wait_alu 0xfffd
	v_cndmask_b32_e64 v15, 0, 1, vcc_lo
	v_lshlrev_b16 v15, 8, v15
	s_delay_alu instid0(VALU_DEP_1) | instskip(NEXT) | instid1(VALU_DEP_1)
	v_or_b32_e32 v13, v13, v15
	v_and_b32_e32 v13, 0xffff, v13
	s_wait_alu 0xfffe
	s_or_b32 exec_lo, exec_lo, s4
	s_delay_alu instid0(SALU_CYCLE_1)
	s_mov_b32 s4, exec_lo
	v_cmpx_gt_u32_e64 s18, v9
	s_cbranch_execz .LBB871_12
.LBB871_130:
	global_load_u16 v15, v11, s[2:3] offset:1024
	s_wait_loadcnt 0x0
	v_and_b32_e32 v15, 0x7fff, v15
	s_delay_alu instid0(VALU_DEP_1) | instskip(SKIP_2) | instid1(VALU_DEP_1)
	v_cmp_ne_u16_e32 vcc_lo, 0, v15
	s_wait_alu 0xfffd
	v_cndmask_b32_e64 v15, 0, 1, vcc_lo
	v_lshl_or_b32 v13, v15, 16, v13
	s_wait_alu 0xfffe
	s_or_b32 exec_lo, exec_lo, s4
	s_delay_alu instid0(SALU_CYCLE_1)
	s_mov_b32 s4, exec_lo
	v_cmpx_gt_u32_e64 s18, v10
	s_cbranch_execnz .LBB871_13
	s_branch .LBB871_14
	.section	.rodata,"a",@progbits
	.p2align	6, 0x0
	.amdhsa_kernel _ZN7rocprim17ROCPRIM_400000_NS6detail17trampoline_kernelINS0_14default_configENS1_25partition_config_selectorILNS1_17partition_subalgoE5ElNS0_10empty_typeEbEEZZNS1_14partition_implILS5_5ELb0ES3_mN6hipcub16HIPCUB_304000_NS21CountingInputIteratorIllEEPS6_NSA_22TransformInputIteratorIbN2at6native12_GLOBAL__N_19NonZeroOpIN3c104HalfEEEPKSK_lEENS0_5tupleIJPlS6_EEENSP_IJSD_SD_EEES6_PiJS6_EEE10hipError_tPvRmT3_T4_T5_T6_T7_T9_mT8_P12ihipStream_tbDpT10_ENKUlT_T0_E_clISt17integral_constantIbLb0EES1D_EEDaS18_S19_EUlS18_E_NS1_11comp_targetILNS1_3genE10ELNS1_11target_archE1200ELNS1_3gpuE4ELNS1_3repE0EEENS1_30default_config_static_selectorELNS0_4arch9wavefront6targetE0EEEvT1_
		.amdhsa_group_segment_fixed_size 8464
		.amdhsa_private_segment_fixed_size 0
		.amdhsa_kernarg_size 120
		.amdhsa_user_sgpr_count 2
		.amdhsa_user_sgpr_dispatch_ptr 0
		.amdhsa_user_sgpr_queue_ptr 0
		.amdhsa_user_sgpr_kernarg_segment_ptr 1
		.amdhsa_user_sgpr_dispatch_id 0
		.amdhsa_user_sgpr_private_segment_size 0
		.amdhsa_wavefront_size32 1
		.amdhsa_uses_dynamic_stack 0
		.amdhsa_enable_private_segment 0
		.amdhsa_system_sgpr_workgroup_id_x 1
		.amdhsa_system_sgpr_workgroup_id_y 0
		.amdhsa_system_sgpr_workgroup_id_z 0
		.amdhsa_system_sgpr_workgroup_info 0
		.amdhsa_system_vgpr_workitem_id 0
		.amdhsa_next_free_vgpr 46
		.amdhsa_next_free_sgpr 20
		.amdhsa_reserve_vcc 1
		.amdhsa_float_round_mode_32 0
		.amdhsa_float_round_mode_16_64 0
		.amdhsa_float_denorm_mode_32 3
		.amdhsa_float_denorm_mode_16_64 3
		.amdhsa_fp16_overflow 0
		.amdhsa_workgroup_processor_mode 1
		.amdhsa_memory_ordered 1
		.amdhsa_forward_progress 1
		.amdhsa_inst_pref_size 54
		.amdhsa_round_robin_scheduling 0
		.amdhsa_exception_fp_ieee_invalid_op 0
		.amdhsa_exception_fp_denorm_src 0
		.amdhsa_exception_fp_ieee_div_zero 0
		.amdhsa_exception_fp_ieee_overflow 0
		.amdhsa_exception_fp_ieee_underflow 0
		.amdhsa_exception_fp_ieee_inexact 0
		.amdhsa_exception_int_div_zero 0
	.end_amdhsa_kernel
	.section	.text._ZN7rocprim17ROCPRIM_400000_NS6detail17trampoline_kernelINS0_14default_configENS1_25partition_config_selectorILNS1_17partition_subalgoE5ElNS0_10empty_typeEbEEZZNS1_14partition_implILS5_5ELb0ES3_mN6hipcub16HIPCUB_304000_NS21CountingInputIteratorIllEEPS6_NSA_22TransformInputIteratorIbN2at6native12_GLOBAL__N_19NonZeroOpIN3c104HalfEEEPKSK_lEENS0_5tupleIJPlS6_EEENSP_IJSD_SD_EEES6_PiJS6_EEE10hipError_tPvRmT3_T4_T5_T6_T7_T9_mT8_P12ihipStream_tbDpT10_ENKUlT_T0_E_clISt17integral_constantIbLb0EES1D_EEDaS18_S19_EUlS18_E_NS1_11comp_targetILNS1_3genE10ELNS1_11target_archE1200ELNS1_3gpuE4ELNS1_3repE0EEENS1_30default_config_static_selectorELNS0_4arch9wavefront6targetE0EEEvT1_,"axG",@progbits,_ZN7rocprim17ROCPRIM_400000_NS6detail17trampoline_kernelINS0_14default_configENS1_25partition_config_selectorILNS1_17partition_subalgoE5ElNS0_10empty_typeEbEEZZNS1_14partition_implILS5_5ELb0ES3_mN6hipcub16HIPCUB_304000_NS21CountingInputIteratorIllEEPS6_NSA_22TransformInputIteratorIbN2at6native12_GLOBAL__N_19NonZeroOpIN3c104HalfEEEPKSK_lEENS0_5tupleIJPlS6_EEENSP_IJSD_SD_EEES6_PiJS6_EEE10hipError_tPvRmT3_T4_T5_T6_T7_T9_mT8_P12ihipStream_tbDpT10_ENKUlT_T0_E_clISt17integral_constantIbLb0EES1D_EEDaS18_S19_EUlS18_E_NS1_11comp_targetILNS1_3genE10ELNS1_11target_archE1200ELNS1_3gpuE4ELNS1_3repE0EEENS1_30default_config_static_selectorELNS0_4arch9wavefront6targetE0EEEvT1_,comdat
.Lfunc_end871:
	.size	_ZN7rocprim17ROCPRIM_400000_NS6detail17trampoline_kernelINS0_14default_configENS1_25partition_config_selectorILNS1_17partition_subalgoE5ElNS0_10empty_typeEbEEZZNS1_14partition_implILS5_5ELb0ES3_mN6hipcub16HIPCUB_304000_NS21CountingInputIteratorIllEEPS6_NSA_22TransformInputIteratorIbN2at6native12_GLOBAL__N_19NonZeroOpIN3c104HalfEEEPKSK_lEENS0_5tupleIJPlS6_EEENSP_IJSD_SD_EEES6_PiJS6_EEE10hipError_tPvRmT3_T4_T5_T6_T7_T9_mT8_P12ihipStream_tbDpT10_ENKUlT_T0_E_clISt17integral_constantIbLb0EES1D_EEDaS18_S19_EUlS18_E_NS1_11comp_targetILNS1_3genE10ELNS1_11target_archE1200ELNS1_3gpuE4ELNS1_3repE0EEENS1_30default_config_static_selectorELNS0_4arch9wavefront6targetE0EEEvT1_, .Lfunc_end871-_ZN7rocprim17ROCPRIM_400000_NS6detail17trampoline_kernelINS0_14default_configENS1_25partition_config_selectorILNS1_17partition_subalgoE5ElNS0_10empty_typeEbEEZZNS1_14partition_implILS5_5ELb0ES3_mN6hipcub16HIPCUB_304000_NS21CountingInputIteratorIllEEPS6_NSA_22TransformInputIteratorIbN2at6native12_GLOBAL__N_19NonZeroOpIN3c104HalfEEEPKSK_lEENS0_5tupleIJPlS6_EEENSP_IJSD_SD_EEES6_PiJS6_EEE10hipError_tPvRmT3_T4_T5_T6_T7_T9_mT8_P12ihipStream_tbDpT10_ENKUlT_T0_E_clISt17integral_constantIbLb0EES1D_EEDaS18_S19_EUlS18_E_NS1_11comp_targetILNS1_3genE10ELNS1_11target_archE1200ELNS1_3gpuE4ELNS1_3repE0EEENS1_30default_config_static_selectorELNS0_4arch9wavefront6targetE0EEEvT1_
                                        ; -- End function
	.set _ZN7rocprim17ROCPRIM_400000_NS6detail17trampoline_kernelINS0_14default_configENS1_25partition_config_selectorILNS1_17partition_subalgoE5ElNS0_10empty_typeEbEEZZNS1_14partition_implILS5_5ELb0ES3_mN6hipcub16HIPCUB_304000_NS21CountingInputIteratorIllEEPS6_NSA_22TransformInputIteratorIbN2at6native12_GLOBAL__N_19NonZeroOpIN3c104HalfEEEPKSK_lEENS0_5tupleIJPlS6_EEENSP_IJSD_SD_EEES6_PiJS6_EEE10hipError_tPvRmT3_T4_T5_T6_T7_T9_mT8_P12ihipStream_tbDpT10_ENKUlT_T0_E_clISt17integral_constantIbLb0EES1D_EEDaS18_S19_EUlS18_E_NS1_11comp_targetILNS1_3genE10ELNS1_11target_archE1200ELNS1_3gpuE4ELNS1_3repE0EEENS1_30default_config_static_selectorELNS0_4arch9wavefront6targetE0EEEvT1_.num_vgpr, 46
	.set _ZN7rocprim17ROCPRIM_400000_NS6detail17trampoline_kernelINS0_14default_configENS1_25partition_config_selectorILNS1_17partition_subalgoE5ElNS0_10empty_typeEbEEZZNS1_14partition_implILS5_5ELb0ES3_mN6hipcub16HIPCUB_304000_NS21CountingInputIteratorIllEEPS6_NSA_22TransformInputIteratorIbN2at6native12_GLOBAL__N_19NonZeroOpIN3c104HalfEEEPKSK_lEENS0_5tupleIJPlS6_EEENSP_IJSD_SD_EEES6_PiJS6_EEE10hipError_tPvRmT3_T4_T5_T6_T7_T9_mT8_P12ihipStream_tbDpT10_ENKUlT_T0_E_clISt17integral_constantIbLb0EES1D_EEDaS18_S19_EUlS18_E_NS1_11comp_targetILNS1_3genE10ELNS1_11target_archE1200ELNS1_3gpuE4ELNS1_3repE0EEENS1_30default_config_static_selectorELNS0_4arch9wavefront6targetE0EEEvT1_.num_agpr, 0
	.set _ZN7rocprim17ROCPRIM_400000_NS6detail17trampoline_kernelINS0_14default_configENS1_25partition_config_selectorILNS1_17partition_subalgoE5ElNS0_10empty_typeEbEEZZNS1_14partition_implILS5_5ELb0ES3_mN6hipcub16HIPCUB_304000_NS21CountingInputIteratorIllEEPS6_NSA_22TransformInputIteratorIbN2at6native12_GLOBAL__N_19NonZeroOpIN3c104HalfEEEPKSK_lEENS0_5tupleIJPlS6_EEENSP_IJSD_SD_EEES6_PiJS6_EEE10hipError_tPvRmT3_T4_T5_T6_T7_T9_mT8_P12ihipStream_tbDpT10_ENKUlT_T0_E_clISt17integral_constantIbLb0EES1D_EEDaS18_S19_EUlS18_E_NS1_11comp_targetILNS1_3genE10ELNS1_11target_archE1200ELNS1_3gpuE4ELNS1_3repE0EEENS1_30default_config_static_selectorELNS0_4arch9wavefront6targetE0EEEvT1_.numbered_sgpr, 20
	.set _ZN7rocprim17ROCPRIM_400000_NS6detail17trampoline_kernelINS0_14default_configENS1_25partition_config_selectorILNS1_17partition_subalgoE5ElNS0_10empty_typeEbEEZZNS1_14partition_implILS5_5ELb0ES3_mN6hipcub16HIPCUB_304000_NS21CountingInputIteratorIllEEPS6_NSA_22TransformInputIteratorIbN2at6native12_GLOBAL__N_19NonZeroOpIN3c104HalfEEEPKSK_lEENS0_5tupleIJPlS6_EEENSP_IJSD_SD_EEES6_PiJS6_EEE10hipError_tPvRmT3_T4_T5_T6_T7_T9_mT8_P12ihipStream_tbDpT10_ENKUlT_T0_E_clISt17integral_constantIbLb0EES1D_EEDaS18_S19_EUlS18_E_NS1_11comp_targetILNS1_3genE10ELNS1_11target_archE1200ELNS1_3gpuE4ELNS1_3repE0EEENS1_30default_config_static_selectorELNS0_4arch9wavefront6targetE0EEEvT1_.num_named_barrier, 0
	.set _ZN7rocprim17ROCPRIM_400000_NS6detail17trampoline_kernelINS0_14default_configENS1_25partition_config_selectorILNS1_17partition_subalgoE5ElNS0_10empty_typeEbEEZZNS1_14partition_implILS5_5ELb0ES3_mN6hipcub16HIPCUB_304000_NS21CountingInputIteratorIllEEPS6_NSA_22TransformInputIteratorIbN2at6native12_GLOBAL__N_19NonZeroOpIN3c104HalfEEEPKSK_lEENS0_5tupleIJPlS6_EEENSP_IJSD_SD_EEES6_PiJS6_EEE10hipError_tPvRmT3_T4_T5_T6_T7_T9_mT8_P12ihipStream_tbDpT10_ENKUlT_T0_E_clISt17integral_constantIbLb0EES1D_EEDaS18_S19_EUlS18_E_NS1_11comp_targetILNS1_3genE10ELNS1_11target_archE1200ELNS1_3gpuE4ELNS1_3repE0EEENS1_30default_config_static_selectorELNS0_4arch9wavefront6targetE0EEEvT1_.private_seg_size, 0
	.set _ZN7rocprim17ROCPRIM_400000_NS6detail17trampoline_kernelINS0_14default_configENS1_25partition_config_selectorILNS1_17partition_subalgoE5ElNS0_10empty_typeEbEEZZNS1_14partition_implILS5_5ELb0ES3_mN6hipcub16HIPCUB_304000_NS21CountingInputIteratorIllEEPS6_NSA_22TransformInputIteratorIbN2at6native12_GLOBAL__N_19NonZeroOpIN3c104HalfEEEPKSK_lEENS0_5tupleIJPlS6_EEENSP_IJSD_SD_EEES6_PiJS6_EEE10hipError_tPvRmT3_T4_T5_T6_T7_T9_mT8_P12ihipStream_tbDpT10_ENKUlT_T0_E_clISt17integral_constantIbLb0EES1D_EEDaS18_S19_EUlS18_E_NS1_11comp_targetILNS1_3genE10ELNS1_11target_archE1200ELNS1_3gpuE4ELNS1_3repE0EEENS1_30default_config_static_selectorELNS0_4arch9wavefront6targetE0EEEvT1_.uses_vcc, 1
	.set _ZN7rocprim17ROCPRIM_400000_NS6detail17trampoline_kernelINS0_14default_configENS1_25partition_config_selectorILNS1_17partition_subalgoE5ElNS0_10empty_typeEbEEZZNS1_14partition_implILS5_5ELb0ES3_mN6hipcub16HIPCUB_304000_NS21CountingInputIteratorIllEEPS6_NSA_22TransformInputIteratorIbN2at6native12_GLOBAL__N_19NonZeroOpIN3c104HalfEEEPKSK_lEENS0_5tupleIJPlS6_EEENSP_IJSD_SD_EEES6_PiJS6_EEE10hipError_tPvRmT3_T4_T5_T6_T7_T9_mT8_P12ihipStream_tbDpT10_ENKUlT_T0_E_clISt17integral_constantIbLb0EES1D_EEDaS18_S19_EUlS18_E_NS1_11comp_targetILNS1_3genE10ELNS1_11target_archE1200ELNS1_3gpuE4ELNS1_3repE0EEENS1_30default_config_static_selectorELNS0_4arch9wavefront6targetE0EEEvT1_.uses_flat_scratch, 0
	.set _ZN7rocprim17ROCPRIM_400000_NS6detail17trampoline_kernelINS0_14default_configENS1_25partition_config_selectorILNS1_17partition_subalgoE5ElNS0_10empty_typeEbEEZZNS1_14partition_implILS5_5ELb0ES3_mN6hipcub16HIPCUB_304000_NS21CountingInputIteratorIllEEPS6_NSA_22TransformInputIteratorIbN2at6native12_GLOBAL__N_19NonZeroOpIN3c104HalfEEEPKSK_lEENS0_5tupleIJPlS6_EEENSP_IJSD_SD_EEES6_PiJS6_EEE10hipError_tPvRmT3_T4_T5_T6_T7_T9_mT8_P12ihipStream_tbDpT10_ENKUlT_T0_E_clISt17integral_constantIbLb0EES1D_EEDaS18_S19_EUlS18_E_NS1_11comp_targetILNS1_3genE10ELNS1_11target_archE1200ELNS1_3gpuE4ELNS1_3repE0EEENS1_30default_config_static_selectorELNS0_4arch9wavefront6targetE0EEEvT1_.has_dyn_sized_stack, 0
	.set _ZN7rocprim17ROCPRIM_400000_NS6detail17trampoline_kernelINS0_14default_configENS1_25partition_config_selectorILNS1_17partition_subalgoE5ElNS0_10empty_typeEbEEZZNS1_14partition_implILS5_5ELb0ES3_mN6hipcub16HIPCUB_304000_NS21CountingInputIteratorIllEEPS6_NSA_22TransformInputIteratorIbN2at6native12_GLOBAL__N_19NonZeroOpIN3c104HalfEEEPKSK_lEENS0_5tupleIJPlS6_EEENSP_IJSD_SD_EEES6_PiJS6_EEE10hipError_tPvRmT3_T4_T5_T6_T7_T9_mT8_P12ihipStream_tbDpT10_ENKUlT_T0_E_clISt17integral_constantIbLb0EES1D_EEDaS18_S19_EUlS18_E_NS1_11comp_targetILNS1_3genE10ELNS1_11target_archE1200ELNS1_3gpuE4ELNS1_3repE0EEENS1_30default_config_static_selectorELNS0_4arch9wavefront6targetE0EEEvT1_.has_recursion, 0
	.set _ZN7rocprim17ROCPRIM_400000_NS6detail17trampoline_kernelINS0_14default_configENS1_25partition_config_selectorILNS1_17partition_subalgoE5ElNS0_10empty_typeEbEEZZNS1_14partition_implILS5_5ELb0ES3_mN6hipcub16HIPCUB_304000_NS21CountingInputIteratorIllEEPS6_NSA_22TransformInputIteratorIbN2at6native12_GLOBAL__N_19NonZeroOpIN3c104HalfEEEPKSK_lEENS0_5tupleIJPlS6_EEENSP_IJSD_SD_EEES6_PiJS6_EEE10hipError_tPvRmT3_T4_T5_T6_T7_T9_mT8_P12ihipStream_tbDpT10_ENKUlT_T0_E_clISt17integral_constantIbLb0EES1D_EEDaS18_S19_EUlS18_E_NS1_11comp_targetILNS1_3genE10ELNS1_11target_archE1200ELNS1_3gpuE4ELNS1_3repE0EEENS1_30default_config_static_selectorELNS0_4arch9wavefront6targetE0EEEvT1_.has_indirect_call, 0
	.section	.AMDGPU.csdata,"",@progbits
; Kernel info:
; codeLenInByte = 6892
; TotalNumSgprs: 22
; NumVgprs: 46
; ScratchSize: 0
; MemoryBound: 0
; FloatMode: 240
; IeeeMode: 1
; LDSByteSize: 8464 bytes/workgroup (compile time only)
; SGPRBlocks: 0
; VGPRBlocks: 5
; NumSGPRsForWavesPerEU: 22
; NumVGPRsForWavesPerEU: 46
; Occupancy: 16
; WaveLimiterHint : 1
; COMPUTE_PGM_RSRC2:SCRATCH_EN: 0
; COMPUTE_PGM_RSRC2:USER_SGPR: 2
; COMPUTE_PGM_RSRC2:TRAP_HANDLER: 0
; COMPUTE_PGM_RSRC2:TGID_X_EN: 1
; COMPUTE_PGM_RSRC2:TGID_Y_EN: 0
; COMPUTE_PGM_RSRC2:TGID_Z_EN: 0
; COMPUTE_PGM_RSRC2:TIDIG_COMP_CNT: 0
	.section	.text._ZN7rocprim17ROCPRIM_400000_NS6detail17trampoline_kernelINS0_14default_configENS1_25partition_config_selectorILNS1_17partition_subalgoE5ElNS0_10empty_typeEbEEZZNS1_14partition_implILS5_5ELb0ES3_mN6hipcub16HIPCUB_304000_NS21CountingInputIteratorIllEEPS6_NSA_22TransformInputIteratorIbN2at6native12_GLOBAL__N_19NonZeroOpIN3c104HalfEEEPKSK_lEENS0_5tupleIJPlS6_EEENSP_IJSD_SD_EEES6_PiJS6_EEE10hipError_tPvRmT3_T4_T5_T6_T7_T9_mT8_P12ihipStream_tbDpT10_ENKUlT_T0_E_clISt17integral_constantIbLb0EES1D_EEDaS18_S19_EUlS18_E_NS1_11comp_targetILNS1_3genE9ELNS1_11target_archE1100ELNS1_3gpuE3ELNS1_3repE0EEENS1_30default_config_static_selectorELNS0_4arch9wavefront6targetE0EEEvT1_,"axG",@progbits,_ZN7rocprim17ROCPRIM_400000_NS6detail17trampoline_kernelINS0_14default_configENS1_25partition_config_selectorILNS1_17partition_subalgoE5ElNS0_10empty_typeEbEEZZNS1_14partition_implILS5_5ELb0ES3_mN6hipcub16HIPCUB_304000_NS21CountingInputIteratorIllEEPS6_NSA_22TransformInputIteratorIbN2at6native12_GLOBAL__N_19NonZeroOpIN3c104HalfEEEPKSK_lEENS0_5tupleIJPlS6_EEENSP_IJSD_SD_EEES6_PiJS6_EEE10hipError_tPvRmT3_T4_T5_T6_T7_T9_mT8_P12ihipStream_tbDpT10_ENKUlT_T0_E_clISt17integral_constantIbLb0EES1D_EEDaS18_S19_EUlS18_E_NS1_11comp_targetILNS1_3genE9ELNS1_11target_archE1100ELNS1_3gpuE3ELNS1_3repE0EEENS1_30default_config_static_selectorELNS0_4arch9wavefront6targetE0EEEvT1_,comdat
	.globl	_ZN7rocprim17ROCPRIM_400000_NS6detail17trampoline_kernelINS0_14default_configENS1_25partition_config_selectorILNS1_17partition_subalgoE5ElNS0_10empty_typeEbEEZZNS1_14partition_implILS5_5ELb0ES3_mN6hipcub16HIPCUB_304000_NS21CountingInputIteratorIllEEPS6_NSA_22TransformInputIteratorIbN2at6native12_GLOBAL__N_19NonZeroOpIN3c104HalfEEEPKSK_lEENS0_5tupleIJPlS6_EEENSP_IJSD_SD_EEES6_PiJS6_EEE10hipError_tPvRmT3_T4_T5_T6_T7_T9_mT8_P12ihipStream_tbDpT10_ENKUlT_T0_E_clISt17integral_constantIbLb0EES1D_EEDaS18_S19_EUlS18_E_NS1_11comp_targetILNS1_3genE9ELNS1_11target_archE1100ELNS1_3gpuE3ELNS1_3repE0EEENS1_30default_config_static_selectorELNS0_4arch9wavefront6targetE0EEEvT1_ ; -- Begin function _ZN7rocprim17ROCPRIM_400000_NS6detail17trampoline_kernelINS0_14default_configENS1_25partition_config_selectorILNS1_17partition_subalgoE5ElNS0_10empty_typeEbEEZZNS1_14partition_implILS5_5ELb0ES3_mN6hipcub16HIPCUB_304000_NS21CountingInputIteratorIllEEPS6_NSA_22TransformInputIteratorIbN2at6native12_GLOBAL__N_19NonZeroOpIN3c104HalfEEEPKSK_lEENS0_5tupleIJPlS6_EEENSP_IJSD_SD_EEES6_PiJS6_EEE10hipError_tPvRmT3_T4_T5_T6_T7_T9_mT8_P12ihipStream_tbDpT10_ENKUlT_T0_E_clISt17integral_constantIbLb0EES1D_EEDaS18_S19_EUlS18_E_NS1_11comp_targetILNS1_3genE9ELNS1_11target_archE1100ELNS1_3gpuE3ELNS1_3repE0EEENS1_30default_config_static_selectorELNS0_4arch9wavefront6targetE0EEEvT1_
	.p2align	8
	.type	_ZN7rocprim17ROCPRIM_400000_NS6detail17trampoline_kernelINS0_14default_configENS1_25partition_config_selectorILNS1_17partition_subalgoE5ElNS0_10empty_typeEbEEZZNS1_14partition_implILS5_5ELb0ES3_mN6hipcub16HIPCUB_304000_NS21CountingInputIteratorIllEEPS6_NSA_22TransformInputIteratorIbN2at6native12_GLOBAL__N_19NonZeroOpIN3c104HalfEEEPKSK_lEENS0_5tupleIJPlS6_EEENSP_IJSD_SD_EEES6_PiJS6_EEE10hipError_tPvRmT3_T4_T5_T6_T7_T9_mT8_P12ihipStream_tbDpT10_ENKUlT_T0_E_clISt17integral_constantIbLb0EES1D_EEDaS18_S19_EUlS18_E_NS1_11comp_targetILNS1_3genE9ELNS1_11target_archE1100ELNS1_3gpuE3ELNS1_3repE0EEENS1_30default_config_static_selectorELNS0_4arch9wavefront6targetE0EEEvT1_,@function
_ZN7rocprim17ROCPRIM_400000_NS6detail17trampoline_kernelINS0_14default_configENS1_25partition_config_selectorILNS1_17partition_subalgoE5ElNS0_10empty_typeEbEEZZNS1_14partition_implILS5_5ELb0ES3_mN6hipcub16HIPCUB_304000_NS21CountingInputIteratorIllEEPS6_NSA_22TransformInputIteratorIbN2at6native12_GLOBAL__N_19NonZeroOpIN3c104HalfEEEPKSK_lEENS0_5tupleIJPlS6_EEENSP_IJSD_SD_EEES6_PiJS6_EEE10hipError_tPvRmT3_T4_T5_T6_T7_T9_mT8_P12ihipStream_tbDpT10_ENKUlT_T0_E_clISt17integral_constantIbLb0EES1D_EEDaS18_S19_EUlS18_E_NS1_11comp_targetILNS1_3genE9ELNS1_11target_archE1100ELNS1_3gpuE3ELNS1_3repE0EEENS1_30default_config_static_selectorELNS0_4arch9wavefront6targetE0EEEvT1_: ; @_ZN7rocprim17ROCPRIM_400000_NS6detail17trampoline_kernelINS0_14default_configENS1_25partition_config_selectorILNS1_17partition_subalgoE5ElNS0_10empty_typeEbEEZZNS1_14partition_implILS5_5ELb0ES3_mN6hipcub16HIPCUB_304000_NS21CountingInputIteratorIllEEPS6_NSA_22TransformInputIteratorIbN2at6native12_GLOBAL__N_19NonZeroOpIN3c104HalfEEEPKSK_lEENS0_5tupleIJPlS6_EEENSP_IJSD_SD_EEES6_PiJS6_EEE10hipError_tPvRmT3_T4_T5_T6_T7_T9_mT8_P12ihipStream_tbDpT10_ENKUlT_T0_E_clISt17integral_constantIbLb0EES1D_EEDaS18_S19_EUlS18_E_NS1_11comp_targetILNS1_3genE9ELNS1_11target_archE1100ELNS1_3gpuE3ELNS1_3repE0EEENS1_30default_config_static_selectorELNS0_4arch9wavefront6targetE0EEEvT1_
; %bb.0:
	.section	.rodata,"a",@progbits
	.p2align	6, 0x0
	.amdhsa_kernel _ZN7rocprim17ROCPRIM_400000_NS6detail17trampoline_kernelINS0_14default_configENS1_25partition_config_selectorILNS1_17partition_subalgoE5ElNS0_10empty_typeEbEEZZNS1_14partition_implILS5_5ELb0ES3_mN6hipcub16HIPCUB_304000_NS21CountingInputIteratorIllEEPS6_NSA_22TransformInputIteratorIbN2at6native12_GLOBAL__N_19NonZeroOpIN3c104HalfEEEPKSK_lEENS0_5tupleIJPlS6_EEENSP_IJSD_SD_EEES6_PiJS6_EEE10hipError_tPvRmT3_T4_T5_T6_T7_T9_mT8_P12ihipStream_tbDpT10_ENKUlT_T0_E_clISt17integral_constantIbLb0EES1D_EEDaS18_S19_EUlS18_E_NS1_11comp_targetILNS1_3genE9ELNS1_11target_archE1100ELNS1_3gpuE3ELNS1_3repE0EEENS1_30default_config_static_selectorELNS0_4arch9wavefront6targetE0EEEvT1_
		.amdhsa_group_segment_fixed_size 0
		.amdhsa_private_segment_fixed_size 0
		.amdhsa_kernarg_size 120
		.amdhsa_user_sgpr_count 2
		.amdhsa_user_sgpr_dispatch_ptr 0
		.amdhsa_user_sgpr_queue_ptr 0
		.amdhsa_user_sgpr_kernarg_segment_ptr 1
		.amdhsa_user_sgpr_dispatch_id 0
		.amdhsa_user_sgpr_private_segment_size 0
		.amdhsa_wavefront_size32 1
		.amdhsa_uses_dynamic_stack 0
		.amdhsa_enable_private_segment 0
		.amdhsa_system_sgpr_workgroup_id_x 1
		.amdhsa_system_sgpr_workgroup_id_y 0
		.amdhsa_system_sgpr_workgroup_id_z 0
		.amdhsa_system_sgpr_workgroup_info 0
		.amdhsa_system_vgpr_workitem_id 0
		.amdhsa_next_free_vgpr 1
		.amdhsa_next_free_sgpr 1
		.amdhsa_reserve_vcc 0
		.amdhsa_float_round_mode_32 0
		.amdhsa_float_round_mode_16_64 0
		.amdhsa_float_denorm_mode_32 3
		.amdhsa_float_denorm_mode_16_64 3
		.amdhsa_fp16_overflow 0
		.amdhsa_workgroup_processor_mode 1
		.amdhsa_memory_ordered 1
		.amdhsa_forward_progress 1
		.amdhsa_inst_pref_size 0
		.amdhsa_round_robin_scheduling 0
		.amdhsa_exception_fp_ieee_invalid_op 0
		.amdhsa_exception_fp_denorm_src 0
		.amdhsa_exception_fp_ieee_div_zero 0
		.amdhsa_exception_fp_ieee_overflow 0
		.amdhsa_exception_fp_ieee_underflow 0
		.amdhsa_exception_fp_ieee_inexact 0
		.amdhsa_exception_int_div_zero 0
	.end_amdhsa_kernel
	.section	.text._ZN7rocprim17ROCPRIM_400000_NS6detail17trampoline_kernelINS0_14default_configENS1_25partition_config_selectorILNS1_17partition_subalgoE5ElNS0_10empty_typeEbEEZZNS1_14partition_implILS5_5ELb0ES3_mN6hipcub16HIPCUB_304000_NS21CountingInputIteratorIllEEPS6_NSA_22TransformInputIteratorIbN2at6native12_GLOBAL__N_19NonZeroOpIN3c104HalfEEEPKSK_lEENS0_5tupleIJPlS6_EEENSP_IJSD_SD_EEES6_PiJS6_EEE10hipError_tPvRmT3_T4_T5_T6_T7_T9_mT8_P12ihipStream_tbDpT10_ENKUlT_T0_E_clISt17integral_constantIbLb0EES1D_EEDaS18_S19_EUlS18_E_NS1_11comp_targetILNS1_3genE9ELNS1_11target_archE1100ELNS1_3gpuE3ELNS1_3repE0EEENS1_30default_config_static_selectorELNS0_4arch9wavefront6targetE0EEEvT1_,"axG",@progbits,_ZN7rocprim17ROCPRIM_400000_NS6detail17trampoline_kernelINS0_14default_configENS1_25partition_config_selectorILNS1_17partition_subalgoE5ElNS0_10empty_typeEbEEZZNS1_14partition_implILS5_5ELb0ES3_mN6hipcub16HIPCUB_304000_NS21CountingInputIteratorIllEEPS6_NSA_22TransformInputIteratorIbN2at6native12_GLOBAL__N_19NonZeroOpIN3c104HalfEEEPKSK_lEENS0_5tupleIJPlS6_EEENSP_IJSD_SD_EEES6_PiJS6_EEE10hipError_tPvRmT3_T4_T5_T6_T7_T9_mT8_P12ihipStream_tbDpT10_ENKUlT_T0_E_clISt17integral_constantIbLb0EES1D_EEDaS18_S19_EUlS18_E_NS1_11comp_targetILNS1_3genE9ELNS1_11target_archE1100ELNS1_3gpuE3ELNS1_3repE0EEENS1_30default_config_static_selectorELNS0_4arch9wavefront6targetE0EEEvT1_,comdat
.Lfunc_end872:
	.size	_ZN7rocprim17ROCPRIM_400000_NS6detail17trampoline_kernelINS0_14default_configENS1_25partition_config_selectorILNS1_17partition_subalgoE5ElNS0_10empty_typeEbEEZZNS1_14partition_implILS5_5ELb0ES3_mN6hipcub16HIPCUB_304000_NS21CountingInputIteratorIllEEPS6_NSA_22TransformInputIteratorIbN2at6native12_GLOBAL__N_19NonZeroOpIN3c104HalfEEEPKSK_lEENS0_5tupleIJPlS6_EEENSP_IJSD_SD_EEES6_PiJS6_EEE10hipError_tPvRmT3_T4_T5_T6_T7_T9_mT8_P12ihipStream_tbDpT10_ENKUlT_T0_E_clISt17integral_constantIbLb0EES1D_EEDaS18_S19_EUlS18_E_NS1_11comp_targetILNS1_3genE9ELNS1_11target_archE1100ELNS1_3gpuE3ELNS1_3repE0EEENS1_30default_config_static_selectorELNS0_4arch9wavefront6targetE0EEEvT1_, .Lfunc_end872-_ZN7rocprim17ROCPRIM_400000_NS6detail17trampoline_kernelINS0_14default_configENS1_25partition_config_selectorILNS1_17partition_subalgoE5ElNS0_10empty_typeEbEEZZNS1_14partition_implILS5_5ELb0ES3_mN6hipcub16HIPCUB_304000_NS21CountingInputIteratorIllEEPS6_NSA_22TransformInputIteratorIbN2at6native12_GLOBAL__N_19NonZeroOpIN3c104HalfEEEPKSK_lEENS0_5tupleIJPlS6_EEENSP_IJSD_SD_EEES6_PiJS6_EEE10hipError_tPvRmT3_T4_T5_T6_T7_T9_mT8_P12ihipStream_tbDpT10_ENKUlT_T0_E_clISt17integral_constantIbLb0EES1D_EEDaS18_S19_EUlS18_E_NS1_11comp_targetILNS1_3genE9ELNS1_11target_archE1100ELNS1_3gpuE3ELNS1_3repE0EEENS1_30default_config_static_selectorELNS0_4arch9wavefront6targetE0EEEvT1_
                                        ; -- End function
	.set _ZN7rocprim17ROCPRIM_400000_NS6detail17trampoline_kernelINS0_14default_configENS1_25partition_config_selectorILNS1_17partition_subalgoE5ElNS0_10empty_typeEbEEZZNS1_14partition_implILS5_5ELb0ES3_mN6hipcub16HIPCUB_304000_NS21CountingInputIteratorIllEEPS6_NSA_22TransformInputIteratorIbN2at6native12_GLOBAL__N_19NonZeroOpIN3c104HalfEEEPKSK_lEENS0_5tupleIJPlS6_EEENSP_IJSD_SD_EEES6_PiJS6_EEE10hipError_tPvRmT3_T4_T5_T6_T7_T9_mT8_P12ihipStream_tbDpT10_ENKUlT_T0_E_clISt17integral_constantIbLb0EES1D_EEDaS18_S19_EUlS18_E_NS1_11comp_targetILNS1_3genE9ELNS1_11target_archE1100ELNS1_3gpuE3ELNS1_3repE0EEENS1_30default_config_static_selectorELNS0_4arch9wavefront6targetE0EEEvT1_.num_vgpr, 0
	.set _ZN7rocprim17ROCPRIM_400000_NS6detail17trampoline_kernelINS0_14default_configENS1_25partition_config_selectorILNS1_17partition_subalgoE5ElNS0_10empty_typeEbEEZZNS1_14partition_implILS5_5ELb0ES3_mN6hipcub16HIPCUB_304000_NS21CountingInputIteratorIllEEPS6_NSA_22TransformInputIteratorIbN2at6native12_GLOBAL__N_19NonZeroOpIN3c104HalfEEEPKSK_lEENS0_5tupleIJPlS6_EEENSP_IJSD_SD_EEES6_PiJS6_EEE10hipError_tPvRmT3_T4_T5_T6_T7_T9_mT8_P12ihipStream_tbDpT10_ENKUlT_T0_E_clISt17integral_constantIbLb0EES1D_EEDaS18_S19_EUlS18_E_NS1_11comp_targetILNS1_3genE9ELNS1_11target_archE1100ELNS1_3gpuE3ELNS1_3repE0EEENS1_30default_config_static_selectorELNS0_4arch9wavefront6targetE0EEEvT1_.num_agpr, 0
	.set _ZN7rocprim17ROCPRIM_400000_NS6detail17trampoline_kernelINS0_14default_configENS1_25partition_config_selectorILNS1_17partition_subalgoE5ElNS0_10empty_typeEbEEZZNS1_14partition_implILS5_5ELb0ES3_mN6hipcub16HIPCUB_304000_NS21CountingInputIteratorIllEEPS6_NSA_22TransformInputIteratorIbN2at6native12_GLOBAL__N_19NonZeroOpIN3c104HalfEEEPKSK_lEENS0_5tupleIJPlS6_EEENSP_IJSD_SD_EEES6_PiJS6_EEE10hipError_tPvRmT3_T4_T5_T6_T7_T9_mT8_P12ihipStream_tbDpT10_ENKUlT_T0_E_clISt17integral_constantIbLb0EES1D_EEDaS18_S19_EUlS18_E_NS1_11comp_targetILNS1_3genE9ELNS1_11target_archE1100ELNS1_3gpuE3ELNS1_3repE0EEENS1_30default_config_static_selectorELNS0_4arch9wavefront6targetE0EEEvT1_.numbered_sgpr, 0
	.set _ZN7rocprim17ROCPRIM_400000_NS6detail17trampoline_kernelINS0_14default_configENS1_25partition_config_selectorILNS1_17partition_subalgoE5ElNS0_10empty_typeEbEEZZNS1_14partition_implILS5_5ELb0ES3_mN6hipcub16HIPCUB_304000_NS21CountingInputIteratorIllEEPS6_NSA_22TransformInputIteratorIbN2at6native12_GLOBAL__N_19NonZeroOpIN3c104HalfEEEPKSK_lEENS0_5tupleIJPlS6_EEENSP_IJSD_SD_EEES6_PiJS6_EEE10hipError_tPvRmT3_T4_T5_T6_T7_T9_mT8_P12ihipStream_tbDpT10_ENKUlT_T0_E_clISt17integral_constantIbLb0EES1D_EEDaS18_S19_EUlS18_E_NS1_11comp_targetILNS1_3genE9ELNS1_11target_archE1100ELNS1_3gpuE3ELNS1_3repE0EEENS1_30default_config_static_selectorELNS0_4arch9wavefront6targetE0EEEvT1_.num_named_barrier, 0
	.set _ZN7rocprim17ROCPRIM_400000_NS6detail17trampoline_kernelINS0_14default_configENS1_25partition_config_selectorILNS1_17partition_subalgoE5ElNS0_10empty_typeEbEEZZNS1_14partition_implILS5_5ELb0ES3_mN6hipcub16HIPCUB_304000_NS21CountingInputIteratorIllEEPS6_NSA_22TransformInputIteratorIbN2at6native12_GLOBAL__N_19NonZeroOpIN3c104HalfEEEPKSK_lEENS0_5tupleIJPlS6_EEENSP_IJSD_SD_EEES6_PiJS6_EEE10hipError_tPvRmT3_T4_T5_T6_T7_T9_mT8_P12ihipStream_tbDpT10_ENKUlT_T0_E_clISt17integral_constantIbLb0EES1D_EEDaS18_S19_EUlS18_E_NS1_11comp_targetILNS1_3genE9ELNS1_11target_archE1100ELNS1_3gpuE3ELNS1_3repE0EEENS1_30default_config_static_selectorELNS0_4arch9wavefront6targetE0EEEvT1_.private_seg_size, 0
	.set _ZN7rocprim17ROCPRIM_400000_NS6detail17trampoline_kernelINS0_14default_configENS1_25partition_config_selectorILNS1_17partition_subalgoE5ElNS0_10empty_typeEbEEZZNS1_14partition_implILS5_5ELb0ES3_mN6hipcub16HIPCUB_304000_NS21CountingInputIteratorIllEEPS6_NSA_22TransformInputIteratorIbN2at6native12_GLOBAL__N_19NonZeroOpIN3c104HalfEEEPKSK_lEENS0_5tupleIJPlS6_EEENSP_IJSD_SD_EEES6_PiJS6_EEE10hipError_tPvRmT3_T4_T5_T6_T7_T9_mT8_P12ihipStream_tbDpT10_ENKUlT_T0_E_clISt17integral_constantIbLb0EES1D_EEDaS18_S19_EUlS18_E_NS1_11comp_targetILNS1_3genE9ELNS1_11target_archE1100ELNS1_3gpuE3ELNS1_3repE0EEENS1_30default_config_static_selectorELNS0_4arch9wavefront6targetE0EEEvT1_.uses_vcc, 0
	.set _ZN7rocprim17ROCPRIM_400000_NS6detail17trampoline_kernelINS0_14default_configENS1_25partition_config_selectorILNS1_17partition_subalgoE5ElNS0_10empty_typeEbEEZZNS1_14partition_implILS5_5ELb0ES3_mN6hipcub16HIPCUB_304000_NS21CountingInputIteratorIllEEPS6_NSA_22TransformInputIteratorIbN2at6native12_GLOBAL__N_19NonZeroOpIN3c104HalfEEEPKSK_lEENS0_5tupleIJPlS6_EEENSP_IJSD_SD_EEES6_PiJS6_EEE10hipError_tPvRmT3_T4_T5_T6_T7_T9_mT8_P12ihipStream_tbDpT10_ENKUlT_T0_E_clISt17integral_constantIbLb0EES1D_EEDaS18_S19_EUlS18_E_NS1_11comp_targetILNS1_3genE9ELNS1_11target_archE1100ELNS1_3gpuE3ELNS1_3repE0EEENS1_30default_config_static_selectorELNS0_4arch9wavefront6targetE0EEEvT1_.uses_flat_scratch, 0
	.set _ZN7rocprim17ROCPRIM_400000_NS6detail17trampoline_kernelINS0_14default_configENS1_25partition_config_selectorILNS1_17partition_subalgoE5ElNS0_10empty_typeEbEEZZNS1_14partition_implILS5_5ELb0ES3_mN6hipcub16HIPCUB_304000_NS21CountingInputIteratorIllEEPS6_NSA_22TransformInputIteratorIbN2at6native12_GLOBAL__N_19NonZeroOpIN3c104HalfEEEPKSK_lEENS0_5tupleIJPlS6_EEENSP_IJSD_SD_EEES6_PiJS6_EEE10hipError_tPvRmT3_T4_T5_T6_T7_T9_mT8_P12ihipStream_tbDpT10_ENKUlT_T0_E_clISt17integral_constantIbLb0EES1D_EEDaS18_S19_EUlS18_E_NS1_11comp_targetILNS1_3genE9ELNS1_11target_archE1100ELNS1_3gpuE3ELNS1_3repE0EEENS1_30default_config_static_selectorELNS0_4arch9wavefront6targetE0EEEvT1_.has_dyn_sized_stack, 0
	.set _ZN7rocprim17ROCPRIM_400000_NS6detail17trampoline_kernelINS0_14default_configENS1_25partition_config_selectorILNS1_17partition_subalgoE5ElNS0_10empty_typeEbEEZZNS1_14partition_implILS5_5ELb0ES3_mN6hipcub16HIPCUB_304000_NS21CountingInputIteratorIllEEPS6_NSA_22TransformInputIteratorIbN2at6native12_GLOBAL__N_19NonZeroOpIN3c104HalfEEEPKSK_lEENS0_5tupleIJPlS6_EEENSP_IJSD_SD_EEES6_PiJS6_EEE10hipError_tPvRmT3_T4_T5_T6_T7_T9_mT8_P12ihipStream_tbDpT10_ENKUlT_T0_E_clISt17integral_constantIbLb0EES1D_EEDaS18_S19_EUlS18_E_NS1_11comp_targetILNS1_3genE9ELNS1_11target_archE1100ELNS1_3gpuE3ELNS1_3repE0EEENS1_30default_config_static_selectorELNS0_4arch9wavefront6targetE0EEEvT1_.has_recursion, 0
	.set _ZN7rocprim17ROCPRIM_400000_NS6detail17trampoline_kernelINS0_14default_configENS1_25partition_config_selectorILNS1_17partition_subalgoE5ElNS0_10empty_typeEbEEZZNS1_14partition_implILS5_5ELb0ES3_mN6hipcub16HIPCUB_304000_NS21CountingInputIteratorIllEEPS6_NSA_22TransformInputIteratorIbN2at6native12_GLOBAL__N_19NonZeroOpIN3c104HalfEEEPKSK_lEENS0_5tupleIJPlS6_EEENSP_IJSD_SD_EEES6_PiJS6_EEE10hipError_tPvRmT3_T4_T5_T6_T7_T9_mT8_P12ihipStream_tbDpT10_ENKUlT_T0_E_clISt17integral_constantIbLb0EES1D_EEDaS18_S19_EUlS18_E_NS1_11comp_targetILNS1_3genE9ELNS1_11target_archE1100ELNS1_3gpuE3ELNS1_3repE0EEENS1_30default_config_static_selectorELNS0_4arch9wavefront6targetE0EEEvT1_.has_indirect_call, 0
	.section	.AMDGPU.csdata,"",@progbits
; Kernel info:
; codeLenInByte = 0
; TotalNumSgprs: 0
; NumVgprs: 0
; ScratchSize: 0
; MemoryBound: 0
; FloatMode: 240
; IeeeMode: 1
; LDSByteSize: 0 bytes/workgroup (compile time only)
; SGPRBlocks: 0
; VGPRBlocks: 0
; NumSGPRsForWavesPerEU: 1
; NumVGPRsForWavesPerEU: 1
; Occupancy: 16
; WaveLimiterHint : 0
; COMPUTE_PGM_RSRC2:SCRATCH_EN: 0
; COMPUTE_PGM_RSRC2:USER_SGPR: 2
; COMPUTE_PGM_RSRC2:TRAP_HANDLER: 0
; COMPUTE_PGM_RSRC2:TGID_X_EN: 1
; COMPUTE_PGM_RSRC2:TGID_Y_EN: 0
; COMPUTE_PGM_RSRC2:TGID_Z_EN: 0
; COMPUTE_PGM_RSRC2:TIDIG_COMP_CNT: 0
	.section	.text._ZN7rocprim17ROCPRIM_400000_NS6detail17trampoline_kernelINS0_14default_configENS1_25partition_config_selectorILNS1_17partition_subalgoE5ElNS0_10empty_typeEbEEZZNS1_14partition_implILS5_5ELb0ES3_mN6hipcub16HIPCUB_304000_NS21CountingInputIteratorIllEEPS6_NSA_22TransformInputIteratorIbN2at6native12_GLOBAL__N_19NonZeroOpIN3c104HalfEEEPKSK_lEENS0_5tupleIJPlS6_EEENSP_IJSD_SD_EEES6_PiJS6_EEE10hipError_tPvRmT3_T4_T5_T6_T7_T9_mT8_P12ihipStream_tbDpT10_ENKUlT_T0_E_clISt17integral_constantIbLb0EES1D_EEDaS18_S19_EUlS18_E_NS1_11comp_targetILNS1_3genE8ELNS1_11target_archE1030ELNS1_3gpuE2ELNS1_3repE0EEENS1_30default_config_static_selectorELNS0_4arch9wavefront6targetE0EEEvT1_,"axG",@progbits,_ZN7rocprim17ROCPRIM_400000_NS6detail17trampoline_kernelINS0_14default_configENS1_25partition_config_selectorILNS1_17partition_subalgoE5ElNS0_10empty_typeEbEEZZNS1_14partition_implILS5_5ELb0ES3_mN6hipcub16HIPCUB_304000_NS21CountingInputIteratorIllEEPS6_NSA_22TransformInputIteratorIbN2at6native12_GLOBAL__N_19NonZeroOpIN3c104HalfEEEPKSK_lEENS0_5tupleIJPlS6_EEENSP_IJSD_SD_EEES6_PiJS6_EEE10hipError_tPvRmT3_T4_T5_T6_T7_T9_mT8_P12ihipStream_tbDpT10_ENKUlT_T0_E_clISt17integral_constantIbLb0EES1D_EEDaS18_S19_EUlS18_E_NS1_11comp_targetILNS1_3genE8ELNS1_11target_archE1030ELNS1_3gpuE2ELNS1_3repE0EEENS1_30default_config_static_selectorELNS0_4arch9wavefront6targetE0EEEvT1_,comdat
	.globl	_ZN7rocprim17ROCPRIM_400000_NS6detail17trampoline_kernelINS0_14default_configENS1_25partition_config_selectorILNS1_17partition_subalgoE5ElNS0_10empty_typeEbEEZZNS1_14partition_implILS5_5ELb0ES3_mN6hipcub16HIPCUB_304000_NS21CountingInputIteratorIllEEPS6_NSA_22TransformInputIteratorIbN2at6native12_GLOBAL__N_19NonZeroOpIN3c104HalfEEEPKSK_lEENS0_5tupleIJPlS6_EEENSP_IJSD_SD_EEES6_PiJS6_EEE10hipError_tPvRmT3_T4_T5_T6_T7_T9_mT8_P12ihipStream_tbDpT10_ENKUlT_T0_E_clISt17integral_constantIbLb0EES1D_EEDaS18_S19_EUlS18_E_NS1_11comp_targetILNS1_3genE8ELNS1_11target_archE1030ELNS1_3gpuE2ELNS1_3repE0EEENS1_30default_config_static_selectorELNS0_4arch9wavefront6targetE0EEEvT1_ ; -- Begin function _ZN7rocprim17ROCPRIM_400000_NS6detail17trampoline_kernelINS0_14default_configENS1_25partition_config_selectorILNS1_17partition_subalgoE5ElNS0_10empty_typeEbEEZZNS1_14partition_implILS5_5ELb0ES3_mN6hipcub16HIPCUB_304000_NS21CountingInputIteratorIllEEPS6_NSA_22TransformInputIteratorIbN2at6native12_GLOBAL__N_19NonZeroOpIN3c104HalfEEEPKSK_lEENS0_5tupleIJPlS6_EEENSP_IJSD_SD_EEES6_PiJS6_EEE10hipError_tPvRmT3_T4_T5_T6_T7_T9_mT8_P12ihipStream_tbDpT10_ENKUlT_T0_E_clISt17integral_constantIbLb0EES1D_EEDaS18_S19_EUlS18_E_NS1_11comp_targetILNS1_3genE8ELNS1_11target_archE1030ELNS1_3gpuE2ELNS1_3repE0EEENS1_30default_config_static_selectorELNS0_4arch9wavefront6targetE0EEEvT1_
	.p2align	8
	.type	_ZN7rocprim17ROCPRIM_400000_NS6detail17trampoline_kernelINS0_14default_configENS1_25partition_config_selectorILNS1_17partition_subalgoE5ElNS0_10empty_typeEbEEZZNS1_14partition_implILS5_5ELb0ES3_mN6hipcub16HIPCUB_304000_NS21CountingInputIteratorIllEEPS6_NSA_22TransformInputIteratorIbN2at6native12_GLOBAL__N_19NonZeroOpIN3c104HalfEEEPKSK_lEENS0_5tupleIJPlS6_EEENSP_IJSD_SD_EEES6_PiJS6_EEE10hipError_tPvRmT3_T4_T5_T6_T7_T9_mT8_P12ihipStream_tbDpT10_ENKUlT_T0_E_clISt17integral_constantIbLb0EES1D_EEDaS18_S19_EUlS18_E_NS1_11comp_targetILNS1_3genE8ELNS1_11target_archE1030ELNS1_3gpuE2ELNS1_3repE0EEENS1_30default_config_static_selectorELNS0_4arch9wavefront6targetE0EEEvT1_,@function
_ZN7rocprim17ROCPRIM_400000_NS6detail17trampoline_kernelINS0_14default_configENS1_25partition_config_selectorILNS1_17partition_subalgoE5ElNS0_10empty_typeEbEEZZNS1_14partition_implILS5_5ELb0ES3_mN6hipcub16HIPCUB_304000_NS21CountingInputIteratorIllEEPS6_NSA_22TransformInputIteratorIbN2at6native12_GLOBAL__N_19NonZeroOpIN3c104HalfEEEPKSK_lEENS0_5tupleIJPlS6_EEENSP_IJSD_SD_EEES6_PiJS6_EEE10hipError_tPvRmT3_T4_T5_T6_T7_T9_mT8_P12ihipStream_tbDpT10_ENKUlT_T0_E_clISt17integral_constantIbLb0EES1D_EEDaS18_S19_EUlS18_E_NS1_11comp_targetILNS1_3genE8ELNS1_11target_archE1030ELNS1_3gpuE2ELNS1_3repE0EEENS1_30default_config_static_selectorELNS0_4arch9wavefront6targetE0EEEvT1_: ; @_ZN7rocprim17ROCPRIM_400000_NS6detail17trampoline_kernelINS0_14default_configENS1_25partition_config_selectorILNS1_17partition_subalgoE5ElNS0_10empty_typeEbEEZZNS1_14partition_implILS5_5ELb0ES3_mN6hipcub16HIPCUB_304000_NS21CountingInputIteratorIllEEPS6_NSA_22TransformInputIteratorIbN2at6native12_GLOBAL__N_19NonZeroOpIN3c104HalfEEEPKSK_lEENS0_5tupleIJPlS6_EEENSP_IJSD_SD_EEES6_PiJS6_EEE10hipError_tPvRmT3_T4_T5_T6_T7_T9_mT8_P12ihipStream_tbDpT10_ENKUlT_T0_E_clISt17integral_constantIbLb0EES1D_EEDaS18_S19_EUlS18_E_NS1_11comp_targetILNS1_3genE8ELNS1_11target_archE1030ELNS1_3gpuE2ELNS1_3repE0EEENS1_30default_config_static_selectorELNS0_4arch9wavefront6targetE0EEEvT1_
; %bb.0:
	.section	.rodata,"a",@progbits
	.p2align	6, 0x0
	.amdhsa_kernel _ZN7rocprim17ROCPRIM_400000_NS6detail17trampoline_kernelINS0_14default_configENS1_25partition_config_selectorILNS1_17partition_subalgoE5ElNS0_10empty_typeEbEEZZNS1_14partition_implILS5_5ELb0ES3_mN6hipcub16HIPCUB_304000_NS21CountingInputIteratorIllEEPS6_NSA_22TransformInputIteratorIbN2at6native12_GLOBAL__N_19NonZeroOpIN3c104HalfEEEPKSK_lEENS0_5tupleIJPlS6_EEENSP_IJSD_SD_EEES6_PiJS6_EEE10hipError_tPvRmT3_T4_T5_T6_T7_T9_mT8_P12ihipStream_tbDpT10_ENKUlT_T0_E_clISt17integral_constantIbLb0EES1D_EEDaS18_S19_EUlS18_E_NS1_11comp_targetILNS1_3genE8ELNS1_11target_archE1030ELNS1_3gpuE2ELNS1_3repE0EEENS1_30default_config_static_selectorELNS0_4arch9wavefront6targetE0EEEvT1_
		.amdhsa_group_segment_fixed_size 0
		.amdhsa_private_segment_fixed_size 0
		.amdhsa_kernarg_size 120
		.amdhsa_user_sgpr_count 2
		.amdhsa_user_sgpr_dispatch_ptr 0
		.amdhsa_user_sgpr_queue_ptr 0
		.amdhsa_user_sgpr_kernarg_segment_ptr 1
		.amdhsa_user_sgpr_dispatch_id 0
		.amdhsa_user_sgpr_private_segment_size 0
		.amdhsa_wavefront_size32 1
		.amdhsa_uses_dynamic_stack 0
		.amdhsa_enable_private_segment 0
		.amdhsa_system_sgpr_workgroup_id_x 1
		.amdhsa_system_sgpr_workgroup_id_y 0
		.amdhsa_system_sgpr_workgroup_id_z 0
		.amdhsa_system_sgpr_workgroup_info 0
		.amdhsa_system_vgpr_workitem_id 0
		.amdhsa_next_free_vgpr 1
		.amdhsa_next_free_sgpr 1
		.amdhsa_reserve_vcc 0
		.amdhsa_float_round_mode_32 0
		.amdhsa_float_round_mode_16_64 0
		.amdhsa_float_denorm_mode_32 3
		.amdhsa_float_denorm_mode_16_64 3
		.amdhsa_fp16_overflow 0
		.amdhsa_workgroup_processor_mode 1
		.amdhsa_memory_ordered 1
		.amdhsa_forward_progress 1
		.amdhsa_inst_pref_size 0
		.amdhsa_round_robin_scheduling 0
		.amdhsa_exception_fp_ieee_invalid_op 0
		.amdhsa_exception_fp_denorm_src 0
		.amdhsa_exception_fp_ieee_div_zero 0
		.amdhsa_exception_fp_ieee_overflow 0
		.amdhsa_exception_fp_ieee_underflow 0
		.amdhsa_exception_fp_ieee_inexact 0
		.amdhsa_exception_int_div_zero 0
	.end_amdhsa_kernel
	.section	.text._ZN7rocprim17ROCPRIM_400000_NS6detail17trampoline_kernelINS0_14default_configENS1_25partition_config_selectorILNS1_17partition_subalgoE5ElNS0_10empty_typeEbEEZZNS1_14partition_implILS5_5ELb0ES3_mN6hipcub16HIPCUB_304000_NS21CountingInputIteratorIllEEPS6_NSA_22TransformInputIteratorIbN2at6native12_GLOBAL__N_19NonZeroOpIN3c104HalfEEEPKSK_lEENS0_5tupleIJPlS6_EEENSP_IJSD_SD_EEES6_PiJS6_EEE10hipError_tPvRmT3_T4_T5_T6_T7_T9_mT8_P12ihipStream_tbDpT10_ENKUlT_T0_E_clISt17integral_constantIbLb0EES1D_EEDaS18_S19_EUlS18_E_NS1_11comp_targetILNS1_3genE8ELNS1_11target_archE1030ELNS1_3gpuE2ELNS1_3repE0EEENS1_30default_config_static_selectorELNS0_4arch9wavefront6targetE0EEEvT1_,"axG",@progbits,_ZN7rocprim17ROCPRIM_400000_NS6detail17trampoline_kernelINS0_14default_configENS1_25partition_config_selectorILNS1_17partition_subalgoE5ElNS0_10empty_typeEbEEZZNS1_14partition_implILS5_5ELb0ES3_mN6hipcub16HIPCUB_304000_NS21CountingInputIteratorIllEEPS6_NSA_22TransformInputIteratorIbN2at6native12_GLOBAL__N_19NonZeroOpIN3c104HalfEEEPKSK_lEENS0_5tupleIJPlS6_EEENSP_IJSD_SD_EEES6_PiJS6_EEE10hipError_tPvRmT3_T4_T5_T6_T7_T9_mT8_P12ihipStream_tbDpT10_ENKUlT_T0_E_clISt17integral_constantIbLb0EES1D_EEDaS18_S19_EUlS18_E_NS1_11comp_targetILNS1_3genE8ELNS1_11target_archE1030ELNS1_3gpuE2ELNS1_3repE0EEENS1_30default_config_static_selectorELNS0_4arch9wavefront6targetE0EEEvT1_,comdat
.Lfunc_end873:
	.size	_ZN7rocprim17ROCPRIM_400000_NS6detail17trampoline_kernelINS0_14default_configENS1_25partition_config_selectorILNS1_17partition_subalgoE5ElNS0_10empty_typeEbEEZZNS1_14partition_implILS5_5ELb0ES3_mN6hipcub16HIPCUB_304000_NS21CountingInputIteratorIllEEPS6_NSA_22TransformInputIteratorIbN2at6native12_GLOBAL__N_19NonZeroOpIN3c104HalfEEEPKSK_lEENS0_5tupleIJPlS6_EEENSP_IJSD_SD_EEES6_PiJS6_EEE10hipError_tPvRmT3_T4_T5_T6_T7_T9_mT8_P12ihipStream_tbDpT10_ENKUlT_T0_E_clISt17integral_constantIbLb0EES1D_EEDaS18_S19_EUlS18_E_NS1_11comp_targetILNS1_3genE8ELNS1_11target_archE1030ELNS1_3gpuE2ELNS1_3repE0EEENS1_30default_config_static_selectorELNS0_4arch9wavefront6targetE0EEEvT1_, .Lfunc_end873-_ZN7rocprim17ROCPRIM_400000_NS6detail17trampoline_kernelINS0_14default_configENS1_25partition_config_selectorILNS1_17partition_subalgoE5ElNS0_10empty_typeEbEEZZNS1_14partition_implILS5_5ELb0ES3_mN6hipcub16HIPCUB_304000_NS21CountingInputIteratorIllEEPS6_NSA_22TransformInputIteratorIbN2at6native12_GLOBAL__N_19NonZeroOpIN3c104HalfEEEPKSK_lEENS0_5tupleIJPlS6_EEENSP_IJSD_SD_EEES6_PiJS6_EEE10hipError_tPvRmT3_T4_T5_T6_T7_T9_mT8_P12ihipStream_tbDpT10_ENKUlT_T0_E_clISt17integral_constantIbLb0EES1D_EEDaS18_S19_EUlS18_E_NS1_11comp_targetILNS1_3genE8ELNS1_11target_archE1030ELNS1_3gpuE2ELNS1_3repE0EEENS1_30default_config_static_selectorELNS0_4arch9wavefront6targetE0EEEvT1_
                                        ; -- End function
	.set _ZN7rocprim17ROCPRIM_400000_NS6detail17trampoline_kernelINS0_14default_configENS1_25partition_config_selectorILNS1_17partition_subalgoE5ElNS0_10empty_typeEbEEZZNS1_14partition_implILS5_5ELb0ES3_mN6hipcub16HIPCUB_304000_NS21CountingInputIteratorIllEEPS6_NSA_22TransformInputIteratorIbN2at6native12_GLOBAL__N_19NonZeroOpIN3c104HalfEEEPKSK_lEENS0_5tupleIJPlS6_EEENSP_IJSD_SD_EEES6_PiJS6_EEE10hipError_tPvRmT3_T4_T5_T6_T7_T9_mT8_P12ihipStream_tbDpT10_ENKUlT_T0_E_clISt17integral_constantIbLb0EES1D_EEDaS18_S19_EUlS18_E_NS1_11comp_targetILNS1_3genE8ELNS1_11target_archE1030ELNS1_3gpuE2ELNS1_3repE0EEENS1_30default_config_static_selectorELNS0_4arch9wavefront6targetE0EEEvT1_.num_vgpr, 0
	.set _ZN7rocprim17ROCPRIM_400000_NS6detail17trampoline_kernelINS0_14default_configENS1_25partition_config_selectorILNS1_17partition_subalgoE5ElNS0_10empty_typeEbEEZZNS1_14partition_implILS5_5ELb0ES3_mN6hipcub16HIPCUB_304000_NS21CountingInputIteratorIllEEPS6_NSA_22TransformInputIteratorIbN2at6native12_GLOBAL__N_19NonZeroOpIN3c104HalfEEEPKSK_lEENS0_5tupleIJPlS6_EEENSP_IJSD_SD_EEES6_PiJS6_EEE10hipError_tPvRmT3_T4_T5_T6_T7_T9_mT8_P12ihipStream_tbDpT10_ENKUlT_T0_E_clISt17integral_constantIbLb0EES1D_EEDaS18_S19_EUlS18_E_NS1_11comp_targetILNS1_3genE8ELNS1_11target_archE1030ELNS1_3gpuE2ELNS1_3repE0EEENS1_30default_config_static_selectorELNS0_4arch9wavefront6targetE0EEEvT1_.num_agpr, 0
	.set _ZN7rocprim17ROCPRIM_400000_NS6detail17trampoline_kernelINS0_14default_configENS1_25partition_config_selectorILNS1_17partition_subalgoE5ElNS0_10empty_typeEbEEZZNS1_14partition_implILS5_5ELb0ES3_mN6hipcub16HIPCUB_304000_NS21CountingInputIteratorIllEEPS6_NSA_22TransformInputIteratorIbN2at6native12_GLOBAL__N_19NonZeroOpIN3c104HalfEEEPKSK_lEENS0_5tupleIJPlS6_EEENSP_IJSD_SD_EEES6_PiJS6_EEE10hipError_tPvRmT3_T4_T5_T6_T7_T9_mT8_P12ihipStream_tbDpT10_ENKUlT_T0_E_clISt17integral_constantIbLb0EES1D_EEDaS18_S19_EUlS18_E_NS1_11comp_targetILNS1_3genE8ELNS1_11target_archE1030ELNS1_3gpuE2ELNS1_3repE0EEENS1_30default_config_static_selectorELNS0_4arch9wavefront6targetE0EEEvT1_.numbered_sgpr, 0
	.set _ZN7rocprim17ROCPRIM_400000_NS6detail17trampoline_kernelINS0_14default_configENS1_25partition_config_selectorILNS1_17partition_subalgoE5ElNS0_10empty_typeEbEEZZNS1_14partition_implILS5_5ELb0ES3_mN6hipcub16HIPCUB_304000_NS21CountingInputIteratorIllEEPS6_NSA_22TransformInputIteratorIbN2at6native12_GLOBAL__N_19NonZeroOpIN3c104HalfEEEPKSK_lEENS0_5tupleIJPlS6_EEENSP_IJSD_SD_EEES6_PiJS6_EEE10hipError_tPvRmT3_T4_T5_T6_T7_T9_mT8_P12ihipStream_tbDpT10_ENKUlT_T0_E_clISt17integral_constantIbLb0EES1D_EEDaS18_S19_EUlS18_E_NS1_11comp_targetILNS1_3genE8ELNS1_11target_archE1030ELNS1_3gpuE2ELNS1_3repE0EEENS1_30default_config_static_selectorELNS0_4arch9wavefront6targetE0EEEvT1_.num_named_barrier, 0
	.set _ZN7rocprim17ROCPRIM_400000_NS6detail17trampoline_kernelINS0_14default_configENS1_25partition_config_selectorILNS1_17partition_subalgoE5ElNS0_10empty_typeEbEEZZNS1_14partition_implILS5_5ELb0ES3_mN6hipcub16HIPCUB_304000_NS21CountingInputIteratorIllEEPS6_NSA_22TransformInputIteratorIbN2at6native12_GLOBAL__N_19NonZeroOpIN3c104HalfEEEPKSK_lEENS0_5tupleIJPlS6_EEENSP_IJSD_SD_EEES6_PiJS6_EEE10hipError_tPvRmT3_T4_T5_T6_T7_T9_mT8_P12ihipStream_tbDpT10_ENKUlT_T0_E_clISt17integral_constantIbLb0EES1D_EEDaS18_S19_EUlS18_E_NS1_11comp_targetILNS1_3genE8ELNS1_11target_archE1030ELNS1_3gpuE2ELNS1_3repE0EEENS1_30default_config_static_selectorELNS0_4arch9wavefront6targetE0EEEvT1_.private_seg_size, 0
	.set _ZN7rocprim17ROCPRIM_400000_NS6detail17trampoline_kernelINS0_14default_configENS1_25partition_config_selectorILNS1_17partition_subalgoE5ElNS0_10empty_typeEbEEZZNS1_14partition_implILS5_5ELb0ES3_mN6hipcub16HIPCUB_304000_NS21CountingInputIteratorIllEEPS6_NSA_22TransformInputIteratorIbN2at6native12_GLOBAL__N_19NonZeroOpIN3c104HalfEEEPKSK_lEENS0_5tupleIJPlS6_EEENSP_IJSD_SD_EEES6_PiJS6_EEE10hipError_tPvRmT3_T4_T5_T6_T7_T9_mT8_P12ihipStream_tbDpT10_ENKUlT_T0_E_clISt17integral_constantIbLb0EES1D_EEDaS18_S19_EUlS18_E_NS1_11comp_targetILNS1_3genE8ELNS1_11target_archE1030ELNS1_3gpuE2ELNS1_3repE0EEENS1_30default_config_static_selectorELNS0_4arch9wavefront6targetE0EEEvT1_.uses_vcc, 0
	.set _ZN7rocprim17ROCPRIM_400000_NS6detail17trampoline_kernelINS0_14default_configENS1_25partition_config_selectorILNS1_17partition_subalgoE5ElNS0_10empty_typeEbEEZZNS1_14partition_implILS5_5ELb0ES3_mN6hipcub16HIPCUB_304000_NS21CountingInputIteratorIllEEPS6_NSA_22TransformInputIteratorIbN2at6native12_GLOBAL__N_19NonZeroOpIN3c104HalfEEEPKSK_lEENS0_5tupleIJPlS6_EEENSP_IJSD_SD_EEES6_PiJS6_EEE10hipError_tPvRmT3_T4_T5_T6_T7_T9_mT8_P12ihipStream_tbDpT10_ENKUlT_T0_E_clISt17integral_constantIbLb0EES1D_EEDaS18_S19_EUlS18_E_NS1_11comp_targetILNS1_3genE8ELNS1_11target_archE1030ELNS1_3gpuE2ELNS1_3repE0EEENS1_30default_config_static_selectorELNS0_4arch9wavefront6targetE0EEEvT1_.uses_flat_scratch, 0
	.set _ZN7rocprim17ROCPRIM_400000_NS6detail17trampoline_kernelINS0_14default_configENS1_25partition_config_selectorILNS1_17partition_subalgoE5ElNS0_10empty_typeEbEEZZNS1_14partition_implILS5_5ELb0ES3_mN6hipcub16HIPCUB_304000_NS21CountingInputIteratorIllEEPS6_NSA_22TransformInputIteratorIbN2at6native12_GLOBAL__N_19NonZeroOpIN3c104HalfEEEPKSK_lEENS0_5tupleIJPlS6_EEENSP_IJSD_SD_EEES6_PiJS6_EEE10hipError_tPvRmT3_T4_T5_T6_T7_T9_mT8_P12ihipStream_tbDpT10_ENKUlT_T0_E_clISt17integral_constantIbLb0EES1D_EEDaS18_S19_EUlS18_E_NS1_11comp_targetILNS1_3genE8ELNS1_11target_archE1030ELNS1_3gpuE2ELNS1_3repE0EEENS1_30default_config_static_selectorELNS0_4arch9wavefront6targetE0EEEvT1_.has_dyn_sized_stack, 0
	.set _ZN7rocprim17ROCPRIM_400000_NS6detail17trampoline_kernelINS0_14default_configENS1_25partition_config_selectorILNS1_17partition_subalgoE5ElNS0_10empty_typeEbEEZZNS1_14partition_implILS5_5ELb0ES3_mN6hipcub16HIPCUB_304000_NS21CountingInputIteratorIllEEPS6_NSA_22TransformInputIteratorIbN2at6native12_GLOBAL__N_19NonZeroOpIN3c104HalfEEEPKSK_lEENS0_5tupleIJPlS6_EEENSP_IJSD_SD_EEES6_PiJS6_EEE10hipError_tPvRmT3_T4_T5_T6_T7_T9_mT8_P12ihipStream_tbDpT10_ENKUlT_T0_E_clISt17integral_constantIbLb0EES1D_EEDaS18_S19_EUlS18_E_NS1_11comp_targetILNS1_3genE8ELNS1_11target_archE1030ELNS1_3gpuE2ELNS1_3repE0EEENS1_30default_config_static_selectorELNS0_4arch9wavefront6targetE0EEEvT1_.has_recursion, 0
	.set _ZN7rocprim17ROCPRIM_400000_NS6detail17trampoline_kernelINS0_14default_configENS1_25partition_config_selectorILNS1_17partition_subalgoE5ElNS0_10empty_typeEbEEZZNS1_14partition_implILS5_5ELb0ES3_mN6hipcub16HIPCUB_304000_NS21CountingInputIteratorIllEEPS6_NSA_22TransformInputIteratorIbN2at6native12_GLOBAL__N_19NonZeroOpIN3c104HalfEEEPKSK_lEENS0_5tupleIJPlS6_EEENSP_IJSD_SD_EEES6_PiJS6_EEE10hipError_tPvRmT3_T4_T5_T6_T7_T9_mT8_P12ihipStream_tbDpT10_ENKUlT_T0_E_clISt17integral_constantIbLb0EES1D_EEDaS18_S19_EUlS18_E_NS1_11comp_targetILNS1_3genE8ELNS1_11target_archE1030ELNS1_3gpuE2ELNS1_3repE0EEENS1_30default_config_static_selectorELNS0_4arch9wavefront6targetE0EEEvT1_.has_indirect_call, 0
	.section	.AMDGPU.csdata,"",@progbits
; Kernel info:
; codeLenInByte = 0
; TotalNumSgprs: 0
; NumVgprs: 0
; ScratchSize: 0
; MemoryBound: 0
; FloatMode: 240
; IeeeMode: 1
; LDSByteSize: 0 bytes/workgroup (compile time only)
; SGPRBlocks: 0
; VGPRBlocks: 0
; NumSGPRsForWavesPerEU: 1
; NumVGPRsForWavesPerEU: 1
; Occupancy: 16
; WaveLimiterHint : 0
; COMPUTE_PGM_RSRC2:SCRATCH_EN: 0
; COMPUTE_PGM_RSRC2:USER_SGPR: 2
; COMPUTE_PGM_RSRC2:TRAP_HANDLER: 0
; COMPUTE_PGM_RSRC2:TGID_X_EN: 1
; COMPUTE_PGM_RSRC2:TGID_Y_EN: 0
; COMPUTE_PGM_RSRC2:TGID_Z_EN: 0
; COMPUTE_PGM_RSRC2:TIDIG_COMP_CNT: 0
	.section	.text._ZN7rocprim17ROCPRIM_400000_NS6detail17trampoline_kernelINS0_14default_configENS1_25partition_config_selectorILNS1_17partition_subalgoE5ElNS0_10empty_typeEbEEZZNS1_14partition_implILS5_5ELb0ES3_mN6hipcub16HIPCUB_304000_NS21CountingInputIteratorIllEEPS6_NSA_22TransformInputIteratorIbN2at6native12_GLOBAL__N_19NonZeroOpIN3c104HalfEEEPKSK_lEENS0_5tupleIJPlS6_EEENSP_IJSD_SD_EEES6_PiJS6_EEE10hipError_tPvRmT3_T4_T5_T6_T7_T9_mT8_P12ihipStream_tbDpT10_ENKUlT_T0_E_clISt17integral_constantIbLb1EES1D_EEDaS18_S19_EUlS18_E_NS1_11comp_targetILNS1_3genE0ELNS1_11target_archE4294967295ELNS1_3gpuE0ELNS1_3repE0EEENS1_30default_config_static_selectorELNS0_4arch9wavefront6targetE0EEEvT1_,"axG",@progbits,_ZN7rocprim17ROCPRIM_400000_NS6detail17trampoline_kernelINS0_14default_configENS1_25partition_config_selectorILNS1_17partition_subalgoE5ElNS0_10empty_typeEbEEZZNS1_14partition_implILS5_5ELb0ES3_mN6hipcub16HIPCUB_304000_NS21CountingInputIteratorIllEEPS6_NSA_22TransformInputIteratorIbN2at6native12_GLOBAL__N_19NonZeroOpIN3c104HalfEEEPKSK_lEENS0_5tupleIJPlS6_EEENSP_IJSD_SD_EEES6_PiJS6_EEE10hipError_tPvRmT3_T4_T5_T6_T7_T9_mT8_P12ihipStream_tbDpT10_ENKUlT_T0_E_clISt17integral_constantIbLb1EES1D_EEDaS18_S19_EUlS18_E_NS1_11comp_targetILNS1_3genE0ELNS1_11target_archE4294967295ELNS1_3gpuE0ELNS1_3repE0EEENS1_30default_config_static_selectorELNS0_4arch9wavefront6targetE0EEEvT1_,comdat
	.globl	_ZN7rocprim17ROCPRIM_400000_NS6detail17trampoline_kernelINS0_14default_configENS1_25partition_config_selectorILNS1_17partition_subalgoE5ElNS0_10empty_typeEbEEZZNS1_14partition_implILS5_5ELb0ES3_mN6hipcub16HIPCUB_304000_NS21CountingInputIteratorIllEEPS6_NSA_22TransformInputIteratorIbN2at6native12_GLOBAL__N_19NonZeroOpIN3c104HalfEEEPKSK_lEENS0_5tupleIJPlS6_EEENSP_IJSD_SD_EEES6_PiJS6_EEE10hipError_tPvRmT3_T4_T5_T6_T7_T9_mT8_P12ihipStream_tbDpT10_ENKUlT_T0_E_clISt17integral_constantIbLb1EES1D_EEDaS18_S19_EUlS18_E_NS1_11comp_targetILNS1_3genE0ELNS1_11target_archE4294967295ELNS1_3gpuE0ELNS1_3repE0EEENS1_30default_config_static_selectorELNS0_4arch9wavefront6targetE0EEEvT1_ ; -- Begin function _ZN7rocprim17ROCPRIM_400000_NS6detail17trampoline_kernelINS0_14default_configENS1_25partition_config_selectorILNS1_17partition_subalgoE5ElNS0_10empty_typeEbEEZZNS1_14partition_implILS5_5ELb0ES3_mN6hipcub16HIPCUB_304000_NS21CountingInputIteratorIllEEPS6_NSA_22TransformInputIteratorIbN2at6native12_GLOBAL__N_19NonZeroOpIN3c104HalfEEEPKSK_lEENS0_5tupleIJPlS6_EEENSP_IJSD_SD_EEES6_PiJS6_EEE10hipError_tPvRmT3_T4_T5_T6_T7_T9_mT8_P12ihipStream_tbDpT10_ENKUlT_T0_E_clISt17integral_constantIbLb1EES1D_EEDaS18_S19_EUlS18_E_NS1_11comp_targetILNS1_3genE0ELNS1_11target_archE4294967295ELNS1_3gpuE0ELNS1_3repE0EEENS1_30default_config_static_selectorELNS0_4arch9wavefront6targetE0EEEvT1_
	.p2align	8
	.type	_ZN7rocprim17ROCPRIM_400000_NS6detail17trampoline_kernelINS0_14default_configENS1_25partition_config_selectorILNS1_17partition_subalgoE5ElNS0_10empty_typeEbEEZZNS1_14partition_implILS5_5ELb0ES3_mN6hipcub16HIPCUB_304000_NS21CountingInputIteratorIllEEPS6_NSA_22TransformInputIteratorIbN2at6native12_GLOBAL__N_19NonZeroOpIN3c104HalfEEEPKSK_lEENS0_5tupleIJPlS6_EEENSP_IJSD_SD_EEES6_PiJS6_EEE10hipError_tPvRmT3_T4_T5_T6_T7_T9_mT8_P12ihipStream_tbDpT10_ENKUlT_T0_E_clISt17integral_constantIbLb1EES1D_EEDaS18_S19_EUlS18_E_NS1_11comp_targetILNS1_3genE0ELNS1_11target_archE4294967295ELNS1_3gpuE0ELNS1_3repE0EEENS1_30default_config_static_selectorELNS0_4arch9wavefront6targetE0EEEvT1_,@function
_ZN7rocprim17ROCPRIM_400000_NS6detail17trampoline_kernelINS0_14default_configENS1_25partition_config_selectorILNS1_17partition_subalgoE5ElNS0_10empty_typeEbEEZZNS1_14partition_implILS5_5ELb0ES3_mN6hipcub16HIPCUB_304000_NS21CountingInputIteratorIllEEPS6_NSA_22TransformInputIteratorIbN2at6native12_GLOBAL__N_19NonZeroOpIN3c104HalfEEEPKSK_lEENS0_5tupleIJPlS6_EEENSP_IJSD_SD_EEES6_PiJS6_EEE10hipError_tPvRmT3_T4_T5_T6_T7_T9_mT8_P12ihipStream_tbDpT10_ENKUlT_T0_E_clISt17integral_constantIbLb1EES1D_EEDaS18_S19_EUlS18_E_NS1_11comp_targetILNS1_3genE0ELNS1_11target_archE4294967295ELNS1_3gpuE0ELNS1_3repE0EEENS1_30default_config_static_selectorELNS0_4arch9wavefront6targetE0EEEvT1_: ; @_ZN7rocprim17ROCPRIM_400000_NS6detail17trampoline_kernelINS0_14default_configENS1_25partition_config_selectorILNS1_17partition_subalgoE5ElNS0_10empty_typeEbEEZZNS1_14partition_implILS5_5ELb0ES3_mN6hipcub16HIPCUB_304000_NS21CountingInputIteratorIllEEPS6_NSA_22TransformInputIteratorIbN2at6native12_GLOBAL__N_19NonZeroOpIN3c104HalfEEEPKSK_lEENS0_5tupleIJPlS6_EEENSP_IJSD_SD_EEES6_PiJS6_EEE10hipError_tPvRmT3_T4_T5_T6_T7_T9_mT8_P12ihipStream_tbDpT10_ENKUlT_T0_E_clISt17integral_constantIbLb1EES1D_EEDaS18_S19_EUlS18_E_NS1_11comp_targetILNS1_3genE0ELNS1_11target_archE4294967295ELNS1_3gpuE0ELNS1_3repE0EEENS1_30default_config_static_selectorELNS0_4arch9wavefront6targetE0EEEvT1_
; %bb.0:
	.section	.rodata,"a",@progbits
	.p2align	6, 0x0
	.amdhsa_kernel _ZN7rocprim17ROCPRIM_400000_NS6detail17trampoline_kernelINS0_14default_configENS1_25partition_config_selectorILNS1_17partition_subalgoE5ElNS0_10empty_typeEbEEZZNS1_14partition_implILS5_5ELb0ES3_mN6hipcub16HIPCUB_304000_NS21CountingInputIteratorIllEEPS6_NSA_22TransformInputIteratorIbN2at6native12_GLOBAL__N_19NonZeroOpIN3c104HalfEEEPKSK_lEENS0_5tupleIJPlS6_EEENSP_IJSD_SD_EEES6_PiJS6_EEE10hipError_tPvRmT3_T4_T5_T6_T7_T9_mT8_P12ihipStream_tbDpT10_ENKUlT_T0_E_clISt17integral_constantIbLb1EES1D_EEDaS18_S19_EUlS18_E_NS1_11comp_targetILNS1_3genE0ELNS1_11target_archE4294967295ELNS1_3gpuE0ELNS1_3repE0EEENS1_30default_config_static_selectorELNS0_4arch9wavefront6targetE0EEEvT1_
		.amdhsa_group_segment_fixed_size 0
		.amdhsa_private_segment_fixed_size 0
		.amdhsa_kernarg_size 136
		.amdhsa_user_sgpr_count 2
		.amdhsa_user_sgpr_dispatch_ptr 0
		.amdhsa_user_sgpr_queue_ptr 0
		.amdhsa_user_sgpr_kernarg_segment_ptr 1
		.amdhsa_user_sgpr_dispatch_id 0
		.amdhsa_user_sgpr_private_segment_size 0
		.amdhsa_wavefront_size32 1
		.amdhsa_uses_dynamic_stack 0
		.amdhsa_enable_private_segment 0
		.amdhsa_system_sgpr_workgroup_id_x 1
		.amdhsa_system_sgpr_workgroup_id_y 0
		.amdhsa_system_sgpr_workgroup_id_z 0
		.amdhsa_system_sgpr_workgroup_info 0
		.amdhsa_system_vgpr_workitem_id 0
		.amdhsa_next_free_vgpr 1
		.amdhsa_next_free_sgpr 1
		.amdhsa_reserve_vcc 0
		.amdhsa_float_round_mode_32 0
		.amdhsa_float_round_mode_16_64 0
		.amdhsa_float_denorm_mode_32 3
		.amdhsa_float_denorm_mode_16_64 3
		.amdhsa_fp16_overflow 0
		.amdhsa_workgroup_processor_mode 1
		.amdhsa_memory_ordered 1
		.amdhsa_forward_progress 1
		.amdhsa_inst_pref_size 0
		.amdhsa_round_robin_scheduling 0
		.amdhsa_exception_fp_ieee_invalid_op 0
		.amdhsa_exception_fp_denorm_src 0
		.amdhsa_exception_fp_ieee_div_zero 0
		.amdhsa_exception_fp_ieee_overflow 0
		.amdhsa_exception_fp_ieee_underflow 0
		.amdhsa_exception_fp_ieee_inexact 0
		.amdhsa_exception_int_div_zero 0
	.end_amdhsa_kernel
	.section	.text._ZN7rocprim17ROCPRIM_400000_NS6detail17trampoline_kernelINS0_14default_configENS1_25partition_config_selectorILNS1_17partition_subalgoE5ElNS0_10empty_typeEbEEZZNS1_14partition_implILS5_5ELb0ES3_mN6hipcub16HIPCUB_304000_NS21CountingInputIteratorIllEEPS6_NSA_22TransformInputIteratorIbN2at6native12_GLOBAL__N_19NonZeroOpIN3c104HalfEEEPKSK_lEENS0_5tupleIJPlS6_EEENSP_IJSD_SD_EEES6_PiJS6_EEE10hipError_tPvRmT3_T4_T5_T6_T7_T9_mT8_P12ihipStream_tbDpT10_ENKUlT_T0_E_clISt17integral_constantIbLb1EES1D_EEDaS18_S19_EUlS18_E_NS1_11comp_targetILNS1_3genE0ELNS1_11target_archE4294967295ELNS1_3gpuE0ELNS1_3repE0EEENS1_30default_config_static_selectorELNS0_4arch9wavefront6targetE0EEEvT1_,"axG",@progbits,_ZN7rocprim17ROCPRIM_400000_NS6detail17trampoline_kernelINS0_14default_configENS1_25partition_config_selectorILNS1_17partition_subalgoE5ElNS0_10empty_typeEbEEZZNS1_14partition_implILS5_5ELb0ES3_mN6hipcub16HIPCUB_304000_NS21CountingInputIteratorIllEEPS6_NSA_22TransformInputIteratorIbN2at6native12_GLOBAL__N_19NonZeroOpIN3c104HalfEEEPKSK_lEENS0_5tupleIJPlS6_EEENSP_IJSD_SD_EEES6_PiJS6_EEE10hipError_tPvRmT3_T4_T5_T6_T7_T9_mT8_P12ihipStream_tbDpT10_ENKUlT_T0_E_clISt17integral_constantIbLb1EES1D_EEDaS18_S19_EUlS18_E_NS1_11comp_targetILNS1_3genE0ELNS1_11target_archE4294967295ELNS1_3gpuE0ELNS1_3repE0EEENS1_30default_config_static_selectorELNS0_4arch9wavefront6targetE0EEEvT1_,comdat
.Lfunc_end874:
	.size	_ZN7rocprim17ROCPRIM_400000_NS6detail17trampoline_kernelINS0_14default_configENS1_25partition_config_selectorILNS1_17partition_subalgoE5ElNS0_10empty_typeEbEEZZNS1_14partition_implILS5_5ELb0ES3_mN6hipcub16HIPCUB_304000_NS21CountingInputIteratorIllEEPS6_NSA_22TransformInputIteratorIbN2at6native12_GLOBAL__N_19NonZeroOpIN3c104HalfEEEPKSK_lEENS0_5tupleIJPlS6_EEENSP_IJSD_SD_EEES6_PiJS6_EEE10hipError_tPvRmT3_T4_T5_T6_T7_T9_mT8_P12ihipStream_tbDpT10_ENKUlT_T0_E_clISt17integral_constantIbLb1EES1D_EEDaS18_S19_EUlS18_E_NS1_11comp_targetILNS1_3genE0ELNS1_11target_archE4294967295ELNS1_3gpuE0ELNS1_3repE0EEENS1_30default_config_static_selectorELNS0_4arch9wavefront6targetE0EEEvT1_, .Lfunc_end874-_ZN7rocprim17ROCPRIM_400000_NS6detail17trampoline_kernelINS0_14default_configENS1_25partition_config_selectorILNS1_17partition_subalgoE5ElNS0_10empty_typeEbEEZZNS1_14partition_implILS5_5ELb0ES3_mN6hipcub16HIPCUB_304000_NS21CountingInputIteratorIllEEPS6_NSA_22TransformInputIteratorIbN2at6native12_GLOBAL__N_19NonZeroOpIN3c104HalfEEEPKSK_lEENS0_5tupleIJPlS6_EEENSP_IJSD_SD_EEES6_PiJS6_EEE10hipError_tPvRmT3_T4_T5_T6_T7_T9_mT8_P12ihipStream_tbDpT10_ENKUlT_T0_E_clISt17integral_constantIbLb1EES1D_EEDaS18_S19_EUlS18_E_NS1_11comp_targetILNS1_3genE0ELNS1_11target_archE4294967295ELNS1_3gpuE0ELNS1_3repE0EEENS1_30default_config_static_selectorELNS0_4arch9wavefront6targetE0EEEvT1_
                                        ; -- End function
	.set _ZN7rocprim17ROCPRIM_400000_NS6detail17trampoline_kernelINS0_14default_configENS1_25partition_config_selectorILNS1_17partition_subalgoE5ElNS0_10empty_typeEbEEZZNS1_14partition_implILS5_5ELb0ES3_mN6hipcub16HIPCUB_304000_NS21CountingInputIteratorIllEEPS6_NSA_22TransformInputIteratorIbN2at6native12_GLOBAL__N_19NonZeroOpIN3c104HalfEEEPKSK_lEENS0_5tupleIJPlS6_EEENSP_IJSD_SD_EEES6_PiJS6_EEE10hipError_tPvRmT3_T4_T5_T6_T7_T9_mT8_P12ihipStream_tbDpT10_ENKUlT_T0_E_clISt17integral_constantIbLb1EES1D_EEDaS18_S19_EUlS18_E_NS1_11comp_targetILNS1_3genE0ELNS1_11target_archE4294967295ELNS1_3gpuE0ELNS1_3repE0EEENS1_30default_config_static_selectorELNS0_4arch9wavefront6targetE0EEEvT1_.num_vgpr, 0
	.set _ZN7rocprim17ROCPRIM_400000_NS6detail17trampoline_kernelINS0_14default_configENS1_25partition_config_selectorILNS1_17partition_subalgoE5ElNS0_10empty_typeEbEEZZNS1_14partition_implILS5_5ELb0ES3_mN6hipcub16HIPCUB_304000_NS21CountingInputIteratorIllEEPS6_NSA_22TransformInputIteratorIbN2at6native12_GLOBAL__N_19NonZeroOpIN3c104HalfEEEPKSK_lEENS0_5tupleIJPlS6_EEENSP_IJSD_SD_EEES6_PiJS6_EEE10hipError_tPvRmT3_T4_T5_T6_T7_T9_mT8_P12ihipStream_tbDpT10_ENKUlT_T0_E_clISt17integral_constantIbLb1EES1D_EEDaS18_S19_EUlS18_E_NS1_11comp_targetILNS1_3genE0ELNS1_11target_archE4294967295ELNS1_3gpuE0ELNS1_3repE0EEENS1_30default_config_static_selectorELNS0_4arch9wavefront6targetE0EEEvT1_.num_agpr, 0
	.set _ZN7rocprim17ROCPRIM_400000_NS6detail17trampoline_kernelINS0_14default_configENS1_25partition_config_selectorILNS1_17partition_subalgoE5ElNS0_10empty_typeEbEEZZNS1_14partition_implILS5_5ELb0ES3_mN6hipcub16HIPCUB_304000_NS21CountingInputIteratorIllEEPS6_NSA_22TransformInputIteratorIbN2at6native12_GLOBAL__N_19NonZeroOpIN3c104HalfEEEPKSK_lEENS0_5tupleIJPlS6_EEENSP_IJSD_SD_EEES6_PiJS6_EEE10hipError_tPvRmT3_T4_T5_T6_T7_T9_mT8_P12ihipStream_tbDpT10_ENKUlT_T0_E_clISt17integral_constantIbLb1EES1D_EEDaS18_S19_EUlS18_E_NS1_11comp_targetILNS1_3genE0ELNS1_11target_archE4294967295ELNS1_3gpuE0ELNS1_3repE0EEENS1_30default_config_static_selectorELNS0_4arch9wavefront6targetE0EEEvT1_.numbered_sgpr, 0
	.set _ZN7rocprim17ROCPRIM_400000_NS6detail17trampoline_kernelINS0_14default_configENS1_25partition_config_selectorILNS1_17partition_subalgoE5ElNS0_10empty_typeEbEEZZNS1_14partition_implILS5_5ELb0ES3_mN6hipcub16HIPCUB_304000_NS21CountingInputIteratorIllEEPS6_NSA_22TransformInputIteratorIbN2at6native12_GLOBAL__N_19NonZeroOpIN3c104HalfEEEPKSK_lEENS0_5tupleIJPlS6_EEENSP_IJSD_SD_EEES6_PiJS6_EEE10hipError_tPvRmT3_T4_T5_T6_T7_T9_mT8_P12ihipStream_tbDpT10_ENKUlT_T0_E_clISt17integral_constantIbLb1EES1D_EEDaS18_S19_EUlS18_E_NS1_11comp_targetILNS1_3genE0ELNS1_11target_archE4294967295ELNS1_3gpuE0ELNS1_3repE0EEENS1_30default_config_static_selectorELNS0_4arch9wavefront6targetE0EEEvT1_.num_named_barrier, 0
	.set _ZN7rocprim17ROCPRIM_400000_NS6detail17trampoline_kernelINS0_14default_configENS1_25partition_config_selectorILNS1_17partition_subalgoE5ElNS0_10empty_typeEbEEZZNS1_14partition_implILS5_5ELb0ES3_mN6hipcub16HIPCUB_304000_NS21CountingInputIteratorIllEEPS6_NSA_22TransformInputIteratorIbN2at6native12_GLOBAL__N_19NonZeroOpIN3c104HalfEEEPKSK_lEENS0_5tupleIJPlS6_EEENSP_IJSD_SD_EEES6_PiJS6_EEE10hipError_tPvRmT3_T4_T5_T6_T7_T9_mT8_P12ihipStream_tbDpT10_ENKUlT_T0_E_clISt17integral_constantIbLb1EES1D_EEDaS18_S19_EUlS18_E_NS1_11comp_targetILNS1_3genE0ELNS1_11target_archE4294967295ELNS1_3gpuE0ELNS1_3repE0EEENS1_30default_config_static_selectorELNS0_4arch9wavefront6targetE0EEEvT1_.private_seg_size, 0
	.set _ZN7rocprim17ROCPRIM_400000_NS6detail17trampoline_kernelINS0_14default_configENS1_25partition_config_selectorILNS1_17partition_subalgoE5ElNS0_10empty_typeEbEEZZNS1_14partition_implILS5_5ELb0ES3_mN6hipcub16HIPCUB_304000_NS21CountingInputIteratorIllEEPS6_NSA_22TransformInputIteratorIbN2at6native12_GLOBAL__N_19NonZeroOpIN3c104HalfEEEPKSK_lEENS0_5tupleIJPlS6_EEENSP_IJSD_SD_EEES6_PiJS6_EEE10hipError_tPvRmT3_T4_T5_T6_T7_T9_mT8_P12ihipStream_tbDpT10_ENKUlT_T0_E_clISt17integral_constantIbLb1EES1D_EEDaS18_S19_EUlS18_E_NS1_11comp_targetILNS1_3genE0ELNS1_11target_archE4294967295ELNS1_3gpuE0ELNS1_3repE0EEENS1_30default_config_static_selectorELNS0_4arch9wavefront6targetE0EEEvT1_.uses_vcc, 0
	.set _ZN7rocprim17ROCPRIM_400000_NS6detail17trampoline_kernelINS0_14default_configENS1_25partition_config_selectorILNS1_17partition_subalgoE5ElNS0_10empty_typeEbEEZZNS1_14partition_implILS5_5ELb0ES3_mN6hipcub16HIPCUB_304000_NS21CountingInputIteratorIllEEPS6_NSA_22TransformInputIteratorIbN2at6native12_GLOBAL__N_19NonZeroOpIN3c104HalfEEEPKSK_lEENS0_5tupleIJPlS6_EEENSP_IJSD_SD_EEES6_PiJS6_EEE10hipError_tPvRmT3_T4_T5_T6_T7_T9_mT8_P12ihipStream_tbDpT10_ENKUlT_T0_E_clISt17integral_constantIbLb1EES1D_EEDaS18_S19_EUlS18_E_NS1_11comp_targetILNS1_3genE0ELNS1_11target_archE4294967295ELNS1_3gpuE0ELNS1_3repE0EEENS1_30default_config_static_selectorELNS0_4arch9wavefront6targetE0EEEvT1_.uses_flat_scratch, 0
	.set _ZN7rocprim17ROCPRIM_400000_NS6detail17trampoline_kernelINS0_14default_configENS1_25partition_config_selectorILNS1_17partition_subalgoE5ElNS0_10empty_typeEbEEZZNS1_14partition_implILS5_5ELb0ES3_mN6hipcub16HIPCUB_304000_NS21CountingInputIteratorIllEEPS6_NSA_22TransformInputIteratorIbN2at6native12_GLOBAL__N_19NonZeroOpIN3c104HalfEEEPKSK_lEENS0_5tupleIJPlS6_EEENSP_IJSD_SD_EEES6_PiJS6_EEE10hipError_tPvRmT3_T4_T5_T6_T7_T9_mT8_P12ihipStream_tbDpT10_ENKUlT_T0_E_clISt17integral_constantIbLb1EES1D_EEDaS18_S19_EUlS18_E_NS1_11comp_targetILNS1_3genE0ELNS1_11target_archE4294967295ELNS1_3gpuE0ELNS1_3repE0EEENS1_30default_config_static_selectorELNS0_4arch9wavefront6targetE0EEEvT1_.has_dyn_sized_stack, 0
	.set _ZN7rocprim17ROCPRIM_400000_NS6detail17trampoline_kernelINS0_14default_configENS1_25partition_config_selectorILNS1_17partition_subalgoE5ElNS0_10empty_typeEbEEZZNS1_14partition_implILS5_5ELb0ES3_mN6hipcub16HIPCUB_304000_NS21CountingInputIteratorIllEEPS6_NSA_22TransformInputIteratorIbN2at6native12_GLOBAL__N_19NonZeroOpIN3c104HalfEEEPKSK_lEENS0_5tupleIJPlS6_EEENSP_IJSD_SD_EEES6_PiJS6_EEE10hipError_tPvRmT3_T4_T5_T6_T7_T9_mT8_P12ihipStream_tbDpT10_ENKUlT_T0_E_clISt17integral_constantIbLb1EES1D_EEDaS18_S19_EUlS18_E_NS1_11comp_targetILNS1_3genE0ELNS1_11target_archE4294967295ELNS1_3gpuE0ELNS1_3repE0EEENS1_30default_config_static_selectorELNS0_4arch9wavefront6targetE0EEEvT1_.has_recursion, 0
	.set _ZN7rocprim17ROCPRIM_400000_NS6detail17trampoline_kernelINS0_14default_configENS1_25partition_config_selectorILNS1_17partition_subalgoE5ElNS0_10empty_typeEbEEZZNS1_14partition_implILS5_5ELb0ES3_mN6hipcub16HIPCUB_304000_NS21CountingInputIteratorIllEEPS6_NSA_22TransformInputIteratorIbN2at6native12_GLOBAL__N_19NonZeroOpIN3c104HalfEEEPKSK_lEENS0_5tupleIJPlS6_EEENSP_IJSD_SD_EEES6_PiJS6_EEE10hipError_tPvRmT3_T4_T5_T6_T7_T9_mT8_P12ihipStream_tbDpT10_ENKUlT_T0_E_clISt17integral_constantIbLb1EES1D_EEDaS18_S19_EUlS18_E_NS1_11comp_targetILNS1_3genE0ELNS1_11target_archE4294967295ELNS1_3gpuE0ELNS1_3repE0EEENS1_30default_config_static_selectorELNS0_4arch9wavefront6targetE0EEEvT1_.has_indirect_call, 0
	.section	.AMDGPU.csdata,"",@progbits
; Kernel info:
; codeLenInByte = 0
; TotalNumSgprs: 0
; NumVgprs: 0
; ScratchSize: 0
; MemoryBound: 0
; FloatMode: 240
; IeeeMode: 1
; LDSByteSize: 0 bytes/workgroup (compile time only)
; SGPRBlocks: 0
; VGPRBlocks: 0
; NumSGPRsForWavesPerEU: 1
; NumVGPRsForWavesPerEU: 1
; Occupancy: 16
; WaveLimiterHint : 0
; COMPUTE_PGM_RSRC2:SCRATCH_EN: 0
; COMPUTE_PGM_RSRC2:USER_SGPR: 2
; COMPUTE_PGM_RSRC2:TRAP_HANDLER: 0
; COMPUTE_PGM_RSRC2:TGID_X_EN: 1
; COMPUTE_PGM_RSRC2:TGID_Y_EN: 0
; COMPUTE_PGM_RSRC2:TGID_Z_EN: 0
; COMPUTE_PGM_RSRC2:TIDIG_COMP_CNT: 0
	.section	.text._ZN7rocprim17ROCPRIM_400000_NS6detail17trampoline_kernelINS0_14default_configENS1_25partition_config_selectorILNS1_17partition_subalgoE5ElNS0_10empty_typeEbEEZZNS1_14partition_implILS5_5ELb0ES3_mN6hipcub16HIPCUB_304000_NS21CountingInputIteratorIllEEPS6_NSA_22TransformInputIteratorIbN2at6native12_GLOBAL__N_19NonZeroOpIN3c104HalfEEEPKSK_lEENS0_5tupleIJPlS6_EEENSP_IJSD_SD_EEES6_PiJS6_EEE10hipError_tPvRmT3_T4_T5_T6_T7_T9_mT8_P12ihipStream_tbDpT10_ENKUlT_T0_E_clISt17integral_constantIbLb1EES1D_EEDaS18_S19_EUlS18_E_NS1_11comp_targetILNS1_3genE5ELNS1_11target_archE942ELNS1_3gpuE9ELNS1_3repE0EEENS1_30default_config_static_selectorELNS0_4arch9wavefront6targetE0EEEvT1_,"axG",@progbits,_ZN7rocprim17ROCPRIM_400000_NS6detail17trampoline_kernelINS0_14default_configENS1_25partition_config_selectorILNS1_17partition_subalgoE5ElNS0_10empty_typeEbEEZZNS1_14partition_implILS5_5ELb0ES3_mN6hipcub16HIPCUB_304000_NS21CountingInputIteratorIllEEPS6_NSA_22TransformInputIteratorIbN2at6native12_GLOBAL__N_19NonZeroOpIN3c104HalfEEEPKSK_lEENS0_5tupleIJPlS6_EEENSP_IJSD_SD_EEES6_PiJS6_EEE10hipError_tPvRmT3_T4_T5_T6_T7_T9_mT8_P12ihipStream_tbDpT10_ENKUlT_T0_E_clISt17integral_constantIbLb1EES1D_EEDaS18_S19_EUlS18_E_NS1_11comp_targetILNS1_3genE5ELNS1_11target_archE942ELNS1_3gpuE9ELNS1_3repE0EEENS1_30default_config_static_selectorELNS0_4arch9wavefront6targetE0EEEvT1_,comdat
	.globl	_ZN7rocprim17ROCPRIM_400000_NS6detail17trampoline_kernelINS0_14default_configENS1_25partition_config_selectorILNS1_17partition_subalgoE5ElNS0_10empty_typeEbEEZZNS1_14partition_implILS5_5ELb0ES3_mN6hipcub16HIPCUB_304000_NS21CountingInputIteratorIllEEPS6_NSA_22TransformInputIteratorIbN2at6native12_GLOBAL__N_19NonZeroOpIN3c104HalfEEEPKSK_lEENS0_5tupleIJPlS6_EEENSP_IJSD_SD_EEES6_PiJS6_EEE10hipError_tPvRmT3_T4_T5_T6_T7_T9_mT8_P12ihipStream_tbDpT10_ENKUlT_T0_E_clISt17integral_constantIbLb1EES1D_EEDaS18_S19_EUlS18_E_NS1_11comp_targetILNS1_3genE5ELNS1_11target_archE942ELNS1_3gpuE9ELNS1_3repE0EEENS1_30default_config_static_selectorELNS0_4arch9wavefront6targetE0EEEvT1_ ; -- Begin function _ZN7rocprim17ROCPRIM_400000_NS6detail17trampoline_kernelINS0_14default_configENS1_25partition_config_selectorILNS1_17partition_subalgoE5ElNS0_10empty_typeEbEEZZNS1_14partition_implILS5_5ELb0ES3_mN6hipcub16HIPCUB_304000_NS21CountingInputIteratorIllEEPS6_NSA_22TransformInputIteratorIbN2at6native12_GLOBAL__N_19NonZeroOpIN3c104HalfEEEPKSK_lEENS0_5tupleIJPlS6_EEENSP_IJSD_SD_EEES6_PiJS6_EEE10hipError_tPvRmT3_T4_T5_T6_T7_T9_mT8_P12ihipStream_tbDpT10_ENKUlT_T0_E_clISt17integral_constantIbLb1EES1D_EEDaS18_S19_EUlS18_E_NS1_11comp_targetILNS1_3genE5ELNS1_11target_archE942ELNS1_3gpuE9ELNS1_3repE0EEENS1_30default_config_static_selectorELNS0_4arch9wavefront6targetE0EEEvT1_
	.p2align	8
	.type	_ZN7rocprim17ROCPRIM_400000_NS6detail17trampoline_kernelINS0_14default_configENS1_25partition_config_selectorILNS1_17partition_subalgoE5ElNS0_10empty_typeEbEEZZNS1_14partition_implILS5_5ELb0ES3_mN6hipcub16HIPCUB_304000_NS21CountingInputIteratorIllEEPS6_NSA_22TransformInputIteratorIbN2at6native12_GLOBAL__N_19NonZeroOpIN3c104HalfEEEPKSK_lEENS0_5tupleIJPlS6_EEENSP_IJSD_SD_EEES6_PiJS6_EEE10hipError_tPvRmT3_T4_T5_T6_T7_T9_mT8_P12ihipStream_tbDpT10_ENKUlT_T0_E_clISt17integral_constantIbLb1EES1D_EEDaS18_S19_EUlS18_E_NS1_11comp_targetILNS1_3genE5ELNS1_11target_archE942ELNS1_3gpuE9ELNS1_3repE0EEENS1_30default_config_static_selectorELNS0_4arch9wavefront6targetE0EEEvT1_,@function
_ZN7rocprim17ROCPRIM_400000_NS6detail17trampoline_kernelINS0_14default_configENS1_25partition_config_selectorILNS1_17partition_subalgoE5ElNS0_10empty_typeEbEEZZNS1_14partition_implILS5_5ELb0ES3_mN6hipcub16HIPCUB_304000_NS21CountingInputIteratorIllEEPS6_NSA_22TransformInputIteratorIbN2at6native12_GLOBAL__N_19NonZeroOpIN3c104HalfEEEPKSK_lEENS0_5tupleIJPlS6_EEENSP_IJSD_SD_EEES6_PiJS6_EEE10hipError_tPvRmT3_T4_T5_T6_T7_T9_mT8_P12ihipStream_tbDpT10_ENKUlT_T0_E_clISt17integral_constantIbLb1EES1D_EEDaS18_S19_EUlS18_E_NS1_11comp_targetILNS1_3genE5ELNS1_11target_archE942ELNS1_3gpuE9ELNS1_3repE0EEENS1_30default_config_static_selectorELNS0_4arch9wavefront6targetE0EEEvT1_: ; @_ZN7rocprim17ROCPRIM_400000_NS6detail17trampoline_kernelINS0_14default_configENS1_25partition_config_selectorILNS1_17partition_subalgoE5ElNS0_10empty_typeEbEEZZNS1_14partition_implILS5_5ELb0ES3_mN6hipcub16HIPCUB_304000_NS21CountingInputIteratorIllEEPS6_NSA_22TransformInputIteratorIbN2at6native12_GLOBAL__N_19NonZeroOpIN3c104HalfEEEPKSK_lEENS0_5tupleIJPlS6_EEENSP_IJSD_SD_EEES6_PiJS6_EEE10hipError_tPvRmT3_T4_T5_T6_T7_T9_mT8_P12ihipStream_tbDpT10_ENKUlT_T0_E_clISt17integral_constantIbLb1EES1D_EEDaS18_S19_EUlS18_E_NS1_11comp_targetILNS1_3genE5ELNS1_11target_archE942ELNS1_3gpuE9ELNS1_3repE0EEENS1_30default_config_static_selectorELNS0_4arch9wavefront6targetE0EEEvT1_
; %bb.0:
	.section	.rodata,"a",@progbits
	.p2align	6, 0x0
	.amdhsa_kernel _ZN7rocprim17ROCPRIM_400000_NS6detail17trampoline_kernelINS0_14default_configENS1_25partition_config_selectorILNS1_17partition_subalgoE5ElNS0_10empty_typeEbEEZZNS1_14partition_implILS5_5ELb0ES3_mN6hipcub16HIPCUB_304000_NS21CountingInputIteratorIllEEPS6_NSA_22TransformInputIteratorIbN2at6native12_GLOBAL__N_19NonZeroOpIN3c104HalfEEEPKSK_lEENS0_5tupleIJPlS6_EEENSP_IJSD_SD_EEES6_PiJS6_EEE10hipError_tPvRmT3_T4_T5_T6_T7_T9_mT8_P12ihipStream_tbDpT10_ENKUlT_T0_E_clISt17integral_constantIbLb1EES1D_EEDaS18_S19_EUlS18_E_NS1_11comp_targetILNS1_3genE5ELNS1_11target_archE942ELNS1_3gpuE9ELNS1_3repE0EEENS1_30default_config_static_selectorELNS0_4arch9wavefront6targetE0EEEvT1_
		.amdhsa_group_segment_fixed_size 0
		.amdhsa_private_segment_fixed_size 0
		.amdhsa_kernarg_size 136
		.amdhsa_user_sgpr_count 2
		.amdhsa_user_sgpr_dispatch_ptr 0
		.amdhsa_user_sgpr_queue_ptr 0
		.amdhsa_user_sgpr_kernarg_segment_ptr 1
		.amdhsa_user_sgpr_dispatch_id 0
		.amdhsa_user_sgpr_private_segment_size 0
		.amdhsa_wavefront_size32 1
		.amdhsa_uses_dynamic_stack 0
		.amdhsa_enable_private_segment 0
		.amdhsa_system_sgpr_workgroup_id_x 1
		.amdhsa_system_sgpr_workgroup_id_y 0
		.amdhsa_system_sgpr_workgroup_id_z 0
		.amdhsa_system_sgpr_workgroup_info 0
		.amdhsa_system_vgpr_workitem_id 0
		.amdhsa_next_free_vgpr 1
		.amdhsa_next_free_sgpr 1
		.amdhsa_reserve_vcc 0
		.amdhsa_float_round_mode_32 0
		.amdhsa_float_round_mode_16_64 0
		.amdhsa_float_denorm_mode_32 3
		.amdhsa_float_denorm_mode_16_64 3
		.amdhsa_fp16_overflow 0
		.amdhsa_workgroup_processor_mode 1
		.amdhsa_memory_ordered 1
		.amdhsa_forward_progress 1
		.amdhsa_inst_pref_size 0
		.amdhsa_round_robin_scheduling 0
		.amdhsa_exception_fp_ieee_invalid_op 0
		.amdhsa_exception_fp_denorm_src 0
		.amdhsa_exception_fp_ieee_div_zero 0
		.amdhsa_exception_fp_ieee_overflow 0
		.amdhsa_exception_fp_ieee_underflow 0
		.amdhsa_exception_fp_ieee_inexact 0
		.amdhsa_exception_int_div_zero 0
	.end_amdhsa_kernel
	.section	.text._ZN7rocprim17ROCPRIM_400000_NS6detail17trampoline_kernelINS0_14default_configENS1_25partition_config_selectorILNS1_17partition_subalgoE5ElNS0_10empty_typeEbEEZZNS1_14partition_implILS5_5ELb0ES3_mN6hipcub16HIPCUB_304000_NS21CountingInputIteratorIllEEPS6_NSA_22TransformInputIteratorIbN2at6native12_GLOBAL__N_19NonZeroOpIN3c104HalfEEEPKSK_lEENS0_5tupleIJPlS6_EEENSP_IJSD_SD_EEES6_PiJS6_EEE10hipError_tPvRmT3_T4_T5_T6_T7_T9_mT8_P12ihipStream_tbDpT10_ENKUlT_T0_E_clISt17integral_constantIbLb1EES1D_EEDaS18_S19_EUlS18_E_NS1_11comp_targetILNS1_3genE5ELNS1_11target_archE942ELNS1_3gpuE9ELNS1_3repE0EEENS1_30default_config_static_selectorELNS0_4arch9wavefront6targetE0EEEvT1_,"axG",@progbits,_ZN7rocprim17ROCPRIM_400000_NS6detail17trampoline_kernelINS0_14default_configENS1_25partition_config_selectorILNS1_17partition_subalgoE5ElNS0_10empty_typeEbEEZZNS1_14partition_implILS5_5ELb0ES3_mN6hipcub16HIPCUB_304000_NS21CountingInputIteratorIllEEPS6_NSA_22TransformInputIteratorIbN2at6native12_GLOBAL__N_19NonZeroOpIN3c104HalfEEEPKSK_lEENS0_5tupleIJPlS6_EEENSP_IJSD_SD_EEES6_PiJS6_EEE10hipError_tPvRmT3_T4_T5_T6_T7_T9_mT8_P12ihipStream_tbDpT10_ENKUlT_T0_E_clISt17integral_constantIbLb1EES1D_EEDaS18_S19_EUlS18_E_NS1_11comp_targetILNS1_3genE5ELNS1_11target_archE942ELNS1_3gpuE9ELNS1_3repE0EEENS1_30default_config_static_selectorELNS0_4arch9wavefront6targetE0EEEvT1_,comdat
.Lfunc_end875:
	.size	_ZN7rocprim17ROCPRIM_400000_NS6detail17trampoline_kernelINS0_14default_configENS1_25partition_config_selectorILNS1_17partition_subalgoE5ElNS0_10empty_typeEbEEZZNS1_14partition_implILS5_5ELb0ES3_mN6hipcub16HIPCUB_304000_NS21CountingInputIteratorIllEEPS6_NSA_22TransformInputIteratorIbN2at6native12_GLOBAL__N_19NonZeroOpIN3c104HalfEEEPKSK_lEENS0_5tupleIJPlS6_EEENSP_IJSD_SD_EEES6_PiJS6_EEE10hipError_tPvRmT3_T4_T5_T6_T7_T9_mT8_P12ihipStream_tbDpT10_ENKUlT_T0_E_clISt17integral_constantIbLb1EES1D_EEDaS18_S19_EUlS18_E_NS1_11comp_targetILNS1_3genE5ELNS1_11target_archE942ELNS1_3gpuE9ELNS1_3repE0EEENS1_30default_config_static_selectorELNS0_4arch9wavefront6targetE0EEEvT1_, .Lfunc_end875-_ZN7rocprim17ROCPRIM_400000_NS6detail17trampoline_kernelINS0_14default_configENS1_25partition_config_selectorILNS1_17partition_subalgoE5ElNS0_10empty_typeEbEEZZNS1_14partition_implILS5_5ELb0ES3_mN6hipcub16HIPCUB_304000_NS21CountingInputIteratorIllEEPS6_NSA_22TransformInputIteratorIbN2at6native12_GLOBAL__N_19NonZeroOpIN3c104HalfEEEPKSK_lEENS0_5tupleIJPlS6_EEENSP_IJSD_SD_EEES6_PiJS6_EEE10hipError_tPvRmT3_T4_T5_T6_T7_T9_mT8_P12ihipStream_tbDpT10_ENKUlT_T0_E_clISt17integral_constantIbLb1EES1D_EEDaS18_S19_EUlS18_E_NS1_11comp_targetILNS1_3genE5ELNS1_11target_archE942ELNS1_3gpuE9ELNS1_3repE0EEENS1_30default_config_static_selectorELNS0_4arch9wavefront6targetE0EEEvT1_
                                        ; -- End function
	.set _ZN7rocprim17ROCPRIM_400000_NS6detail17trampoline_kernelINS0_14default_configENS1_25partition_config_selectorILNS1_17partition_subalgoE5ElNS0_10empty_typeEbEEZZNS1_14partition_implILS5_5ELb0ES3_mN6hipcub16HIPCUB_304000_NS21CountingInputIteratorIllEEPS6_NSA_22TransformInputIteratorIbN2at6native12_GLOBAL__N_19NonZeroOpIN3c104HalfEEEPKSK_lEENS0_5tupleIJPlS6_EEENSP_IJSD_SD_EEES6_PiJS6_EEE10hipError_tPvRmT3_T4_T5_T6_T7_T9_mT8_P12ihipStream_tbDpT10_ENKUlT_T0_E_clISt17integral_constantIbLb1EES1D_EEDaS18_S19_EUlS18_E_NS1_11comp_targetILNS1_3genE5ELNS1_11target_archE942ELNS1_3gpuE9ELNS1_3repE0EEENS1_30default_config_static_selectorELNS0_4arch9wavefront6targetE0EEEvT1_.num_vgpr, 0
	.set _ZN7rocprim17ROCPRIM_400000_NS6detail17trampoline_kernelINS0_14default_configENS1_25partition_config_selectorILNS1_17partition_subalgoE5ElNS0_10empty_typeEbEEZZNS1_14partition_implILS5_5ELb0ES3_mN6hipcub16HIPCUB_304000_NS21CountingInputIteratorIllEEPS6_NSA_22TransformInputIteratorIbN2at6native12_GLOBAL__N_19NonZeroOpIN3c104HalfEEEPKSK_lEENS0_5tupleIJPlS6_EEENSP_IJSD_SD_EEES6_PiJS6_EEE10hipError_tPvRmT3_T4_T5_T6_T7_T9_mT8_P12ihipStream_tbDpT10_ENKUlT_T0_E_clISt17integral_constantIbLb1EES1D_EEDaS18_S19_EUlS18_E_NS1_11comp_targetILNS1_3genE5ELNS1_11target_archE942ELNS1_3gpuE9ELNS1_3repE0EEENS1_30default_config_static_selectorELNS0_4arch9wavefront6targetE0EEEvT1_.num_agpr, 0
	.set _ZN7rocprim17ROCPRIM_400000_NS6detail17trampoline_kernelINS0_14default_configENS1_25partition_config_selectorILNS1_17partition_subalgoE5ElNS0_10empty_typeEbEEZZNS1_14partition_implILS5_5ELb0ES3_mN6hipcub16HIPCUB_304000_NS21CountingInputIteratorIllEEPS6_NSA_22TransformInputIteratorIbN2at6native12_GLOBAL__N_19NonZeroOpIN3c104HalfEEEPKSK_lEENS0_5tupleIJPlS6_EEENSP_IJSD_SD_EEES6_PiJS6_EEE10hipError_tPvRmT3_T4_T5_T6_T7_T9_mT8_P12ihipStream_tbDpT10_ENKUlT_T0_E_clISt17integral_constantIbLb1EES1D_EEDaS18_S19_EUlS18_E_NS1_11comp_targetILNS1_3genE5ELNS1_11target_archE942ELNS1_3gpuE9ELNS1_3repE0EEENS1_30default_config_static_selectorELNS0_4arch9wavefront6targetE0EEEvT1_.numbered_sgpr, 0
	.set _ZN7rocprim17ROCPRIM_400000_NS6detail17trampoline_kernelINS0_14default_configENS1_25partition_config_selectorILNS1_17partition_subalgoE5ElNS0_10empty_typeEbEEZZNS1_14partition_implILS5_5ELb0ES3_mN6hipcub16HIPCUB_304000_NS21CountingInputIteratorIllEEPS6_NSA_22TransformInputIteratorIbN2at6native12_GLOBAL__N_19NonZeroOpIN3c104HalfEEEPKSK_lEENS0_5tupleIJPlS6_EEENSP_IJSD_SD_EEES6_PiJS6_EEE10hipError_tPvRmT3_T4_T5_T6_T7_T9_mT8_P12ihipStream_tbDpT10_ENKUlT_T0_E_clISt17integral_constantIbLb1EES1D_EEDaS18_S19_EUlS18_E_NS1_11comp_targetILNS1_3genE5ELNS1_11target_archE942ELNS1_3gpuE9ELNS1_3repE0EEENS1_30default_config_static_selectorELNS0_4arch9wavefront6targetE0EEEvT1_.num_named_barrier, 0
	.set _ZN7rocprim17ROCPRIM_400000_NS6detail17trampoline_kernelINS0_14default_configENS1_25partition_config_selectorILNS1_17partition_subalgoE5ElNS0_10empty_typeEbEEZZNS1_14partition_implILS5_5ELb0ES3_mN6hipcub16HIPCUB_304000_NS21CountingInputIteratorIllEEPS6_NSA_22TransformInputIteratorIbN2at6native12_GLOBAL__N_19NonZeroOpIN3c104HalfEEEPKSK_lEENS0_5tupleIJPlS6_EEENSP_IJSD_SD_EEES6_PiJS6_EEE10hipError_tPvRmT3_T4_T5_T6_T7_T9_mT8_P12ihipStream_tbDpT10_ENKUlT_T0_E_clISt17integral_constantIbLb1EES1D_EEDaS18_S19_EUlS18_E_NS1_11comp_targetILNS1_3genE5ELNS1_11target_archE942ELNS1_3gpuE9ELNS1_3repE0EEENS1_30default_config_static_selectorELNS0_4arch9wavefront6targetE0EEEvT1_.private_seg_size, 0
	.set _ZN7rocprim17ROCPRIM_400000_NS6detail17trampoline_kernelINS0_14default_configENS1_25partition_config_selectorILNS1_17partition_subalgoE5ElNS0_10empty_typeEbEEZZNS1_14partition_implILS5_5ELb0ES3_mN6hipcub16HIPCUB_304000_NS21CountingInputIteratorIllEEPS6_NSA_22TransformInputIteratorIbN2at6native12_GLOBAL__N_19NonZeroOpIN3c104HalfEEEPKSK_lEENS0_5tupleIJPlS6_EEENSP_IJSD_SD_EEES6_PiJS6_EEE10hipError_tPvRmT3_T4_T5_T6_T7_T9_mT8_P12ihipStream_tbDpT10_ENKUlT_T0_E_clISt17integral_constantIbLb1EES1D_EEDaS18_S19_EUlS18_E_NS1_11comp_targetILNS1_3genE5ELNS1_11target_archE942ELNS1_3gpuE9ELNS1_3repE0EEENS1_30default_config_static_selectorELNS0_4arch9wavefront6targetE0EEEvT1_.uses_vcc, 0
	.set _ZN7rocprim17ROCPRIM_400000_NS6detail17trampoline_kernelINS0_14default_configENS1_25partition_config_selectorILNS1_17partition_subalgoE5ElNS0_10empty_typeEbEEZZNS1_14partition_implILS5_5ELb0ES3_mN6hipcub16HIPCUB_304000_NS21CountingInputIteratorIllEEPS6_NSA_22TransformInputIteratorIbN2at6native12_GLOBAL__N_19NonZeroOpIN3c104HalfEEEPKSK_lEENS0_5tupleIJPlS6_EEENSP_IJSD_SD_EEES6_PiJS6_EEE10hipError_tPvRmT3_T4_T5_T6_T7_T9_mT8_P12ihipStream_tbDpT10_ENKUlT_T0_E_clISt17integral_constantIbLb1EES1D_EEDaS18_S19_EUlS18_E_NS1_11comp_targetILNS1_3genE5ELNS1_11target_archE942ELNS1_3gpuE9ELNS1_3repE0EEENS1_30default_config_static_selectorELNS0_4arch9wavefront6targetE0EEEvT1_.uses_flat_scratch, 0
	.set _ZN7rocprim17ROCPRIM_400000_NS6detail17trampoline_kernelINS0_14default_configENS1_25partition_config_selectorILNS1_17partition_subalgoE5ElNS0_10empty_typeEbEEZZNS1_14partition_implILS5_5ELb0ES3_mN6hipcub16HIPCUB_304000_NS21CountingInputIteratorIllEEPS6_NSA_22TransformInputIteratorIbN2at6native12_GLOBAL__N_19NonZeroOpIN3c104HalfEEEPKSK_lEENS0_5tupleIJPlS6_EEENSP_IJSD_SD_EEES6_PiJS6_EEE10hipError_tPvRmT3_T4_T5_T6_T7_T9_mT8_P12ihipStream_tbDpT10_ENKUlT_T0_E_clISt17integral_constantIbLb1EES1D_EEDaS18_S19_EUlS18_E_NS1_11comp_targetILNS1_3genE5ELNS1_11target_archE942ELNS1_3gpuE9ELNS1_3repE0EEENS1_30default_config_static_selectorELNS0_4arch9wavefront6targetE0EEEvT1_.has_dyn_sized_stack, 0
	.set _ZN7rocprim17ROCPRIM_400000_NS6detail17trampoline_kernelINS0_14default_configENS1_25partition_config_selectorILNS1_17partition_subalgoE5ElNS0_10empty_typeEbEEZZNS1_14partition_implILS5_5ELb0ES3_mN6hipcub16HIPCUB_304000_NS21CountingInputIteratorIllEEPS6_NSA_22TransformInputIteratorIbN2at6native12_GLOBAL__N_19NonZeroOpIN3c104HalfEEEPKSK_lEENS0_5tupleIJPlS6_EEENSP_IJSD_SD_EEES6_PiJS6_EEE10hipError_tPvRmT3_T4_T5_T6_T7_T9_mT8_P12ihipStream_tbDpT10_ENKUlT_T0_E_clISt17integral_constantIbLb1EES1D_EEDaS18_S19_EUlS18_E_NS1_11comp_targetILNS1_3genE5ELNS1_11target_archE942ELNS1_3gpuE9ELNS1_3repE0EEENS1_30default_config_static_selectorELNS0_4arch9wavefront6targetE0EEEvT1_.has_recursion, 0
	.set _ZN7rocprim17ROCPRIM_400000_NS6detail17trampoline_kernelINS0_14default_configENS1_25partition_config_selectorILNS1_17partition_subalgoE5ElNS0_10empty_typeEbEEZZNS1_14partition_implILS5_5ELb0ES3_mN6hipcub16HIPCUB_304000_NS21CountingInputIteratorIllEEPS6_NSA_22TransformInputIteratorIbN2at6native12_GLOBAL__N_19NonZeroOpIN3c104HalfEEEPKSK_lEENS0_5tupleIJPlS6_EEENSP_IJSD_SD_EEES6_PiJS6_EEE10hipError_tPvRmT3_T4_T5_T6_T7_T9_mT8_P12ihipStream_tbDpT10_ENKUlT_T0_E_clISt17integral_constantIbLb1EES1D_EEDaS18_S19_EUlS18_E_NS1_11comp_targetILNS1_3genE5ELNS1_11target_archE942ELNS1_3gpuE9ELNS1_3repE0EEENS1_30default_config_static_selectorELNS0_4arch9wavefront6targetE0EEEvT1_.has_indirect_call, 0
	.section	.AMDGPU.csdata,"",@progbits
; Kernel info:
; codeLenInByte = 0
; TotalNumSgprs: 0
; NumVgprs: 0
; ScratchSize: 0
; MemoryBound: 0
; FloatMode: 240
; IeeeMode: 1
; LDSByteSize: 0 bytes/workgroup (compile time only)
; SGPRBlocks: 0
; VGPRBlocks: 0
; NumSGPRsForWavesPerEU: 1
; NumVGPRsForWavesPerEU: 1
; Occupancy: 16
; WaveLimiterHint : 0
; COMPUTE_PGM_RSRC2:SCRATCH_EN: 0
; COMPUTE_PGM_RSRC2:USER_SGPR: 2
; COMPUTE_PGM_RSRC2:TRAP_HANDLER: 0
; COMPUTE_PGM_RSRC2:TGID_X_EN: 1
; COMPUTE_PGM_RSRC2:TGID_Y_EN: 0
; COMPUTE_PGM_RSRC2:TGID_Z_EN: 0
; COMPUTE_PGM_RSRC2:TIDIG_COMP_CNT: 0
	.section	.text._ZN7rocprim17ROCPRIM_400000_NS6detail17trampoline_kernelINS0_14default_configENS1_25partition_config_selectorILNS1_17partition_subalgoE5ElNS0_10empty_typeEbEEZZNS1_14partition_implILS5_5ELb0ES3_mN6hipcub16HIPCUB_304000_NS21CountingInputIteratorIllEEPS6_NSA_22TransformInputIteratorIbN2at6native12_GLOBAL__N_19NonZeroOpIN3c104HalfEEEPKSK_lEENS0_5tupleIJPlS6_EEENSP_IJSD_SD_EEES6_PiJS6_EEE10hipError_tPvRmT3_T4_T5_T6_T7_T9_mT8_P12ihipStream_tbDpT10_ENKUlT_T0_E_clISt17integral_constantIbLb1EES1D_EEDaS18_S19_EUlS18_E_NS1_11comp_targetILNS1_3genE4ELNS1_11target_archE910ELNS1_3gpuE8ELNS1_3repE0EEENS1_30default_config_static_selectorELNS0_4arch9wavefront6targetE0EEEvT1_,"axG",@progbits,_ZN7rocprim17ROCPRIM_400000_NS6detail17trampoline_kernelINS0_14default_configENS1_25partition_config_selectorILNS1_17partition_subalgoE5ElNS0_10empty_typeEbEEZZNS1_14partition_implILS5_5ELb0ES3_mN6hipcub16HIPCUB_304000_NS21CountingInputIteratorIllEEPS6_NSA_22TransformInputIteratorIbN2at6native12_GLOBAL__N_19NonZeroOpIN3c104HalfEEEPKSK_lEENS0_5tupleIJPlS6_EEENSP_IJSD_SD_EEES6_PiJS6_EEE10hipError_tPvRmT3_T4_T5_T6_T7_T9_mT8_P12ihipStream_tbDpT10_ENKUlT_T0_E_clISt17integral_constantIbLb1EES1D_EEDaS18_S19_EUlS18_E_NS1_11comp_targetILNS1_3genE4ELNS1_11target_archE910ELNS1_3gpuE8ELNS1_3repE0EEENS1_30default_config_static_selectorELNS0_4arch9wavefront6targetE0EEEvT1_,comdat
	.globl	_ZN7rocprim17ROCPRIM_400000_NS6detail17trampoline_kernelINS0_14default_configENS1_25partition_config_selectorILNS1_17partition_subalgoE5ElNS0_10empty_typeEbEEZZNS1_14partition_implILS5_5ELb0ES3_mN6hipcub16HIPCUB_304000_NS21CountingInputIteratorIllEEPS6_NSA_22TransformInputIteratorIbN2at6native12_GLOBAL__N_19NonZeroOpIN3c104HalfEEEPKSK_lEENS0_5tupleIJPlS6_EEENSP_IJSD_SD_EEES6_PiJS6_EEE10hipError_tPvRmT3_T4_T5_T6_T7_T9_mT8_P12ihipStream_tbDpT10_ENKUlT_T0_E_clISt17integral_constantIbLb1EES1D_EEDaS18_S19_EUlS18_E_NS1_11comp_targetILNS1_3genE4ELNS1_11target_archE910ELNS1_3gpuE8ELNS1_3repE0EEENS1_30default_config_static_selectorELNS0_4arch9wavefront6targetE0EEEvT1_ ; -- Begin function _ZN7rocprim17ROCPRIM_400000_NS6detail17trampoline_kernelINS0_14default_configENS1_25partition_config_selectorILNS1_17partition_subalgoE5ElNS0_10empty_typeEbEEZZNS1_14partition_implILS5_5ELb0ES3_mN6hipcub16HIPCUB_304000_NS21CountingInputIteratorIllEEPS6_NSA_22TransformInputIteratorIbN2at6native12_GLOBAL__N_19NonZeroOpIN3c104HalfEEEPKSK_lEENS0_5tupleIJPlS6_EEENSP_IJSD_SD_EEES6_PiJS6_EEE10hipError_tPvRmT3_T4_T5_T6_T7_T9_mT8_P12ihipStream_tbDpT10_ENKUlT_T0_E_clISt17integral_constantIbLb1EES1D_EEDaS18_S19_EUlS18_E_NS1_11comp_targetILNS1_3genE4ELNS1_11target_archE910ELNS1_3gpuE8ELNS1_3repE0EEENS1_30default_config_static_selectorELNS0_4arch9wavefront6targetE0EEEvT1_
	.p2align	8
	.type	_ZN7rocprim17ROCPRIM_400000_NS6detail17trampoline_kernelINS0_14default_configENS1_25partition_config_selectorILNS1_17partition_subalgoE5ElNS0_10empty_typeEbEEZZNS1_14partition_implILS5_5ELb0ES3_mN6hipcub16HIPCUB_304000_NS21CountingInputIteratorIllEEPS6_NSA_22TransformInputIteratorIbN2at6native12_GLOBAL__N_19NonZeroOpIN3c104HalfEEEPKSK_lEENS0_5tupleIJPlS6_EEENSP_IJSD_SD_EEES6_PiJS6_EEE10hipError_tPvRmT3_T4_T5_T6_T7_T9_mT8_P12ihipStream_tbDpT10_ENKUlT_T0_E_clISt17integral_constantIbLb1EES1D_EEDaS18_S19_EUlS18_E_NS1_11comp_targetILNS1_3genE4ELNS1_11target_archE910ELNS1_3gpuE8ELNS1_3repE0EEENS1_30default_config_static_selectorELNS0_4arch9wavefront6targetE0EEEvT1_,@function
_ZN7rocprim17ROCPRIM_400000_NS6detail17trampoline_kernelINS0_14default_configENS1_25partition_config_selectorILNS1_17partition_subalgoE5ElNS0_10empty_typeEbEEZZNS1_14partition_implILS5_5ELb0ES3_mN6hipcub16HIPCUB_304000_NS21CountingInputIteratorIllEEPS6_NSA_22TransformInputIteratorIbN2at6native12_GLOBAL__N_19NonZeroOpIN3c104HalfEEEPKSK_lEENS0_5tupleIJPlS6_EEENSP_IJSD_SD_EEES6_PiJS6_EEE10hipError_tPvRmT3_T4_T5_T6_T7_T9_mT8_P12ihipStream_tbDpT10_ENKUlT_T0_E_clISt17integral_constantIbLb1EES1D_EEDaS18_S19_EUlS18_E_NS1_11comp_targetILNS1_3genE4ELNS1_11target_archE910ELNS1_3gpuE8ELNS1_3repE0EEENS1_30default_config_static_selectorELNS0_4arch9wavefront6targetE0EEEvT1_: ; @_ZN7rocprim17ROCPRIM_400000_NS6detail17trampoline_kernelINS0_14default_configENS1_25partition_config_selectorILNS1_17partition_subalgoE5ElNS0_10empty_typeEbEEZZNS1_14partition_implILS5_5ELb0ES3_mN6hipcub16HIPCUB_304000_NS21CountingInputIteratorIllEEPS6_NSA_22TransformInputIteratorIbN2at6native12_GLOBAL__N_19NonZeroOpIN3c104HalfEEEPKSK_lEENS0_5tupleIJPlS6_EEENSP_IJSD_SD_EEES6_PiJS6_EEE10hipError_tPvRmT3_T4_T5_T6_T7_T9_mT8_P12ihipStream_tbDpT10_ENKUlT_T0_E_clISt17integral_constantIbLb1EES1D_EEDaS18_S19_EUlS18_E_NS1_11comp_targetILNS1_3genE4ELNS1_11target_archE910ELNS1_3gpuE8ELNS1_3repE0EEENS1_30default_config_static_selectorELNS0_4arch9wavefront6targetE0EEEvT1_
; %bb.0:
	.section	.rodata,"a",@progbits
	.p2align	6, 0x0
	.amdhsa_kernel _ZN7rocprim17ROCPRIM_400000_NS6detail17trampoline_kernelINS0_14default_configENS1_25partition_config_selectorILNS1_17partition_subalgoE5ElNS0_10empty_typeEbEEZZNS1_14partition_implILS5_5ELb0ES3_mN6hipcub16HIPCUB_304000_NS21CountingInputIteratorIllEEPS6_NSA_22TransformInputIteratorIbN2at6native12_GLOBAL__N_19NonZeroOpIN3c104HalfEEEPKSK_lEENS0_5tupleIJPlS6_EEENSP_IJSD_SD_EEES6_PiJS6_EEE10hipError_tPvRmT3_T4_T5_T6_T7_T9_mT8_P12ihipStream_tbDpT10_ENKUlT_T0_E_clISt17integral_constantIbLb1EES1D_EEDaS18_S19_EUlS18_E_NS1_11comp_targetILNS1_3genE4ELNS1_11target_archE910ELNS1_3gpuE8ELNS1_3repE0EEENS1_30default_config_static_selectorELNS0_4arch9wavefront6targetE0EEEvT1_
		.amdhsa_group_segment_fixed_size 0
		.amdhsa_private_segment_fixed_size 0
		.amdhsa_kernarg_size 136
		.amdhsa_user_sgpr_count 2
		.amdhsa_user_sgpr_dispatch_ptr 0
		.amdhsa_user_sgpr_queue_ptr 0
		.amdhsa_user_sgpr_kernarg_segment_ptr 1
		.amdhsa_user_sgpr_dispatch_id 0
		.amdhsa_user_sgpr_private_segment_size 0
		.amdhsa_wavefront_size32 1
		.amdhsa_uses_dynamic_stack 0
		.amdhsa_enable_private_segment 0
		.amdhsa_system_sgpr_workgroup_id_x 1
		.amdhsa_system_sgpr_workgroup_id_y 0
		.amdhsa_system_sgpr_workgroup_id_z 0
		.amdhsa_system_sgpr_workgroup_info 0
		.amdhsa_system_vgpr_workitem_id 0
		.amdhsa_next_free_vgpr 1
		.amdhsa_next_free_sgpr 1
		.amdhsa_reserve_vcc 0
		.amdhsa_float_round_mode_32 0
		.amdhsa_float_round_mode_16_64 0
		.amdhsa_float_denorm_mode_32 3
		.amdhsa_float_denorm_mode_16_64 3
		.amdhsa_fp16_overflow 0
		.amdhsa_workgroup_processor_mode 1
		.amdhsa_memory_ordered 1
		.amdhsa_forward_progress 1
		.amdhsa_inst_pref_size 0
		.amdhsa_round_robin_scheduling 0
		.amdhsa_exception_fp_ieee_invalid_op 0
		.amdhsa_exception_fp_denorm_src 0
		.amdhsa_exception_fp_ieee_div_zero 0
		.amdhsa_exception_fp_ieee_overflow 0
		.amdhsa_exception_fp_ieee_underflow 0
		.amdhsa_exception_fp_ieee_inexact 0
		.amdhsa_exception_int_div_zero 0
	.end_amdhsa_kernel
	.section	.text._ZN7rocprim17ROCPRIM_400000_NS6detail17trampoline_kernelINS0_14default_configENS1_25partition_config_selectorILNS1_17partition_subalgoE5ElNS0_10empty_typeEbEEZZNS1_14partition_implILS5_5ELb0ES3_mN6hipcub16HIPCUB_304000_NS21CountingInputIteratorIllEEPS6_NSA_22TransformInputIteratorIbN2at6native12_GLOBAL__N_19NonZeroOpIN3c104HalfEEEPKSK_lEENS0_5tupleIJPlS6_EEENSP_IJSD_SD_EEES6_PiJS6_EEE10hipError_tPvRmT3_T4_T5_T6_T7_T9_mT8_P12ihipStream_tbDpT10_ENKUlT_T0_E_clISt17integral_constantIbLb1EES1D_EEDaS18_S19_EUlS18_E_NS1_11comp_targetILNS1_3genE4ELNS1_11target_archE910ELNS1_3gpuE8ELNS1_3repE0EEENS1_30default_config_static_selectorELNS0_4arch9wavefront6targetE0EEEvT1_,"axG",@progbits,_ZN7rocprim17ROCPRIM_400000_NS6detail17trampoline_kernelINS0_14default_configENS1_25partition_config_selectorILNS1_17partition_subalgoE5ElNS0_10empty_typeEbEEZZNS1_14partition_implILS5_5ELb0ES3_mN6hipcub16HIPCUB_304000_NS21CountingInputIteratorIllEEPS6_NSA_22TransformInputIteratorIbN2at6native12_GLOBAL__N_19NonZeroOpIN3c104HalfEEEPKSK_lEENS0_5tupleIJPlS6_EEENSP_IJSD_SD_EEES6_PiJS6_EEE10hipError_tPvRmT3_T4_T5_T6_T7_T9_mT8_P12ihipStream_tbDpT10_ENKUlT_T0_E_clISt17integral_constantIbLb1EES1D_EEDaS18_S19_EUlS18_E_NS1_11comp_targetILNS1_3genE4ELNS1_11target_archE910ELNS1_3gpuE8ELNS1_3repE0EEENS1_30default_config_static_selectorELNS0_4arch9wavefront6targetE0EEEvT1_,comdat
.Lfunc_end876:
	.size	_ZN7rocprim17ROCPRIM_400000_NS6detail17trampoline_kernelINS0_14default_configENS1_25partition_config_selectorILNS1_17partition_subalgoE5ElNS0_10empty_typeEbEEZZNS1_14partition_implILS5_5ELb0ES3_mN6hipcub16HIPCUB_304000_NS21CountingInputIteratorIllEEPS6_NSA_22TransformInputIteratorIbN2at6native12_GLOBAL__N_19NonZeroOpIN3c104HalfEEEPKSK_lEENS0_5tupleIJPlS6_EEENSP_IJSD_SD_EEES6_PiJS6_EEE10hipError_tPvRmT3_T4_T5_T6_T7_T9_mT8_P12ihipStream_tbDpT10_ENKUlT_T0_E_clISt17integral_constantIbLb1EES1D_EEDaS18_S19_EUlS18_E_NS1_11comp_targetILNS1_3genE4ELNS1_11target_archE910ELNS1_3gpuE8ELNS1_3repE0EEENS1_30default_config_static_selectorELNS0_4arch9wavefront6targetE0EEEvT1_, .Lfunc_end876-_ZN7rocprim17ROCPRIM_400000_NS6detail17trampoline_kernelINS0_14default_configENS1_25partition_config_selectorILNS1_17partition_subalgoE5ElNS0_10empty_typeEbEEZZNS1_14partition_implILS5_5ELb0ES3_mN6hipcub16HIPCUB_304000_NS21CountingInputIteratorIllEEPS6_NSA_22TransformInputIteratorIbN2at6native12_GLOBAL__N_19NonZeroOpIN3c104HalfEEEPKSK_lEENS0_5tupleIJPlS6_EEENSP_IJSD_SD_EEES6_PiJS6_EEE10hipError_tPvRmT3_T4_T5_T6_T7_T9_mT8_P12ihipStream_tbDpT10_ENKUlT_T0_E_clISt17integral_constantIbLb1EES1D_EEDaS18_S19_EUlS18_E_NS1_11comp_targetILNS1_3genE4ELNS1_11target_archE910ELNS1_3gpuE8ELNS1_3repE0EEENS1_30default_config_static_selectorELNS0_4arch9wavefront6targetE0EEEvT1_
                                        ; -- End function
	.set _ZN7rocprim17ROCPRIM_400000_NS6detail17trampoline_kernelINS0_14default_configENS1_25partition_config_selectorILNS1_17partition_subalgoE5ElNS0_10empty_typeEbEEZZNS1_14partition_implILS5_5ELb0ES3_mN6hipcub16HIPCUB_304000_NS21CountingInputIteratorIllEEPS6_NSA_22TransformInputIteratorIbN2at6native12_GLOBAL__N_19NonZeroOpIN3c104HalfEEEPKSK_lEENS0_5tupleIJPlS6_EEENSP_IJSD_SD_EEES6_PiJS6_EEE10hipError_tPvRmT3_T4_T5_T6_T7_T9_mT8_P12ihipStream_tbDpT10_ENKUlT_T0_E_clISt17integral_constantIbLb1EES1D_EEDaS18_S19_EUlS18_E_NS1_11comp_targetILNS1_3genE4ELNS1_11target_archE910ELNS1_3gpuE8ELNS1_3repE0EEENS1_30default_config_static_selectorELNS0_4arch9wavefront6targetE0EEEvT1_.num_vgpr, 0
	.set _ZN7rocprim17ROCPRIM_400000_NS6detail17trampoline_kernelINS0_14default_configENS1_25partition_config_selectorILNS1_17partition_subalgoE5ElNS0_10empty_typeEbEEZZNS1_14partition_implILS5_5ELb0ES3_mN6hipcub16HIPCUB_304000_NS21CountingInputIteratorIllEEPS6_NSA_22TransformInputIteratorIbN2at6native12_GLOBAL__N_19NonZeroOpIN3c104HalfEEEPKSK_lEENS0_5tupleIJPlS6_EEENSP_IJSD_SD_EEES6_PiJS6_EEE10hipError_tPvRmT3_T4_T5_T6_T7_T9_mT8_P12ihipStream_tbDpT10_ENKUlT_T0_E_clISt17integral_constantIbLb1EES1D_EEDaS18_S19_EUlS18_E_NS1_11comp_targetILNS1_3genE4ELNS1_11target_archE910ELNS1_3gpuE8ELNS1_3repE0EEENS1_30default_config_static_selectorELNS0_4arch9wavefront6targetE0EEEvT1_.num_agpr, 0
	.set _ZN7rocprim17ROCPRIM_400000_NS6detail17trampoline_kernelINS0_14default_configENS1_25partition_config_selectorILNS1_17partition_subalgoE5ElNS0_10empty_typeEbEEZZNS1_14partition_implILS5_5ELb0ES3_mN6hipcub16HIPCUB_304000_NS21CountingInputIteratorIllEEPS6_NSA_22TransformInputIteratorIbN2at6native12_GLOBAL__N_19NonZeroOpIN3c104HalfEEEPKSK_lEENS0_5tupleIJPlS6_EEENSP_IJSD_SD_EEES6_PiJS6_EEE10hipError_tPvRmT3_T4_T5_T6_T7_T9_mT8_P12ihipStream_tbDpT10_ENKUlT_T0_E_clISt17integral_constantIbLb1EES1D_EEDaS18_S19_EUlS18_E_NS1_11comp_targetILNS1_3genE4ELNS1_11target_archE910ELNS1_3gpuE8ELNS1_3repE0EEENS1_30default_config_static_selectorELNS0_4arch9wavefront6targetE0EEEvT1_.numbered_sgpr, 0
	.set _ZN7rocprim17ROCPRIM_400000_NS6detail17trampoline_kernelINS0_14default_configENS1_25partition_config_selectorILNS1_17partition_subalgoE5ElNS0_10empty_typeEbEEZZNS1_14partition_implILS5_5ELb0ES3_mN6hipcub16HIPCUB_304000_NS21CountingInputIteratorIllEEPS6_NSA_22TransformInputIteratorIbN2at6native12_GLOBAL__N_19NonZeroOpIN3c104HalfEEEPKSK_lEENS0_5tupleIJPlS6_EEENSP_IJSD_SD_EEES6_PiJS6_EEE10hipError_tPvRmT3_T4_T5_T6_T7_T9_mT8_P12ihipStream_tbDpT10_ENKUlT_T0_E_clISt17integral_constantIbLb1EES1D_EEDaS18_S19_EUlS18_E_NS1_11comp_targetILNS1_3genE4ELNS1_11target_archE910ELNS1_3gpuE8ELNS1_3repE0EEENS1_30default_config_static_selectorELNS0_4arch9wavefront6targetE0EEEvT1_.num_named_barrier, 0
	.set _ZN7rocprim17ROCPRIM_400000_NS6detail17trampoline_kernelINS0_14default_configENS1_25partition_config_selectorILNS1_17partition_subalgoE5ElNS0_10empty_typeEbEEZZNS1_14partition_implILS5_5ELb0ES3_mN6hipcub16HIPCUB_304000_NS21CountingInputIteratorIllEEPS6_NSA_22TransformInputIteratorIbN2at6native12_GLOBAL__N_19NonZeroOpIN3c104HalfEEEPKSK_lEENS0_5tupleIJPlS6_EEENSP_IJSD_SD_EEES6_PiJS6_EEE10hipError_tPvRmT3_T4_T5_T6_T7_T9_mT8_P12ihipStream_tbDpT10_ENKUlT_T0_E_clISt17integral_constantIbLb1EES1D_EEDaS18_S19_EUlS18_E_NS1_11comp_targetILNS1_3genE4ELNS1_11target_archE910ELNS1_3gpuE8ELNS1_3repE0EEENS1_30default_config_static_selectorELNS0_4arch9wavefront6targetE0EEEvT1_.private_seg_size, 0
	.set _ZN7rocprim17ROCPRIM_400000_NS6detail17trampoline_kernelINS0_14default_configENS1_25partition_config_selectorILNS1_17partition_subalgoE5ElNS0_10empty_typeEbEEZZNS1_14partition_implILS5_5ELb0ES3_mN6hipcub16HIPCUB_304000_NS21CountingInputIteratorIllEEPS6_NSA_22TransformInputIteratorIbN2at6native12_GLOBAL__N_19NonZeroOpIN3c104HalfEEEPKSK_lEENS0_5tupleIJPlS6_EEENSP_IJSD_SD_EEES6_PiJS6_EEE10hipError_tPvRmT3_T4_T5_T6_T7_T9_mT8_P12ihipStream_tbDpT10_ENKUlT_T0_E_clISt17integral_constantIbLb1EES1D_EEDaS18_S19_EUlS18_E_NS1_11comp_targetILNS1_3genE4ELNS1_11target_archE910ELNS1_3gpuE8ELNS1_3repE0EEENS1_30default_config_static_selectorELNS0_4arch9wavefront6targetE0EEEvT1_.uses_vcc, 0
	.set _ZN7rocprim17ROCPRIM_400000_NS6detail17trampoline_kernelINS0_14default_configENS1_25partition_config_selectorILNS1_17partition_subalgoE5ElNS0_10empty_typeEbEEZZNS1_14partition_implILS5_5ELb0ES3_mN6hipcub16HIPCUB_304000_NS21CountingInputIteratorIllEEPS6_NSA_22TransformInputIteratorIbN2at6native12_GLOBAL__N_19NonZeroOpIN3c104HalfEEEPKSK_lEENS0_5tupleIJPlS6_EEENSP_IJSD_SD_EEES6_PiJS6_EEE10hipError_tPvRmT3_T4_T5_T6_T7_T9_mT8_P12ihipStream_tbDpT10_ENKUlT_T0_E_clISt17integral_constantIbLb1EES1D_EEDaS18_S19_EUlS18_E_NS1_11comp_targetILNS1_3genE4ELNS1_11target_archE910ELNS1_3gpuE8ELNS1_3repE0EEENS1_30default_config_static_selectorELNS0_4arch9wavefront6targetE0EEEvT1_.uses_flat_scratch, 0
	.set _ZN7rocprim17ROCPRIM_400000_NS6detail17trampoline_kernelINS0_14default_configENS1_25partition_config_selectorILNS1_17partition_subalgoE5ElNS0_10empty_typeEbEEZZNS1_14partition_implILS5_5ELb0ES3_mN6hipcub16HIPCUB_304000_NS21CountingInputIteratorIllEEPS6_NSA_22TransformInputIteratorIbN2at6native12_GLOBAL__N_19NonZeroOpIN3c104HalfEEEPKSK_lEENS0_5tupleIJPlS6_EEENSP_IJSD_SD_EEES6_PiJS6_EEE10hipError_tPvRmT3_T4_T5_T6_T7_T9_mT8_P12ihipStream_tbDpT10_ENKUlT_T0_E_clISt17integral_constantIbLb1EES1D_EEDaS18_S19_EUlS18_E_NS1_11comp_targetILNS1_3genE4ELNS1_11target_archE910ELNS1_3gpuE8ELNS1_3repE0EEENS1_30default_config_static_selectorELNS0_4arch9wavefront6targetE0EEEvT1_.has_dyn_sized_stack, 0
	.set _ZN7rocprim17ROCPRIM_400000_NS6detail17trampoline_kernelINS0_14default_configENS1_25partition_config_selectorILNS1_17partition_subalgoE5ElNS0_10empty_typeEbEEZZNS1_14partition_implILS5_5ELb0ES3_mN6hipcub16HIPCUB_304000_NS21CountingInputIteratorIllEEPS6_NSA_22TransformInputIteratorIbN2at6native12_GLOBAL__N_19NonZeroOpIN3c104HalfEEEPKSK_lEENS0_5tupleIJPlS6_EEENSP_IJSD_SD_EEES6_PiJS6_EEE10hipError_tPvRmT3_T4_T5_T6_T7_T9_mT8_P12ihipStream_tbDpT10_ENKUlT_T0_E_clISt17integral_constantIbLb1EES1D_EEDaS18_S19_EUlS18_E_NS1_11comp_targetILNS1_3genE4ELNS1_11target_archE910ELNS1_3gpuE8ELNS1_3repE0EEENS1_30default_config_static_selectorELNS0_4arch9wavefront6targetE0EEEvT1_.has_recursion, 0
	.set _ZN7rocprim17ROCPRIM_400000_NS6detail17trampoline_kernelINS0_14default_configENS1_25partition_config_selectorILNS1_17partition_subalgoE5ElNS0_10empty_typeEbEEZZNS1_14partition_implILS5_5ELb0ES3_mN6hipcub16HIPCUB_304000_NS21CountingInputIteratorIllEEPS6_NSA_22TransformInputIteratorIbN2at6native12_GLOBAL__N_19NonZeroOpIN3c104HalfEEEPKSK_lEENS0_5tupleIJPlS6_EEENSP_IJSD_SD_EEES6_PiJS6_EEE10hipError_tPvRmT3_T4_T5_T6_T7_T9_mT8_P12ihipStream_tbDpT10_ENKUlT_T0_E_clISt17integral_constantIbLb1EES1D_EEDaS18_S19_EUlS18_E_NS1_11comp_targetILNS1_3genE4ELNS1_11target_archE910ELNS1_3gpuE8ELNS1_3repE0EEENS1_30default_config_static_selectorELNS0_4arch9wavefront6targetE0EEEvT1_.has_indirect_call, 0
	.section	.AMDGPU.csdata,"",@progbits
; Kernel info:
; codeLenInByte = 0
; TotalNumSgprs: 0
; NumVgprs: 0
; ScratchSize: 0
; MemoryBound: 0
; FloatMode: 240
; IeeeMode: 1
; LDSByteSize: 0 bytes/workgroup (compile time only)
; SGPRBlocks: 0
; VGPRBlocks: 0
; NumSGPRsForWavesPerEU: 1
; NumVGPRsForWavesPerEU: 1
; Occupancy: 16
; WaveLimiterHint : 0
; COMPUTE_PGM_RSRC2:SCRATCH_EN: 0
; COMPUTE_PGM_RSRC2:USER_SGPR: 2
; COMPUTE_PGM_RSRC2:TRAP_HANDLER: 0
; COMPUTE_PGM_RSRC2:TGID_X_EN: 1
; COMPUTE_PGM_RSRC2:TGID_Y_EN: 0
; COMPUTE_PGM_RSRC2:TGID_Z_EN: 0
; COMPUTE_PGM_RSRC2:TIDIG_COMP_CNT: 0
	.section	.text._ZN7rocprim17ROCPRIM_400000_NS6detail17trampoline_kernelINS0_14default_configENS1_25partition_config_selectorILNS1_17partition_subalgoE5ElNS0_10empty_typeEbEEZZNS1_14partition_implILS5_5ELb0ES3_mN6hipcub16HIPCUB_304000_NS21CountingInputIteratorIllEEPS6_NSA_22TransformInputIteratorIbN2at6native12_GLOBAL__N_19NonZeroOpIN3c104HalfEEEPKSK_lEENS0_5tupleIJPlS6_EEENSP_IJSD_SD_EEES6_PiJS6_EEE10hipError_tPvRmT3_T4_T5_T6_T7_T9_mT8_P12ihipStream_tbDpT10_ENKUlT_T0_E_clISt17integral_constantIbLb1EES1D_EEDaS18_S19_EUlS18_E_NS1_11comp_targetILNS1_3genE3ELNS1_11target_archE908ELNS1_3gpuE7ELNS1_3repE0EEENS1_30default_config_static_selectorELNS0_4arch9wavefront6targetE0EEEvT1_,"axG",@progbits,_ZN7rocprim17ROCPRIM_400000_NS6detail17trampoline_kernelINS0_14default_configENS1_25partition_config_selectorILNS1_17partition_subalgoE5ElNS0_10empty_typeEbEEZZNS1_14partition_implILS5_5ELb0ES3_mN6hipcub16HIPCUB_304000_NS21CountingInputIteratorIllEEPS6_NSA_22TransformInputIteratorIbN2at6native12_GLOBAL__N_19NonZeroOpIN3c104HalfEEEPKSK_lEENS0_5tupleIJPlS6_EEENSP_IJSD_SD_EEES6_PiJS6_EEE10hipError_tPvRmT3_T4_T5_T6_T7_T9_mT8_P12ihipStream_tbDpT10_ENKUlT_T0_E_clISt17integral_constantIbLb1EES1D_EEDaS18_S19_EUlS18_E_NS1_11comp_targetILNS1_3genE3ELNS1_11target_archE908ELNS1_3gpuE7ELNS1_3repE0EEENS1_30default_config_static_selectorELNS0_4arch9wavefront6targetE0EEEvT1_,comdat
	.globl	_ZN7rocprim17ROCPRIM_400000_NS6detail17trampoline_kernelINS0_14default_configENS1_25partition_config_selectorILNS1_17partition_subalgoE5ElNS0_10empty_typeEbEEZZNS1_14partition_implILS5_5ELb0ES3_mN6hipcub16HIPCUB_304000_NS21CountingInputIteratorIllEEPS6_NSA_22TransformInputIteratorIbN2at6native12_GLOBAL__N_19NonZeroOpIN3c104HalfEEEPKSK_lEENS0_5tupleIJPlS6_EEENSP_IJSD_SD_EEES6_PiJS6_EEE10hipError_tPvRmT3_T4_T5_T6_T7_T9_mT8_P12ihipStream_tbDpT10_ENKUlT_T0_E_clISt17integral_constantIbLb1EES1D_EEDaS18_S19_EUlS18_E_NS1_11comp_targetILNS1_3genE3ELNS1_11target_archE908ELNS1_3gpuE7ELNS1_3repE0EEENS1_30default_config_static_selectorELNS0_4arch9wavefront6targetE0EEEvT1_ ; -- Begin function _ZN7rocprim17ROCPRIM_400000_NS6detail17trampoline_kernelINS0_14default_configENS1_25partition_config_selectorILNS1_17partition_subalgoE5ElNS0_10empty_typeEbEEZZNS1_14partition_implILS5_5ELb0ES3_mN6hipcub16HIPCUB_304000_NS21CountingInputIteratorIllEEPS6_NSA_22TransformInputIteratorIbN2at6native12_GLOBAL__N_19NonZeroOpIN3c104HalfEEEPKSK_lEENS0_5tupleIJPlS6_EEENSP_IJSD_SD_EEES6_PiJS6_EEE10hipError_tPvRmT3_T4_T5_T6_T7_T9_mT8_P12ihipStream_tbDpT10_ENKUlT_T0_E_clISt17integral_constantIbLb1EES1D_EEDaS18_S19_EUlS18_E_NS1_11comp_targetILNS1_3genE3ELNS1_11target_archE908ELNS1_3gpuE7ELNS1_3repE0EEENS1_30default_config_static_selectorELNS0_4arch9wavefront6targetE0EEEvT1_
	.p2align	8
	.type	_ZN7rocprim17ROCPRIM_400000_NS6detail17trampoline_kernelINS0_14default_configENS1_25partition_config_selectorILNS1_17partition_subalgoE5ElNS0_10empty_typeEbEEZZNS1_14partition_implILS5_5ELb0ES3_mN6hipcub16HIPCUB_304000_NS21CountingInputIteratorIllEEPS6_NSA_22TransformInputIteratorIbN2at6native12_GLOBAL__N_19NonZeroOpIN3c104HalfEEEPKSK_lEENS0_5tupleIJPlS6_EEENSP_IJSD_SD_EEES6_PiJS6_EEE10hipError_tPvRmT3_T4_T5_T6_T7_T9_mT8_P12ihipStream_tbDpT10_ENKUlT_T0_E_clISt17integral_constantIbLb1EES1D_EEDaS18_S19_EUlS18_E_NS1_11comp_targetILNS1_3genE3ELNS1_11target_archE908ELNS1_3gpuE7ELNS1_3repE0EEENS1_30default_config_static_selectorELNS0_4arch9wavefront6targetE0EEEvT1_,@function
_ZN7rocprim17ROCPRIM_400000_NS6detail17trampoline_kernelINS0_14default_configENS1_25partition_config_selectorILNS1_17partition_subalgoE5ElNS0_10empty_typeEbEEZZNS1_14partition_implILS5_5ELb0ES3_mN6hipcub16HIPCUB_304000_NS21CountingInputIteratorIllEEPS6_NSA_22TransformInputIteratorIbN2at6native12_GLOBAL__N_19NonZeroOpIN3c104HalfEEEPKSK_lEENS0_5tupleIJPlS6_EEENSP_IJSD_SD_EEES6_PiJS6_EEE10hipError_tPvRmT3_T4_T5_T6_T7_T9_mT8_P12ihipStream_tbDpT10_ENKUlT_T0_E_clISt17integral_constantIbLb1EES1D_EEDaS18_S19_EUlS18_E_NS1_11comp_targetILNS1_3genE3ELNS1_11target_archE908ELNS1_3gpuE7ELNS1_3repE0EEENS1_30default_config_static_selectorELNS0_4arch9wavefront6targetE0EEEvT1_: ; @_ZN7rocprim17ROCPRIM_400000_NS6detail17trampoline_kernelINS0_14default_configENS1_25partition_config_selectorILNS1_17partition_subalgoE5ElNS0_10empty_typeEbEEZZNS1_14partition_implILS5_5ELb0ES3_mN6hipcub16HIPCUB_304000_NS21CountingInputIteratorIllEEPS6_NSA_22TransformInputIteratorIbN2at6native12_GLOBAL__N_19NonZeroOpIN3c104HalfEEEPKSK_lEENS0_5tupleIJPlS6_EEENSP_IJSD_SD_EEES6_PiJS6_EEE10hipError_tPvRmT3_T4_T5_T6_T7_T9_mT8_P12ihipStream_tbDpT10_ENKUlT_T0_E_clISt17integral_constantIbLb1EES1D_EEDaS18_S19_EUlS18_E_NS1_11comp_targetILNS1_3genE3ELNS1_11target_archE908ELNS1_3gpuE7ELNS1_3repE0EEENS1_30default_config_static_selectorELNS0_4arch9wavefront6targetE0EEEvT1_
; %bb.0:
	.section	.rodata,"a",@progbits
	.p2align	6, 0x0
	.amdhsa_kernel _ZN7rocprim17ROCPRIM_400000_NS6detail17trampoline_kernelINS0_14default_configENS1_25partition_config_selectorILNS1_17partition_subalgoE5ElNS0_10empty_typeEbEEZZNS1_14partition_implILS5_5ELb0ES3_mN6hipcub16HIPCUB_304000_NS21CountingInputIteratorIllEEPS6_NSA_22TransformInputIteratorIbN2at6native12_GLOBAL__N_19NonZeroOpIN3c104HalfEEEPKSK_lEENS0_5tupleIJPlS6_EEENSP_IJSD_SD_EEES6_PiJS6_EEE10hipError_tPvRmT3_T4_T5_T6_T7_T9_mT8_P12ihipStream_tbDpT10_ENKUlT_T0_E_clISt17integral_constantIbLb1EES1D_EEDaS18_S19_EUlS18_E_NS1_11comp_targetILNS1_3genE3ELNS1_11target_archE908ELNS1_3gpuE7ELNS1_3repE0EEENS1_30default_config_static_selectorELNS0_4arch9wavefront6targetE0EEEvT1_
		.amdhsa_group_segment_fixed_size 0
		.amdhsa_private_segment_fixed_size 0
		.amdhsa_kernarg_size 136
		.amdhsa_user_sgpr_count 2
		.amdhsa_user_sgpr_dispatch_ptr 0
		.amdhsa_user_sgpr_queue_ptr 0
		.amdhsa_user_sgpr_kernarg_segment_ptr 1
		.amdhsa_user_sgpr_dispatch_id 0
		.amdhsa_user_sgpr_private_segment_size 0
		.amdhsa_wavefront_size32 1
		.amdhsa_uses_dynamic_stack 0
		.amdhsa_enable_private_segment 0
		.amdhsa_system_sgpr_workgroup_id_x 1
		.amdhsa_system_sgpr_workgroup_id_y 0
		.amdhsa_system_sgpr_workgroup_id_z 0
		.amdhsa_system_sgpr_workgroup_info 0
		.amdhsa_system_vgpr_workitem_id 0
		.amdhsa_next_free_vgpr 1
		.amdhsa_next_free_sgpr 1
		.amdhsa_reserve_vcc 0
		.amdhsa_float_round_mode_32 0
		.amdhsa_float_round_mode_16_64 0
		.amdhsa_float_denorm_mode_32 3
		.amdhsa_float_denorm_mode_16_64 3
		.amdhsa_fp16_overflow 0
		.amdhsa_workgroup_processor_mode 1
		.amdhsa_memory_ordered 1
		.amdhsa_forward_progress 1
		.amdhsa_inst_pref_size 0
		.amdhsa_round_robin_scheduling 0
		.amdhsa_exception_fp_ieee_invalid_op 0
		.amdhsa_exception_fp_denorm_src 0
		.amdhsa_exception_fp_ieee_div_zero 0
		.amdhsa_exception_fp_ieee_overflow 0
		.amdhsa_exception_fp_ieee_underflow 0
		.amdhsa_exception_fp_ieee_inexact 0
		.amdhsa_exception_int_div_zero 0
	.end_amdhsa_kernel
	.section	.text._ZN7rocprim17ROCPRIM_400000_NS6detail17trampoline_kernelINS0_14default_configENS1_25partition_config_selectorILNS1_17partition_subalgoE5ElNS0_10empty_typeEbEEZZNS1_14partition_implILS5_5ELb0ES3_mN6hipcub16HIPCUB_304000_NS21CountingInputIteratorIllEEPS6_NSA_22TransformInputIteratorIbN2at6native12_GLOBAL__N_19NonZeroOpIN3c104HalfEEEPKSK_lEENS0_5tupleIJPlS6_EEENSP_IJSD_SD_EEES6_PiJS6_EEE10hipError_tPvRmT3_T4_T5_T6_T7_T9_mT8_P12ihipStream_tbDpT10_ENKUlT_T0_E_clISt17integral_constantIbLb1EES1D_EEDaS18_S19_EUlS18_E_NS1_11comp_targetILNS1_3genE3ELNS1_11target_archE908ELNS1_3gpuE7ELNS1_3repE0EEENS1_30default_config_static_selectorELNS0_4arch9wavefront6targetE0EEEvT1_,"axG",@progbits,_ZN7rocprim17ROCPRIM_400000_NS6detail17trampoline_kernelINS0_14default_configENS1_25partition_config_selectorILNS1_17partition_subalgoE5ElNS0_10empty_typeEbEEZZNS1_14partition_implILS5_5ELb0ES3_mN6hipcub16HIPCUB_304000_NS21CountingInputIteratorIllEEPS6_NSA_22TransformInputIteratorIbN2at6native12_GLOBAL__N_19NonZeroOpIN3c104HalfEEEPKSK_lEENS0_5tupleIJPlS6_EEENSP_IJSD_SD_EEES6_PiJS6_EEE10hipError_tPvRmT3_T4_T5_T6_T7_T9_mT8_P12ihipStream_tbDpT10_ENKUlT_T0_E_clISt17integral_constantIbLb1EES1D_EEDaS18_S19_EUlS18_E_NS1_11comp_targetILNS1_3genE3ELNS1_11target_archE908ELNS1_3gpuE7ELNS1_3repE0EEENS1_30default_config_static_selectorELNS0_4arch9wavefront6targetE0EEEvT1_,comdat
.Lfunc_end877:
	.size	_ZN7rocprim17ROCPRIM_400000_NS6detail17trampoline_kernelINS0_14default_configENS1_25partition_config_selectorILNS1_17partition_subalgoE5ElNS0_10empty_typeEbEEZZNS1_14partition_implILS5_5ELb0ES3_mN6hipcub16HIPCUB_304000_NS21CountingInputIteratorIllEEPS6_NSA_22TransformInputIteratorIbN2at6native12_GLOBAL__N_19NonZeroOpIN3c104HalfEEEPKSK_lEENS0_5tupleIJPlS6_EEENSP_IJSD_SD_EEES6_PiJS6_EEE10hipError_tPvRmT3_T4_T5_T6_T7_T9_mT8_P12ihipStream_tbDpT10_ENKUlT_T0_E_clISt17integral_constantIbLb1EES1D_EEDaS18_S19_EUlS18_E_NS1_11comp_targetILNS1_3genE3ELNS1_11target_archE908ELNS1_3gpuE7ELNS1_3repE0EEENS1_30default_config_static_selectorELNS0_4arch9wavefront6targetE0EEEvT1_, .Lfunc_end877-_ZN7rocprim17ROCPRIM_400000_NS6detail17trampoline_kernelINS0_14default_configENS1_25partition_config_selectorILNS1_17partition_subalgoE5ElNS0_10empty_typeEbEEZZNS1_14partition_implILS5_5ELb0ES3_mN6hipcub16HIPCUB_304000_NS21CountingInputIteratorIllEEPS6_NSA_22TransformInputIteratorIbN2at6native12_GLOBAL__N_19NonZeroOpIN3c104HalfEEEPKSK_lEENS0_5tupleIJPlS6_EEENSP_IJSD_SD_EEES6_PiJS6_EEE10hipError_tPvRmT3_T4_T5_T6_T7_T9_mT8_P12ihipStream_tbDpT10_ENKUlT_T0_E_clISt17integral_constantIbLb1EES1D_EEDaS18_S19_EUlS18_E_NS1_11comp_targetILNS1_3genE3ELNS1_11target_archE908ELNS1_3gpuE7ELNS1_3repE0EEENS1_30default_config_static_selectorELNS0_4arch9wavefront6targetE0EEEvT1_
                                        ; -- End function
	.set _ZN7rocprim17ROCPRIM_400000_NS6detail17trampoline_kernelINS0_14default_configENS1_25partition_config_selectorILNS1_17partition_subalgoE5ElNS0_10empty_typeEbEEZZNS1_14partition_implILS5_5ELb0ES3_mN6hipcub16HIPCUB_304000_NS21CountingInputIteratorIllEEPS6_NSA_22TransformInputIteratorIbN2at6native12_GLOBAL__N_19NonZeroOpIN3c104HalfEEEPKSK_lEENS0_5tupleIJPlS6_EEENSP_IJSD_SD_EEES6_PiJS6_EEE10hipError_tPvRmT3_T4_T5_T6_T7_T9_mT8_P12ihipStream_tbDpT10_ENKUlT_T0_E_clISt17integral_constantIbLb1EES1D_EEDaS18_S19_EUlS18_E_NS1_11comp_targetILNS1_3genE3ELNS1_11target_archE908ELNS1_3gpuE7ELNS1_3repE0EEENS1_30default_config_static_selectorELNS0_4arch9wavefront6targetE0EEEvT1_.num_vgpr, 0
	.set _ZN7rocprim17ROCPRIM_400000_NS6detail17trampoline_kernelINS0_14default_configENS1_25partition_config_selectorILNS1_17partition_subalgoE5ElNS0_10empty_typeEbEEZZNS1_14partition_implILS5_5ELb0ES3_mN6hipcub16HIPCUB_304000_NS21CountingInputIteratorIllEEPS6_NSA_22TransformInputIteratorIbN2at6native12_GLOBAL__N_19NonZeroOpIN3c104HalfEEEPKSK_lEENS0_5tupleIJPlS6_EEENSP_IJSD_SD_EEES6_PiJS6_EEE10hipError_tPvRmT3_T4_T5_T6_T7_T9_mT8_P12ihipStream_tbDpT10_ENKUlT_T0_E_clISt17integral_constantIbLb1EES1D_EEDaS18_S19_EUlS18_E_NS1_11comp_targetILNS1_3genE3ELNS1_11target_archE908ELNS1_3gpuE7ELNS1_3repE0EEENS1_30default_config_static_selectorELNS0_4arch9wavefront6targetE0EEEvT1_.num_agpr, 0
	.set _ZN7rocprim17ROCPRIM_400000_NS6detail17trampoline_kernelINS0_14default_configENS1_25partition_config_selectorILNS1_17partition_subalgoE5ElNS0_10empty_typeEbEEZZNS1_14partition_implILS5_5ELb0ES3_mN6hipcub16HIPCUB_304000_NS21CountingInputIteratorIllEEPS6_NSA_22TransformInputIteratorIbN2at6native12_GLOBAL__N_19NonZeroOpIN3c104HalfEEEPKSK_lEENS0_5tupleIJPlS6_EEENSP_IJSD_SD_EEES6_PiJS6_EEE10hipError_tPvRmT3_T4_T5_T6_T7_T9_mT8_P12ihipStream_tbDpT10_ENKUlT_T0_E_clISt17integral_constantIbLb1EES1D_EEDaS18_S19_EUlS18_E_NS1_11comp_targetILNS1_3genE3ELNS1_11target_archE908ELNS1_3gpuE7ELNS1_3repE0EEENS1_30default_config_static_selectorELNS0_4arch9wavefront6targetE0EEEvT1_.numbered_sgpr, 0
	.set _ZN7rocprim17ROCPRIM_400000_NS6detail17trampoline_kernelINS0_14default_configENS1_25partition_config_selectorILNS1_17partition_subalgoE5ElNS0_10empty_typeEbEEZZNS1_14partition_implILS5_5ELb0ES3_mN6hipcub16HIPCUB_304000_NS21CountingInputIteratorIllEEPS6_NSA_22TransformInputIteratorIbN2at6native12_GLOBAL__N_19NonZeroOpIN3c104HalfEEEPKSK_lEENS0_5tupleIJPlS6_EEENSP_IJSD_SD_EEES6_PiJS6_EEE10hipError_tPvRmT3_T4_T5_T6_T7_T9_mT8_P12ihipStream_tbDpT10_ENKUlT_T0_E_clISt17integral_constantIbLb1EES1D_EEDaS18_S19_EUlS18_E_NS1_11comp_targetILNS1_3genE3ELNS1_11target_archE908ELNS1_3gpuE7ELNS1_3repE0EEENS1_30default_config_static_selectorELNS0_4arch9wavefront6targetE0EEEvT1_.num_named_barrier, 0
	.set _ZN7rocprim17ROCPRIM_400000_NS6detail17trampoline_kernelINS0_14default_configENS1_25partition_config_selectorILNS1_17partition_subalgoE5ElNS0_10empty_typeEbEEZZNS1_14partition_implILS5_5ELb0ES3_mN6hipcub16HIPCUB_304000_NS21CountingInputIteratorIllEEPS6_NSA_22TransformInputIteratorIbN2at6native12_GLOBAL__N_19NonZeroOpIN3c104HalfEEEPKSK_lEENS0_5tupleIJPlS6_EEENSP_IJSD_SD_EEES6_PiJS6_EEE10hipError_tPvRmT3_T4_T5_T6_T7_T9_mT8_P12ihipStream_tbDpT10_ENKUlT_T0_E_clISt17integral_constantIbLb1EES1D_EEDaS18_S19_EUlS18_E_NS1_11comp_targetILNS1_3genE3ELNS1_11target_archE908ELNS1_3gpuE7ELNS1_3repE0EEENS1_30default_config_static_selectorELNS0_4arch9wavefront6targetE0EEEvT1_.private_seg_size, 0
	.set _ZN7rocprim17ROCPRIM_400000_NS6detail17trampoline_kernelINS0_14default_configENS1_25partition_config_selectorILNS1_17partition_subalgoE5ElNS0_10empty_typeEbEEZZNS1_14partition_implILS5_5ELb0ES3_mN6hipcub16HIPCUB_304000_NS21CountingInputIteratorIllEEPS6_NSA_22TransformInputIteratorIbN2at6native12_GLOBAL__N_19NonZeroOpIN3c104HalfEEEPKSK_lEENS0_5tupleIJPlS6_EEENSP_IJSD_SD_EEES6_PiJS6_EEE10hipError_tPvRmT3_T4_T5_T6_T7_T9_mT8_P12ihipStream_tbDpT10_ENKUlT_T0_E_clISt17integral_constantIbLb1EES1D_EEDaS18_S19_EUlS18_E_NS1_11comp_targetILNS1_3genE3ELNS1_11target_archE908ELNS1_3gpuE7ELNS1_3repE0EEENS1_30default_config_static_selectorELNS0_4arch9wavefront6targetE0EEEvT1_.uses_vcc, 0
	.set _ZN7rocprim17ROCPRIM_400000_NS6detail17trampoline_kernelINS0_14default_configENS1_25partition_config_selectorILNS1_17partition_subalgoE5ElNS0_10empty_typeEbEEZZNS1_14partition_implILS5_5ELb0ES3_mN6hipcub16HIPCUB_304000_NS21CountingInputIteratorIllEEPS6_NSA_22TransformInputIteratorIbN2at6native12_GLOBAL__N_19NonZeroOpIN3c104HalfEEEPKSK_lEENS0_5tupleIJPlS6_EEENSP_IJSD_SD_EEES6_PiJS6_EEE10hipError_tPvRmT3_T4_T5_T6_T7_T9_mT8_P12ihipStream_tbDpT10_ENKUlT_T0_E_clISt17integral_constantIbLb1EES1D_EEDaS18_S19_EUlS18_E_NS1_11comp_targetILNS1_3genE3ELNS1_11target_archE908ELNS1_3gpuE7ELNS1_3repE0EEENS1_30default_config_static_selectorELNS0_4arch9wavefront6targetE0EEEvT1_.uses_flat_scratch, 0
	.set _ZN7rocprim17ROCPRIM_400000_NS6detail17trampoline_kernelINS0_14default_configENS1_25partition_config_selectorILNS1_17partition_subalgoE5ElNS0_10empty_typeEbEEZZNS1_14partition_implILS5_5ELb0ES3_mN6hipcub16HIPCUB_304000_NS21CountingInputIteratorIllEEPS6_NSA_22TransformInputIteratorIbN2at6native12_GLOBAL__N_19NonZeroOpIN3c104HalfEEEPKSK_lEENS0_5tupleIJPlS6_EEENSP_IJSD_SD_EEES6_PiJS6_EEE10hipError_tPvRmT3_T4_T5_T6_T7_T9_mT8_P12ihipStream_tbDpT10_ENKUlT_T0_E_clISt17integral_constantIbLb1EES1D_EEDaS18_S19_EUlS18_E_NS1_11comp_targetILNS1_3genE3ELNS1_11target_archE908ELNS1_3gpuE7ELNS1_3repE0EEENS1_30default_config_static_selectorELNS0_4arch9wavefront6targetE0EEEvT1_.has_dyn_sized_stack, 0
	.set _ZN7rocprim17ROCPRIM_400000_NS6detail17trampoline_kernelINS0_14default_configENS1_25partition_config_selectorILNS1_17partition_subalgoE5ElNS0_10empty_typeEbEEZZNS1_14partition_implILS5_5ELb0ES3_mN6hipcub16HIPCUB_304000_NS21CountingInputIteratorIllEEPS6_NSA_22TransformInputIteratorIbN2at6native12_GLOBAL__N_19NonZeroOpIN3c104HalfEEEPKSK_lEENS0_5tupleIJPlS6_EEENSP_IJSD_SD_EEES6_PiJS6_EEE10hipError_tPvRmT3_T4_T5_T6_T7_T9_mT8_P12ihipStream_tbDpT10_ENKUlT_T0_E_clISt17integral_constantIbLb1EES1D_EEDaS18_S19_EUlS18_E_NS1_11comp_targetILNS1_3genE3ELNS1_11target_archE908ELNS1_3gpuE7ELNS1_3repE0EEENS1_30default_config_static_selectorELNS0_4arch9wavefront6targetE0EEEvT1_.has_recursion, 0
	.set _ZN7rocprim17ROCPRIM_400000_NS6detail17trampoline_kernelINS0_14default_configENS1_25partition_config_selectorILNS1_17partition_subalgoE5ElNS0_10empty_typeEbEEZZNS1_14partition_implILS5_5ELb0ES3_mN6hipcub16HIPCUB_304000_NS21CountingInputIteratorIllEEPS6_NSA_22TransformInputIteratorIbN2at6native12_GLOBAL__N_19NonZeroOpIN3c104HalfEEEPKSK_lEENS0_5tupleIJPlS6_EEENSP_IJSD_SD_EEES6_PiJS6_EEE10hipError_tPvRmT3_T4_T5_T6_T7_T9_mT8_P12ihipStream_tbDpT10_ENKUlT_T0_E_clISt17integral_constantIbLb1EES1D_EEDaS18_S19_EUlS18_E_NS1_11comp_targetILNS1_3genE3ELNS1_11target_archE908ELNS1_3gpuE7ELNS1_3repE0EEENS1_30default_config_static_selectorELNS0_4arch9wavefront6targetE0EEEvT1_.has_indirect_call, 0
	.section	.AMDGPU.csdata,"",@progbits
; Kernel info:
; codeLenInByte = 0
; TotalNumSgprs: 0
; NumVgprs: 0
; ScratchSize: 0
; MemoryBound: 0
; FloatMode: 240
; IeeeMode: 1
; LDSByteSize: 0 bytes/workgroup (compile time only)
; SGPRBlocks: 0
; VGPRBlocks: 0
; NumSGPRsForWavesPerEU: 1
; NumVGPRsForWavesPerEU: 1
; Occupancy: 16
; WaveLimiterHint : 0
; COMPUTE_PGM_RSRC2:SCRATCH_EN: 0
; COMPUTE_PGM_RSRC2:USER_SGPR: 2
; COMPUTE_PGM_RSRC2:TRAP_HANDLER: 0
; COMPUTE_PGM_RSRC2:TGID_X_EN: 1
; COMPUTE_PGM_RSRC2:TGID_Y_EN: 0
; COMPUTE_PGM_RSRC2:TGID_Z_EN: 0
; COMPUTE_PGM_RSRC2:TIDIG_COMP_CNT: 0
	.section	.text._ZN7rocprim17ROCPRIM_400000_NS6detail17trampoline_kernelINS0_14default_configENS1_25partition_config_selectorILNS1_17partition_subalgoE5ElNS0_10empty_typeEbEEZZNS1_14partition_implILS5_5ELb0ES3_mN6hipcub16HIPCUB_304000_NS21CountingInputIteratorIllEEPS6_NSA_22TransformInputIteratorIbN2at6native12_GLOBAL__N_19NonZeroOpIN3c104HalfEEEPKSK_lEENS0_5tupleIJPlS6_EEENSP_IJSD_SD_EEES6_PiJS6_EEE10hipError_tPvRmT3_T4_T5_T6_T7_T9_mT8_P12ihipStream_tbDpT10_ENKUlT_T0_E_clISt17integral_constantIbLb1EES1D_EEDaS18_S19_EUlS18_E_NS1_11comp_targetILNS1_3genE2ELNS1_11target_archE906ELNS1_3gpuE6ELNS1_3repE0EEENS1_30default_config_static_selectorELNS0_4arch9wavefront6targetE0EEEvT1_,"axG",@progbits,_ZN7rocprim17ROCPRIM_400000_NS6detail17trampoline_kernelINS0_14default_configENS1_25partition_config_selectorILNS1_17partition_subalgoE5ElNS0_10empty_typeEbEEZZNS1_14partition_implILS5_5ELb0ES3_mN6hipcub16HIPCUB_304000_NS21CountingInputIteratorIllEEPS6_NSA_22TransformInputIteratorIbN2at6native12_GLOBAL__N_19NonZeroOpIN3c104HalfEEEPKSK_lEENS0_5tupleIJPlS6_EEENSP_IJSD_SD_EEES6_PiJS6_EEE10hipError_tPvRmT3_T4_T5_T6_T7_T9_mT8_P12ihipStream_tbDpT10_ENKUlT_T0_E_clISt17integral_constantIbLb1EES1D_EEDaS18_S19_EUlS18_E_NS1_11comp_targetILNS1_3genE2ELNS1_11target_archE906ELNS1_3gpuE6ELNS1_3repE0EEENS1_30default_config_static_selectorELNS0_4arch9wavefront6targetE0EEEvT1_,comdat
	.globl	_ZN7rocprim17ROCPRIM_400000_NS6detail17trampoline_kernelINS0_14default_configENS1_25partition_config_selectorILNS1_17partition_subalgoE5ElNS0_10empty_typeEbEEZZNS1_14partition_implILS5_5ELb0ES3_mN6hipcub16HIPCUB_304000_NS21CountingInputIteratorIllEEPS6_NSA_22TransformInputIteratorIbN2at6native12_GLOBAL__N_19NonZeroOpIN3c104HalfEEEPKSK_lEENS0_5tupleIJPlS6_EEENSP_IJSD_SD_EEES6_PiJS6_EEE10hipError_tPvRmT3_T4_T5_T6_T7_T9_mT8_P12ihipStream_tbDpT10_ENKUlT_T0_E_clISt17integral_constantIbLb1EES1D_EEDaS18_S19_EUlS18_E_NS1_11comp_targetILNS1_3genE2ELNS1_11target_archE906ELNS1_3gpuE6ELNS1_3repE0EEENS1_30default_config_static_selectorELNS0_4arch9wavefront6targetE0EEEvT1_ ; -- Begin function _ZN7rocprim17ROCPRIM_400000_NS6detail17trampoline_kernelINS0_14default_configENS1_25partition_config_selectorILNS1_17partition_subalgoE5ElNS0_10empty_typeEbEEZZNS1_14partition_implILS5_5ELb0ES3_mN6hipcub16HIPCUB_304000_NS21CountingInputIteratorIllEEPS6_NSA_22TransformInputIteratorIbN2at6native12_GLOBAL__N_19NonZeroOpIN3c104HalfEEEPKSK_lEENS0_5tupleIJPlS6_EEENSP_IJSD_SD_EEES6_PiJS6_EEE10hipError_tPvRmT3_T4_T5_T6_T7_T9_mT8_P12ihipStream_tbDpT10_ENKUlT_T0_E_clISt17integral_constantIbLb1EES1D_EEDaS18_S19_EUlS18_E_NS1_11comp_targetILNS1_3genE2ELNS1_11target_archE906ELNS1_3gpuE6ELNS1_3repE0EEENS1_30default_config_static_selectorELNS0_4arch9wavefront6targetE0EEEvT1_
	.p2align	8
	.type	_ZN7rocprim17ROCPRIM_400000_NS6detail17trampoline_kernelINS0_14default_configENS1_25partition_config_selectorILNS1_17partition_subalgoE5ElNS0_10empty_typeEbEEZZNS1_14partition_implILS5_5ELb0ES3_mN6hipcub16HIPCUB_304000_NS21CountingInputIteratorIllEEPS6_NSA_22TransformInputIteratorIbN2at6native12_GLOBAL__N_19NonZeroOpIN3c104HalfEEEPKSK_lEENS0_5tupleIJPlS6_EEENSP_IJSD_SD_EEES6_PiJS6_EEE10hipError_tPvRmT3_T4_T5_T6_T7_T9_mT8_P12ihipStream_tbDpT10_ENKUlT_T0_E_clISt17integral_constantIbLb1EES1D_EEDaS18_S19_EUlS18_E_NS1_11comp_targetILNS1_3genE2ELNS1_11target_archE906ELNS1_3gpuE6ELNS1_3repE0EEENS1_30default_config_static_selectorELNS0_4arch9wavefront6targetE0EEEvT1_,@function
_ZN7rocprim17ROCPRIM_400000_NS6detail17trampoline_kernelINS0_14default_configENS1_25partition_config_selectorILNS1_17partition_subalgoE5ElNS0_10empty_typeEbEEZZNS1_14partition_implILS5_5ELb0ES3_mN6hipcub16HIPCUB_304000_NS21CountingInputIteratorIllEEPS6_NSA_22TransformInputIteratorIbN2at6native12_GLOBAL__N_19NonZeroOpIN3c104HalfEEEPKSK_lEENS0_5tupleIJPlS6_EEENSP_IJSD_SD_EEES6_PiJS6_EEE10hipError_tPvRmT3_T4_T5_T6_T7_T9_mT8_P12ihipStream_tbDpT10_ENKUlT_T0_E_clISt17integral_constantIbLb1EES1D_EEDaS18_S19_EUlS18_E_NS1_11comp_targetILNS1_3genE2ELNS1_11target_archE906ELNS1_3gpuE6ELNS1_3repE0EEENS1_30default_config_static_selectorELNS0_4arch9wavefront6targetE0EEEvT1_: ; @_ZN7rocprim17ROCPRIM_400000_NS6detail17trampoline_kernelINS0_14default_configENS1_25partition_config_selectorILNS1_17partition_subalgoE5ElNS0_10empty_typeEbEEZZNS1_14partition_implILS5_5ELb0ES3_mN6hipcub16HIPCUB_304000_NS21CountingInputIteratorIllEEPS6_NSA_22TransformInputIteratorIbN2at6native12_GLOBAL__N_19NonZeroOpIN3c104HalfEEEPKSK_lEENS0_5tupleIJPlS6_EEENSP_IJSD_SD_EEES6_PiJS6_EEE10hipError_tPvRmT3_T4_T5_T6_T7_T9_mT8_P12ihipStream_tbDpT10_ENKUlT_T0_E_clISt17integral_constantIbLb1EES1D_EEDaS18_S19_EUlS18_E_NS1_11comp_targetILNS1_3genE2ELNS1_11target_archE906ELNS1_3gpuE6ELNS1_3repE0EEENS1_30default_config_static_selectorELNS0_4arch9wavefront6targetE0EEEvT1_
; %bb.0:
	.section	.rodata,"a",@progbits
	.p2align	6, 0x0
	.amdhsa_kernel _ZN7rocprim17ROCPRIM_400000_NS6detail17trampoline_kernelINS0_14default_configENS1_25partition_config_selectorILNS1_17partition_subalgoE5ElNS0_10empty_typeEbEEZZNS1_14partition_implILS5_5ELb0ES3_mN6hipcub16HIPCUB_304000_NS21CountingInputIteratorIllEEPS6_NSA_22TransformInputIteratorIbN2at6native12_GLOBAL__N_19NonZeroOpIN3c104HalfEEEPKSK_lEENS0_5tupleIJPlS6_EEENSP_IJSD_SD_EEES6_PiJS6_EEE10hipError_tPvRmT3_T4_T5_T6_T7_T9_mT8_P12ihipStream_tbDpT10_ENKUlT_T0_E_clISt17integral_constantIbLb1EES1D_EEDaS18_S19_EUlS18_E_NS1_11comp_targetILNS1_3genE2ELNS1_11target_archE906ELNS1_3gpuE6ELNS1_3repE0EEENS1_30default_config_static_selectorELNS0_4arch9wavefront6targetE0EEEvT1_
		.amdhsa_group_segment_fixed_size 0
		.amdhsa_private_segment_fixed_size 0
		.amdhsa_kernarg_size 136
		.amdhsa_user_sgpr_count 2
		.amdhsa_user_sgpr_dispatch_ptr 0
		.amdhsa_user_sgpr_queue_ptr 0
		.amdhsa_user_sgpr_kernarg_segment_ptr 1
		.amdhsa_user_sgpr_dispatch_id 0
		.amdhsa_user_sgpr_private_segment_size 0
		.amdhsa_wavefront_size32 1
		.amdhsa_uses_dynamic_stack 0
		.amdhsa_enable_private_segment 0
		.amdhsa_system_sgpr_workgroup_id_x 1
		.amdhsa_system_sgpr_workgroup_id_y 0
		.amdhsa_system_sgpr_workgroup_id_z 0
		.amdhsa_system_sgpr_workgroup_info 0
		.amdhsa_system_vgpr_workitem_id 0
		.amdhsa_next_free_vgpr 1
		.amdhsa_next_free_sgpr 1
		.amdhsa_reserve_vcc 0
		.amdhsa_float_round_mode_32 0
		.amdhsa_float_round_mode_16_64 0
		.amdhsa_float_denorm_mode_32 3
		.amdhsa_float_denorm_mode_16_64 3
		.amdhsa_fp16_overflow 0
		.amdhsa_workgroup_processor_mode 1
		.amdhsa_memory_ordered 1
		.amdhsa_forward_progress 1
		.amdhsa_inst_pref_size 0
		.amdhsa_round_robin_scheduling 0
		.amdhsa_exception_fp_ieee_invalid_op 0
		.amdhsa_exception_fp_denorm_src 0
		.amdhsa_exception_fp_ieee_div_zero 0
		.amdhsa_exception_fp_ieee_overflow 0
		.amdhsa_exception_fp_ieee_underflow 0
		.amdhsa_exception_fp_ieee_inexact 0
		.amdhsa_exception_int_div_zero 0
	.end_amdhsa_kernel
	.section	.text._ZN7rocprim17ROCPRIM_400000_NS6detail17trampoline_kernelINS0_14default_configENS1_25partition_config_selectorILNS1_17partition_subalgoE5ElNS0_10empty_typeEbEEZZNS1_14partition_implILS5_5ELb0ES3_mN6hipcub16HIPCUB_304000_NS21CountingInputIteratorIllEEPS6_NSA_22TransformInputIteratorIbN2at6native12_GLOBAL__N_19NonZeroOpIN3c104HalfEEEPKSK_lEENS0_5tupleIJPlS6_EEENSP_IJSD_SD_EEES6_PiJS6_EEE10hipError_tPvRmT3_T4_T5_T6_T7_T9_mT8_P12ihipStream_tbDpT10_ENKUlT_T0_E_clISt17integral_constantIbLb1EES1D_EEDaS18_S19_EUlS18_E_NS1_11comp_targetILNS1_3genE2ELNS1_11target_archE906ELNS1_3gpuE6ELNS1_3repE0EEENS1_30default_config_static_selectorELNS0_4arch9wavefront6targetE0EEEvT1_,"axG",@progbits,_ZN7rocprim17ROCPRIM_400000_NS6detail17trampoline_kernelINS0_14default_configENS1_25partition_config_selectorILNS1_17partition_subalgoE5ElNS0_10empty_typeEbEEZZNS1_14partition_implILS5_5ELb0ES3_mN6hipcub16HIPCUB_304000_NS21CountingInputIteratorIllEEPS6_NSA_22TransformInputIteratorIbN2at6native12_GLOBAL__N_19NonZeroOpIN3c104HalfEEEPKSK_lEENS0_5tupleIJPlS6_EEENSP_IJSD_SD_EEES6_PiJS6_EEE10hipError_tPvRmT3_T4_T5_T6_T7_T9_mT8_P12ihipStream_tbDpT10_ENKUlT_T0_E_clISt17integral_constantIbLb1EES1D_EEDaS18_S19_EUlS18_E_NS1_11comp_targetILNS1_3genE2ELNS1_11target_archE906ELNS1_3gpuE6ELNS1_3repE0EEENS1_30default_config_static_selectorELNS0_4arch9wavefront6targetE0EEEvT1_,comdat
.Lfunc_end878:
	.size	_ZN7rocprim17ROCPRIM_400000_NS6detail17trampoline_kernelINS0_14default_configENS1_25partition_config_selectorILNS1_17partition_subalgoE5ElNS0_10empty_typeEbEEZZNS1_14partition_implILS5_5ELb0ES3_mN6hipcub16HIPCUB_304000_NS21CountingInputIteratorIllEEPS6_NSA_22TransformInputIteratorIbN2at6native12_GLOBAL__N_19NonZeroOpIN3c104HalfEEEPKSK_lEENS0_5tupleIJPlS6_EEENSP_IJSD_SD_EEES6_PiJS6_EEE10hipError_tPvRmT3_T4_T5_T6_T7_T9_mT8_P12ihipStream_tbDpT10_ENKUlT_T0_E_clISt17integral_constantIbLb1EES1D_EEDaS18_S19_EUlS18_E_NS1_11comp_targetILNS1_3genE2ELNS1_11target_archE906ELNS1_3gpuE6ELNS1_3repE0EEENS1_30default_config_static_selectorELNS0_4arch9wavefront6targetE0EEEvT1_, .Lfunc_end878-_ZN7rocprim17ROCPRIM_400000_NS6detail17trampoline_kernelINS0_14default_configENS1_25partition_config_selectorILNS1_17partition_subalgoE5ElNS0_10empty_typeEbEEZZNS1_14partition_implILS5_5ELb0ES3_mN6hipcub16HIPCUB_304000_NS21CountingInputIteratorIllEEPS6_NSA_22TransformInputIteratorIbN2at6native12_GLOBAL__N_19NonZeroOpIN3c104HalfEEEPKSK_lEENS0_5tupleIJPlS6_EEENSP_IJSD_SD_EEES6_PiJS6_EEE10hipError_tPvRmT3_T4_T5_T6_T7_T9_mT8_P12ihipStream_tbDpT10_ENKUlT_T0_E_clISt17integral_constantIbLb1EES1D_EEDaS18_S19_EUlS18_E_NS1_11comp_targetILNS1_3genE2ELNS1_11target_archE906ELNS1_3gpuE6ELNS1_3repE0EEENS1_30default_config_static_selectorELNS0_4arch9wavefront6targetE0EEEvT1_
                                        ; -- End function
	.set _ZN7rocprim17ROCPRIM_400000_NS6detail17trampoline_kernelINS0_14default_configENS1_25partition_config_selectorILNS1_17partition_subalgoE5ElNS0_10empty_typeEbEEZZNS1_14partition_implILS5_5ELb0ES3_mN6hipcub16HIPCUB_304000_NS21CountingInputIteratorIllEEPS6_NSA_22TransformInputIteratorIbN2at6native12_GLOBAL__N_19NonZeroOpIN3c104HalfEEEPKSK_lEENS0_5tupleIJPlS6_EEENSP_IJSD_SD_EEES6_PiJS6_EEE10hipError_tPvRmT3_T4_T5_T6_T7_T9_mT8_P12ihipStream_tbDpT10_ENKUlT_T0_E_clISt17integral_constantIbLb1EES1D_EEDaS18_S19_EUlS18_E_NS1_11comp_targetILNS1_3genE2ELNS1_11target_archE906ELNS1_3gpuE6ELNS1_3repE0EEENS1_30default_config_static_selectorELNS0_4arch9wavefront6targetE0EEEvT1_.num_vgpr, 0
	.set _ZN7rocprim17ROCPRIM_400000_NS6detail17trampoline_kernelINS0_14default_configENS1_25partition_config_selectorILNS1_17partition_subalgoE5ElNS0_10empty_typeEbEEZZNS1_14partition_implILS5_5ELb0ES3_mN6hipcub16HIPCUB_304000_NS21CountingInputIteratorIllEEPS6_NSA_22TransformInputIteratorIbN2at6native12_GLOBAL__N_19NonZeroOpIN3c104HalfEEEPKSK_lEENS0_5tupleIJPlS6_EEENSP_IJSD_SD_EEES6_PiJS6_EEE10hipError_tPvRmT3_T4_T5_T6_T7_T9_mT8_P12ihipStream_tbDpT10_ENKUlT_T0_E_clISt17integral_constantIbLb1EES1D_EEDaS18_S19_EUlS18_E_NS1_11comp_targetILNS1_3genE2ELNS1_11target_archE906ELNS1_3gpuE6ELNS1_3repE0EEENS1_30default_config_static_selectorELNS0_4arch9wavefront6targetE0EEEvT1_.num_agpr, 0
	.set _ZN7rocprim17ROCPRIM_400000_NS6detail17trampoline_kernelINS0_14default_configENS1_25partition_config_selectorILNS1_17partition_subalgoE5ElNS0_10empty_typeEbEEZZNS1_14partition_implILS5_5ELb0ES3_mN6hipcub16HIPCUB_304000_NS21CountingInputIteratorIllEEPS6_NSA_22TransformInputIteratorIbN2at6native12_GLOBAL__N_19NonZeroOpIN3c104HalfEEEPKSK_lEENS0_5tupleIJPlS6_EEENSP_IJSD_SD_EEES6_PiJS6_EEE10hipError_tPvRmT3_T4_T5_T6_T7_T9_mT8_P12ihipStream_tbDpT10_ENKUlT_T0_E_clISt17integral_constantIbLb1EES1D_EEDaS18_S19_EUlS18_E_NS1_11comp_targetILNS1_3genE2ELNS1_11target_archE906ELNS1_3gpuE6ELNS1_3repE0EEENS1_30default_config_static_selectorELNS0_4arch9wavefront6targetE0EEEvT1_.numbered_sgpr, 0
	.set _ZN7rocprim17ROCPRIM_400000_NS6detail17trampoline_kernelINS0_14default_configENS1_25partition_config_selectorILNS1_17partition_subalgoE5ElNS0_10empty_typeEbEEZZNS1_14partition_implILS5_5ELb0ES3_mN6hipcub16HIPCUB_304000_NS21CountingInputIteratorIllEEPS6_NSA_22TransformInputIteratorIbN2at6native12_GLOBAL__N_19NonZeroOpIN3c104HalfEEEPKSK_lEENS0_5tupleIJPlS6_EEENSP_IJSD_SD_EEES6_PiJS6_EEE10hipError_tPvRmT3_T4_T5_T6_T7_T9_mT8_P12ihipStream_tbDpT10_ENKUlT_T0_E_clISt17integral_constantIbLb1EES1D_EEDaS18_S19_EUlS18_E_NS1_11comp_targetILNS1_3genE2ELNS1_11target_archE906ELNS1_3gpuE6ELNS1_3repE0EEENS1_30default_config_static_selectorELNS0_4arch9wavefront6targetE0EEEvT1_.num_named_barrier, 0
	.set _ZN7rocprim17ROCPRIM_400000_NS6detail17trampoline_kernelINS0_14default_configENS1_25partition_config_selectorILNS1_17partition_subalgoE5ElNS0_10empty_typeEbEEZZNS1_14partition_implILS5_5ELb0ES3_mN6hipcub16HIPCUB_304000_NS21CountingInputIteratorIllEEPS6_NSA_22TransformInputIteratorIbN2at6native12_GLOBAL__N_19NonZeroOpIN3c104HalfEEEPKSK_lEENS0_5tupleIJPlS6_EEENSP_IJSD_SD_EEES6_PiJS6_EEE10hipError_tPvRmT3_T4_T5_T6_T7_T9_mT8_P12ihipStream_tbDpT10_ENKUlT_T0_E_clISt17integral_constantIbLb1EES1D_EEDaS18_S19_EUlS18_E_NS1_11comp_targetILNS1_3genE2ELNS1_11target_archE906ELNS1_3gpuE6ELNS1_3repE0EEENS1_30default_config_static_selectorELNS0_4arch9wavefront6targetE0EEEvT1_.private_seg_size, 0
	.set _ZN7rocprim17ROCPRIM_400000_NS6detail17trampoline_kernelINS0_14default_configENS1_25partition_config_selectorILNS1_17partition_subalgoE5ElNS0_10empty_typeEbEEZZNS1_14partition_implILS5_5ELb0ES3_mN6hipcub16HIPCUB_304000_NS21CountingInputIteratorIllEEPS6_NSA_22TransformInputIteratorIbN2at6native12_GLOBAL__N_19NonZeroOpIN3c104HalfEEEPKSK_lEENS0_5tupleIJPlS6_EEENSP_IJSD_SD_EEES6_PiJS6_EEE10hipError_tPvRmT3_T4_T5_T6_T7_T9_mT8_P12ihipStream_tbDpT10_ENKUlT_T0_E_clISt17integral_constantIbLb1EES1D_EEDaS18_S19_EUlS18_E_NS1_11comp_targetILNS1_3genE2ELNS1_11target_archE906ELNS1_3gpuE6ELNS1_3repE0EEENS1_30default_config_static_selectorELNS0_4arch9wavefront6targetE0EEEvT1_.uses_vcc, 0
	.set _ZN7rocprim17ROCPRIM_400000_NS6detail17trampoline_kernelINS0_14default_configENS1_25partition_config_selectorILNS1_17partition_subalgoE5ElNS0_10empty_typeEbEEZZNS1_14partition_implILS5_5ELb0ES3_mN6hipcub16HIPCUB_304000_NS21CountingInputIteratorIllEEPS6_NSA_22TransformInputIteratorIbN2at6native12_GLOBAL__N_19NonZeroOpIN3c104HalfEEEPKSK_lEENS0_5tupleIJPlS6_EEENSP_IJSD_SD_EEES6_PiJS6_EEE10hipError_tPvRmT3_T4_T5_T6_T7_T9_mT8_P12ihipStream_tbDpT10_ENKUlT_T0_E_clISt17integral_constantIbLb1EES1D_EEDaS18_S19_EUlS18_E_NS1_11comp_targetILNS1_3genE2ELNS1_11target_archE906ELNS1_3gpuE6ELNS1_3repE0EEENS1_30default_config_static_selectorELNS0_4arch9wavefront6targetE0EEEvT1_.uses_flat_scratch, 0
	.set _ZN7rocprim17ROCPRIM_400000_NS6detail17trampoline_kernelINS0_14default_configENS1_25partition_config_selectorILNS1_17partition_subalgoE5ElNS0_10empty_typeEbEEZZNS1_14partition_implILS5_5ELb0ES3_mN6hipcub16HIPCUB_304000_NS21CountingInputIteratorIllEEPS6_NSA_22TransformInputIteratorIbN2at6native12_GLOBAL__N_19NonZeroOpIN3c104HalfEEEPKSK_lEENS0_5tupleIJPlS6_EEENSP_IJSD_SD_EEES6_PiJS6_EEE10hipError_tPvRmT3_T4_T5_T6_T7_T9_mT8_P12ihipStream_tbDpT10_ENKUlT_T0_E_clISt17integral_constantIbLb1EES1D_EEDaS18_S19_EUlS18_E_NS1_11comp_targetILNS1_3genE2ELNS1_11target_archE906ELNS1_3gpuE6ELNS1_3repE0EEENS1_30default_config_static_selectorELNS0_4arch9wavefront6targetE0EEEvT1_.has_dyn_sized_stack, 0
	.set _ZN7rocprim17ROCPRIM_400000_NS6detail17trampoline_kernelINS0_14default_configENS1_25partition_config_selectorILNS1_17partition_subalgoE5ElNS0_10empty_typeEbEEZZNS1_14partition_implILS5_5ELb0ES3_mN6hipcub16HIPCUB_304000_NS21CountingInputIteratorIllEEPS6_NSA_22TransformInputIteratorIbN2at6native12_GLOBAL__N_19NonZeroOpIN3c104HalfEEEPKSK_lEENS0_5tupleIJPlS6_EEENSP_IJSD_SD_EEES6_PiJS6_EEE10hipError_tPvRmT3_T4_T5_T6_T7_T9_mT8_P12ihipStream_tbDpT10_ENKUlT_T0_E_clISt17integral_constantIbLb1EES1D_EEDaS18_S19_EUlS18_E_NS1_11comp_targetILNS1_3genE2ELNS1_11target_archE906ELNS1_3gpuE6ELNS1_3repE0EEENS1_30default_config_static_selectorELNS0_4arch9wavefront6targetE0EEEvT1_.has_recursion, 0
	.set _ZN7rocprim17ROCPRIM_400000_NS6detail17trampoline_kernelINS0_14default_configENS1_25partition_config_selectorILNS1_17partition_subalgoE5ElNS0_10empty_typeEbEEZZNS1_14partition_implILS5_5ELb0ES3_mN6hipcub16HIPCUB_304000_NS21CountingInputIteratorIllEEPS6_NSA_22TransformInputIteratorIbN2at6native12_GLOBAL__N_19NonZeroOpIN3c104HalfEEEPKSK_lEENS0_5tupleIJPlS6_EEENSP_IJSD_SD_EEES6_PiJS6_EEE10hipError_tPvRmT3_T4_T5_T6_T7_T9_mT8_P12ihipStream_tbDpT10_ENKUlT_T0_E_clISt17integral_constantIbLb1EES1D_EEDaS18_S19_EUlS18_E_NS1_11comp_targetILNS1_3genE2ELNS1_11target_archE906ELNS1_3gpuE6ELNS1_3repE0EEENS1_30default_config_static_selectorELNS0_4arch9wavefront6targetE0EEEvT1_.has_indirect_call, 0
	.section	.AMDGPU.csdata,"",@progbits
; Kernel info:
; codeLenInByte = 0
; TotalNumSgprs: 0
; NumVgprs: 0
; ScratchSize: 0
; MemoryBound: 0
; FloatMode: 240
; IeeeMode: 1
; LDSByteSize: 0 bytes/workgroup (compile time only)
; SGPRBlocks: 0
; VGPRBlocks: 0
; NumSGPRsForWavesPerEU: 1
; NumVGPRsForWavesPerEU: 1
; Occupancy: 16
; WaveLimiterHint : 0
; COMPUTE_PGM_RSRC2:SCRATCH_EN: 0
; COMPUTE_PGM_RSRC2:USER_SGPR: 2
; COMPUTE_PGM_RSRC2:TRAP_HANDLER: 0
; COMPUTE_PGM_RSRC2:TGID_X_EN: 1
; COMPUTE_PGM_RSRC2:TGID_Y_EN: 0
; COMPUTE_PGM_RSRC2:TGID_Z_EN: 0
; COMPUTE_PGM_RSRC2:TIDIG_COMP_CNT: 0
	.section	.text._ZN7rocprim17ROCPRIM_400000_NS6detail17trampoline_kernelINS0_14default_configENS1_25partition_config_selectorILNS1_17partition_subalgoE5ElNS0_10empty_typeEbEEZZNS1_14partition_implILS5_5ELb0ES3_mN6hipcub16HIPCUB_304000_NS21CountingInputIteratorIllEEPS6_NSA_22TransformInputIteratorIbN2at6native12_GLOBAL__N_19NonZeroOpIN3c104HalfEEEPKSK_lEENS0_5tupleIJPlS6_EEENSP_IJSD_SD_EEES6_PiJS6_EEE10hipError_tPvRmT3_T4_T5_T6_T7_T9_mT8_P12ihipStream_tbDpT10_ENKUlT_T0_E_clISt17integral_constantIbLb1EES1D_EEDaS18_S19_EUlS18_E_NS1_11comp_targetILNS1_3genE10ELNS1_11target_archE1200ELNS1_3gpuE4ELNS1_3repE0EEENS1_30default_config_static_selectorELNS0_4arch9wavefront6targetE0EEEvT1_,"axG",@progbits,_ZN7rocprim17ROCPRIM_400000_NS6detail17trampoline_kernelINS0_14default_configENS1_25partition_config_selectorILNS1_17partition_subalgoE5ElNS0_10empty_typeEbEEZZNS1_14partition_implILS5_5ELb0ES3_mN6hipcub16HIPCUB_304000_NS21CountingInputIteratorIllEEPS6_NSA_22TransformInputIteratorIbN2at6native12_GLOBAL__N_19NonZeroOpIN3c104HalfEEEPKSK_lEENS0_5tupleIJPlS6_EEENSP_IJSD_SD_EEES6_PiJS6_EEE10hipError_tPvRmT3_T4_T5_T6_T7_T9_mT8_P12ihipStream_tbDpT10_ENKUlT_T0_E_clISt17integral_constantIbLb1EES1D_EEDaS18_S19_EUlS18_E_NS1_11comp_targetILNS1_3genE10ELNS1_11target_archE1200ELNS1_3gpuE4ELNS1_3repE0EEENS1_30default_config_static_selectorELNS0_4arch9wavefront6targetE0EEEvT1_,comdat
	.globl	_ZN7rocprim17ROCPRIM_400000_NS6detail17trampoline_kernelINS0_14default_configENS1_25partition_config_selectorILNS1_17partition_subalgoE5ElNS0_10empty_typeEbEEZZNS1_14partition_implILS5_5ELb0ES3_mN6hipcub16HIPCUB_304000_NS21CountingInputIteratorIllEEPS6_NSA_22TransformInputIteratorIbN2at6native12_GLOBAL__N_19NonZeroOpIN3c104HalfEEEPKSK_lEENS0_5tupleIJPlS6_EEENSP_IJSD_SD_EEES6_PiJS6_EEE10hipError_tPvRmT3_T4_T5_T6_T7_T9_mT8_P12ihipStream_tbDpT10_ENKUlT_T0_E_clISt17integral_constantIbLb1EES1D_EEDaS18_S19_EUlS18_E_NS1_11comp_targetILNS1_3genE10ELNS1_11target_archE1200ELNS1_3gpuE4ELNS1_3repE0EEENS1_30default_config_static_selectorELNS0_4arch9wavefront6targetE0EEEvT1_ ; -- Begin function _ZN7rocprim17ROCPRIM_400000_NS6detail17trampoline_kernelINS0_14default_configENS1_25partition_config_selectorILNS1_17partition_subalgoE5ElNS0_10empty_typeEbEEZZNS1_14partition_implILS5_5ELb0ES3_mN6hipcub16HIPCUB_304000_NS21CountingInputIteratorIllEEPS6_NSA_22TransformInputIteratorIbN2at6native12_GLOBAL__N_19NonZeroOpIN3c104HalfEEEPKSK_lEENS0_5tupleIJPlS6_EEENSP_IJSD_SD_EEES6_PiJS6_EEE10hipError_tPvRmT3_T4_T5_T6_T7_T9_mT8_P12ihipStream_tbDpT10_ENKUlT_T0_E_clISt17integral_constantIbLb1EES1D_EEDaS18_S19_EUlS18_E_NS1_11comp_targetILNS1_3genE10ELNS1_11target_archE1200ELNS1_3gpuE4ELNS1_3repE0EEENS1_30default_config_static_selectorELNS0_4arch9wavefront6targetE0EEEvT1_
	.p2align	8
	.type	_ZN7rocprim17ROCPRIM_400000_NS6detail17trampoline_kernelINS0_14default_configENS1_25partition_config_selectorILNS1_17partition_subalgoE5ElNS0_10empty_typeEbEEZZNS1_14partition_implILS5_5ELb0ES3_mN6hipcub16HIPCUB_304000_NS21CountingInputIteratorIllEEPS6_NSA_22TransformInputIteratorIbN2at6native12_GLOBAL__N_19NonZeroOpIN3c104HalfEEEPKSK_lEENS0_5tupleIJPlS6_EEENSP_IJSD_SD_EEES6_PiJS6_EEE10hipError_tPvRmT3_T4_T5_T6_T7_T9_mT8_P12ihipStream_tbDpT10_ENKUlT_T0_E_clISt17integral_constantIbLb1EES1D_EEDaS18_S19_EUlS18_E_NS1_11comp_targetILNS1_3genE10ELNS1_11target_archE1200ELNS1_3gpuE4ELNS1_3repE0EEENS1_30default_config_static_selectorELNS0_4arch9wavefront6targetE0EEEvT1_,@function
_ZN7rocprim17ROCPRIM_400000_NS6detail17trampoline_kernelINS0_14default_configENS1_25partition_config_selectorILNS1_17partition_subalgoE5ElNS0_10empty_typeEbEEZZNS1_14partition_implILS5_5ELb0ES3_mN6hipcub16HIPCUB_304000_NS21CountingInputIteratorIllEEPS6_NSA_22TransformInputIteratorIbN2at6native12_GLOBAL__N_19NonZeroOpIN3c104HalfEEEPKSK_lEENS0_5tupleIJPlS6_EEENSP_IJSD_SD_EEES6_PiJS6_EEE10hipError_tPvRmT3_T4_T5_T6_T7_T9_mT8_P12ihipStream_tbDpT10_ENKUlT_T0_E_clISt17integral_constantIbLb1EES1D_EEDaS18_S19_EUlS18_E_NS1_11comp_targetILNS1_3genE10ELNS1_11target_archE1200ELNS1_3gpuE4ELNS1_3repE0EEENS1_30default_config_static_selectorELNS0_4arch9wavefront6targetE0EEEvT1_: ; @_ZN7rocprim17ROCPRIM_400000_NS6detail17trampoline_kernelINS0_14default_configENS1_25partition_config_selectorILNS1_17partition_subalgoE5ElNS0_10empty_typeEbEEZZNS1_14partition_implILS5_5ELb0ES3_mN6hipcub16HIPCUB_304000_NS21CountingInputIteratorIllEEPS6_NSA_22TransformInputIteratorIbN2at6native12_GLOBAL__N_19NonZeroOpIN3c104HalfEEEPKSK_lEENS0_5tupleIJPlS6_EEENSP_IJSD_SD_EEES6_PiJS6_EEE10hipError_tPvRmT3_T4_T5_T6_T7_T9_mT8_P12ihipStream_tbDpT10_ENKUlT_T0_E_clISt17integral_constantIbLb1EES1D_EEDaS18_S19_EUlS18_E_NS1_11comp_targetILNS1_3genE10ELNS1_11target_archE1200ELNS1_3gpuE4ELNS1_3repE0EEENS1_30default_config_static_selectorELNS0_4arch9wavefront6targetE0EEEvT1_
; %bb.0:
	s_endpgm
	.section	.rodata,"a",@progbits
	.p2align	6, 0x0
	.amdhsa_kernel _ZN7rocprim17ROCPRIM_400000_NS6detail17trampoline_kernelINS0_14default_configENS1_25partition_config_selectorILNS1_17partition_subalgoE5ElNS0_10empty_typeEbEEZZNS1_14partition_implILS5_5ELb0ES3_mN6hipcub16HIPCUB_304000_NS21CountingInputIteratorIllEEPS6_NSA_22TransformInputIteratorIbN2at6native12_GLOBAL__N_19NonZeroOpIN3c104HalfEEEPKSK_lEENS0_5tupleIJPlS6_EEENSP_IJSD_SD_EEES6_PiJS6_EEE10hipError_tPvRmT3_T4_T5_T6_T7_T9_mT8_P12ihipStream_tbDpT10_ENKUlT_T0_E_clISt17integral_constantIbLb1EES1D_EEDaS18_S19_EUlS18_E_NS1_11comp_targetILNS1_3genE10ELNS1_11target_archE1200ELNS1_3gpuE4ELNS1_3repE0EEENS1_30default_config_static_selectorELNS0_4arch9wavefront6targetE0EEEvT1_
		.amdhsa_group_segment_fixed_size 0
		.amdhsa_private_segment_fixed_size 0
		.amdhsa_kernarg_size 136
		.amdhsa_user_sgpr_count 2
		.amdhsa_user_sgpr_dispatch_ptr 0
		.amdhsa_user_sgpr_queue_ptr 0
		.amdhsa_user_sgpr_kernarg_segment_ptr 1
		.amdhsa_user_sgpr_dispatch_id 0
		.amdhsa_user_sgpr_private_segment_size 0
		.amdhsa_wavefront_size32 1
		.amdhsa_uses_dynamic_stack 0
		.amdhsa_enable_private_segment 0
		.amdhsa_system_sgpr_workgroup_id_x 1
		.amdhsa_system_sgpr_workgroup_id_y 0
		.amdhsa_system_sgpr_workgroup_id_z 0
		.amdhsa_system_sgpr_workgroup_info 0
		.amdhsa_system_vgpr_workitem_id 0
		.amdhsa_next_free_vgpr 1
		.amdhsa_next_free_sgpr 1
		.amdhsa_reserve_vcc 0
		.amdhsa_float_round_mode_32 0
		.amdhsa_float_round_mode_16_64 0
		.amdhsa_float_denorm_mode_32 3
		.amdhsa_float_denorm_mode_16_64 3
		.amdhsa_fp16_overflow 0
		.amdhsa_workgroup_processor_mode 1
		.amdhsa_memory_ordered 1
		.amdhsa_forward_progress 1
		.amdhsa_inst_pref_size 1
		.amdhsa_round_robin_scheduling 0
		.amdhsa_exception_fp_ieee_invalid_op 0
		.amdhsa_exception_fp_denorm_src 0
		.amdhsa_exception_fp_ieee_div_zero 0
		.amdhsa_exception_fp_ieee_overflow 0
		.amdhsa_exception_fp_ieee_underflow 0
		.amdhsa_exception_fp_ieee_inexact 0
		.amdhsa_exception_int_div_zero 0
	.end_amdhsa_kernel
	.section	.text._ZN7rocprim17ROCPRIM_400000_NS6detail17trampoline_kernelINS0_14default_configENS1_25partition_config_selectorILNS1_17partition_subalgoE5ElNS0_10empty_typeEbEEZZNS1_14partition_implILS5_5ELb0ES3_mN6hipcub16HIPCUB_304000_NS21CountingInputIteratorIllEEPS6_NSA_22TransformInputIteratorIbN2at6native12_GLOBAL__N_19NonZeroOpIN3c104HalfEEEPKSK_lEENS0_5tupleIJPlS6_EEENSP_IJSD_SD_EEES6_PiJS6_EEE10hipError_tPvRmT3_T4_T5_T6_T7_T9_mT8_P12ihipStream_tbDpT10_ENKUlT_T0_E_clISt17integral_constantIbLb1EES1D_EEDaS18_S19_EUlS18_E_NS1_11comp_targetILNS1_3genE10ELNS1_11target_archE1200ELNS1_3gpuE4ELNS1_3repE0EEENS1_30default_config_static_selectorELNS0_4arch9wavefront6targetE0EEEvT1_,"axG",@progbits,_ZN7rocprim17ROCPRIM_400000_NS6detail17trampoline_kernelINS0_14default_configENS1_25partition_config_selectorILNS1_17partition_subalgoE5ElNS0_10empty_typeEbEEZZNS1_14partition_implILS5_5ELb0ES3_mN6hipcub16HIPCUB_304000_NS21CountingInputIteratorIllEEPS6_NSA_22TransformInputIteratorIbN2at6native12_GLOBAL__N_19NonZeroOpIN3c104HalfEEEPKSK_lEENS0_5tupleIJPlS6_EEENSP_IJSD_SD_EEES6_PiJS6_EEE10hipError_tPvRmT3_T4_T5_T6_T7_T9_mT8_P12ihipStream_tbDpT10_ENKUlT_T0_E_clISt17integral_constantIbLb1EES1D_EEDaS18_S19_EUlS18_E_NS1_11comp_targetILNS1_3genE10ELNS1_11target_archE1200ELNS1_3gpuE4ELNS1_3repE0EEENS1_30default_config_static_selectorELNS0_4arch9wavefront6targetE0EEEvT1_,comdat
.Lfunc_end879:
	.size	_ZN7rocprim17ROCPRIM_400000_NS6detail17trampoline_kernelINS0_14default_configENS1_25partition_config_selectorILNS1_17partition_subalgoE5ElNS0_10empty_typeEbEEZZNS1_14partition_implILS5_5ELb0ES3_mN6hipcub16HIPCUB_304000_NS21CountingInputIteratorIllEEPS6_NSA_22TransformInputIteratorIbN2at6native12_GLOBAL__N_19NonZeroOpIN3c104HalfEEEPKSK_lEENS0_5tupleIJPlS6_EEENSP_IJSD_SD_EEES6_PiJS6_EEE10hipError_tPvRmT3_T4_T5_T6_T7_T9_mT8_P12ihipStream_tbDpT10_ENKUlT_T0_E_clISt17integral_constantIbLb1EES1D_EEDaS18_S19_EUlS18_E_NS1_11comp_targetILNS1_3genE10ELNS1_11target_archE1200ELNS1_3gpuE4ELNS1_3repE0EEENS1_30default_config_static_selectorELNS0_4arch9wavefront6targetE0EEEvT1_, .Lfunc_end879-_ZN7rocprim17ROCPRIM_400000_NS6detail17trampoline_kernelINS0_14default_configENS1_25partition_config_selectorILNS1_17partition_subalgoE5ElNS0_10empty_typeEbEEZZNS1_14partition_implILS5_5ELb0ES3_mN6hipcub16HIPCUB_304000_NS21CountingInputIteratorIllEEPS6_NSA_22TransformInputIteratorIbN2at6native12_GLOBAL__N_19NonZeroOpIN3c104HalfEEEPKSK_lEENS0_5tupleIJPlS6_EEENSP_IJSD_SD_EEES6_PiJS6_EEE10hipError_tPvRmT3_T4_T5_T6_T7_T9_mT8_P12ihipStream_tbDpT10_ENKUlT_T0_E_clISt17integral_constantIbLb1EES1D_EEDaS18_S19_EUlS18_E_NS1_11comp_targetILNS1_3genE10ELNS1_11target_archE1200ELNS1_3gpuE4ELNS1_3repE0EEENS1_30default_config_static_selectorELNS0_4arch9wavefront6targetE0EEEvT1_
                                        ; -- End function
	.set _ZN7rocprim17ROCPRIM_400000_NS6detail17trampoline_kernelINS0_14default_configENS1_25partition_config_selectorILNS1_17partition_subalgoE5ElNS0_10empty_typeEbEEZZNS1_14partition_implILS5_5ELb0ES3_mN6hipcub16HIPCUB_304000_NS21CountingInputIteratorIllEEPS6_NSA_22TransformInputIteratorIbN2at6native12_GLOBAL__N_19NonZeroOpIN3c104HalfEEEPKSK_lEENS0_5tupleIJPlS6_EEENSP_IJSD_SD_EEES6_PiJS6_EEE10hipError_tPvRmT3_T4_T5_T6_T7_T9_mT8_P12ihipStream_tbDpT10_ENKUlT_T0_E_clISt17integral_constantIbLb1EES1D_EEDaS18_S19_EUlS18_E_NS1_11comp_targetILNS1_3genE10ELNS1_11target_archE1200ELNS1_3gpuE4ELNS1_3repE0EEENS1_30default_config_static_selectorELNS0_4arch9wavefront6targetE0EEEvT1_.num_vgpr, 0
	.set _ZN7rocprim17ROCPRIM_400000_NS6detail17trampoline_kernelINS0_14default_configENS1_25partition_config_selectorILNS1_17partition_subalgoE5ElNS0_10empty_typeEbEEZZNS1_14partition_implILS5_5ELb0ES3_mN6hipcub16HIPCUB_304000_NS21CountingInputIteratorIllEEPS6_NSA_22TransformInputIteratorIbN2at6native12_GLOBAL__N_19NonZeroOpIN3c104HalfEEEPKSK_lEENS0_5tupleIJPlS6_EEENSP_IJSD_SD_EEES6_PiJS6_EEE10hipError_tPvRmT3_T4_T5_T6_T7_T9_mT8_P12ihipStream_tbDpT10_ENKUlT_T0_E_clISt17integral_constantIbLb1EES1D_EEDaS18_S19_EUlS18_E_NS1_11comp_targetILNS1_3genE10ELNS1_11target_archE1200ELNS1_3gpuE4ELNS1_3repE0EEENS1_30default_config_static_selectorELNS0_4arch9wavefront6targetE0EEEvT1_.num_agpr, 0
	.set _ZN7rocprim17ROCPRIM_400000_NS6detail17trampoline_kernelINS0_14default_configENS1_25partition_config_selectorILNS1_17partition_subalgoE5ElNS0_10empty_typeEbEEZZNS1_14partition_implILS5_5ELb0ES3_mN6hipcub16HIPCUB_304000_NS21CountingInputIteratorIllEEPS6_NSA_22TransformInputIteratorIbN2at6native12_GLOBAL__N_19NonZeroOpIN3c104HalfEEEPKSK_lEENS0_5tupleIJPlS6_EEENSP_IJSD_SD_EEES6_PiJS6_EEE10hipError_tPvRmT3_T4_T5_T6_T7_T9_mT8_P12ihipStream_tbDpT10_ENKUlT_T0_E_clISt17integral_constantIbLb1EES1D_EEDaS18_S19_EUlS18_E_NS1_11comp_targetILNS1_3genE10ELNS1_11target_archE1200ELNS1_3gpuE4ELNS1_3repE0EEENS1_30default_config_static_selectorELNS0_4arch9wavefront6targetE0EEEvT1_.numbered_sgpr, 0
	.set _ZN7rocprim17ROCPRIM_400000_NS6detail17trampoline_kernelINS0_14default_configENS1_25partition_config_selectorILNS1_17partition_subalgoE5ElNS0_10empty_typeEbEEZZNS1_14partition_implILS5_5ELb0ES3_mN6hipcub16HIPCUB_304000_NS21CountingInputIteratorIllEEPS6_NSA_22TransformInputIteratorIbN2at6native12_GLOBAL__N_19NonZeroOpIN3c104HalfEEEPKSK_lEENS0_5tupleIJPlS6_EEENSP_IJSD_SD_EEES6_PiJS6_EEE10hipError_tPvRmT3_T4_T5_T6_T7_T9_mT8_P12ihipStream_tbDpT10_ENKUlT_T0_E_clISt17integral_constantIbLb1EES1D_EEDaS18_S19_EUlS18_E_NS1_11comp_targetILNS1_3genE10ELNS1_11target_archE1200ELNS1_3gpuE4ELNS1_3repE0EEENS1_30default_config_static_selectorELNS0_4arch9wavefront6targetE0EEEvT1_.num_named_barrier, 0
	.set _ZN7rocprim17ROCPRIM_400000_NS6detail17trampoline_kernelINS0_14default_configENS1_25partition_config_selectorILNS1_17partition_subalgoE5ElNS0_10empty_typeEbEEZZNS1_14partition_implILS5_5ELb0ES3_mN6hipcub16HIPCUB_304000_NS21CountingInputIteratorIllEEPS6_NSA_22TransformInputIteratorIbN2at6native12_GLOBAL__N_19NonZeroOpIN3c104HalfEEEPKSK_lEENS0_5tupleIJPlS6_EEENSP_IJSD_SD_EEES6_PiJS6_EEE10hipError_tPvRmT3_T4_T5_T6_T7_T9_mT8_P12ihipStream_tbDpT10_ENKUlT_T0_E_clISt17integral_constantIbLb1EES1D_EEDaS18_S19_EUlS18_E_NS1_11comp_targetILNS1_3genE10ELNS1_11target_archE1200ELNS1_3gpuE4ELNS1_3repE0EEENS1_30default_config_static_selectorELNS0_4arch9wavefront6targetE0EEEvT1_.private_seg_size, 0
	.set _ZN7rocprim17ROCPRIM_400000_NS6detail17trampoline_kernelINS0_14default_configENS1_25partition_config_selectorILNS1_17partition_subalgoE5ElNS0_10empty_typeEbEEZZNS1_14partition_implILS5_5ELb0ES3_mN6hipcub16HIPCUB_304000_NS21CountingInputIteratorIllEEPS6_NSA_22TransformInputIteratorIbN2at6native12_GLOBAL__N_19NonZeroOpIN3c104HalfEEEPKSK_lEENS0_5tupleIJPlS6_EEENSP_IJSD_SD_EEES6_PiJS6_EEE10hipError_tPvRmT3_T4_T5_T6_T7_T9_mT8_P12ihipStream_tbDpT10_ENKUlT_T0_E_clISt17integral_constantIbLb1EES1D_EEDaS18_S19_EUlS18_E_NS1_11comp_targetILNS1_3genE10ELNS1_11target_archE1200ELNS1_3gpuE4ELNS1_3repE0EEENS1_30default_config_static_selectorELNS0_4arch9wavefront6targetE0EEEvT1_.uses_vcc, 0
	.set _ZN7rocprim17ROCPRIM_400000_NS6detail17trampoline_kernelINS0_14default_configENS1_25partition_config_selectorILNS1_17partition_subalgoE5ElNS0_10empty_typeEbEEZZNS1_14partition_implILS5_5ELb0ES3_mN6hipcub16HIPCUB_304000_NS21CountingInputIteratorIllEEPS6_NSA_22TransformInputIteratorIbN2at6native12_GLOBAL__N_19NonZeroOpIN3c104HalfEEEPKSK_lEENS0_5tupleIJPlS6_EEENSP_IJSD_SD_EEES6_PiJS6_EEE10hipError_tPvRmT3_T4_T5_T6_T7_T9_mT8_P12ihipStream_tbDpT10_ENKUlT_T0_E_clISt17integral_constantIbLb1EES1D_EEDaS18_S19_EUlS18_E_NS1_11comp_targetILNS1_3genE10ELNS1_11target_archE1200ELNS1_3gpuE4ELNS1_3repE0EEENS1_30default_config_static_selectorELNS0_4arch9wavefront6targetE0EEEvT1_.uses_flat_scratch, 0
	.set _ZN7rocprim17ROCPRIM_400000_NS6detail17trampoline_kernelINS0_14default_configENS1_25partition_config_selectorILNS1_17partition_subalgoE5ElNS0_10empty_typeEbEEZZNS1_14partition_implILS5_5ELb0ES3_mN6hipcub16HIPCUB_304000_NS21CountingInputIteratorIllEEPS6_NSA_22TransformInputIteratorIbN2at6native12_GLOBAL__N_19NonZeroOpIN3c104HalfEEEPKSK_lEENS0_5tupleIJPlS6_EEENSP_IJSD_SD_EEES6_PiJS6_EEE10hipError_tPvRmT3_T4_T5_T6_T7_T9_mT8_P12ihipStream_tbDpT10_ENKUlT_T0_E_clISt17integral_constantIbLb1EES1D_EEDaS18_S19_EUlS18_E_NS1_11comp_targetILNS1_3genE10ELNS1_11target_archE1200ELNS1_3gpuE4ELNS1_3repE0EEENS1_30default_config_static_selectorELNS0_4arch9wavefront6targetE0EEEvT1_.has_dyn_sized_stack, 0
	.set _ZN7rocprim17ROCPRIM_400000_NS6detail17trampoline_kernelINS0_14default_configENS1_25partition_config_selectorILNS1_17partition_subalgoE5ElNS0_10empty_typeEbEEZZNS1_14partition_implILS5_5ELb0ES3_mN6hipcub16HIPCUB_304000_NS21CountingInputIteratorIllEEPS6_NSA_22TransformInputIteratorIbN2at6native12_GLOBAL__N_19NonZeroOpIN3c104HalfEEEPKSK_lEENS0_5tupleIJPlS6_EEENSP_IJSD_SD_EEES6_PiJS6_EEE10hipError_tPvRmT3_T4_T5_T6_T7_T9_mT8_P12ihipStream_tbDpT10_ENKUlT_T0_E_clISt17integral_constantIbLb1EES1D_EEDaS18_S19_EUlS18_E_NS1_11comp_targetILNS1_3genE10ELNS1_11target_archE1200ELNS1_3gpuE4ELNS1_3repE0EEENS1_30default_config_static_selectorELNS0_4arch9wavefront6targetE0EEEvT1_.has_recursion, 0
	.set _ZN7rocprim17ROCPRIM_400000_NS6detail17trampoline_kernelINS0_14default_configENS1_25partition_config_selectorILNS1_17partition_subalgoE5ElNS0_10empty_typeEbEEZZNS1_14partition_implILS5_5ELb0ES3_mN6hipcub16HIPCUB_304000_NS21CountingInputIteratorIllEEPS6_NSA_22TransformInputIteratorIbN2at6native12_GLOBAL__N_19NonZeroOpIN3c104HalfEEEPKSK_lEENS0_5tupleIJPlS6_EEENSP_IJSD_SD_EEES6_PiJS6_EEE10hipError_tPvRmT3_T4_T5_T6_T7_T9_mT8_P12ihipStream_tbDpT10_ENKUlT_T0_E_clISt17integral_constantIbLb1EES1D_EEDaS18_S19_EUlS18_E_NS1_11comp_targetILNS1_3genE10ELNS1_11target_archE1200ELNS1_3gpuE4ELNS1_3repE0EEENS1_30default_config_static_selectorELNS0_4arch9wavefront6targetE0EEEvT1_.has_indirect_call, 0
	.section	.AMDGPU.csdata,"",@progbits
; Kernel info:
; codeLenInByte = 4
; TotalNumSgprs: 0
; NumVgprs: 0
; ScratchSize: 0
; MemoryBound: 0
; FloatMode: 240
; IeeeMode: 1
; LDSByteSize: 0 bytes/workgroup (compile time only)
; SGPRBlocks: 0
; VGPRBlocks: 0
; NumSGPRsForWavesPerEU: 1
; NumVGPRsForWavesPerEU: 1
; Occupancy: 16
; WaveLimiterHint : 0
; COMPUTE_PGM_RSRC2:SCRATCH_EN: 0
; COMPUTE_PGM_RSRC2:USER_SGPR: 2
; COMPUTE_PGM_RSRC2:TRAP_HANDLER: 0
; COMPUTE_PGM_RSRC2:TGID_X_EN: 1
; COMPUTE_PGM_RSRC2:TGID_Y_EN: 0
; COMPUTE_PGM_RSRC2:TGID_Z_EN: 0
; COMPUTE_PGM_RSRC2:TIDIG_COMP_CNT: 0
	.section	.text._ZN7rocprim17ROCPRIM_400000_NS6detail17trampoline_kernelINS0_14default_configENS1_25partition_config_selectorILNS1_17partition_subalgoE5ElNS0_10empty_typeEbEEZZNS1_14partition_implILS5_5ELb0ES3_mN6hipcub16HIPCUB_304000_NS21CountingInputIteratorIllEEPS6_NSA_22TransformInputIteratorIbN2at6native12_GLOBAL__N_19NonZeroOpIN3c104HalfEEEPKSK_lEENS0_5tupleIJPlS6_EEENSP_IJSD_SD_EEES6_PiJS6_EEE10hipError_tPvRmT3_T4_T5_T6_T7_T9_mT8_P12ihipStream_tbDpT10_ENKUlT_T0_E_clISt17integral_constantIbLb1EES1D_EEDaS18_S19_EUlS18_E_NS1_11comp_targetILNS1_3genE9ELNS1_11target_archE1100ELNS1_3gpuE3ELNS1_3repE0EEENS1_30default_config_static_selectorELNS0_4arch9wavefront6targetE0EEEvT1_,"axG",@progbits,_ZN7rocprim17ROCPRIM_400000_NS6detail17trampoline_kernelINS0_14default_configENS1_25partition_config_selectorILNS1_17partition_subalgoE5ElNS0_10empty_typeEbEEZZNS1_14partition_implILS5_5ELb0ES3_mN6hipcub16HIPCUB_304000_NS21CountingInputIteratorIllEEPS6_NSA_22TransformInputIteratorIbN2at6native12_GLOBAL__N_19NonZeroOpIN3c104HalfEEEPKSK_lEENS0_5tupleIJPlS6_EEENSP_IJSD_SD_EEES6_PiJS6_EEE10hipError_tPvRmT3_T4_T5_T6_T7_T9_mT8_P12ihipStream_tbDpT10_ENKUlT_T0_E_clISt17integral_constantIbLb1EES1D_EEDaS18_S19_EUlS18_E_NS1_11comp_targetILNS1_3genE9ELNS1_11target_archE1100ELNS1_3gpuE3ELNS1_3repE0EEENS1_30default_config_static_selectorELNS0_4arch9wavefront6targetE0EEEvT1_,comdat
	.globl	_ZN7rocprim17ROCPRIM_400000_NS6detail17trampoline_kernelINS0_14default_configENS1_25partition_config_selectorILNS1_17partition_subalgoE5ElNS0_10empty_typeEbEEZZNS1_14partition_implILS5_5ELb0ES3_mN6hipcub16HIPCUB_304000_NS21CountingInputIteratorIllEEPS6_NSA_22TransformInputIteratorIbN2at6native12_GLOBAL__N_19NonZeroOpIN3c104HalfEEEPKSK_lEENS0_5tupleIJPlS6_EEENSP_IJSD_SD_EEES6_PiJS6_EEE10hipError_tPvRmT3_T4_T5_T6_T7_T9_mT8_P12ihipStream_tbDpT10_ENKUlT_T0_E_clISt17integral_constantIbLb1EES1D_EEDaS18_S19_EUlS18_E_NS1_11comp_targetILNS1_3genE9ELNS1_11target_archE1100ELNS1_3gpuE3ELNS1_3repE0EEENS1_30default_config_static_selectorELNS0_4arch9wavefront6targetE0EEEvT1_ ; -- Begin function _ZN7rocprim17ROCPRIM_400000_NS6detail17trampoline_kernelINS0_14default_configENS1_25partition_config_selectorILNS1_17partition_subalgoE5ElNS0_10empty_typeEbEEZZNS1_14partition_implILS5_5ELb0ES3_mN6hipcub16HIPCUB_304000_NS21CountingInputIteratorIllEEPS6_NSA_22TransformInputIteratorIbN2at6native12_GLOBAL__N_19NonZeroOpIN3c104HalfEEEPKSK_lEENS0_5tupleIJPlS6_EEENSP_IJSD_SD_EEES6_PiJS6_EEE10hipError_tPvRmT3_T4_T5_T6_T7_T9_mT8_P12ihipStream_tbDpT10_ENKUlT_T0_E_clISt17integral_constantIbLb1EES1D_EEDaS18_S19_EUlS18_E_NS1_11comp_targetILNS1_3genE9ELNS1_11target_archE1100ELNS1_3gpuE3ELNS1_3repE0EEENS1_30default_config_static_selectorELNS0_4arch9wavefront6targetE0EEEvT1_
	.p2align	8
	.type	_ZN7rocprim17ROCPRIM_400000_NS6detail17trampoline_kernelINS0_14default_configENS1_25partition_config_selectorILNS1_17partition_subalgoE5ElNS0_10empty_typeEbEEZZNS1_14partition_implILS5_5ELb0ES3_mN6hipcub16HIPCUB_304000_NS21CountingInputIteratorIllEEPS6_NSA_22TransformInputIteratorIbN2at6native12_GLOBAL__N_19NonZeroOpIN3c104HalfEEEPKSK_lEENS0_5tupleIJPlS6_EEENSP_IJSD_SD_EEES6_PiJS6_EEE10hipError_tPvRmT3_T4_T5_T6_T7_T9_mT8_P12ihipStream_tbDpT10_ENKUlT_T0_E_clISt17integral_constantIbLb1EES1D_EEDaS18_S19_EUlS18_E_NS1_11comp_targetILNS1_3genE9ELNS1_11target_archE1100ELNS1_3gpuE3ELNS1_3repE0EEENS1_30default_config_static_selectorELNS0_4arch9wavefront6targetE0EEEvT1_,@function
_ZN7rocprim17ROCPRIM_400000_NS6detail17trampoline_kernelINS0_14default_configENS1_25partition_config_selectorILNS1_17partition_subalgoE5ElNS0_10empty_typeEbEEZZNS1_14partition_implILS5_5ELb0ES3_mN6hipcub16HIPCUB_304000_NS21CountingInputIteratorIllEEPS6_NSA_22TransformInputIteratorIbN2at6native12_GLOBAL__N_19NonZeroOpIN3c104HalfEEEPKSK_lEENS0_5tupleIJPlS6_EEENSP_IJSD_SD_EEES6_PiJS6_EEE10hipError_tPvRmT3_T4_T5_T6_T7_T9_mT8_P12ihipStream_tbDpT10_ENKUlT_T0_E_clISt17integral_constantIbLb1EES1D_EEDaS18_S19_EUlS18_E_NS1_11comp_targetILNS1_3genE9ELNS1_11target_archE1100ELNS1_3gpuE3ELNS1_3repE0EEENS1_30default_config_static_selectorELNS0_4arch9wavefront6targetE0EEEvT1_: ; @_ZN7rocprim17ROCPRIM_400000_NS6detail17trampoline_kernelINS0_14default_configENS1_25partition_config_selectorILNS1_17partition_subalgoE5ElNS0_10empty_typeEbEEZZNS1_14partition_implILS5_5ELb0ES3_mN6hipcub16HIPCUB_304000_NS21CountingInputIteratorIllEEPS6_NSA_22TransformInputIteratorIbN2at6native12_GLOBAL__N_19NonZeroOpIN3c104HalfEEEPKSK_lEENS0_5tupleIJPlS6_EEENSP_IJSD_SD_EEES6_PiJS6_EEE10hipError_tPvRmT3_T4_T5_T6_T7_T9_mT8_P12ihipStream_tbDpT10_ENKUlT_T0_E_clISt17integral_constantIbLb1EES1D_EEDaS18_S19_EUlS18_E_NS1_11comp_targetILNS1_3genE9ELNS1_11target_archE1100ELNS1_3gpuE3ELNS1_3repE0EEENS1_30default_config_static_selectorELNS0_4arch9wavefront6targetE0EEEvT1_
; %bb.0:
	.section	.rodata,"a",@progbits
	.p2align	6, 0x0
	.amdhsa_kernel _ZN7rocprim17ROCPRIM_400000_NS6detail17trampoline_kernelINS0_14default_configENS1_25partition_config_selectorILNS1_17partition_subalgoE5ElNS0_10empty_typeEbEEZZNS1_14partition_implILS5_5ELb0ES3_mN6hipcub16HIPCUB_304000_NS21CountingInputIteratorIllEEPS6_NSA_22TransformInputIteratorIbN2at6native12_GLOBAL__N_19NonZeroOpIN3c104HalfEEEPKSK_lEENS0_5tupleIJPlS6_EEENSP_IJSD_SD_EEES6_PiJS6_EEE10hipError_tPvRmT3_T4_T5_T6_T7_T9_mT8_P12ihipStream_tbDpT10_ENKUlT_T0_E_clISt17integral_constantIbLb1EES1D_EEDaS18_S19_EUlS18_E_NS1_11comp_targetILNS1_3genE9ELNS1_11target_archE1100ELNS1_3gpuE3ELNS1_3repE0EEENS1_30default_config_static_selectorELNS0_4arch9wavefront6targetE0EEEvT1_
		.amdhsa_group_segment_fixed_size 0
		.amdhsa_private_segment_fixed_size 0
		.amdhsa_kernarg_size 136
		.amdhsa_user_sgpr_count 2
		.amdhsa_user_sgpr_dispatch_ptr 0
		.amdhsa_user_sgpr_queue_ptr 0
		.amdhsa_user_sgpr_kernarg_segment_ptr 1
		.amdhsa_user_sgpr_dispatch_id 0
		.amdhsa_user_sgpr_private_segment_size 0
		.amdhsa_wavefront_size32 1
		.amdhsa_uses_dynamic_stack 0
		.amdhsa_enable_private_segment 0
		.amdhsa_system_sgpr_workgroup_id_x 1
		.amdhsa_system_sgpr_workgroup_id_y 0
		.amdhsa_system_sgpr_workgroup_id_z 0
		.amdhsa_system_sgpr_workgroup_info 0
		.amdhsa_system_vgpr_workitem_id 0
		.amdhsa_next_free_vgpr 1
		.amdhsa_next_free_sgpr 1
		.amdhsa_reserve_vcc 0
		.amdhsa_float_round_mode_32 0
		.amdhsa_float_round_mode_16_64 0
		.amdhsa_float_denorm_mode_32 3
		.amdhsa_float_denorm_mode_16_64 3
		.amdhsa_fp16_overflow 0
		.amdhsa_workgroup_processor_mode 1
		.amdhsa_memory_ordered 1
		.amdhsa_forward_progress 1
		.amdhsa_inst_pref_size 0
		.amdhsa_round_robin_scheduling 0
		.amdhsa_exception_fp_ieee_invalid_op 0
		.amdhsa_exception_fp_denorm_src 0
		.amdhsa_exception_fp_ieee_div_zero 0
		.amdhsa_exception_fp_ieee_overflow 0
		.amdhsa_exception_fp_ieee_underflow 0
		.amdhsa_exception_fp_ieee_inexact 0
		.amdhsa_exception_int_div_zero 0
	.end_amdhsa_kernel
	.section	.text._ZN7rocprim17ROCPRIM_400000_NS6detail17trampoline_kernelINS0_14default_configENS1_25partition_config_selectorILNS1_17partition_subalgoE5ElNS0_10empty_typeEbEEZZNS1_14partition_implILS5_5ELb0ES3_mN6hipcub16HIPCUB_304000_NS21CountingInputIteratorIllEEPS6_NSA_22TransformInputIteratorIbN2at6native12_GLOBAL__N_19NonZeroOpIN3c104HalfEEEPKSK_lEENS0_5tupleIJPlS6_EEENSP_IJSD_SD_EEES6_PiJS6_EEE10hipError_tPvRmT3_T4_T5_T6_T7_T9_mT8_P12ihipStream_tbDpT10_ENKUlT_T0_E_clISt17integral_constantIbLb1EES1D_EEDaS18_S19_EUlS18_E_NS1_11comp_targetILNS1_3genE9ELNS1_11target_archE1100ELNS1_3gpuE3ELNS1_3repE0EEENS1_30default_config_static_selectorELNS0_4arch9wavefront6targetE0EEEvT1_,"axG",@progbits,_ZN7rocprim17ROCPRIM_400000_NS6detail17trampoline_kernelINS0_14default_configENS1_25partition_config_selectorILNS1_17partition_subalgoE5ElNS0_10empty_typeEbEEZZNS1_14partition_implILS5_5ELb0ES3_mN6hipcub16HIPCUB_304000_NS21CountingInputIteratorIllEEPS6_NSA_22TransformInputIteratorIbN2at6native12_GLOBAL__N_19NonZeroOpIN3c104HalfEEEPKSK_lEENS0_5tupleIJPlS6_EEENSP_IJSD_SD_EEES6_PiJS6_EEE10hipError_tPvRmT3_T4_T5_T6_T7_T9_mT8_P12ihipStream_tbDpT10_ENKUlT_T0_E_clISt17integral_constantIbLb1EES1D_EEDaS18_S19_EUlS18_E_NS1_11comp_targetILNS1_3genE9ELNS1_11target_archE1100ELNS1_3gpuE3ELNS1_3repE0EEENS1_30default_config_static_selectorELNS0_4arch9wavefront6targetE0EEEvT1_,comdat
.Lfunc_end880:
	.size	_ZN7rocprim17ROCPRIM_400000_NS6detail17trampoline_kernelINS0_14default_configENS1_25partition_config_selectorILNS1_17partition_subalgoE5ElNS0_10empty_typeEbEEZZNS1_14partition_implILS5_5ELb0ES3_mN6hipcub16HIPCUB_304000_NS21CountingInputIteratorIllEEPS6_NSA_22TransformInputIteratorIbN2at6native12_GLOBAL__N_19NonZeroOpIN3c104HalfEEEPKSK_lEENS0_5tupleIJPlS6_EEENSP_IJSD_SD_EEES6_PiJS6_EEE10hipError_tPvRmT3_T4_T5_T6_T7_T9_mT8_P12ihipStream_tbDpT10_ENKUlT_T0_E_clISt17integral_constantIbLb1EES1D_EEDaS18_S19_EUlS18_E_NS1_11comp_targetILNS1_3genE9ELNS1_11target_archE1100ELNS1_3gpuE3ELNS1_3repE0EEENS1_30default_config_static_selectorELNS0_4arch9wavefront6targetE0EEEvT1_, .Lfunc_end880-_ZN7rocprim17ROCPRIM_400000_NS6detail17trampoline_kernelINS0_14default_configENS1_25partition_config_selectorILNS1_17partition_subalgoE5ElNS0_10empty_typeEbEEZZNS1_14partition_implILS5_5ELb0ES3_mN6hipcub16HIPCUB_304000_NS21CountingInputIteratorIllEEPS6_NSA_22TransformInputIteratorIbN2at6native12_GLOBAL__N_19NonZeroOpIN3c104HalfEEEPKSK_lEENS0_5tupleIJPlS6_EEENSP_IJSD_SD_EEES6_PiJS6_EEE10hipError_tPvRmT3_T4_T5_T6_T7_T9_mT8_P12ihipStream_tbDpT10_ENKUlT_T0_E_clISt17integral_constantIbLb1EES1D_EEDaS18_S19_EUlS18_E_NS1_11comp_targetILNS1_3genE9ELNS1_11target_archE1100ELNS1_3gpuE3ELNS1_3repE0EEENS1_30default_config_static_selectorELNS0_4arch9wavefront6targetE0EEEvT1_
                                        ; -- End function
	.set _ZN7rocprim17ROCPRIM_400000_NS6detail17trampoline_kernelINS0_14default_configENS1_25partition_config_selectorILNS1_17partition_subalgoE5ElNS0_10empty_typeEbEEZZNS1_14partition_implILS5_5ELb0ES3_mN6hipcub16HIPCUB_304000_NS21CountingInputIteratorIllEEPS6_NSA_22TransformInputIteratorIbN2at6native12_GLOBAL__N_19NonZeroOpIN3c104HalfEEEPKSK_lEENS0_5tupleIJPlS6_EEENSP_IJSD_SD_EEES6_PiJS6_EEE10hipError_tPvRmT3_T4_T5_T6_T7_T9_mT8_P12ihipStream_tbDpT10_ENKUlT_T0_E_clISt17integral_constantIbLb1EES1D_EEDaS18_S19_EUlS18_E_NS1_11comp_targetILNS1_3genE9ELNS1_11target_archE1100ELNS1_3gpuE3ELNS1_3repE0EEENS1_30default_config_static_selectorELNS0_4arch9wavefront6targetE0EEEvT1_.num_vgpr, 0
	.set _ZN7rocprim17ROCPRIM_400000_NS6detail17trampoline_kernelINS0_14default_configENS1_25partition_config_selectorILNS1_17partition_subalgoE5ElNS0_10empty_typeEbEEZZNS1_14partition_implILS5_5ELb0ES3_mN6hipcub16HIPCUB_304000_NS21CountingInputIteratorIllEEPS6_NSA_22TransformInputIteratorIbN2at6native12_GLOBAL__N_19NonZeroOpIN3c104HalfEEEPKSK_lEENS0_5tupleIJPlS6_EEENSP_IJSD_SD_EEES6_PiJS6_EEE10hipError_tPvRmT3_T4_T5_T6_T7_T9_mT8_P12ihipStream_tbDpT10_ENKUlT_T0_E_clISt17integral_constantIbLb1EES1D_EEDaS18_S19_EUlS18_E_NS1_11comp_targetILNS1_3genE9ELNS1_11target_archE1100ELNS1_3gpuE3ELNS1_3repE0EEENS1_30default_config_static_selectorELNS0_4arch9wavefront6targetE0EEEvT1_.num_agpr, 0
	.set _ZN7rocprim17ROCPRIM_400000_NS6detail17trampoline_kernelINS0_14default_configENS1_25partition_config_selectorILNS1_17partition_subalgoE5ElNS0_10empty_typeEbEEZZNS1_14partition_implILS5_5ELb0ES3_mN6hipcub16HIPCUB_304000_NS21CountingInputIteratorIllEEPS6_NSA_22TransformInputIteratorIbN2at6native12_GLOBAL__N_19NonZeroOpIN3c104HalfEEEPKSK_lEENS0_5tupleIJPlS6_EEENSP_IJSD_SD_EEES6_PiJS6_EEE10hipError_tPvRmT3_T4_T5_T6_T7_T9_mT8_P12ihipStream_tbDpT10_ENKUlT_T0_E_clISt17integral_constantIbLb1EES1D_EEDaS18_S19_EUlS18_E_NS1_11comp_targetILNS1_3genE9ELNS1_11target_archE1100ELNS1_3gpuE3ELNS1_3repE0EEENS1_30default_config_static_selectorELNS0_4arch9wavefront6targetE0EEEvT1_.numbered_sgpr, 0
	.set _ZN7rocprim17ROCPRIM_400000_NS6detail17trampoline_kernelINS0_14default_configENS1_25partition_config_selectorILNS1_17partition_subalgoE5ElNS0_10empty_typeEbEEZZNS1_14partition_implILS5_5ELb0ES3_mN6hipcub16HIPCUB_304000_NS21CountingInputIteratorIllEEPS6_NSA_22TransformInputIteratorIbN2at6native12_GLOBAL__N_19NonZeroOpIN3c104HalfEEEPKSK_lEENS0_5tupleIJPlS6_EEENSP_IJSD_SD_EEES6_PiJS6_EEE10hipError_tPvRmT3_T4_T5_T6_T7_T9_mT8_P12ihipStream_tbDpT10_ENKUlT_T0_E_clISt17integral_constantIbLb1EES1D_EEDaS18_S19_EUlS18_E_NS1_11comp_targetILNS1_3genE9ELNS1_11target_archE1100ELNS1_3gpuE3ELNS1_3repE0EEENS1_30default_config_static_selectorELNS0_4arch9wavefront6targetE0EEEvT1_.num_named_barrier, 0
	.set _ZN7rocprim17ROCPRIM_400000_NS6detail17trampoline_kernelINS0_14default_configENS1_25partition_config_selectorILNS1_17partition_subalgoE5ElNS0_10empty_typeEbEEZZNS1_14partition_implILS5_5ELb0ES3_mN6hipcub16HIPCUB_304000_NS21CountingInputIteratorIllEEPS6_NSA_22TransformInputIteratorIbN2at6native12_GLOBAL__N_19NonZeroOpIN3c104HalfEEEPKSK_lEENS0_5tupleIJPlS6_EEENSP_IJSD_SD_EEES6_PiJS6_EEE10hipError_tPvRmT3_T4_T5_T6_T7_T9_mT8_P12ihipStream_tbDpT10_ENKUlT_T0_E_clISt17integral_constantIbLb1EES1D_EEDaS18_S19_EUlS18_E_NS1_11comp_targetILNS1_3genE9ELNS1_11target_archE1100ELNS1_3gpuE3ELNS1_3repE0EEENS1_30default_config_static_selectorELNS0_4arch9wavefront6targetE0EEEvT1_.private_seg_size, 0
	.set _ZN7rocprim17ROCPRIM_400000_NS6detail17trampoline_kernelINS0_14default_configENS1_25partition_config_selectorILNS1_17partition_subalgoE5ElNS0_10empty_typeEbEEZZNS1_14partition_implILS5_5ELb0ES3_mN6hipcub16HIPCUB_304000_NS21CountingInputIteratorIllEEPS6_NSA_22TransformInputIteratorIbN2at6native12_GLOBAL__N_19NonZeroOpIN3c104HalfEEEPKSK_lEENS0_5tupleIJPlS6_EEENSP_IJSD_SD_EEES6_PiJS6_EEE10hipError_tPvRmT3_T4_T5_T6_T7_T9_mT8_P12ihipStream_tbDpT10_ENKUlT_T0_E_clISt17integral_constantIbLb1EES1D_EEDaS18_S19_EUlS18_E_NS1_11comp_targetILNS1_3genE9ELNS1_11target_archE1100ELNS1_3gpuE3ELNS1_3repE0EEENS1_30default_config_static_selectorELNS0_4arch9wavefront6targetE0EEEvT1_.uses_vcc, 0
	.set _ZN7rocprim17ROCPRIM_400000_NS6detail17trampoline_kernelINS0_14default_configENS1_25partition_config_selectorILNS1_17partition_subalgoE5ElNS0_10empty_typeEbEEZZNS1_14partition_implILS5_5ELb0ES3_mN6hipcub16HIPCUB_304000_NS21CountingInputIteratorIllEEPS6_NSA_22TransformInputIteratorIbN2at6native12_GLOBAL__N_19NonZeroOpIN3c104HalfEEEPKSK_lEENS0_5tupleIJPlS6_EEENSP_IJSD_SD_EEES6_PiJS6_EEE10hipError_tPvRmT3_T4_T5_T6_T7_T9_mT8_P12ihipStream_tbDpT10_ENKUlT_T0_E_clISt17integral_constantIbLb1EES1D_EEDaS18_S19_EUlS18_E_NS1_11comp_targetILNS1_3genE9ELNS1_11target_archE1100ELNS1_3gpuE3ELNS1_3repE0EEENS1_30default_config_static_selectorELNS0_4arch9wavefront6targetE0EEEvT1_.uses_flat_scratch, 0
	.set _ZN7rocprim17ROCPRIM_400000_NS6detail17trampoline_kernelINS0_14default_configENS1_25partition_config_selectorILNS1_17partition_subalgoE5ElNS0_10empty_typeEbEEZZNS1_14partition_implILS5_5ELb0ES3_mN6hipcub16HIPCUB_304000_NS21CountingInputIteratorIllEEPS6_NSA_22TransformInputIteratorIbN2at6native12_GLOBAL__N_19NonZeroOpIN3c104HalfEEEPKSK_lEENS0_5tupleIJPlS6_EEENSP_IJSD_SD_EEES6_PiJS6_EEE10hipError_tPvRmT3_T4_T5_T6_T7_T9_mT8_P12ihipStream_tbDpT10_ENKUlT_T0_E_clISt17integral_constantIbLb1EES1D_EEDaS18_S19_EUlS18_E_NS1_11comp_targetILNS1_3genE9ELNS1_11target_archE1100ELNS1_3gpuE3ELNS1_3repE0EEENS1_30default_config_static_selectorELNS0_4arch9wavefront6targetE0EEEvT1_.has_dyn_sized_stack, 0
	.set _ZN7rocprim17ROCPRIM_400000_NS6detail17trampoline_kernelINS0_14default_configENS1_25partition_config_selectorILNS1_17partition_subalgoE5ElNS0_10empty_typeEbEEZZNS1_14partition_implILS5_5ELb0ES3_mN6hipcub16HIPCUB_304000_NS21CountingInputIteratorIllEEPS6_NSA_22TransformInputIteratorIbN2at6native12_GLOBAL__N_19NonZeroOpIN3c104HalfEEEPKSK_lEENS0_5tupleIJPlS6_EEENSP_IJSD_SD_EEES6_PiJS6_EEE10hipError_tPvRmT3_T4_T5_T6_T7_T9_mT8_P12ihipStream_tbDpT10_ENKUlT_T0_E_clISt17integral_constantIbLb1EES1D_EEDaS18_S19_EUlS18_E_NS1_11comp_targetILNS1_3genE9ELNS1_11target_archE1100ELNS1_3gpuE3ELNS1_3repE0EEENS1_30default_config_static_selectorELNS0_4arch9wavefront6targetE0EEEvT1_.has_recursion, 0
	.set _ZN7rocprim17ROCPRIM_400000_NS6detail17trampoline_kernelINS0_14default_configENS1_25partition_config_selectorILNS1_17partition_subalgoE5ElNS0_10empty_typeEbEEZZNS1_14partition_implILS5_5ELb0ES3_mN6hipcub16HIPCUB_304000_NS21CountingInputIteratorIllEEPS6_NSA_22TransformInputIteratorIbN2at6native12_GLOBAL__N_19NonZeroOpIN3c104HalfEEEPKSK_lEENS0_5tupleIJPlS6_EEENSP_IJSD_SD_EEES6_PiJS6_EEE10hipError_tPvRmT3_T4_T5_T6_T7_T9_mT8_P12ihipStream_tbDpT10_ENKUlT_T0_E_clISt17integral_constantIbLb1EES1D_EEDaS18_S19_EUlS18_E_NS1_11comp_targetILNS1_3genE9ELNS1_11target_archE1100ELNS1_3gpuE3ELNS1_3repE0EEENS1_30default_config_static_selectorELNS0_4arch9wavefront6targetE0EEEvT1_.has_indirect_call, 0
	.section	.AMDGPU.csdata,"",@progbits
; Kernel info:
; codeLenInByte = 0
; TotalNumSgprs: 0
; NumVgprs: 0
; ScratchSize: 0
; MemoryBound: 0
; FloatMode: 240
; IeeeMode: 1
; LDSByteSize: 0 bytes/workgroup (compile time only)
; SGPRBlocks: 0
; VGPRBlocks: 0
; NumSGPRsForWavesPerEU: 1
; NumVGPRsForWavesPerEU: 1
; Occupancy: 16
; WaveLimiterHint : 0
; COMPUTE_PGM_RSRC2:SCRATCH_EN: 0
; COMPUTE_PGM_RSRC2:USER_SGPR: 2
; COMPUTE_PGM_RSRC2:TRAP_HANDLER: 0
; COMPUTE_PGM_RSRC2:TGID_X_EN: 1
; COMPUTE_PGM_RSRC2:TGID_Y_EN: 0
; COMPUTE_PGM_RSRC2:TGID_Z_EN: 0
; COMPUTE_PGM_RSRC2:TIDIG_COMP_CNT: 0
	.section	.text._ZN7rocprim17ROCPRIM_400000_NS6detail17trampoline_kernelINS0_14default_configENS1_25partition_config_selectorILNS1_17partition_subalgoE5ElNS0_10empty_typeEbEEZZNS1_14partition_implILS5_5ELb0ES3_mN6hipcub16HIPCUB_304000_NS21CountingInputIteratorIllEEPS6_NSA_22TransformInputIteratorIbN2at6native12_GLOBAL__N_19NonZeroOpIN3c104HalfEEEPKSK_lEENS0_5tupleIJPlS6_EEENSP_IJSD_SD_EEES6_PiJS6_EEE10hipError_tPvRmT3_T4_T5_T6_T7_T9_mT8_P12ihipStream_tbDpT10_ENKUlT_T0_E_clISt17integral_constantIbLb1EES1D_EEDaS18_S19_EUlS18_E_NS1_11comp_targetILNS1_3genE8ELNS1_11target_archE1030ELNS1_3gpuE2ELNS1_3repE0EEENS1_30default_config_static_selectorELNS0_4arch9wavefront6targetE0EEEvT1_,"axG",@progbits,_ZN7rocprim17ROCPRIM_400000_NS6detail17trampoline_kernelINS0_14default_configENS1_25partition_config_selectorILNS1_17partition_subalgoE5ElNS0_10empty_typeEbEEZZNS1_14partition_implILS5_5ELb0ES3_mN6hipcub16HIPCUB_304000_NS21CountingInputIteratorIllEEPS6_NSA_22TransformInputIteratorIbN2at6native12_GLOBAL__N_19NonZeroOpIN3c104HalfEEEPKSK_lEENS0_5tupleIJPlS6_EEENSP_IJSD_SD_EEES6_PiJS6_EEE10hipError_tPvRmT3_T4_T5_T6_T7_T9_mT8_P12ihipStream_tbDpT10_ENKUlT_T0_E_clISt17integral_constantIbLb1EES1D_EEDaS18_S19_EUlS18_E_NS1_11comp_targetILNS1_3genE8ELNS1_11target_archE1030ELNS1_3gpuE2ELNS1_3repE0EEENS1_30default_config_static_selectorELNS0_4arch9wavefront6targetE0EEEvT1_,comdat
	.globl	_ZN7rocprim17ROCPRIM_400000_NS6detail17trampoline_kernelINS0_14default_configENS1_25partition_config_selectorILNS1_17partition_subalgoE5ElNS0_10empty_typeEbEEZZNS1_14partition_implILS5_5ELb0ES3_mN6hipcub16HIPCUB_304000_NS21CountingInputIteratorIllEEPS6_NSA_22TransformInputIteratorIbN2at6native12_GLOBAL__N_19NonZeroOpIN3c104HalfEEEPKSK_lEENS0_5tupleIJPlS6_EEENSP_IJSD_SD_EEES6_PiJS6_EEE10hipError_tPvRmT3_T4_T5_T6_T7_T9_mT8_P12ihipStream_tbDpT10_ENKUlT_T0_E_clISt17integral_constantIbLb1EES1D_EEDaS18_S19_EUlS18_E_NS1_11comp_targetILNS1_3genE8ELNS1_11target_archE1030ELNS1_3gpuE2ELNS1_3repE0EEENS1_30default_config_static_selectorELNS0_4arch9wavefront6targetE0EEEvT1_ ; -- Begin function _ZN7rocprim17ROCPRIM_400000_NS6detail17trampoline_kernelINS0_14default_configENS1_25partition_config_selectorILNS1_17partition_subalgoE5ElNS0_10empty_typeEbEEZZNS1_14partition_implILS5_5ELb0ES3_mN6hipcub16HIPCUB_304000_NS21CountingInputIteratorIllEEPS6_NSA_22TransformInputIteratorIbN2at6native12_GLOBAL__N_19NonZeroOpIN3c104HalfEEEPKSK_lEENS0_5tupleIJPlS6_EEENSP_IJSD_SD_EEES6_PiJS6_EEE10hipError_tPvRmT3_T4_T5_T6_T7_T9_mT8_P12ihipStream_tbDpT10_ENKUlT_T0_E_clISt17integral_constantIbLb1EES1D_EEDaS18_S19_EUlS18_E_NS1_11comp_targetILNS1_3genE8ELNS1_11target_archE1030ELNS1_3gpuE2ELNS1_3repE0EEENS1_30default_config_static_selectorELNS0_4arch9wavefront6targetE0EEEvT1_
	.p2align	8
	.type	_ZN7rocprim17ROCPRIM_400000_NS6detail17trampoline_kernelINS0_14default_configENS1_25partition_config_selectorILNS1_17partition_subalgoE5ElNS0_10empty_typeEbEEZZNS1_14partition_implILS5_5ELb0ES3_mN6hipcub16HIPCUB_304000_NS21CountingInputIteratorIllEEPS6_NSA_22TransformInputIteratorIbN2at6native12_GLOBAL__N_19NonZeroOpIN3c104HalfEEEPKSK_lEENS0_5tupleIJPlS6_EEENSP_IJSD_SD_EEES6_PiJS6_EEE10hipError_tPvRmT3_T4_T5_T6_T7_T9_mT8_P12ihipStream_tbDpT10_ENKUlT_T0_E_clISt17integral_constantIbLb1EES1D_EEDaS18_S19_EUlS18_E_NS1_11comp_targetILNS1_3genE8ELNS1_11target_archE1030ELNS1_3gpuE2ELNS1_3repE0EEENS1_30default_config_static_selectorELNS0_4arch9wavefront6targetE0EEEvT1_,@function
_ZN7rocprim17ROCPRIM_400000_NS6detail17trampoline_kernelINS0_14default_configENS1_25partition_config_selectorILNS1_17partition_subalgoE5ElNS0_10empty_typeEbEEZZNS1_14partition_implILS5_5ELb0ES3_mN6hipcub16HIPCUB_304000_NS21CountingInputIteratorIllEEPS6_NSA_22TransformInputIteratorIbN2at6native12_GLOBAL__N_19NonZeroOpIN3c104HalfEEEPKSK_lEENS0_5tupleIJPlS6_EEENSP_IJSD_SD_EEES6_PiJS6_EEE10hipError_tPvRmT3_T4_T5_T6_T7_T9_mT8_P12ihipStream_tbDpT10_ENKUlT_T0_E_clISt17integral_constantIbLb1EES1D_EEDaS18_S19_EUlS18_E_NS1_11comp_targetILNS1_3genE8ELNS1_11target_archE1030ELNS1_3gpuE2ELNS1_3repE0EEENS1_30default_config_static_selectorELNS0_4arch9wavefront6targetE0EEEvT1_: ; @_ZN7rocprim17ROCPRIM_400000_NS6detail17trampoline_kernelINS0_14default_configENS1_25partition_config_selectorILNS1_17partition_subalgoE5ElNS0_10empty_typeEbEEZZNS1_14partition_implILS5_5ELb0ES3_mN6hipcub16HIPCUB_304000_NS21CountingInputIteratorIllEEPS6_NSA_22TransformInputIteratorIbN2at6native12_GLOBAL__N_19NonZeroOpIN3c104HalfEEEPKSK_lEENS0_5tupleIJPlS6_EEENSP_IJSD_SD_EEES6_PiJS6_EEE10hipError_tPvRmT3_T4_T5_T6_T7_T9_mT8_P12ihipStream_tbDpT10_ENKUlT_T0_E_clISt17integral_constantIbLb1EES1D_EEDaS18_S19_EUlS18_E_NS1_11comp_targetILNS1_3genE8ELNS1_11target_archE1030ELNS1_3gpuE2ELNS1_3repE0EEENS1_30default_config_static_selectorELNS0_4arch9wavefront6targetE0EEEvT1_
; %bb.0:
	.section	.rodata,"a",@progbits
	.p2align	6, 0x0
	.amdhsa_kernel _ZN7rocprim17ROCPRIM_400000_NS6detail17trampoline_kernelINS0_14default_configENS1_25partition_config_selectorILNS1_17partition_subalgoE5ElNS0_10empty_typeEbEEZZNS1_14partition_implILS5_5ELb0ES3_mN6hipcub16HIPCUB_304000_NS21CountingInputIteratorIllEEPS6_NSA_22TransformInputIteratorIbN2at6native12_GLOBAL__N_19NonZeroOpIN3c104HalfEEEPKSK_lEENS0_5tupleIJPlS6_EEENSP_IJSD_SD_EEES6_PiJS6_EEE10hipError_tPvRmT3_T4_T5_T6_T7_T9_mT8_P12ihipStream_tbDpT10_ENKUlT_T0_E_clISt17integral_constantIbLb1EES1D_EEDaS18_S19_EUlS18_E_NS1_11comp_targetILNS1_3genE8ELNS1_11target_archE1030ELNS1_3gpuE2ELNS1_3repE0EEENS1_30default_config_static_selectorELNS0_4arch9wavefront6targetE0EEEvT1_
		.amdhsa_group_segment_fixed_size 0
		.amdhsa_private_segment_fixed_size 0
		.amdhsa_kernarg_size 136
		.amdhsa_user_sgpr_count 2
		.amdhsa_user_sgpr_dispatch_ptr 0
		.amdhsa_user_sgpr_queue_ptr 0
		.amdhsa_user_sgpr_kernarg_segment_ptr 1
		.amdhsa_user_sgpr_dispatch_id 0
		.amdhsa_user_sgpr_private_segment_size 0
		.amdhsa_wavefront_size32 1
		.amdhsa_uses_dynamic_stack 0
		.amdhsa_enable_private_segment 0
		.amdhsa_system_sgpr_workgroup_id_x 1
		.amdhsa_system_sgpr_workgroup_id_y 0
		.amdhsa_system_sgpr_workgroup_id_z 0
		.amdhsa_system_sgpr_workgroup_info 0
		.amdhsa_system_vgpr_workitem_id 0
		.amdhsa_next_free_vgpr 1
		.amdhsa_next_free_sgpr 1
		.amdhsa_reserve_vcc 0
		.amdhsa_float_round_mode_32 0
		.amdhsa_float_round_mode_16_64 0
		.amdhsa_float_denorm_mode_32 3
		.amdhsa_float_denorm_mode_16_64 3
		.amdhsa_fp16_overflow 0
		.amdhsa_workgroup_processor_mode 1
		.amdhsa_memory_ordered 1
		.amdhsa_forward_progress 1
		.amdhsa_inst_pref_size 0
		.amdhsa_round_robin_scheduling 0
		.amdhsa_exception_fp_ieee_invalid_op 0
		.amdhsa_exception_fp_denorm_src 0
		.amdhsa_exception_fp_ieee_div_zero 0
		.amdhsa_exception_fp_ieee_overflow 0
		.amdhsa_exception_fp_ieee_underflow 0
		.amdhsa_exception_fp_ieee_inexact 0
		.amdhsa_exception_int_div_zero 0
	.end_amdhsa_kernel
	.section	.text._ZN7rocprim17ROCPRIM_400000_NS6detail17trampoline_kernelINS0_14default_configENS1_25partition_config_selectorILNS1_17partition_subalgoE5ElNS0_10empty_typeEbEEZZNS1_14partition_implILS5_5ELb0ES3_mN6hipcub16HIPCUB_304000_NS21CountingInputIteratorIllEEPS6_NSA_22TransformInputIteratorIbN2at6native12_GLOBAL__N_19NonZeroOpIN3c104HalfEEEPKSK_lEENS0_5tupleIJPlS6_EEENSP_IJSD_SD_EEES6_PiJS6_EEE10hipError_tPvRmT3_T4_T5_T6_T7_T9_mT8_P12ihipStream_tbDpT10_ENKUlT_T0_E_clISt17integral_constantIbLb1EES1D_EEDaS18_S19_EUlS18_E_NS1_11comp_targetILNS1_3genE8ELNS1_11target_archE1030ELNS1_3gpuE2ELNS1_3repE0EEENS1_30default_config_static_selectorELNS0_4arch9wavefront6targetE0EEEvT1_,"axG",@progbits,_ZN7rocprim17ROCPRIM_400000_NS6detail17trampoline_kernelINS0_14default_configENS1_25partition_config_selectorILNS1_17partition_subalgoE5ElNS0_10empty_typeEbEEZZNS1_14partition_implILS5_5ELb0ES3_mN6hipcub16HIPCUB_304000_NS21CountingInputIteratorIllEEPS6_NSA_22TransformInputIteratorIbN2at6native12_GLOBAL__N_19NonZeroOpIN3c104HalfEEEPKSK_lEENS0_5tupleIJPlS6_EEENSP_IJSD_SD_EEES6_PiJS6_EEE10hipError_tPvRmT3_T4_T5_T6_T7_T9_mT8_P12ihipStream_tbDpT10_ENKUlT_T0_E_clISt17integral_constantIbLb1EES1D_EEDaS18_S19_EUlS18_E_NS1_11comp_targetILNS1_3genE8ELNS1_11target_archE1030ELNS1_3gpuE2ELNS1_3repE0EEENS1_30default_config_static_selectorELNS0_4arch9wavefront6targetE0EEEvT1_,comdat
.Lfunc_end881:
	.size	_ZN7rocprim17ROCPRIM_400000_NS6detail17trampoline_kernelINS0_14default_configENS1_25partition_config_selectorILNS1_17partition_subalgoE5ElNS0_10empty_typeEbEEZZNS1_14partition_implILS5_5ELb0ES3_mN6hipcub16HIPCUB_304000_NS21CountingInputIteratorIllEEPS6_NSA_22TransformInputIteratorIbN2at6native12_GLOBAL__N_19NonZeroOpIN3c104HalfEEEPKSK_lEENS0_5tupleIJPlS6_EEENSP_IJSD_SD_EEES6_PiJS6_EEE10hipError_tPvRmT3_T4_T5_T6_T7_T9_mT8_P12ihipStream_tbDpT10_ENKUlT_T0_E_clISt17integral_constantIbLb1EES1D_EEDaS18_S19_EUlS18_E_NS1_11comp_targetILNS1_3genE8ELNS1_11target_archE1030ELNS1_3gpuE2ELNS1_3repE0EEENS1_30default_config_static_selectorELNS0_4arch9wavefront6targetE0EEEvT1_, .Lfunc_end881-_ZN7rocprim17ROCPRIM_400000_NS6detail17trampoline_kernelINS0_14default_configENS1_25partition_config_selectorILNS1_17partition_subalgoE5ElNS0_10empty_typeEbEEZZNS1_14partition_implILS5_5ELb0ES3_mN6hipcub16HIPCUB_304000_NS21CountingInputIteratorIllEEPS6_NSA_22TransformInputIteratorIbN2at6native12_GLOBAL__N_19NonZeroOpIN3c104HalfEEEPKSK_lEENS0_5tupleIJPlS6_EEENSP_IJSD_SD_EEES6_PiJS6_EEE10hipError_tPvRmT3_T4_T5_T6_T7_T9_mT8_P12ihipStream_tbDpT10_ENKUlT_T0_E_clISt17integral_constantIbLb1EES1D_EEDaS18_S19_EUlS18_E_NS1_11comp_targetILNS1_3genE8ELNS1_11target_archE1030ELNS1_3gpuE2ELNS1_3repE0EEENS1_30default_config_static_selectorELNS0_4arch9wavefront6targetE0EEEvT1_
                                        ; -- End function
	.set _ZN7rocprim17ROCPRIM_400000_NS6detail17trampoline_kernelINS0_14default_configENS1_25partition_config_selectorILNS1_17partition_subalgoE5ElNS0_10empty_typeEbEEZZNS1_14partition_implILS5_5ELb0ES3_mN6hipcub16HIPCUB_304000_NS21CountingInputIteratorIllEEPS6_NSA_22TransformInputIteratorIbN2at6native12_GLOBAL__N_19NonZeroOpIN3c104HalfEEEPKSK_lEENS0_5tupleIJPlS6_EEENSP_IJSD_SD_EEES6_PiJS6_EEE10hipError_tPvRmT3_T4_T5_T6_T7_T9_mT8_P12ihipStream_tbDpT10_ENKUlT_T0_E_clISt17integral_constantIbLb1EES1D_EEDaS18_S19_EUlS18_E_NS1_11comp_targetILNS1_3genE8ELNS1_11target_archE1030ELNS1_3gpuE2ELNS1_3repE0EEENS1_30default_config_static_selectorELNS0_4arch9wavefront6targetE0EEEvT1_.num_vgpr, 0
	.set _ZN7rocprim17ROCPRIM_400000_NS6detail17trampoline_kernelINS0_14default_configENS1_25partition_config_selectorILNS1_17partition_subalgoE5ElNS0_10empty_typeEbEEZZNS1_14partition_implILS5_5ELb0ES3_mN6hipcub16HIPCUB_304000_NS21CountingInputIteratorIllEEPS6_NSA_22TransformInputIteratorIbN2at6native12_GLOBAL__N_19NonZeroOpIN3c104HalfEEEPKSK_lEENS0_5tupleIJPlS6_EEENSP_IJSD_SD_EEES6_PiJS6_EEE10hipError_tPvRmT3_T4_T5_T6_T7_T9_mT8_P12ihipStream_tbDpT10_ENKUlT_T0_E_clISt17integral_constantIbLb1EES1D_EEDaS18_S19_EUlS18_E_NS1_11comp_targetILNS1_3genE8ELNS1_11target_archE1030ELNS1_3gpuE2ELNS1_3repE0EEENS1_30default_config_static_selectorELNS0_4arch9wavefront6targetE0EEEvT1_.num_agpr, 0
	.set _ZN7rocprim17ROCPRIM_400000_NS6detail17trampoline_kernelINS0_14default_configENS1_25partition_config_selectorILNS1_17partition_subalgoE5ElNS0_10empty_typeEbEEZZNS1_14partition_implILS5_5ELb0ES3_mN6hipcub16HIPCUB_304000_NS21CountingInputIteratorIllEEPS6_NSA_22TransformInputIteratorIbN2at6native12_GLOBAL__N_19NonZeroOpIN3c104HalfEEEPKSK_lEENS0_5tupleIJPlS6_EEENSP_IJSD_SD_EEES6_PiJS6_EEE10hipError_tPvRmT3_T4_T5_T6_T7_T9_mT8_P12ihipStream_tbDpT10_ENKUlT_T0_E_clISt17integral_constantIbLb1EES1D_EEDaS18_S19_EUlS18_E_NS1_11comp_targetILNS1_3genE8ELNS1_11target_archE1030ELNS1_3gpuE2ELNS1_3repE0EEENS1_30default_config_static_selectorELNS0_4arch9wavefront6targetE0EEEvT1_.numbered_sgpr, 0
	.set _ZN7rocprim17ROCPRIM_400000_NS6detail17trampoline_kernelINS0_14default_configENS1_25partition_config_selectorILNS1_17partition_subalgoE5ElNS0_10empty_typeEbEEZZNS1_14partition_implILS5_5ELb0ES3_mN6hipcub16HIPCUB_304000_NS21CountingInputIteratorIllEEPS6_NSA_22TransformInputIteratorIbN2at6native12_GLOBAL__N_19NonZeroOpIN3c104HalfEEEPKSK_lEENS0_5tupleIJPlS6_EEENSP_IJSD_SD_EEES6_PiJS6_EEE10hipError_tPvRmT3_T4_T5_T6_T7_T9_mT8_P12ihipStream_tbDpT10_ENKUlT_T0_E_clISt17integral_constantIbLb1EES1D_EEDaS18_S19_EUlS18_E_NS1_11comp_targetILNS1_3genE8ELNS1_11target_archE1030ELNS1_3gpuE2ELNS1_3repE0EEENS1_30default_config_static_selectorELNS0_4arch9wavefront6targetE0EEEvT1_.num_named_barrier, 0
	.set _ZN7rocprim17ROCPRIM_400000_NS6detail17trampoline_kernelINS0_14default_configENS1_25partition_config_selectorILNS1_17partition_subalgoE5ElNS0_10empty_typeEbEEZZNS1_14partition_implILS5_5ELb0ES3_mN6hipcub16HIPCUB_304000_NS21CountingInputIteratorIllEEPS6_NSA_22TransformInputIteratorIbN2at6native12_GLOBAL__N_19NonZeroOpIN3c104HalfEEEPKSK_lEENS0_5tupleIJPlS6_EEENSP_IJSD_SD_EEES6_PiJS6_EEE10hipError_tPvRmT3_T4_T5_T6_T7_T9_mT8_P12ihipStream_tbDpT10_ENKUlT_T0_E_clISt17integral_constantIbLb1EES1D_EEDaS18_S19_EUlS18_E_NS1_11comp_targetILNS1_3genE8ELNS1_11target_archE1030ELNS1_3gpuE2ELNS1_3repE0EEENS1_30default_config_static_selectorELNS0_4arch9wavefront6targetE0EEEvT1_.private_seg_size, 0
	.set _ZN7rocprim17ROCPRIM_400000_NS6detail17trampoline_kernelINS0_14default_configENS1_25partition_config_selectorILNS1_17partition_subalgoE5ElNS0_10empty_typeEbEEZZNS1_14partition_implILS5_5ELb0ES3_mN6hipcub16HIPCUB_304000_NS21CountingInputIteratorIllEEPS6_NSA_22TransformInputIteratorIbN2at6native12_GLOBAL__N_19NonZeroOpIN3c104HalfEEEPKSK_lEENS0_5tupleIJPlS6_EEENSP_IJSD_SD_EEES6_PiJS6_EEE10hipError_tPvRmT3_T4_T5_T6_T7_T9_mT8_P12ihipStream_tbDpT10_ENKUlT_T0_E_clISt17integral_constantIbLb1EES1D_EEDaS18_S19_EUlS18_E_NS1_11comp_targetILNS1_3genE8ELNS1_11target_archE1030ELNS1_3gpuE2ELNS1_3repE0EEENS1_30default_config_static_selectorELNS0_4arch9wavefront6targetE0EEEvT1_.uses_vcc, 0
	.set _ZN7rocprim17ROCPRIM_400000_NS6detail17trampoline_kernelINS0_14default_configENS1_25partition_config_selectorILNS1_17partition_subalgoE5ElNS0_10empty_typeEbEEZZNS1_14partition_implILS5_5ELb0ES3_mN6hipcub16HIPCUB_304000_NS21CountingInputIteratorIllEEPS6_NSA_22TransformInputIteratorIbN2at6native12_GLOBAL__N_19NonZeroOpIN3c104HalfEEEPKSK_lEENS0_5tupleIJPlS6_EEENSP_IJSD_SD_EEES6_PiJS6_EEE10hipError_tPvRmT3_T4_T5_T6_T7_T9_mT8_P12ihipStream_tbDpT10_ENKUlT_T0_E_clISt17integral_constantIbLb1EES1D_EEDaS18_S19_EUlS18_E_NS1_11comp_targetILNS1_3genE8ELNS1_11target_archE1030ELNS1_3gpuE2ELNS1_3repE0EEENS1_30default_config_static_selectorELNS0_4arch9wavefront6targetE0EEEvT1_.uses_flat_scratch, 0
	.set _ZN7rocprim17ROCPRIM_400000_NS6detail17trampoline_kernelINS0_14default_configENS1_25partition_config_selectorILNS1_17partition_subalgoE5ElNS0_10empty_typeEbEEZZNS1_14partition_implILS5_5ELb0ES3_mN6hipcub16HIPCUB_304000_NS21CountingInputIteratorIllEEPS6_NSA_22TransformInputIteratorIbN2at6native12_GLOBAL__N_19NonZeroOpIN3c104HalfEEEPKSK_lEENS0_5tupleIJPlS6_EEENSP_IJSD_SD_EEES6_PiJS6_EEE10hipError_tPvRmT3_T4_T5_T6_T7_T9_mT8_P12ihipStream_tbDpT10_ENKUlT_T0_E_clISt17integral_constantIbLb1EES1D_EEDaS18_S19_EUlS18_E_NS1_11comp_targetILNS1_3genE8ELNS1_11target_archE1030ELNS1_3gpuE2ELNS1_3repE0EEENS1_30default_config_static_selectorELNS0_4arch9wavefront6targetE0EEEvT1_.has_dyn_sized_stack, 0
	.set _ZN7rocprim17ROCPRIM_400000_NS6detail17trampoline_kernelINS0_14default_configENS1_25partition_config_selectorILNS1_17partition_subalgoE5ElNS0_10empty_typeEbEEZZNS1_14partition_implILS5_5ELb0ES3_mN6hipcub16HIPCUB_304000_NS21CountingInputIteratorIllEEPS6_NSA_22TransformInputIteratorIbN2at6native12_GLOBAL__N_19NonZeroOpIN3c104HalfEEEPKSK_lEENS0_5tupleIJPlS6_EEENSP_IJSD_SD_EEES6_PiJS6_EEE10hipError_tPvRmT3_T4_T5_T6_T7_T9_mT8_P12ihipStream_tbDpT10_ENKUlT_T0_E_clISt17integral_constantIbLb1EES1D_EEDaS18_S19_EUlS18_E_NS1_11comp_targetILNS1_3genE8ELNS1_11target_archE1030ELNS1_3gpuE2ELNS1_3repE0EEENS1_30default_config_static_selectorELNS0_4arch9wavefront6targetE0EEEvT1_.has_recursion, 0
	.set _ZN7rocprim17ROCPRIM_400000_NS6detail17trampoline_kernelINS0_14default_configENS1_25partition_config_selectorILNS1_17partition_subalgoE5ElNS0_10empty_typeEbEEZZNS1_14partition_implILS5_5ELb0ES3_mN6hipcub16HIPCUB_304000_NS21CountingInputIteratorIllEEPS6_NSA_22TransformInputIteratorIbN2at6native12_GLOBAL__N_19NonZeroOpIN3c104HalfEEEPKSK_lEENS0_5tupleIJPlS6_EEENSP_IJSD_SD_EEES6_PiJS6_EEE10hipError_tPvRmT3_T4_T5_T6_T7_T9_mT8_P12ihipStream_tbDpT10_ENKUlT_T0_E_clISt17integral_constantIbLb1EES1D_EEDaS18_S19_EUlS18_E_NS1_11comp_targetILNS1_3genE8ELNS1_11target_archE1030ELNS1_3gpuE2ELNS1_3repE0EEENS1_30default_config_static_selectorELNS0_4arch9wavefront6targetE0EEEvT1_.has_indirect_call, 0
	.section	.AMDGPU.csdata,"",@progbits
; Kernel info:
; codeLenInByte = 0
; TotalNumSgprs: 0
; NumVgprs: 0
; ScratchSize: 0
; MemoryBound: 0
; FloatMode: 240
; IeeeMode: 1
; LDSByteSize: 0 bytes/workgroup (compile time only)
; SGPRBlocks: 0
; VGPRBlocks: 0
; NumSGPRsForWavesPerEU: 1
; NumVGPRsForWavesPerEU: 1
; Occupancy: 16
; WaveLimiterHint : 0
; COMPUTE_PGM_RSRC2:SCRATCH_EN: 0
; COMPUTE_PGM_RSRC2:USER_SGPR: 2
; COMPUTE_PGM_RSRC2:TRAP_HANDLER: 0
; COMPUTE_PGM_RSRC2:TGID_X_EN: 1
; COMPUTE_PGM_RSRC2:TGID_Y_EN: 0
; COMPUTE_PGM_RSRC2:TGID_Z_EN: 0
; COMPUTE_PGM_RSRC2:TIDIG_COMP_CNT: 0
	.section	.text._ZN7rocprim17ROCPRIM_400000_NS6detail17trampoline_kernelINS0_14default_configENS1_25partition_config_selectorILNS1_17partition_subalgoE5ElNS0_10empty_typeEbEEZZNS1_14partition_implILS5_5ELb0ES3_mN6hipcub16HIPCUB_304000_NS21CountingInputIteratorIllEEPS6_NSA_22TransformInputIteratorIbN2at6native12_GLOBAL__N_19NonZeroOpIN3c104HalfEEEPKSK_lEENS0_5tupleIJPlS6_EEENSP_IJSD_SD_EEES6_PiJS6_EEE10hipError_tPvRmT3_T4_T5_T6_T7_T9_mT8_P12ihipStream_tbDpT10_ENKUlT_T0_E_clISt17integral_constantIbLb1EES1C_IbLb0EEEEDaS18_S19_EUlS18_E_NS1_11comp_targetILNS1_3genE0ELNS1_11target_archE4294967295ELNS1_3gpuE0ELNS1_3repE0EEENS1_30default_config_static_selectorELNS0_4arch9wavefront6targetE0EEEvT1_,"axG",@progbits,_ZN7rocprim17ROCPRIM_400000_NS6detail17trampoline_kernelINS0_14default_configENS1_25partition_config_selectorILNS1_17partition_subalgoE5ElNS0_10empty_typeEbEEZZNS1_14partition_implILS5_5ELb0ES3_mN6hipcub16HIPCUB_304000_NS21CountingInputIteratorIllEEPS6_NSA_22TransformInputIteratorIbN2at6native12_GLOBAL__N_19NonZeroOpIN3c104HalfEEEPKSK_lEENS0_5tupleIJPlS6_EEENSP_IJSD_SD_EEES6_PiJS6_EEE10hipError_tPvRmT3_T4_T5_T6_T7_T9_mT8_P12ihipStream_tbDpT10_ENKUlT_T0_E_clISt17integral_constantIbLb1EES1C_IbLb0EEEEDaS18_S19_EUlS18_E_NS1_11comp_targetILNS1_3genE0ELNS1_11target_archE4294967295ELNS1_3gpuE0ELNS1_3repE0EEENS1_30default_config_static_selectorELNS0_4arch9wavefront6targetE0EEEvT1_,comdat
	.globl	_ZN7rocprim17ROCPRIM_400000_NS6detail17trampoline_kernelINS0_14default_configENS1_25partition_config_selectorILNS1_17partition_subalgoE5ElNS0_10empty_typeEbEEZZNS1_14partition_implILS5_5ELb0ES3_mN6hipcub16HIPCUB_304000_NS21CountingInputIteratorIllEEPS6_NSA_22TransformInputIteratorIbN2at6native12_GLOBAL__N_19NonZeroOpIN3c104HalfEEEPKSK_lEENS0_5tupleIJPlS6_EEENSP_IJSD_SD_EEES6_PiJS6_EEE10hipError_tPvRmT3_T4_T5_T6_T7_T9_mT8_P12ihipStream_tbDpT10_ENKUlT_T0_E_clISt17integral_constantIbLb1EES1C_IbLb0EEEEDaS18_S19_EUlS18_E_NS1_11comp_targetILNS1_3genE0ELNS1_11target_archE4294967295ELNS1_3gpuE0ELNS1_3repE0EEENS1_30default_config_static_selectorELNS0_4arch9wavefront6targetE0EEEvT1_ ; -- Begin function _ZN7rocprim17ROCPRIM_400000_NS6detail17trampoline_kernelINS0_14default_configENS1_25partition_config_selectorILNS1_17partition_subalgoE5ElNS0_10empty_typeEbEEZZNS1_14partition_implILS5_5ELb0ES3_mN6hipcub16HIPCUB_304000_NS21CountingInputIteratorIllEEPS6_NSA_22TransformInputIteratorIbN2at6native12_GLOBAL__N_19NonZeroOpIN3c104HalfEEEPKSK_lEENS0_5tupleIJPlS6_EEENSP_IJSD_SD_EEES6_PiJS6_EEE10hipError_tPvRmT3_T4_T5_T6_T7_T9_mT8_P12ihipStream_tbDpT10_ENKUlT_T0_E_clISt17integral_constantIbLb1EES1C_IbLb0EEEEDaS18_S19_EUlS18_E_NS1_11comp_targetILNS1_3genE0ELNS1_11target_archE4294967295ELNS1_3gpuE0ELNS1_3repE0EEENS1_30default_config_static_selectorELNS0_4arch9wavefront6targetE0EEEvT1_
	.p2align	8
	.type	_ZN7rocprim17ROCPRIM_400000_NS6detail17trampoline_kernelINS0_14default_configENS1_25partition_config_selectorILNS1_17partition_subalgoE5ElNS0_10empty_typeEbEEZZNS1_14partition_implILS5_5ELb0ES3_mN6hipcub16HIPCUB_304000_NS21CountingInputIteratorIllEEPS6_NSA_22TransformInputIteratorIbN2at6native12_GLOBAL__N_19NonZeroOpIN3c104HalfEEEPKSK_lEENS0_5tupleIJPlS6_EEENSP_IJSD_SD_EEES6_PiJS6_EEE10hipError_tPvRmT3_T4_T5_T6_T7_T9_mT8_P12ihipStream_tbDpT10_ENKUlT_T0_E_clISt17integral_constantIbLb1EES1C_IbLb0EEEEDaS18_S19_EUlS18_E_NS1_11comp_targetILNS1_3genE0ELNS1_11target_archE4294967295ELNS1_3gpuE0ELNS1_3repE0EEENS1_30default_config_static_selectorELNS0_4arch9wavefront6targetE0EEEvT1_,@function
_ZN7rocprim17ROCPRIM_400000_NS6detail17trampoline_kernelINS0_14default_configENS1_25partition_config_selectorILNS1_17partition_subalgoE5ElNS0_10empty_typeEbEEZZNS1_14partition_implILS5_5ELb0ES3_mN6hipcub16HIPCUB_304000_NS21CountingInputIteratorIllEEPS6_NSA_22TransformInputIteratorIbN2at6native12_GLOBAL__N_19NonZeroOpIN3c104HalfEEEPKSK_lEENS0_5tupleIJPlS6_EEENSP_IJSD_SD_EEES6_PiJS6_EEE10hipError_tPvRmT3_T4_T5_T6_T7_T9_mT8_P12ihipStream_tbDpT10_ENKUlT_T0_E_clISt17integral_constantIbLb1EES1C_IbLb0EEEEDaS18_S19_EUlS18_E_NS1_11comp_targetILNS1_3genE0ELNS1_11target_archE4294967295ELNS1_3gpuE0ELNS1_3repE0EEENS1_30default_config_static_selectorELNS0_4arch9wavefront6targetE0EEEvT1_: ; @_ZN7rocprim17ROCPRIM_400000_NS6detail17trampoline_kernelINS0_14default_configENS1_25partition_config_selectorILNS1_17partition_subalgoE5ElNS0_10empty_typeEbEEZZNS1_14partition_implILS5_5ELb0ES3_mN6hipcub16HIPCUB_304000_NS21CountingInputIteratorIllEEPS6_NSA_22TransformInputIteratorIbN2at6native12_GLOBAL__N_19NonZeroOpIN3c104HalfEEEPKSK_lEENS0_5tupleIJPlS6_EEENSP_IJSD_SD_EEES6_PiJS6_EEE10hipError_tPvRmT3_T4_T5_T6_T7_T9_mT8_P12ihipStream_tbDpT10_ENKUlT_T0_E_clISt17integral_constantIbLb1EES1C_IbLb0EEEEDaS18_S19_EUlS18_E_NS1_11comp_targetILNS1_3genE0ELNS1_11target_archE4294967295ELNS1_3gpuE0ELNS1_3repE0EEENS1_30default_config_static_selectorELNS0_4arch9wavefront6targetE0EEEvT1_
; %bb.0:
	.section	.rodata,"a",@progbits
	.p2align	6, 0x0
	.amdhsa_kernel _ZN7rocprim17ROCPRIM_400000_NS6detail17trampoline_kernelINS0_14default_configENS1_25partition_config_selectorILNS1_17partition_subalgoE5ElNS0_10empty_typeEbEEZZNS1_14partition_implILS5_5ELb0ES3_mN6hipcub16HIPCUB_304000_NS21CountingInputIteratorIllEEPS6_NSA_22TransformInputIteratorIbN2at6native12_GLOBAL__N_19NonZeroOpIN3c104HalfEEEPKSK_lEENS0_5tupleIJPlS6_EEENSP_IJSD_SD_EEES6_PiJS6_EEE10hipError_tPvRmT3_T4_T5_T6_T7_T9_mT8_P12ihipStream_tbDpT10_ENKUlT_T0_E_clISt17integral_constantIbLb1EES1C_IbLb0EEEEDaS18_S19_EUlS18_E_NS1_11comp_targetILNS1_3genE0ELNS1_11target_archE4294967295ELNS1_3gpuE0ELNS1_3repE0EEENS1_30default_config_static_selectorELNS0_4arch9wavefront6targetE0EEEvT1_
		.amdhsa_group_segment_fixed_size 0
		.amdhsa_private_segment_fixed_size 0
		.amdhsa_kernarg_size 120
		.amdhsa_user_sgpr_count 2
		.amdhsa_user_sgpr_dispatch_ptr 0
		.amdhsa_user_sgpr_queue_ptr 0
		.amdhsa_user_sgpr_kernarg_segment_ptr 1
		.amdhsa_user_sgpr_dispatch_id 0
		.amdhsa_user_sgpr_private_segment_size 0
		.amdhsa_wavefront_size32 1
		.amdhsa_uses_dynamic_stack 0
		.amdhsa_enable_private_segment 0
		.amdhsa_system_sgpr_workgroup_id_x 1
		.amdhsa_system_sgpr_workgroup_id_y 0
		.amdhsa_system_sgpr_workgroup_id_z 0
		.amdhsa_system_sgpr_workgroup_info 0
		.amdhsa_system_vgpr_workitem_id 0
		.amdhsa_next_free_vgpr 1
		.amdhsa_next_free_sgpr 1
		.amdhsa_reserve_vcc 0
		.amdhsa_float_round_mode_32 0
		.amdhsa_float_round_mode_16_64 0
		.amdhsa_float_denorm_mode_32 3
		.amdhsa_float_denorm_mode_16_64 3
		.amdhsa_fp16_overflow 0
		.amdhsa_workgroup_processor_mode 1
		.amdhsa_memory_ordered 1
		.amdhsa_forward_progress 1
		.amdhsa_inst_pref_size 0
		.amdhsa_round_robin_scheduling 0
		.amdhsa_exception_fp_ieee_invalid_op 0
		.amdhsa_exception_fp_denorm_src 0
		.amdhsa_exception_fp_ieee_div_zero 0
		.amdhsa_exception_fp_ieee_overflow 0
		.amdhsa_exception_fp_ieee_underflow 0
		.amdhsa_exception_fp_ieee_inexact 0
		.amdhsa_exception_int_div_zero 0
	.end_amdhsa_kernel
	.section	.text._ZN7rocprim17ROCPRIM_400000_NS6detail17trampoline_kernelINS0_14default_configENS1_25partition_config_selectorILNS1_17partition_subalgoE5ElNS0_10empty_typeEbEEZZNS1_14partition_implILS5_5ELb0ES3_mN6hipcub16HIPCUB_304000_NS21CountingInputIteratorIllEEPS6_NSA_22TransformInputIteratorIbN2at6native12_GLOBAL__N_19NonZeroOpIN3c104HalfEEEPKSK_lEENS0_5tupleIJPlS6_EEENSP_IJSD_SD_EEES6_PiJS6_EEE10hipError_tPvRmT3_T4_T5_T6_T7_T9_mT8_P12ihipStream_tbDpT10_ENKUlT_T0_E_clISt17integral_constantIbLb1EES1C_IbLb0EEEEDaS18_S19_EUlS18_E_NS1_11comp_targetILNS1_3genE0ELNS1_11target_archE4294967295ELNS1_3gpuE0ELNS1_3repE0EEENS1_30default_config_static_selectorELNS0_4arch9wavefront6targetE0EEEvT1_,"axG",@progbits,_ZN7rocprim17ROCPRIM_400000_NS6detail17trampoline_kernelINS0_14default_configENS1_25partition_config_selectorILNS1_17partition_subalgoE5ElNS0_10empty_typeEbEEZZNS1_14partition_implILS5_5ELb0ES3_mN6hipcub16HIPCUB_304000_NS21CountingInputIteratorIllEEPS6_NSA_22TransformInputIteratorIbN2at6native12_GLOBAL__N_19NonZeroOpIN3c104HalfEEEPKSK_lEENS0_5tupleIJPlS6_EEENSP_IJSD_SD_EEES6_PiJS6_EEE10hipError_tPvRmT3_T4_T5_T6_T7_T9_mT8_P12ihipStream_tbDpT10_ENKUlT_T0_E_clISt17integral_constantIbLb1EES1C_IbLb0EEEEDaS18_S19_EUlS18_E_NS1_11comp_targetILNS1_3genE0ELNS1_11target_archE4294967295ELNS1_3gpuE0ELNS1_3repE0EEENS1_30default_config_static_selectorELNS0_4arch9wavefront6targetE0EEEvT1_,comdat
.Lfunc_end882:
	.size	_ZN7rocprim17ROCPRIM_400000_NS6detail17trampoline_kernelINS0_14default_configENS1_25partition_config_selectorILNS1_17partition_subalgoE5ElNS0_10empty_typeEbEEZZNS1_14partition_implILS5_5ELb0ES3_mN6hipcub16HIPCUB_304000_NS21CountingInputIteratorIllEEPS6_NSA_22TransformInputIteratorIbN2at6native12_GLOBAL__N_19NonZeroOpIN3c104HalfEEEPKSK_lEENS0_5tupleIJPlS6_EEENSP_IJSD_SD_EEES6_PiJS6_EEE10hipError_tPvRmT3_T4_T5_T6_T7_T9_mT8_P12ihipStream_tbDpT10_ENKUlT_T0_E_clISt17integral_constantIbLb1EES1C_IbLb0EEEEDaS18_S19_EUlS18_E_NS1_11comp_targetILNS1_3genE0ELNS1_11target_archE4294967295ELNS1_3gpuE0ELNS1_3repE0EEENS1_30default_config_static_selectorELNS0_4arch9wavefront6targetE0EEEvT1_, .Lfunc_end882-_ZN7rocprim17ROCPRIM_400000_NS6detail17trampoline_kernelINS0_14default_configENS1_25partition_config_selectorILNS1_17partition_subalgoE5ElNS0_10empty_typeEbEEZZNS1_14partition_implILS5_5ELb0ES3_mN6hipcub16HIPCUB_304000_NS21CountingInputIteratorIllEEPS6_NSA_22TransformInputIteratorIbN2at6native12_GLOBAL__N_19NonZeroOpIN3c104HalfEEEPKSK_lEENS0_5tupleIJPlS6_EEENSP_IJSD_SD_EEES6_PiJS6_EEE10hipError_tPvRmT3_T4_T5_T6_T7_T9_mT8_P12ihipStream_tbDpT10_ENKUlT_T0_E_clISt17integral_constantIbLb1EES1C_IbLb0EEEEDaS18_S19_EUlS18_E_NS1_11comp_targetILNS1_3genE0ELNS1_11target_archE4294967295ELNS1_3gpuE0ELNS1_3repE0EEENS1_30default_config_static_selectorELNS0_4arch9wavefront6targetE0EEEvT1_
                                        ; -- End function
	.set _ZN7rocprim17ROCPRIM_400000_NS6detail17trampoline_kernelINS0_14default_configENS1_25partition_config_selectorILNS1_17partition_subalgoE5ElNS0_10empty_typeEbEEZZNS1_14partition_implILS5_5ELb0ES3_mN6hipcub16HIPCUB_304000_NS21CountingInputIteratorIllEEPS6_NSA_22TransformInputIteratorIbN2at6native12_GLOBAL__N_19NonZeroOpIN3c104HalfEEEPKSK_lEENS0_5tupleIJPlS6_EEENSP_IJSD_SD_EEES6_PiJS6_EEE10hipError_tPvRmT3_T4_T5_T6_T7_T9_mT8_P12ihipStream_tbDpT10_ENKUlT_T0_E_clISt17integral_constantIbLb1EES1C_IbLb0EEEEDaS18_S19_EUlS18_E_NS1_11comp_targetILNS1_3genE0ELNS1_11target_archE4294967295ELNS1_3gpuE0ELNS1_3repE0EEENS1_30default_config_static_selectorELNS0_4arch9wavefront6targetE0EEEvT1_.num_vgpr, 0
	.set _ZN7rocprim17ROCPRIM_400000_NS6detail17trampoline_kernelINS0_14default_configENS1_25partition_config_selectorILNS1_17partition_subalgoE5ElNS0_10empty_typeEbEEZZNS1_14partition_implILS5_5ELb0ES3_mN6hipcub16HIPCUB_304000_NS21CountingInputIteratorIllEEPS6_NSA_22TransformInputIteratorIbN2at6native12_GLOBAL__N_19NonZeroOpIN3c104HalfEEEPKSK_lEENS0_5tupleIJPlS6_EEENSP_IJSD_SD_EEES6_PiJS6_EEE10hipError_tPvRmT3_T4_T5_T6_T7_T9_mT8_P12ihipStream_tbDpT10_ENKUlT_T0_E_clISt17integral_constantIbLb1EES1C_IbLb0EEEEDaS18_S19_EUlS18_E_NS1_11comp_targetILNS1_3genE0ELNS1_11target_archE4294967295ELNS1_3gpuE0ELNS1_3repE0EEENS1_30default_config_static_selectorELNS0_4arch9wavefront6targetE0EEEvT1_.num_agpr, 0
	.set _ZN7rocprim17ROCPRIM_400000_NS6detail17trampoline_kernelINS0_14default_configENS1_25partition_config_selectorILNS1_17partition_subalgoE5ElNS0_10empty_typeEbEEZZNS1_14partition_implILS5_5ELb0ES3_mN6hipcub16HIPCUB_304000_NS21CountingInputIteratorIllEEPS6_NSA_22TransformInputIteratorIbN2at6native12_GLOBAL__N_19NonZeroOpIN3c104HalfEEEPKSK_lEENS0_5tupleIJPlS6_EEENSP_IJSD_SD_EEES6_PiJS6_EEE10hipError_tPvRmT3_T4_T5_T6_T7_T9_mT8_P12ihipStream_tbDpT10_ENKUlT_T0_E_clISt17integral_constantIbLb1EES1C_IbLb0EEEEDaS18_S19_EUlS18_E_NS1_11comp_targetILNS1_3genE0ELNS1_11target_archE4294967295ELNS1_3gpuE0ELNS1_3repE0EEENS1_30default_config_static_selectorELNS0_4arch9wavefront6targetE0EEEvT1_.numbered_sgpr, 0
	.set _ZN7rocprim17ROCPRIM_400000_NS6detail17trampoline_kernelINS0_14default_configENS1_25partition_config_selectorILNS1_17partition_subalgoE5ElNS0_10empty_typeEbEEZZNS1_14partition_implILS5_5ELb0ES3_mN6hipcub16HIPCUB_304000_NS21CountingInputIteratorIllEEPS6_NSA_22TransformInputIteratorIbN2at6native12_GLOBAL__N_19NonZeroOpIN3c104HalfEEEPKSK_lEENS0_5tupleIJPlS6_EEENSP_IJSD_SD_EEES6_PiJS6_EEE10hipError_tPvRmT3_T4_T5_T6_T7_T9_mT8_P12ihipStream_tbDpT10_ENKUlT_T0_E_clISt17integral_constantIbLb1EES1C_IbLb0EEEEDaS18_S19_EUlS18_E_NS1_11comp_targetILNS1_3genE0ELNS1_11target_archE4294967295ELNS1_3gpuE0ELNS1_3repE0EEENS1_30default_config_static_selectorELNS0_4arch9wavefront6targetE0EEEvT1_.num_named_barrier, 0
	.set _ZN7rocprim17ROCPRIM_400000_NS6detail17trampoline_kernelINS0_14default_configENS1_25partition_config_selectorILNS1_17partition_subalgoE5ElNS0_10empty_typeEbEEZZNS1_14partition_implILS5_5ELb0ES3_mN6hipcub16HIPCUB_304000_NS21CountingInputIteratorIllEEPS6_NSA_22TransformInputIteratorIbN2at6native12_GLOBAL__N_19NonZeroOpIN3c104HalfEEEPKSK_lEENS0_5tupleIJPlS6_EEENSP_IJSD_SD_EEES6_PiJS6_EEE10hipError_tPvRmT3_T4_T5_T6_T7_T9_mT8_P12ihipStream_tbDpT10_ENKUlT_T0_E_clISt17integral_constantIbLb1EES1C_IbLb0EEEEDaS18_S19_EUlS18_E_NS1_11comp_targetILNS1_3genE0ELNS1_11target_archE4294967295ELNS1_3gpuE0ELNS1_3repE0EEENS1_30default_config_static_selectorELNS0_4arch9wavefront6targetE0EEEvT1_.private_seg_size, 0
	.set _ZN7rocprim17ROCPRIM_400000_NS6detail17trampoline_kernelINS0_14default_configENS1_25partition_config_selectorILNS1_17partition_subalgoE5ElNS0_10empty_typeEbEEZZNS1_14partition_implILS5_5ELb0ES3_mN6hipcub16HIPCUB_304000_NS21CountingInputIteratorIllEEPS6_NSA_22TransformInputIteratorIbN2at6native12_GLOBAL__N_19NonZeroOpIN3c104HalfEEEPKSK_lEENS0_5tupleIJPlS6_EEENSP_IJSD_SD_EEES6_PiJS6_EEE10hipError_tPvRmT3_T4_T5_T6_T7_T9_mT8_P12ihipStream_tbDpT10_ENKUlT_T0_E_clISt17integral_constantIbLb1EES1C_IbLb0EEEEDaS18_S19_EUlS18_E_NS1_11comp_targetILNS1_3genE0ELNS1_11target_archE4294967295ELNS1_3gpuE0ELNS1_3repE0EEENS1_30default_config_static_selectorELNS0_4arch9wavefront6targetE0EEEvT1_.uses_vcc, 0
	.set _ZN7rocprim17ROCPRIM_400000_NS6detail17trampoline_kernelINS0_14default_configENS1_25partition_config_selectorILNS1_17partition_subalgoE5ElNS0_10empty_typeEbEEZZNS1_14partition_implILS5_5ELb0ES3_mN6hipcub16HIPCUB_304000_NS21CountingInputIteratorIllEEPS6_NSA_22TransformInputIteratorIbN2at6native12_GLOBAL__N_19NonZeroOpIN3c104HalfEEEPKSK_lEENS0_5tupleIJPlS6_EEENSP_IJSD_SD_EEES6_PiJS6_EEE10hipError_tPvRmT3_T4_T5_T6_T7_T9_mT8_P12ihipStream_tbDpT10_ENKUlT_T0_E_clISt17integral_constantIbLb1EES1C_IbLb0EEEEDaS18_S19_EUlS18_E_NS1_11comp_targetILNS1_3genE0ELNS1_11target_archE4294967295ELNS1_3gpuE0ELNS1_3repE0EEENS1_30default_config_static_selectorELNS0_4arch9wavefront6targetE0EEEvT1_.uses_flat_scratch, 0
	.set _ZN7rocprim17ROCPRIM_400000_NS6detail17trampoline_kernelINS0_14default_configENS1_25partition_config_selectorILNS1_17partition_subalgoE5ElNS0_10empty_typeEbEEZZNS1_14partition_implILS5_5ELb0ES3_mN6hipcub16HIPCUB_304000_NS21CountingInputIteratorIllEEPS6_NSA_22TransformInputIteratorIbN2at6native12_GLOBAL__N_19NonZeroOpIN3c104HalfEEEPKSK_lEENS0_5tupleIJPlS6_EEENSP_IJSD_SD_EEES6_PiJS6_EEE10hipError_tPvRmT3_T4_T5_T6_T7_T9_mT8_P12ihipStream_tbDpT10_ENKUlT_T0_E_clISt17integral_constantIbLb1EES1C_IbLb0EEEEDaS18_S19_EUlS18_E_NS1_11comp_targetILNS1_3genE0ELNS1_11target_archE4294967295ELNS1_3gpuE0ELNS1_3repE0EEENS1_30default_config_static_selectorELNS0_4arch9wavefront6targetE0EEEvT1_.has_dyn_sized_stack, 0
	.set _ZN7rocprim17ROCPRIM_400000_NS6detail17trampoline_kernelINS0_14default_configENS1_25partition_config_selectorILNS1_17partition_subalgoE5ElNS0_10empty_typeEbEEZZNS1_14partition_implILS5_5ELb0ES3_mN6hipcub16HIPCUB_304000_NS21CountingInputIteratorIllEEPS6_NSA_22TransformInputIteratorIbN2at6native12_GLOBAL__N_19NonZeroOpIN3c104HalfEEEPKSK_lEENS0_5tupleIJPlS6_EEENSP_IJSD_SD_EEES6_PiJS6_EEE10hipError_tPvRmT3_T4_T5_T6_T7_T9_mT8_P12ihipStream_tbDpT10_ENKUlT_T0_E_clISt17integral_constantIbLb1EES1C_IbLb0EEEEDaS18_S19_EUlS18_E_NS1_11comp_targetILNS1_3genE0ELNS1_11target_archE4294967295ELNS1_3gpuE0ELNS1_3repE0EEENS1_30default_config_static_selectorELNS0_4arch9wavefront6targetE0EEEvT1_.has_recursion, 0
	.set _ZN7rocprim17ROCPRIM_400000_NS6detail17trampoline_kernelINS0_14default_configENS1_25partition_config_selectorILNS1_17partition_subalgoE5ElNS0_10empty_typeEbEEZZNS1_14partition_implILS5_5ELb0ES3_mN6hipcub16HIPCUB_304000_NS21CountingInputIteratorIllEEPS6_NSA_22TransformInputIteratorIbN2at6native12_GLOBAL__N_19NonZeroOpIN3c104HalfEEEPKSK_lEENS0_5tupleIJPlS6_EEENSP_IJSD_SD_EEES6_PiJS6_EEE10hipError_tPvRmT3_T4_T5_T6_T7_T9_mT8_P12ihipStream_tbDpT10_ENKUlT_T0_E_clISt17integral_constantIbLb1EES1C_IbLb0EEEEDaS18_S19_EUlS18_E_NS1_11comp_targetILNS1_3genE0ELNS1_11target_archE4294967295ELNS1_3gpuE0ELNS1_3repE0EEENS1_30default_config_static_selectorELNS0_4arch9wavefront6targetE0EEEvT1_.has_indirect_call, 0
	.section	.AMDGPU.csdata,"",@progbits
; Kernel info:
; codeLenInByte = 0
; TotalNumSgprs: 0
; NumVgprs: 0
; ScratchSize: 0
; MemoryBound: 0
; FloatMode: 240
; IeeeMode: 1
; LDSByteSize: 0 bytes/workgroup (compile time only)
; SGPRBlocks: 0
; VGPRBlocks: 0
; NumSGPRsForWavesPerEU: 1
; NumVGPRsForWavesPerEU: 1
; Occupancy: 16
; WaveLimiterHint : 0
; COMPUTE_PGM_RSRC2:SCRATCH_EN: 0
; COMPUTE_PGM_RSRC2:USER_SGPR: 2
; COMPUTE_PGM_RSRC2:TRAP_HANDLER: 0
; COMPUTE_PGM_RSRC2:TGID_X_EN: 1
; COMPUTE_PGM_RSRC2:TGID_Y_EN: 0
; COMPUTE_PGM_RSRC2:TGID_Z_EN: 0
; COMPUTE_PGM_RSRC2:TIDIG_COMP_CNT: 0
	.section	.text._ZN7rocprim17ROCPRIM_400000_NS6detail17trampoline_kernelINS0_14default_configENS1_25partition_config_selectorILNS1_17partition_subalgoE5ElNS0_10empty_typeEbEEZZNS1_14partition_implILS5_5ELb0ES3_mN6hipcub16HIPCUB_304000_NS21CountingInputIteratorIllEEPS6_NSA_22TransformInputIteratorIbN2at6native12_GLOBAL__N_19NonZeroOpIN3c104HalfEEEPKSK_lEENS0_5tupleIJPlS6_EEENSP_IJSD_SD_EEES6_PiJS6_EEE10hipError_tPvRmT3_T4_T5_T6_T7_T9_mT8_P12ihipStream_tbDpT10_ENKUlT_T0_E_clISt17integral_constantIbLb1EES1C_IbLb0EEEEDaS18_S19_EUlS18_E_NS1_11comp_targetILNS1_3genE5ELNS1_11target_archE942ELNS1_3gpuE9ELNS1_3repE0EEENS1_30default_config_static_selectorELNS0_4arch9wavefront6targetE0EEEvT1_,"axG",@progbits,_ZN7rocprim17ROCPRIM_400000_NS6detail17trampoline_kernelINS0_14default_configENS1_25partition_config_selectorILNS1_17partition_subalgoE5ElNS0_10empty_typeEbEEZZNS1_14partition_implILS5_5ELb0ES3_mN6hipcub16HIPCUB_304000_NS21CountingInputIteratorIllEEPS6_NSA_22TransformInputIteratorIbN2at6native12_GLOBAL__N_19NonZeroOpIN3c104HalfEEEPKSK_lEENS0_5tupleIJPlS6_EEENSP_IJSD_SD_EEES6_PiJS6_EEE10hipError_tPvRmT3_T4_T5_T6_T7_T9_mT8_P12ihipStream_tbDpT10_ENKUlT_T0_E_clISt17integral_constantIbLb1EES1C_IbLb0EEEEDaS18_S19_EUlS18_E_NS1_11comp_targetILNS1_3genE5ELNS1_11target_archE942ELNS1_3gpuE9ELNS1_3repE0EEENS1_30default_config_static_selectorELNS0_4arch9wavefront6targetE0EEEvT1_,comdat
	.globl	_ZN7rocprim17ROCPRIM_400000_NS6detail17trampoline_kernelINS0_14default_configENS1_25partition_config_selectorILNS1_17partition_subalgoE5ElNS0_10empty_typeEbEEZZNS1_14partition_implILS5_5ELb0ES3_mN6hipcub16HIPCUB_304000_NS21CountingInputIteratorIllEEPS6_NSA_22TransformInputIteratorIbN2at6native12_GLOBAL__N_19NonZeroOpIN3c104HalfEEEPKSK_lEENS0_5tupleIJPlS6_EEENSP_IJSD_SD_EEES6_PiJS6_EEE10hipError_tPvRmT3_T4_T5_T6_T7_T9_mT8_P12ihipStream_tbDpT10_ENKUlT_T0_E_clISt17integral_constantIbLb1EES1C_IbLb0EEEEDaS18_S19_EUlS18_E_NS1_11comp_targetILNS1_3genE5ELNS1_11target_archE942ELNS1_3gpuE9ELNS1_3repE0EEENS1_30default_config_static_selectorELNS0_4arch9wavefront6targetE0EEEvT1_ ; -- Begin function _ZN7rocprim17ROCPRIM_400000_NS6detail17trampoline_kernelINS0_14default_configENS1_25partition_config_selectorILNS1_17partition_subalgoE5ElNS0_10empty_typeEbEEZZNS1_14partition_implILS5_5ELb0ES3_mN6hipcub16HIPCUB_304000_NS21CountingInputIteratorIllEEPS6_NSA_22TransformInputIteratorIbN2at6native12_GLOBAL__N_19NonZeroOpIN3c104HalfEEEPKSK_lEENS0_5tupleIJPlS6_EEENSP_IJSD_SD_EEES6_PiJS6_EEE10hipError_tPvRmT3_T4_T5_T6_T7_T9_mT8_P12ihipStream_tbDpT10_ENKUlT_T0_E_clISt17integral_constantIbLb1EES1C_IbLb0EEEEDaS18_S19_EUlS18_E_NS1_11comp_targetILNS1_3genE5ELNS1_11target_archE942ELNS1_3gpuE9ELNS1_3repE0EEENS1_30default_config_static_selectorELNS0_4arch9wavefront6targetE0EEEvT1_
	.p2align	8
	.type	_ZN7rocprim17ROCPRIM_400000_NS6detail17trampoline_kernelINS0_14default_configENS1_25partition_config_selectorILNS1_17partition_subalgoE5ElNS0_10empty_typeEbEEZZNS1_14partition_implILS5_5ELb0ES3_mN6hipcub16HIPCUB_304000_NS21CountingInputIteratorIllEEPS6_NSA_22TransformInputIteratorIbN2at6native12_GLOBAL__N_19NonZeroOpIN3c104HalfEEEPKSK_lEENS0_5tupleIJPlS6_EEENSP_IJSD_SD_EEES6_PiJS6_EEE10hipError_tPvRmT3_T4_T5_T6_T7_T9_mT8_P12ihipStream_tbDpT10_ENKUlT_T0_E_clISt17integral_constantIbLb1EES1C_IbLb0EEEEDaS18_S19_EUlS18_E_NS1_11comp_targetILNS1_3genE5ELNS1_11target_archE942ELNS1_3gpuE9ELNS1_3repE0EEENS1_30default_config_static_selectorELNS0_4arch9wavefront6targetE0EEEvT1_,@function
_ZN7rocprim17ROCPRIM_400000_NS6detail17trampoline_kernelINS0_14default_configENS1_25partition_config_selectorILNS1_17partition_subalgoE5ElNS0_10empty_typeEbEEZZNS1_14partition_implILS5_5ELb0ES3_mN6hipcub16HIPCUB_304000_NS21CountingInputIteratorIllEEPS6_NSA_22TransformInputIteratorIbN2at6native12_GLOBAL__N_19NonZeroOpIN3c104HalfEEEPKSK_lEENS0_5tupleIJPlS6_EEENSP_IJSD_SD_EEES6_PiJS6_EEE10hipError_tPvRmT3_T4_T5_T6_T7_T9_mT8_P12ihipStream_tbDpT10_ENKUlT_T0_E_clISt17integral_constantIbLb1EES1C_IbLb0EEEEDaS18_S19_EUlS18_E_NS1_11comp_targetILNS1_3genE5ELNS1_11target_archE942ELNS1_3gpuE9ELNS1_3repE0EEENS1_30default_config_static_selectorELNS0_4arch9wavefront6targetE0EEEvT1_: ; @_ZN7rocprim17ROCPRIM_400000_NS6detail17trampoline_kernelINS0_14default_configENS1_25partition_config_selectorILNS1_17partition_subalgoE5ElNS0_10empty_typeEbEEZZNS1_14partition_implILS5_5ELb0ES3_mN6hipcub16HIPCUB_304000_NS21CountingInputIteratorIllEEPS6_NSA_22TransformInputIteratorIbN2at6native12_GLOBAL__N_19NonZeroOpIN3c104HalfEEEPKSK_lEENS0_5tupleIJPlS6_EEENSP_IJSD_SD_EEES6_PiJS6_EEE10hipError_tPvRmT3_T4_T5_T6_T7_T9_mT8_P12ihipStream_tbDpT10_ENKUlT_T0_E_clISt17integral_constantIbLb1EES1C_IbLb0EEEEDaS18_S19_EUlS18_E_NS1_11comp_targetILNS1_3genE5ELNS1_11target_archE942ELNS1_3gpuE9ELNS1_3repE0EEENS1_30default_config_static_selectorELNS0_4arch9wavefront6targetE0EEEvT1_
; %bb.0:
	.section	.rodata,"a",@progbits
	.p2align	6, 0x0
	.amdhsa_kernel _ZN7rocprim17ROCPRIM_400000_NS6detail17trampoline_kernelINS0_14default_configENS1_25partition_config_selectorILNS1_17partition_subalgoE5ElNS0_10empty_typeEbEEZZNS1_14partition_implILS5_5ELb0ES3_mN6hipcub16HIPCUB_304000_NS21CountingInputIteratorIllEEPS6_NSA_22TransformInputIteratorIbN2at6native12_GLOBAL__N_19NonZeroOpIN3c104HalfEEEPKSK_lEENS0_5tupleIJPlS6_EEENSP_IJSD_SD_EEES6_PiJS6_EEE10hipError_tPvRmT3_T4_T5_T6_T7_T9_mT8_P12ihipStream_tbDpT10_ENKUlT_T0_E_clISt17integral_constantIbLb1EES1C_IbLb0EEEEDaS18_S19_EUlS18_E_NS1_11comp_targetILNS1_3genE5ELNS1_11target_archE942ELNS1_3gpuE9ELNS1_3repE0EEENS1_30default_config_static_selectorELNS0_4arch9wavefront6targetE0EEEvT1_
		.amdhsa_group_segment_fixed_size 0
		.amdhsa_private_segment_fixed_size 0
		.amdhsa_kernarg_size 120
		.amdhsa_user_sgpr_count 2
		.amdhsa_user_sgpr_dispatch_ptr 0
		.amdhsa_user_sgpr_queue_ptr 0
		.amdhsa_user_sgpr_kernarg_segment_ptr 1
		.amdhsa_user_sgpr_dispatch_id 0
		.amdhsa_user_sgpr_private_segment_size 0
		.amdhsa_wavefront_size32 1
		.amdhsa_uses_dynamic_stack 0
		.amdhsa_enable_private_segment 0
		.amdhsa_system_sgpr_workgroup_id_x 1
		.amdhsa_system_sgpr_workgroup_id_y 0
		.amdhsa_system_sgpr_workgroup_id_z 0
		.amdhsa_system_sgpr_workgroup_info 0
		.amdhsa_system_vgpr_workitem_id 0
		.amdhsa_next_free_vgpr 1
		.amdhsa_next_free_sgpr 1
		.amdhsa_reserve_vcc 0
		.amdhsa_float_round_mode_32 0
		.amdhsa_float_round_mode_16_64 0
		.amdhsa_float_denorm_mode_32 3
		.amdhsa_float_denorm_mode_16_64 3
		.amdhsa_fp16_overflow 0
		.amdhsa_workgroup_processor_mode 1
		.amdhsa_memory_ordered 1
		.amdhsa_forward_progress 1
		.amdhsa_inst_pref_size 0
		.amdhsa_round_robin_scheduling 0
		.amdhsa_exception_fp_ieee_invalid_op 0
		.amdhsa_exception_fp_denorm_src 0
		.amdhsa_exception_fp_ieee_div_zero 0
		.amdhsa_exception_fp_ieee_overflow 0
		.amdhsa_exception_fp_ieee_underflow 0
		.amdhsa_exception_fp_ieee_inexact 0
		.amdhsa_exception_int_div_zero 0
	.end_amdhsa_kernel
	.section	.text._ZN7rocprim17ROCPRIM_400000_NS6detail17trampoline_kernelINS0_14default_configENS1_25partition_config_selectorILNS1_17partition_subalgoE5ElNS0_10empty_typeEbEEZZNS1_14partition_implILS5_5ELb0ES3_mN6hipcub16HIPCUB_304000_NS21CountingInputIteratorIllEEPS6_NSA_22TransformInputIteratorIbN2at6native12_GLOBAL__N_19NonZeroOpIN3c104HalfEEEPKSK_lEENS0_5tupleIJPlS6_EEENSP_IJSD_SD_EEES6_PiJS6_EEE10hipError_tPvRmT3_T4_T5_T6_T7_T9_mT8_P12ihipStream_tbDpT10_ENKUlT_T0_E_clISt17integral_constantIbLb1EES1C_IbLb0EEEEDaS18_S19_EUlS18_E_NS1_11comp_targetILNS1_3genE5ELNS1_11target_archE942ELNS1_3gpuE9ELNS1_3repE0EEENS1_30default_config_static_selectorELNS0_4arch9wavefront6targetE0EEEvT1_,"axG",@progbits,_ZN7rocprim17ROCPRIM_400000_NS6detail17trampoline_kernelINS0_14default_configENS1_25partition_config_selectorILNS1_17partition_subalgoE5ElNS0_10empty_typeEbEEZZNS1_14partition_implILS5_5ELb0ES3_mN6hipcub16HIPCUB_304000_NS21CountingInputIteratorIllEEPS6_NSA_22TransformInputIteratorIbN2at6native12_GLOBAL__N_19NonZeroOpIN3c104HalfEEEPKSK_lEENS0_5tupleIJPlS6_EEENSP_IJSD_SD_EEES6_PiJS6_EEE10hipError_tPvRmT3_T4_T5_T6_T7_T9_mT8_P12ihipStream_tbDpT10_ENKUlT_T0_E_clISt17integral_constantIbLb1EES1C_IbLb0EEEEDaS18_S19_EUlS18_E_NS1_11comp_targetILNS1_3genE5ELNS1_11target_archE942ELNS1_3gpuE9ELNS1_3repE0EEENS1_30default_config_static_selectorELNS0_4arch9wavefront6targetE0EEEvT1_,comdat
.Lfunc_end883:
	.size	_ZN7rocprim17ROCPRIM_400000_NS6detail17trampoline_kernelINS0_14default_configENS1_25partition_config_selectorILNS1_17partition_subalgoE5ElNS0_10empty_typeEbEEZZNS1_14partition_implILS5_5ELb0ES3_mN6hipcub16HIPCUB_304000_NS21CountingInputIteratorIllEEPS6_NSA_22TransformInputIteratorIbN2at6native12_GLOBAL__N_19NonZeroOpIN3c104HalfEEEPKSK_lEENS0_5tupleIJPlS6_EEENSP_IJSD_SD_EEES6_PiJS6_EEE10hipError_tPvRmT3_T4_T5_T6_T7_T9_mT8_P12ihipStream_tbDpT10_ENKUlT_T0_E_clISt17integral_constantIbLb1EES1C_IbLb0EEEEDaS18_S19_EUlS18_E_NS1_11comp_targetILNS1_3genE5ELNS1_11target_archE942ELNS1_3gpuE9ELNS1_3repE0EEENS1_30default_config_static_selectorELNS0_4arch9wavefront6targetE0EEEvT1_, .Lfunc_end883-_ZN7rocprim17ROCPRIM_400000_NS6detail17trampoline_kernelINS0_14default_configENS1_25partition_config_selectorILNS1_17partition_subalgoE5ElNS0_10empty_typeEbEEZZNS1_14partition_implILS5_5ELb0ES3_mN6hipcub16HIPCUB_304000_NS21CountingInputIteratorIllEEPS6_NSA_22TransformInputIteratorIbN2at6native12_GLOBAL__N_19NonZeroOpIN3c104HalfEEEPKSK_lEENS0_5tupleIJPlS6_EEENSP_IJSD_SD_EEES6_PiJS6_EEE10hipError_tPvRmT3_T4_T5_T6_T7_T9_mT8_P12ihipStream_tbDpT10_ENKUlT_T0_E_clISt17integral_constantIbLb1EES1C_IbLb0EEEEDaS18_S19_EUlS18_E_NS1_11comp_targetILNS1_3genE5ELNS1_11target_archE942ELNS1_3gpuE9ELNS1_3repE0EEENS1_30default_config_static_selectorELNS0_4arch9wavefront6targetE0EEEvT1_
                                        ; -- End function
	.set _ZN7rocprim17ROCPRIM_400000_NS6detail17trampoline_kernelINS0_14default_configENS1_25partition_config_selectorILNS1_17partition_subalgoE5ElNS0_10empty_typeEbEEZZNS1_14partition_implILS5_5ELb0ES3_mN6hipcub16HIPCUB_304000_NS21CountingInputIteratorIllEEPS6_NSA_22TransformInputIteratorIbN2at6native12_GLOBAL__N_19NonZeroOpIN3c104HalfEEEPKSK_lEENS0_5tupleIJPlS6_EEENSP_IJSD_SD_EEES6_PiJS6_EEE10hipError_tPvRmT3_T4_T5_T6_T7_T9_mT8_P12ihipStream_tbDpT10_ENKUlT_T0_E_clISt17integral_constantIbLb1EES1C_IbLb0EEEEDaS18_S19_EUlS18_E_NS1_11comp_targetILNS1_3genE5ELNS1_11target_archE942ELNS1_3gpuE9ELNS1_3repE0EEENS1_30default_config_static_selectorELNS0_4arch9wavefront6targetE0EEEvT1_.num_vgpr, 0
	.set _ZN7rocprim17ROCPRIM_400000_NS6detail17trampoline_kernelINS0_14default_configENS1_25partition_config_selectorILNS1_17partition_subalgoE5ElNS0_10empty_typeEbEEZZNS1_14partition_implILS5_5ELb0ES3_mN6hipcub16HIPCUB_304000_NS21CountingInputIteratorIllEEPS6_NSA_22TransformInputIteratorIbN2at6native12_GLOBAL__N_19NonZeroOpIN3c104HalfEEEPKSK_lEENS0_5tupleIJPlS6_EEENSP_IJSD_SD_EEES6_PiJS6_EEE10hipError_tPvRmT3_T4_T5_T6_T7_T9_mT8_P12ihipStream_tbDpT10_ENKUlT_T0_E_clISt17integral_constantIbLb1EES1C_IbLb0EEEEDaS18_S19_EUlS18_E_NS1_11comp_targetILNS1_3genE5ELNS1_11target_archE942ELNS1_3gpuE9ELNS1_3repE0EEENS1_30default_config_static_selectorELNS0_4arch9wavefront6targetE0EEEvT1_.num_agpr, 0
	.set _ZN7rocprim17ROCPRIM_400000_NS6detail17trampoline_kernelINS0_14default_configENS1_25partition_config_selectorILNS1_17partition_subalgoE5ElNS0_10empty_typeEbEEZZNS1_14partition_implILS5_5ELb0ES3_mN6hipcub16HIPCUB_304000_NS21CountingInputIteratorIllEEPS6_NSA_22TransformInputIteratorIbN2at6native12_GLOBAL__N_19NonZeroOpIN3c104HalfEEEPKSK_lEENS0_5tupleIJPlS6_EEENSP_IJSD_SD_EEES6_PiJS6_EEE10hipError_tPvRmT3_T4_T5_T6_T7_T9_mT8_P12ihipStream_tbDpT10_ENKUlT_T0_E_clISt17integral_constantIbLb1EES1C_IbLb0EEEEDaS18_S19_EUlS18_E_NS1_11comp_targetILNS1_3genE5ELNS1_11target_archE942ELNS1_3gpuE9ELNS1_3repE0EEENS1_30default_config_static_selectorELNS0_4arch9wavefront6targetE0EEEvT1_.numbered_sgpr, 0
	.set _ZN7rocprim17ROCPRIM_400000_NS6detail17trampoline_kernelINS0_14default_configENS1_25partition_config_selectorILNS1_17partition_subalgoE5ElNS0_10empty_typeEbEEZZNS1_14partition_implILS5_5ELb0ES3_mN6hipcub16HIPCUB_304000_NS21CountingInputIteratorIllEEPS6_NSA_22TransformInputIteratorIbN2at6native12_GLOBAL__N_19NonZeroOpIN3c104HalfEEEPKSK_lEENS0_5tupleIJPlS6_EEENSP_IJSD_SD_EEES6_PiJS6_EEE10hipError_tPvRmT3_T4_T5_T6_T7_T9_mT8_P12ihipStream_tbDpT10_ENKUlT_T0_E_clISt17integral_constantIbLb1EES1C_IbLb0EEEEDaS18_S19_EUlS18_E_NS1_11comp_targetILNS1_3genE5ELNS1_11target_archE942ELNS1_3gpuE9ELNS1_3repE0EEENS1_30default_config_static_selectorELNS0_4arch9wavefront6targetE0EEEvT1_.num_named_barrier, 0
	.set _ZN7rocprim17ROCPRIM_400000_NS6detail17trampoline_kernelINS0_14default_configENS1_25partition_config_selectorILNS1_17partition_subalgoE5ElNS0_10empty_typeEbEEZZNS1_14partition_implILS5_5ELb0ES3_mN6hipcub16HIPCUB_304000_NS21CountingInputIteratorIllEEPS6_NSA_22TransformInputIteratorIbN2at6native12_GLOBAL__N_19NonZeroOpIN3c104HalfEEEPKSK_lEENS0_5tupleIJPlS6_EEENSP_IJSD_SD_EEES6_PiJS6_EEE10hipError_tPvRmT3_T4_T5_T6_T7_T9_mT8_P12ihipStream_tbDpT10_ENKUlT_T0_E_clISt17integral_constantIbLb1EES1C_IbLb0EEEEDaS18_S19_EUlS18_E_NS1_11comp_targetILNS1_3genE5ELNS1_11target_archE942ELNS1_3gpuE9ELNS1_3repE0EEENS1_30default_config_static_selectorELNS0_4arch9wavefront6targetE0EEEvT1_.private_seg_size, 0
	.set _ZN7rocprim17ROCPRIM_400000_NS6detail17trampoline_kernelINS0_14default_configENS1_25partition_config_selectorILNS1_17partition_subalgoE5ElNS0_10empty_typeEbEEZZNS1_14partition_implILS5_5ELb0ES3_mN6hipcub16HIPCUB_304000_NS21CountingInputIteratorIllEEPS6_NSA_22TransformInputIteratorIbN2at6native12_GLOBAL__N_19NonZeroOpIN3c104HalfEEEPKSK_lEENS0_5tupleIJPlS6_EEENSP_IJSD_SD_EEES6_PiJS6_EEE10hipError_tPvRmT3_T4_T5_T6_T7_T9_mT8_P12ihipStream_tbDpT10_ENKUlT_T0_E_clISt17integral_constantIbLb1EES1C_IbLb0EEEEDaS18_S19_EUlS18_E_NS1_11comp_targetILNS1_3genE5ELNS1_11target_archE942ELNS1_3gpuE9ELNS1_3repE0EEENS1_30default_config_static_selectorELNS0_4arch9wavefront6targetE0EEEvT1_.uses_vcc, 0
	.set _ZN7rocprim17ROCPRIM_400000_NS6detail17trampoline_kernelINS0_14default_configENS1_25partition_config_selectorILNS1_17partition_subalgoE5ElNS0_10empty_typeEbEEZZNS1_14partition_implILS5_5ELb0ES3_mN6hipcub16HIPCUB_304000_NS21CountingInputIteratorIllEEPS6_NSA_22TransformInputIteratorIbN2at6native12_GLOBAL__N_19NonZeroOpIN3c104HalfEEEPKSK_lEENS0_5tupleIJPlS6_EEENSP_IJSD_SD_EEES6_PiJS6_EEE10hipError_tPvRmT3_T4_T5_T6_T7_T9_mT8_P12ihipStream_tbDpT10_ENKUlT_T0_E_clISt17integral_constantIbLb1EES1C_IbLb0EEEEDaS18_S19_EUlS18_E_NS1_11comp_targetILNS1_3genE5ELNS1_11target_archE942ELNS1_3gpuE9ELNS1_3repE0EEENS1_30default_config_static_selectorELNS0_4arch9wavefront6targetE0EEEvT1_.uses_flat_scratch, 0
	.set _ZN7rocprim17ROCPRIM_400000_NS6detail17trampoline_kernelINS0_14default_configENS1_25partition_config_selectorILNS1_17partition_subalgoE5ElNS0_10empty_typeEbEEZZNS1_14partition_implILS5_5ELb0ES3_mN6hipcub16HIPCUB_304000_NS21CountingInputIteratorIllEEPS6_NSA_22TransformInputIteratorIbN2at6native12_GLOBAL__N_19NonZeroOpIN3c104HalfEEEPKSK_lEENS0_5tupleIJPlS6_EEENSP_IJSD_SD_EEES6_PiJS6_EEE10hipError_tPvRmT3_T4_T5_T6_T7_T9_mT8_P12ihipStream_tbDpT10_ENKUlT_T0_E_clISt17integral_constantIbLb1EES1C_IbLb0EEEEDaS18_S19_EUlS18_E_NS1_11comp_targetILNS1_3genE5ELNS1_11target_archE942ELNS1_3gpuE9ELNS1_3repE0EEENS1_30default_config_static_selectorELNS0_4arch9wavefront6targetE0EEEvT1_.has_dyn_sized_stack, 0
	.set _ZN7rocprim17ROCPRIM_400000_NS6detail17trampoline_kernelINS0_14default_configENS1_25partition_config_selectorILNS1_17partition_subalgoE5ElNS0_10empty_typeEbEEZZNS1_14partition_implILS5_5ELb0ES3_mN6hipcub16HIPCUB_304000_NS21CountingInputIteratorIllEEPS6_NSA_22TransformInputIteratorIbN2at6native12_GLOBAL__N_19NonZeroOpIN3c104HalfEEEPKSK_lEENS0_5tupleIJPlS6_EEENSP_IJSD_SD_EEES6_PiJS6_EEE10hipError_tPvRmT3_T4_T5_T6_T7_T9_mT8_P12ihipStream_tbDpT10_ENKUlT_T0_E_clISt17integral_constantIbLb1EES1C_IbLb0EEEEDaS18_S19_EUlS18_E_NS1_11comp_targetILNS1_3genE5ELNS1_11target_archE942ELNS1_3gpuE9ELNS1_3repE0EEENS1_30default_config_static_selectorELNS0_4arch9wavefront6targetE0EEEvT1_.has_recursion, 0
	.set _ZN7rocprim17ROCPRIM_400000_NS6detail17trampoline_kernelINS0_14default_configENS1_25partition_config_selectorILNS1_17partition_subalgoE5ElNS0_10empty_typeEbEEZZNS1_14partition_implILS5_5ELb0ES3_mN6hipcub16HIPCUB_304000_NS21CountingInputIteratorIllEEPS6_NSA_22TransformInputIteratorIbN2at6native12_GLOBAL__N_19NonZeroOpIN3c104HalfEEEPKSK_lEENS0_5tupleIJPlS6_EEENSP_IJSD_SD_EEES6_PiJS6_EEE10hipError_tPvRmT3_T4_T5_T6_T7_T9_mT8_P12ihipStream_tbDpT10_ENKUlT_T0_E_clISt17integral_constantIbLb1EES1C_IbLb0EEEEDaS18_S19_EUlS18_E_NS1_11comp_targetILNS1_3genE5ELNS1_11target_archE942ELNS1_3gpuE9ELNS1_3repE0EEENS1_30default_config_static_selectorELNS0_4arch9wavefront6targetE0EEEvT1_.has_indirect_call, 0
	.section	.AMDGPU.csdata,"",@progbits
; Kernel info:
; codeLenInByte = 0
; TotalNumSgprs: 0
; NumVgprs: 0
; ScratchSize: 0
; MemoryBound: 0
; FloatMode: 240
; IeeeMode: 1
; LDSByteSize: 0 bytes/workgroup (compile time only)
; SGPRBlocks: 0
; VGPRBlocks: 0
; NumSGPRsForWavesPerEU: 1
; NumVGPRsForWavesPerEU: 1
; Occupancy: 16
; WaveLimiterHint : 0
; COMPUTE_PGM_RSRC2:SCRATCH_EN: 0
; COMPUTE_PGM_RSRC2:USER_SGPR: 2
; COMPUTE_PGM_RSRC2:TRAP_HANDLER: 0
; COMPUTE_PGM_RSRC2:TGID_X_EN: 1
; COMPUTE_PGM_RSRC2:TGID_Y_EN: 0
; COMPUTE_PGM_RSRC2:TGID_Z_EN: 0
; COMPUTE_PGM_RSRC2:TIDIG_COMP_CNT: 0
	.section	.text._ZN7rocprim17ROCPRIM_400000_NS6detail17trampoline_kernelINS0_14default_configENS1_25partition_config_selectorILNS1_17partition_subalgoE5ElNS0_10empty_typeEbEEZZNS1_14partition_implILS5_5ELb0ES3_mN6hipcub16HIPCUB_304000_NS21CountingInputIteratorIllEEPS6_NSA_22TransformInputIteratorIbN2at6native12_GLOBAL__N_19NonZeroOpIN3c104HalfEEEPKSK_lEENS0_5tupleIJPlS6_EEENSP_IJSD_SD_EEES6_PiJS6_EEE10hipError_tPvRmT3_T4_T5_T6_T7_T9_mT8_P12ihipStream_tbDpT10_ENKUlT_T0_E_clISt17integral_constantIbLb1EES1C_IbLb0EEEEDaS18_S19_EUlS18_E_NS1_11comp_targetILNS1_3genE4ELNS1_11target_archE910ELNS1_3gpuE8ELNS1_3repE0EEENS1_30default_config_static_selectorELNS0_4arch9wavefront6targetE0EEEvT1_,"axG",@progbits,_ZN7rocprim17ROCPRIM_400000_NS6detail17trampoline_kernelINS0_14default_configENS1_25partition_config_selectorILNS1_17partition_subalgoE5ElNS0_10empty_typeEbEEZZNS1_14partition_implILS5_5ELb0ES3_mN6hipcub16HIPCUB_304000_NS21CountingInputIteratorIllEEPS6_NSA_22TransformInputIteratorIbN2at6native12_GLOBAL__N_19NonZeroOpIN3c104HalfEEEPKSK_lEENS0_5tupleIJPlS6_EEENSP_IJSD_SD_EEES6_PiJS6_EEE10hipError_tPvRmT3_T4_T5_T6_T7_T9_mT8_P12ihipStream_tbDpT10_ENKUlT_T0_E_clISt17integral_constantIbLb1EES1C_IbLb0EEEEDaS18_S19_EUlS18_E_NS1_11comp_targetILNS1_3genE4ELNS1_11target_archE910ELNS1_3gpuE8ELNS1_3repE0EEENS1_30default_config_static_selectorELNS0_4arch9wavefront6targetE0EEEvT1_,comdat
	.globl	_ZN7rocprim17ROCPRIM_400000_NS6detail17trampoline_kernelINS0_14default_configENS1_25partition_config_selectorILNS1_17partition_subalgoE5ElNS0_10empty_typeEbEEZZNS1_14partition_implILS5_5ELb0ES3_mN6hipcub16HIPCUB_304000_NS21CountingInputIteratorIllEEPS6_NSA_22TransformInputIteratorIbN2at6native12_GLOBAL__N_19NonZeroOpIN3c104HalfEEEPKSK_lEENS0_5tupleIJPlS6_EEENSP_IJSD_SD_EEES6_PiJS6_EEE10hipError_tPvRmT3_T4_T5_T6_T7_T9_mT8_P12ihipStream_tbDpT10_ENKUlT_T0_E_clISt17integral_constantIbLb1EES1C_IbLb0EEEEDaS18_S19_EUlS18_E_NS1_11comp_targetILNS1_3genE4ELNS1_11target_archE910ELNS1_3gpuE8ELNS1_3repE0EEENS1_30default_config_static_selectorELNS0_4arch9wavefront6targetE0EEEvT1_ ; -- Begin function _ZN7rocprim17ROCPRIM_400000_NS6detail17trampoline_kernelINS0_14default_configENS1_25partition_config_selectorILNS1_17partition_subalgoE5ElNS0_10empty_typeEbEEZZNS1_14partition_implILS5_5ELb0ES3_mN6hipcub16HIPCUB_304000_NS21CountingInputIteratorIllEEPS6_NSA_22TransformInputIteratorIbN2at6native12_GLOBAL__N_19NonZeroOpIN3c104HalfEEEPKSK_lEENS0_5tupleIJPlS6_EEENSP_IJSD_SD_EEES6_PiJS6_EEE10hipError_tPvRmT3_T4_T5_T6_T7_T9_mT8_P12ihipStream_tbDpT10_ENKUlT_T0_E_clISt17integral_constantIbLb1EES1C_IbLb0EEEEDaS18_S19_EUlS18_E_NS1_11comp_targetILNS1_3genE4ELNS1_11target_archE910ELNS1_3gpuE8ELNS1_3repE0EEENS1_30default_config_static_selectorELNS0_4arch9wavefront6targetE0EEEvT1_
	.p2align	8
	.type	_ZN7rocprim17ROCPRIM_400000_NS6detail17trampoline_kernelINS0_14default_configENS1_25partition_config_selectorILNS1_17partition_subalgoE5ElNS0_10empty_typeEbEEZZNS1_14partition_implILS5_5ELb0ES3_mN6hipcub16HIPCUB_304000_NS21CountingInputIteratorIllEEPS6_NSA_22TransformInputIteratorIbN2at6native12_GLOBAL__N_19NonZeroOpIN3c104HalfEEEPKSK_lEENS0_5tupleIJPlS6_EEENSP_IJSD_SD_EEES6_PiJS6_EEE10hipError_tPvRmT3_T4_T5_T6_T7_T9_mT8_P12ihipStream_tbDpT10_ENKUlT_T0_E_clISt17integral_constantIbLb1EES1C_IbLb0EEEEDaS18_S19_EUlS18_E_NS1_11comp_targetILNS1_3genE4ELNS1_11target_archE910ELNS1_3gpuE8ELNS1_3repE0EEENS1_30default_config_static_selectorELNS0_4arch9wavefront6targetE0EEEvT1_,@function
_ZN7rocprim17ROCPRIM_400000_NS6detail17trampoline_kernelINS0_14default_configENS1_25partition_config_selectorILNS1_17partition_subalgoE5ElNS0_10empty_typeEbEEZZNS1_14partition_implILS5_5ELb0ES3_mN6hipcub16HIPCUB_304000_NS21CountingInputIteratorIllEEPS6_NSA_22TransformInputIteratorIbN2at6native12_GLOBAL__N_19NonZeroOpIN3c104HalfEEEPKSK_lEENS0_5tupleIJPlS6_EEENSP_IJSD_SD_EEES6_PiJS6_EEE10hipError_tPvRmT3_T4_T5_T6_T7_T9_mT8_P12ihipStream_tbDpT10_ENKUlT_T0_E_clISt17integral_constantIbLb1EES1C_IbLb0EEEEDaS18_S19_EUlS18_E_NS1_11comp_targetILNS1_3genE4ELNS1_11target_archE910ELNS1_3gpuE8ELNS1_3repE0EEENS1_30default_config_static_selectorELNS0_4arch9wavefront6targetE0EEEvT1_: ; @_ZN7rocprim17ROCPRIM_400000_NS6detail17trampoline_kernelINS0_14default_configENS1_25partition_config_selectorILNS1_17partition_subalgoE5ElNS0_10empty_typeEbEEZZNS1_14partition_implILS5_5ELb0ES3_mN6hipcub16HIPCUB_304000_NS21CountingInputIteratorIllEEPS6_NSA_22TransformInputIteratorIbN2at6native12_GLOBAL__N_19NonZeroOpIN3c104HalfEEEPKSK_lEENS0_5tupleIJPlS6_EEENSP_IJSD_SD_EEES6_PiJS6_EEE10hipError_tPvRmT3_T4_T5_T6_T7_T9_mT8_P12ihipStream_tbDpT10_ENKUlT_T0_E_clISt17integral_constantIbLb1EES1C_IbLb0EEEEDaS18_S19_EUlS18_E_NS1_11comp_targetILNS1_3genE4ELNS1_11target_archE910ELNS1_3gpuE8ELNS1_3repE0EEENS1_30default_config_static_selectorELNS0_4arch9wavefront6targetE0EEEvT1_
; %bb.0:
	.section	.rodata,"a",@progbits
	.p2align	6, 0x0
	.amdhsa_kernel _ZN7rocprim17ROCPRIM_400000_NS6detail17trampoline_kernelINS0_14default_configENS1_25partition_config_selectorILNS1_17partition_subalgoE5ElNS0_10empty_typeEbEEZZNS1_14partition_implILS5_5ELb0ES3_mN6hipcub16HIPCUB_304000_NS21CountingInputIteratorIllEEPS6_NSA_22TransformInputIteratorIbN2at6native12_GLOBAL__N_19NonZeroOpIN3c104HalfEEEPKSK_lEENS0_5tupleIJPlS6_EEENSP_IJSD_SD_EEES6_PiJS6_EEE10hipError_tPvRmT3_T4_T5_T6_T7_T9_mT8_P12ihipStream_tbDpT10_ENKUlT_T0_E_clISt17integral_constantIbLb1EES1C_IbLb0EEEEDaS18_S19_EUlS18_E_NS1_11comp_targetILNS1_3genE4ELNS1_11target_archE910ELNS1_3gpuE8ELNS1_3repE0EEENS1_30default_config_static_selectorELNS0_4arch9wavefront6targetE0EEEvT1_
		.amdhsa_group_segment_fixed_size 0
		.amdhsa_private_segment_fixed_size 0
		.amdhsa_kernarg_size 120
		.amdhsa_user_sgpr_count 2
		.amdhsa_user_sgpr_dispatch_ptr 0
		.amdhsa_user_sgpr_queue_ptr 0
		.amdhsa_user_sgpr_kernarg_segment_ptr 1
		.amdhsa_user_sgpr_dispatch_id 0
		.amdhsa_user_sgpr_private_segment_size 0
		.amdhsa_wavefront_size32 1
		.amdhsa_uses_dynamic_stack 0
		.amdhsa_enable_private_segment 0
		.amdhsa_system_sgpr_workgroup_id_x 1
		.amdhsa_system_sgpr_workgroup_id_y 0
		.amdhsa_system_sgpr_workgroup_id_z 0
		.amdhsa_system_sgpr_workgroup_info 0
		.amdhsa_system_vgpr_workitem_id 0
		.amdhsa_next_free_vgpr 1
		.amdhsa_next_free_sgpr 1
		.amdhsa_reserve_vcc 0
		.amdhsa_float_round_mode_32 0
		.amdhsa_float_round_mode_16_64 0
		.amdhsa_float_denorm_mode_32 3
		.amdhsa_float_denorm_mode_16_64 3
		.amdhsa_fp16_overflow 0
		.amdhsa_workgroup_processor_mode 1
		.amdhsa_memory_ordered 1
		.amdhsa_forward_progress 1
		.amdhsa_inst_pref_size 0
		.amdhsa_round_robin_scheduling 0
		.amdhsa_exception_fp_ieee_invalid_op 0
		.amdhsa_exception_fp_denorm_src 0
		.amdhsa_exception_fp_ieee_div_zero 0
		.amdhsa_exception_fp_ieee_overflow 0
		.amdhsa_exception_fp_ieee_underflow 0
		.amdhsa_exception_fp_ieee_inexact 0
		.amdhsa_exception_int_div_zero 0
	.end_amdhsa_kernel
	.section	.text._ZN7rocprim17ROCPRIM_400000_NS6detail17trampoline_kernelINS0_14default_configENS1_25partition_config_selectorILNS1_17partition_subalgoE5ElNS0_10empty_typeEbEEZZNS1_14partition_implILS5_5ELb0ES3_mN6hipcub16HIPCUB_304000_NS21CountingInputIteratorIllEEPS6_NSA_22TransformInputIteratorIbN2at6native12_GLOBAL__N_19NonZeroOpIN3c104HalfEEEPKSK_lEENS0_5tupleIJPlS6_EEENSP_IJSD_SD_EEES6_PiJS6_EEE10hipError_tPvRmT3_T4_T5_T6_T7_T9_mT8_P12ihipStream_tbDpT10_ENKUlT_T0_E_clISt17integral_constantIbLb1EES1C_IbLb0EEEEDaS18_S19_EUlS18_E_NS1_11comp_targetILNS1_3genE4ELNS1_11target_archE910ELNS1_3gpuE8ELNS1_3repE0EEENS1_30default_config_static_selectorELNS0_4arch9wavefront6targetE0EEEvT1_,"axG",@progbits,_ZN7rocprim17ROCPRIM_400000_NS6detail17trampoline_kernelINS0_14default_configENS1_25partition_config_selectorILNS1_17partition_subalgoE5ElNS0_10empty_typeEbEEZZNS1_14partition_implILS5_5ELb0ES3_mN6hipcub16HIPCUB_304000_NS21CountingInputIteratorIllEEPS6_NSA_22TransformInputIteratorIbN2at6native12_GLOBAL__N_19NonZeroOpIN3c104HalfEEEPKSK_lEENS0_5tupleIJPlS6_EEENSP_IJSD_SD_EEES6_PiJS6_EEE10hipError_tPvRmT3_T4_T5_T6_T7_T9_mT8_P12ihipStream_tbDpT10_ENKUlT_T0_E_clISt17integral_constantIbLb1EES1C_IbLb0EEEEDaS18_S19_EUlS18_E_NS1_11comp_targetILNS1_3genE4ELNS1_11target_archE910ELNS1_3gpuE8ELNS1_3repE0EEENS1_30default_config_static_selectorELNS0_4arch9wavefront6targetE0EEEvT1_,comdat
.Lfunc_end884:
	.size	_ZN7rocprim17ROCPRIM_400000_NS6detail17trampoline_kernelINS0_14default_configENS1_25partition_config_selectorILNS1_17partition_subalgoE5ElNS0_10empty_typeEbEEZZNS1_14partition_implILS5_5ELb0ES3_mN6hipcub16HIPCUB_304000_NS21CountingInputIteratorIllEEPS6_NSA_22TransformInputIteratorIbN2at6native12_GLOBAL__N_19NonZeroOpIN3c104HalfEEEPKSK_lEENS0_5tupleIJPlS6_EEENSP_IJSD_SD_EEES6_PiJS6_EEE10hipError_tPvRmT3_T4_T5_T6_T7_T9_mT8_P12ihipStream_tbDpT10_ENKUlT_T0_E_clISt17integral_constantIbLb1EES1C_IbLb0EEEEDaS18_S19_EUlS18_E_NS1_11comp_targetILNS1_3genE4ELNS1_11target_archE910ELNS1_3gpuE8ELNS1_3repE0EEENS1_30default_config_static_selectorELNS0_4arch9wavefront6targetE0EEEvT1_, .Lfunc_end884-_ZN7rocprim17ROCPRIM_400000_NS6detail17trampoline_kernelINS0_14default_configENS1_25partition_config_selectorILNS1_17partition_subalgoE5ElNS0_10empty_typeEbEEZZNS1_14partition_implILS5_5ELb0ES3_mN6hipcub16HIPCUB_304000_NS21CountingInputIteratorIllEEPS6_NSA_22TransformInputIteratorIbN2at6native12_GLOBAL__N_19NonZeroOpIN3c104HalfEEEPKSK_lEENS0_5tupleIJPlS6_EEENSP_IJSD_SD_EEES6_PiJS6_EEE10hipError_tPvRmT3_T4_T5_T6_T7_T9_mT8_P12ihipStream_tbDpT10_ENKUlT_T0_E_clISt17integral_constantIbLb1EES1C_IbLb0EEEEDaS18_S19_EUlS18_E_NS1_11comp_targetILNS1_3genE4ELNS1_11target_archE910ELNS1_3gpuE8ELNS1_3repE0EEENS1_30default_config_static_selectorELNS0_4arch9wavefront6targetE0EEEvT1_
                                        ; -- End function
	.set _ZN7rocprim17ROCPRIM_400000_NS6detail17trampoline_kernelINS0_14default_configENS1_25partition_config_selectorILNS1_17partition_subalgoE5ElNS0_10empty_typeEbEEZZNS1_14partition_implILS5_5ELb0ES3_mN6hipcub16HIPCUB_304000_NS21CountingInputIteratorIllEEPS6_NSA_22TransformInputIteratorIbN2at6native12_GLOBAL__N_19NonZeroOpIN3c104HalfEEEPKSK_lEENS0_5tupleIJPlS6_EEENSP_IJSD_SD_EEES6_PiJS6_EEE10hipError_tPvRmT3_T4_T5_T6_T7_T9_mT8_P12ihipStream_tbDpT10_ENKUlT_T0_E_clISt17integral_constantIbLb1EES1C_IbLb0EEEEDaS18_S19_EUlS18_E_NS1_11comp_targetILNS1_3genE4ELNS1_11target_archE910ELNS1_3gpuE8ELNS1_3repE0EEENS1_30default_config_static_selectorELNS0_4arch9wavefront6targetE0EEEvT1_.num_vgpr, 0
	.set _ZN7rocprim17ROCPRIM_400000_NS6detail17trampoline_kernelINS0_14default_configENS1_25partition_config_selectorILNS1_17partition_subalgoE5ElNS0_10empty_typeEbEEZZNS1_14partition_implILS5_5ELb0ES3_mN6hipcub16HIPCUB_304000_NS21CountingInputIteratorIllEEPS6_NSA_22TransformInputIteratorIbN2at6native12_GLOBAL__N_19NonZeroOpIN3c104HalfEEEPKSK_lEENS0_5tupleIJPlS6_EEENSP_IJSD_SD_EEES6_PiJS6_EEE10hipError_tPvRmT3_T4_T5_T6_T7_T9_mT8_P12ihipStream_tbDpT10_ENKUlT_T0_E_clISt17integral_constantIbLb1EES1C_IbLb0EEEEDaS18_S19_EUlS18_E_NS1_11comp_targetILNS1_3genE4ELNS1_11target_archE910ELNS1_3gpuE8ELNS1_3repE0EEENS1_30default_config_static_selectorELNS0_4arch9wavefront6targetE0EEEvT1_.num_agpr, 0
	.set _ZN7rocprim17ROCPRIM_400000_NS6detail17trampoline_kernelINS0_14default_configENS1_25partition_config_selectorILNS1_17partition_subalgoE5ElNS0_10empty_typeEbEEZZNS1_14partition_implILS5_5ELb0ES3_mN6hipcub16HIPCUB_304000_NS21CountingInputIteratorIllEEPS6_NSA_22TransformInputIteratorIbN2at6native12_GLOBAL__N_19NonZeroOpIN3c104HalfEEEPKSK_lEENS0_5tupleIJPlS6_EEENSP_IJSD_SD_EEES6_PiJS6_EEE10hipError_tPvRmT3_T4_T5_T6_T7_T9_mT8_P12ihipStream_tbDpT10_ENKUlT_T0_E_clISt17integral_constantIbLb1EES1C_IbLb0EEEEDaS18_S19_EUlS18_E_NS1_11comp_targetILNS1_3genE4ELNS1_11target_archE910ELNS1_3gpuE8ELNS1_3repE0EEENS1_30default_config_static_selectorELNS0_4arch9wavefront6targetE0EEEvT1_.numbered_sgpr, 0
	.set _ZN7rocprim17ROCPRIM_400000_NS6detail17trampoline_kernelINS0_14default_configENS1_25partition_config_selectorILNS1_17partition_subalgoE5ElNS0_10empty_typeEbEEZZNS1_14partition_implILS5_5ELb0ES3_mN6hipcub16HIPCUB_304000_NS21CountingInputIteratorIllEEPS6_NSA_22TransformInputIteratorIbN2at6native12_GLOBAL__N_19NonZeroOpIN3c104HalfEEEPKSK_lEENS0_5tupleIJPlS6_EEENSP_IJSD_SD_EEES6_PiJS6_EEE10hipError_tPvRmT3_T4_T5_T6_T7_T9_mT8_P12ihipStream_tbDpT10_ENKUlT_T0_E_clISt17integral_constantIbLb1EES1C_IbLb0EEEEDaS18_S19_EUlS18_E_NS1_11comp_targetILNS1_3genE4ELNS1_11target_archE910ELNS1_3gpuE8ELNS1_3repE0EEENS1_30default_config_static_selectorELNS0_4arch9wavefront6targetE0EEEvT1_.num_named_barrier, 0
	.set _ZN7rocprim17ROCPRIM_400000_NS6detail17trampoline_kernelINS0_14default_configENS1_25partition_config_selectorILNS1_17partition_subalgoE5ElNS0_10empty_typeEbEEZZNS1_14partition_implILS5_5ELb0ES3_mN6hipcub16HIPCUB_304000_NS21CountingInputIteratorIllEEPS6_NSA_22TransformInputIteratorIbN2at6native12_GLOBAL__N_19NonZeroOpIN3c104HalfEEEPKSK_lEENS0_5tupleIJPlS6_EEENSP_IJSD_SD_EEES6_PiJS6_EEE10hipError_tPvRmT3_T4_T5_T6_T7_T9_mT8_P12ihipStream_tbDpT10_ENKUlT_T0_E_clISt17integral_constantIbLb1EES1C_IbLb0EEEEDaS18_S19_EUlS18_E_NS1_11comp_targetILNS1_3genE4ELNS1_11target_archE910ELNS1_3gpuE8ELNS1_3repE0EEENS1_30default_config_static_selectorELNS0_4arch9wavefront6targetE0EEEvT1_.private_seg_size, 0
	.set _ZN7rocprim17ROCPRIM_400000_NS6detail17trampoline_kernelINS0_14default_configENS1_25partition_config_selectorILNS1_17partition_subalgoE5ElNS0_10empty_typeEbEEZZNS1_14partition_implILS5_5ELb0ES3_mN6hipcub16HIPCUB_304000_NS21CountingInputIteratorIllEEPS6_NSA_22TransformInputIteratorIbN2at6native12_GLOBAL__N_19NonZeroOpIN3c104HalfEEEPKSK_lEENS0_5tupleIJPlS6_EEENSP_IJSD_SD_EEES6_PiJS6_EEE10hipError_tPvRmT3_T4_T5_T6_T7_T9_mT8_P12ihipStream_tbDpT10_ENKUlT_T0_E_clISt17integral_constantIbLb1EES1C_IbLb0EEEEDaS18_S19_EUlS18_E_NS1_11comp_targetILNS1_3genE4ELNS1_11target_archE910ELNS1_3gpuE8ELNS1_3repE0EEENS1_30default_config_static_selectorELNS0_4arch9wavefront6targetE0EEEvT1_.uses_vcc, 0
	.set _ZN7rocprim17ROCPRIM_400000_NS6detail17trampoline_kernelINS0_14default_configENS1_25partition_config_selectorILNS1_17partition_subalgoE5ElNS0_10empty_typeEbEEZZNS1_14partition_implILS5_5ELb0ES3_mN6hipcub16HIPCUB_304000_NS21CountingInputIteratorIllEEPS6_NSA_22TransformInputIteratorIbN2at6native12_GLOBAL__N_19NonZeroOpIN3c104HalfEEEPKSK_lEENS0_5tupleIJPlS6_EEENSP_IJSD_SD_EEES6_PiJS6_EEE10hipError_tPvRmT3_T4_T5_T6_T7_T9_mT8_P12ihipStream_tbDpT10_ENKUlT_T0_E_clISt17integral_constantIbLb1EES1C_IbLb0EEEEDaS18_S19_EUlS18_E_NS1_11comp_targetILNS1_3genE4ELNS1_11target_archE910ELNS1_3gpuE8ELNS1_3repE0EEENS1_30default_config_static_selectorELNS0_4arch9wavefront6targetE0EEEvT1_.uses_flat_scratch, 0
	.set _ZN7rocprim17ROCPRIM_400000_NS6detail17trampoline_kernelINS0_14default_configENS1_25partition_config_selectorILNS1_17partition_subalgoE5ElNS0_10empty_typeEbEEZZNS1_14partition_implILS5_5ELb0ES3_mN6hipcub16HIPCUB_304000_NS21CountingInputIteratorIllEEPS6_NSA_22TransformInputIteratorIbN2at6native12_GLOBAL__N_19NonZeroOpIN3c104HalfEEEPKSK_lEENS0_5tupleIJPlS6_EEENSP_IJSD_SD_EEES6_PiJS6_EEE10hipError_tPvRmT3_T4_T5_T6_T7_T9_mT8_P12ihipStream_tbDpT10_ENKUlT_T0_E_clISt17integral_constantIbLb1EES1C_IbLb0EEEEDaS18_S19_EUlS18_E_NS1_11comp_targetILNS1_3genE4ELNS1_11target_archE910ELNS1_3gpuE8ELNS1_3repE0EEENS1_30default_config_static_selectorELNS0_4arch9wavefront6targetE0EEEvT1_.has_dyn_sized_stack, 0
	.set _ZN7rocprim17ROCPRIM_400000_NS6detail17trampoline_kernelINS0_14default_configENS1_25partition_config_selectorILNS1_17partition_subalgoE5ElNS0_10empty_typeEbEEZZNS1_14partition_implILS5_5ELb0ES3_mN6hipcub16HIPCUB_304000_NS21CountingInputIteratorIllEEPS6_NSA_22TransformInputIteratorIbN2at6native12_GLOBAL__N_19NonZeroOpIN3c104HalfEEEPKSK_lEENS0_5tupleIJPlS6_EEENSP_IJSD_SD_EEES6_PiJS6_EEE10hipError_tPvRmT3_T4_T5_T6_T7_T9_mT8_P12ihipStream_tbDpT10_ENKUlT_T0_E_clISt17integral_constantIbLb1EES1C_IbLb0EEEEDaS18_S19_EUlS18_E_NS1_11comp_targetILNS1_3genE4ELNS1_11target_archE910ELNS1_3gpuE8ELNS1_3repE0EEENS1_30default_config_static_selectorELNS0_4arch9wavefront6targetE0EEEvT1_.has_recursion, 0
	.set _ZN7rocprim17ROCPRIM_400000_NS6detail17trampoline_kernelINS0_14default_configENS1_25partition_config_selectorILNS1_17partition_subalgoE5ElNS0_10empty_typeEbEEZZNS1_14partition_implILS5_5ELb0ES3_mN6hipcub16HIPCUB_304000_NS21CountingInputIteratorIllEEPS6_NSA_22TransformInputIteratorIbN2at6native12_GLOBAL__N_19NonZeroOpIN3c104HalfEEEPKSK_lEENS0_5tupleIJPlS6_EEENSP_IJSD_SD_EEES6_PiJS6_EEE10hipError_tPvRmT3_T4_T5_T6_T7_T9_mT8_P12ihipStream_tbDpT10_ENKUlT_T0_E_clISt17integral_constantIbLb1EES1C_IbLb0EEEEDaS18_S19_EUlS18_E_NS1_11comp_targetILNS1_3genE4ELNS1_11target_archE910ELNS1_3gpuE8ELNS1_3repE0EEENS1_30default_config_static_selectorELNS0_4arch9wavefront6targetE0EEEvT1_.has_indirect_call, 0
	.section	.AMDGPU.csdata,"",@progbits
; Kernel info:
; codeLenInByte = 0
; TotalNumSgprs: 0
; NumVgprs: 0
; ScratchSize: 0
; MemoryBound: 0
; FloatMode: 240
; IeeeMode: 1
; LDSByteSize: 0 bytes/workgroup (compile time only)
; SGPRBlocks: 0
; VGPRBlocks: 0
; NumSGPRsForWavesPerEU: 1
; NumVGPRsForWavesPerEU: 1
; Occupancy: 16
; WaveLimiterHint : 0
; COMPUTE_PGM_RSRC2:SCRATCH_EN: 0
; COMPUTE_PGM_RSRC2:USER_SGPR: 2
; COMPUTE_PGM_RSRC2:TRAP_HANDLER: 0
; COMPUTE_PGM_RSRC2:TGID_X_EN: 1
; COMPUTE_PGM_RSRC2:TGID_Y_EN: 0
; COMPUTE_PGM_RSRC2:TGID_Z_EN: 0
; COMPUTE_PGM_RSRC2:TIDIG_COMP_CNT: 0
	.section	.text._ZN7rocprim17ROCPRIM_400000_NS6detail17trampoline_kernelINS0_14default_configENS1_25partition_config_selectorILNS1_17partition_subalgoE5ElNS0_10empty_typeEbEEZZNS1_14partition_implILS5_5ELb0ES3_mN6hipcub16HIPCUB_304000_NS21CountingInputIteratorIllEEPS6_NSA_22TransformInputIteratorIbN2at6native12_GLOBAL__N_19NonZeroOpIN3c104HalfEEEPKSK_lEENS0_5tupleIJPlS6_EEENSP_IJSD_SD_EEES6_PiJS6_EEE10hipError_tPvRmT3_T4_T5_T6_T7_T9_mT8_P12ihipStream_tbDpT10_ENKUlT_T0_E_clISt17integral_constantIbLb1EES1C_IbLb0EEEEDaS18_S19_EUlS18_E_NS1_11comp_targetILNS1_3genE3ELNS1_11target_archE908ELNS1_3gpuE7ELNS1_3repE0EEENS1_30default_config_static_selectorELNS0_4arch9wavefront6targetE0EEEvT1_,"axG",@progbits,_ZN7rocprim17ROCPRIM_400000_NS6detail17trampoline_kernelINS0_14default_configENS1_25partition_config_selectorILNS1_17partition_subalgoE5ElNS0_10empty_typeEbEEZZNS1_14partition_implILS5_5ELb0ES3_mN6hipcub16HIPCUB_304000_NS21CountingInputIteratorIllEEPS6_NSA_22TransformInputIteratorIbN2at6native12_GLOBAL__N_19NonZeroOpIN3c104HalfEEEPKSK_lEENS0_5tupleIJPlS6_EEENSP_IJSD_SD_EEES6_PiJS6_EEE10hipError_tPvRmT3_T4_T5_T6_T7_T9_mT8_P12ihipStream_tbDpT10_ENKUlT_T0_E_clISt17integral_constantIbLb1EES1C_IbLb0EEEEDaS18_S19_EUlS18_E_NS1_11comp_targetILNS1_3genE3ELNS1_11target_archE908ELNS1_3gpuE7ELNS1_3repE0EEENS1_30default_config_static_selectorELNS0_4arch9wavefront6targetE0EEEvT1_,comdat
	.globl	_ZN7rocprim17ROCPRIM_400000_NS6detail17trampoline_kernelINS0_14default_configENS1_25partition_config_selectorILNS1_17partition_subalgoE5ElNS0_10empty_typeEbEEZZNS1_14partition_implILS5_5ELb0ES3_mN6hipcub16HIPCUB_304000_NS21CountingInputIteratorIllEEPS6_NSA_22TransformInputIteratorIbN2at6native12_GLOBAL__N_19NonZeroOpIN3c104HalfEEEPKSK_lEENS0_5tupleIJPlS6_EEENSP_IJSD_SD_EEES6_PiJS6_EEE10hipError_tPvRmT3_T4_T5_T6_T7_T9_mT8_P12ihipStream_tbDpT10_ENKUlT_T0_E_clISt17integral_constantIbLb1EES1C_IbLb0EEEEDaS18_S19_EUlS18_E_NS1_11comp_targetILNS1_3genE3ELNS1_11target_archE908ELNS1_3gpuE7ELNS1_3repE0EEENS1_30default_config_static_selectorELNS0_4arch9wavefront6targetE0EEEvT1_ ; -- Begin function _ZN7rocprim17ROCPRIM_400000_NS6detail17trampoline_kernelINS0_14default_configENS1_25partition_config_selectorILNS1_17partition_subalgoE5ElNS0_10empty_typeEbEEZZNS1_14partition_implILS5_5ELb0ES3_mN6hipcub16HIPCUB_304000_NS21CountingInputIteratorIllEEPS6_NSA_22TransformInputIteratorIbN2at6native12_GLOBAL__N_19NonZeroOpIN3c104HalfEEEPKSK_lEENS0_5tupleIJPlS6_EEENSP_IJSD_SD_EEES6_PiJS6_EEE10hipError_tPvRmT3_T4_T5_T6_T7_T9_mT8_P12ihipStream_tbDpT10_ENKUlT_T0_E_clISt17integral_constantIbLb1EES1C_IbLb0EEEEDaS18_S19_EUlS18_E_NS1_11comp_targetILNS1_3genE3ELNS1_11target_archE908ELNS1_3gpuE7ELNS1_3repE0EEENS1_30default_config_static_selectorELNS0_4arch9wavefront6targetE0EEEvT1_
	.p2align	8
	.type	_ZN7rocprim17ROCPRIM_400000_NS6detail17trampoline_kernelINS0_14default_configENS1_25partition_config_selectorILNS1_17partition_subalgoE5ElNS0_10empty_typeEbEEZZNS1_14partition_implILS5_5ELb0ES3_mN6hipcub16HIPCUB_304000_NS21CountingInputIteratorIllEEPS6_NSA_22TransformInputIteratorIbN2at6native12_GLOBAL__N_19NonZeroOpIN3c104HalfEEEPKSK_lEENS0_5tupleIJPlS6_EEENSP_IJSD_SD_EEES6_PiJS6_EEE10hipError_tPvRmT3_T4_T5_T6_T7_T9_mT8_P12ihipStream_tbDpT10_ENKUlT_T0_E_clISt17integral_constantIbLb1EES1C_IbLb0EEEEDaS18_S19_EUlS18_E_NS1_11comp_targetILNS1_3genE3ELNS1_11target_archE908ELNS1_3gpuE7ELNS1_3repE0EEENS1_30default_config_static_selectorELNS0_4arch9wavefront6targetE0EEEvT1_,@function
_ZN7rocprim17ROCPRIM_400000_NS6detail17trampoline_kernelINS0_14default_configENS1_25partition_config_selectorILNS1_17partition_subalgoE5ElNS0_10empty_typeEbEEZZNS1_14partition_implILS5_5ELb0ES3_mN6hipcub16HIPCUB_304000_NS21CountingInputIteratorIllEEPS6_NSA_22TransformInputIteratorIbN2at6native12_GLOBAL__N_19NonZeroOpIN3c104HalfEEEPKSK_lEENS0_5tupleIJPlS6_EEENSP_IJSD_SD_EEES6_PiJS6_EEE10hipError_tPvRmT3_T4_T5_T6_T7_T9_mT8_P12ihipStream_tbDpT10_ENKUlT_T0_E_clISt17integral_constantIbLb1EES1C_IbLb0EEEEDaS18_S19_EUlS18_E_NS1_11comp_targetILNS1_3genE3ELNS1_11target_archE908ELNS1_3gpuE7ELNS1_3repE0EEENS1_30default_config_static_selectorELNS0_4arch9wavefront6targetE0EEEvT1_: ; @_ZN7rocprim17ROCPRIM_400000_NS6detail17trampoline_kernelINS0_14default_configENS1_25partition_config_selectorILNS1_17partition_subalgoE5ElNS0_10empty_typeEbEEZZNS1_14partition_implILS5_5ELb0ES3_mN6hipcub16HIPCUB_304000_NS21CountingInputIteratorIllEEPS6_NSA_22TransformInputIteratorIbN2at6native12_GLOBAL__N_19NonZeroOpIN3c104HalfEEEPKSK_lEENS0_5tupleIJPlS6_EEENSP_IJSD_SD_EEES6_PiJS6_EEE10hipError_tPvRmT3_T4_T5_T6_T7_T9_mT8_P12ihipStream_tbDpT10_ENKUlT_T0_E_clISt17integral_constantIbLb1EES1C_IbLb0EEEEDaS18_S19_EUlS18_E_NS1_11comp_targetILNS1_3genE3ELNS1_11target_archE908ELNS1_3gpuE7ELNS1_3repE0EEENS1_30default_config_static_selectorELNS0_4arch9wavefront6targetE0EEEvT1_
; %bb.0:
	.section	.rodata,"a",@progbits
	.p2align	6, 0x0
	.amdhsa_kernel _ZN7rocprim17ROCPRIM_400000_NS6detail17trampoline_kernelINS0_14default_configENS1_25partition_config_selectorILNS1_17partition_subalgoE5ElNS0_10empty_typeEbEEZZNS1_14partition_implILS5_5ELb0ES3_mN6hipcub16HIPCUB_304000_NS21CountingInputIteratorIllEEPS6_NSA_22TransformInputIteratorIbN2at6native12_GLOBAL__N_19NonZeroOpIN3c104HalfEEEPKSK_lEENS0_5tupleIJPlS6_EEENSP_IJSD_SD_EEES6_PiJS6_EEE10hipError_tPvRmT3_T4_T5_T6_T7_T9_mT8_P12ihipStream_tbDpT10_ENKUlT_T0_E_clISt17integral_constantIbLb1EES1C_IbLb0EEEEDaS18_S19_EUlS18_E_NS1_11comp_targetILNS1_3genE3ELNS1_11target_archE908ELNS1_3gpuE7ELNS1_3repE0EEENS1_30default_config_static_selectorELNS0_4arch9wavefront6targetE0EEEvT1_
		.amdhsa_group_segment_fixed_size 0
		.amdhsa_private_segment_fixed_size 0
		.amdhsa_kernarg_size 120
		.amdhsa_user_sgpr_count 2
		.amdhsa_user_sgpr_dispatch_ptr 0
		.amdhsa_user_sgpr_queue_ptr 0
		.amdhsa_user_sgpr_kernarg_segment_ptr 1
		.amdhsa_user_sgpr_dispatch_id 0
		.amdhsa_user_sgpr_private_segment_size 0
		.amdhsa_wavefront_size32 1
		.amdhsa_uses_dynamic_stack 0
		.amdhsa_enable_private_segment 0
		.amdhsa_system_sgpr_workgroup_id_x 1
		.amdhsa_system_sgpr_workgroup_id_y 0
		.amdhsa_system_sgpr_workgroup_id_z 0
		.amdhsa_system_sgpr_workgroup_info 0
		.amdhsa_system_vgpr_workitem_id 0
		.amdhsa_next_free_vgpr 1
		.amdhsa_next_free_sgpr 1
		.amdhsa_reserve_vcc 0
		.amdhsa_float_round_mode_32 0
		.amdhsa_float_round_mode_16_64 0
		.amdhsa_float_denorm_mode_32 3
		.amdhsa_float_denorm_mode_16_64 3
		.amdhsa_fp16_overflow 0
		.amdhsa_workgroup_processor_mode 1
		.amdhsa_memory_ordered 1
		.amdhsa_forward_progress 1
		.amdhsa_inst_pref_size 0
		.amdhsa_round_robin_scheduling 0
		.amdhsa_exception_fp_ieee_invalid_op 0
		.amdhsa_exception_fp_denorm_src 0
		.amdhsa_exception_fp_ieee_div_zero 0
		.amdhsa_exception_fp_ieee_overflow 0
		.amdhsa_exception_fp_ieee_underflow 0
		.amdhsa_exception_fp_ieee_inexact 0
		.amdhsa_exception_int_div_zero 0
	.end_amdhsa_kernel
	.section	.text._ZN7rocprim17ROCPRIM_400000_NS6detail17trampoline_kernelINS0_14default_configENS1_25partition_config_selectorILNS1_17partition_subalgoE5ElNS0_10empty_typeEbEEZZNS1_14partition_implILS5_5ELb0ES3_mN6hipcub16HIPCUB_304000_NS21CountingInputIteratorIllEEPS6_NSA_22TransformInputIteratorIbN2at6native12_GLOBAL__N_19NonZeroOpIN3c104HalfEEEPKSK_lEENS0_5tupleIJPlS6_EEENSP_IJSD_SD_EEES6_PiJS6_EEE10hipError_tPvRmT3_T4_T5_T6_T7_T9_mT8_P12ihipStream_tbDpT10_ENKUlT_T0_E_clISt17integral_constantIbLb1EES1C_IbLb0EEEEDaS18_S19_EUlS18_E_NS1_11comp_targetILNS1_3genE3ELNS1_11target_archE908ELNS1_3gpuE7ELNS1_3repE0EEENS1_30default_config_static_selectorELNS0_4arch9wavefront6targetE0EEEvT1_,"axG",@progbits,_ZN7rocprim17ROCPRIM_400000_NS6detail17trampoline_kernelINS0_14default_configENS1_25partition_config_selectorILNS1_17partition_subalgoE5ElNS0_10empty_typeEbEEZZNS1_14partition_implILS5_5ELb0ES3_mN6hipcub16HIPCUB_304000_NS21CountingInputIteratorIllEEPS6_NSA_22TransformInputIteratorIbN2at6native12_GLOBAL__N_19NonZeroOpIN3c104HalfEEEPKSK_lEENS0_5tupleIJPlS6_EEENSP_IJSD_SD_EEES6_PiJS6_EEE10hipError_tPvRmT3_T4_T5_T6_T7_T9_mT8_P12ihipStream_tbDpT10_ENKUlT_T0_E_clISt17integral_constantIbLb1EES1C_IbLb0EEEEDaS18_S19_EUlS18_E_NS1_11comp_targetILNS1_3genE3ELNS1_11target_archE908ELNS1_3gpuE7ELNS1_3repE0EEENS1_30default_config_static_selectorELNS0_4arch9wavefront6targetE0EEEvT1_,comdat
.Lfunc_end885:
	.size	_ZN7rocprim17ROCPRIM_400000_NS6detail17trampoline_kernelINS0_14default_configENS1_25partition_config_selectorILNS1_17partition_subalgoE5ElNS0_10empty_typeEbEEZZNS1_14partition_implILS5_5ELb0ES3_mN6hipcub16HIPCUB_304000_NS21CountingInputIteratorIllEEPS6_NSA_22TransformInputIteratorIbN2at6native12_GLOBAL__N_19NonZeroOpIN3c104HalfEEEPKSK_lEENS0_5tupleIJPlS6_EEENSP_IJSD_SD_EEES6_PiJS6_EEE10hipError_tPvRmT3_T4_T5_T6_T7_T9_mT8_P12ihipStream_tbDpT10_ENKUlT_T0_E_clISt17integral_constantIbLb1EES1C_IbLb0EEEEDaS18_S19_EUlS18_E_NS1_11comp_targetILNS1_3genE3ELNS1_11target_archE908ELNS1_3gpuE7ELNS1_3repE0EEENS1_30default_config_static_selectorELNS0_4arch9wavefront6targetE0EEEvT1_, .Lfunc_end885-_ZN7rocprim17ROCPRIM_400000_NS6detail17trampoline_kernelINS0_14default_configENS1_25partition_config_selectorILNS1_17partition_subalgoE5ElNS0_10empty_typeEbEEZZNS1_14partition_implILS5_5ELb0ES3_mN6hipcub16HIPCUB_304000_NS21CountingInputIteratorIllEEPS6_NSA_22TransformInputIteratorIbN2at6native12_GLOBAL__N_19NonZeroOpIN3c104HalfEEEPKSK_lEENS0_5tupleIJPlS6_EEENSP_IJSD_SD_EEES6_PiJS6_EEE10hipError_tPvRmT3_T4_T5_T6_T7_T9_mT8_P12ihipStream_tbDpT10_ENKUlT_T0_E_clISt17integral_constantIbLb1EES1C_IbLb0EEEEDaS18_S19_EUlS18_E_NS1_11comp_targetILNS1_3genE3ELNS1_11target_archE908ELNS1_3gpuE7ELNS1_3repE0EEENS1_30default_config_static_selectorELNS0_4arch9wavefront6targetE0EEEvT1_
                                        ; -- End function
	.set _ZN7rocprim17ROCPRIM_400000_NS6detail17trampoline_kernelINS0_14default_configENS1_25partition_config_selectorILNS1_17partition_subalgoE5ElNS0_10empty_typeEbEEZZNS1_14partition_implILS5_5ELb0ES3_mN6hipcub16HIPCUB_304000_NS21CountingInputIteratorIllEEPS6_NSA_22TransformInputIteratorIbN2at6native12_GLOBAL__N_19NonZeroOpIN3c104HalfEEEPKSK_lEENS0_5tupleIJPlS6_EEENSP_IJSD_SD_EEES6_PiJS6_EEE10hipError_tPvRmT3_T4_T5_T6_T7_T9_mT8_P12ihipStream_tbDpT10_ENKUlT_T0_E_clISt17integral_constantIbLb1EES1C_IbLb0EEEEDaS18_S19_EUlS18_E_NS1_11comp_targetILNS1_3genE3ELNS1_11target_archE908ELNS1_3gpuE7ELNS1_3repE0EEENS1_30default_config_static_selectorELNS0_4arch9wavefront6targetE0EEEvT1_.num_vgpr, 0
	.set _ZN7rocprim17ROCPRIM_400000_NS6detail17trampoline_kernelINS0_14default_configENS1_25partition_config_selectorILNS1_17partition_subalgoE5ElNS0_10empty_typeEbEEZZNS1_14partition_implILS5_5ELb0ES3_mN6hipcub16HIPCUB_304000_NS21CountingInputIteratorIllEEPS6_NSA_22TransformInputIteratorIbN2at6native12_GLOBAL__N_19NonZeroOpIN3c104HalfEEEPKSK_lEENS0_5tupleIJPlS6_EEENSP_IJSD_SD_EEES6_PiJS6_EEE10hipError_tPvRmT3_T4_T5_T6_T7_T9_mT8_P12ihipStream_tbDpT10_ENKUlT_T0_E_clISt17integral_constantIbLb1EES1C_IbLb0EEEEDaS18_S19_EUlS18_E_NS1_11comp_targetILNS1_3genE3ELNS1_11target_archE908ELNS1_3gpuE7ELNS1_3repE0EEENS1_30default_config_static_selectorELNS0_4arch9wavefront6targetE0EEEvT1_.num_agpr, 0
	.set _ZN7rocprim17ROCPRIM_400000_NS6detail17trampoline_kernelINS0_14default_configENS1_25partition_config_selectorILNS1_17partition_subalgoE5ElNS0_10empty_typeEbEEZZNS1_14partition_implILS5_5ELb0ES3_mN6hipcub16HIPCUB_304000_NS21CountingInputIteratorIllEEPS6_NSA_22TransformInputIteratorIbN2at6native12_GLOBAL__N_19NonZeroOpIN3c104HalfEEEPKSK_lEENS0_5tupleIJPlS6_EEENSP_IJSD_SD_EEES6_PiJS6_EEE10hipError_tPvRmT3_T4_T5_T6_T7_T9_mT8_P12ihipStream_tbDpT10_ENKUlT_T0_E_clISt17integral_constantIbLb1EES1C_IbLb0EEEEDaS18_S19_EUlS18_E_NS1_11comp_targetILNS1_3genE3ELNS1_11target_archE908ELNS1_3gpuE7ELNS1_3repE0EEENS1_30default_config_static_selectorELNS0_4arch9wavefront6targetE0EEEvT1_.numbered_sgpr, 0
	.set _ZN7rocprim17ROCPRIM_400000_NS6detail17trampoline_kernelINS0_14default_configENS1_25partition_config_selectorILNS1_17partition_subalgoE5ElNS0_10empty_typeEbEEZZNS1_14partition_implILS5_5ELb0ES3_mN6hipcub16HIPCUB_304000_NS21CountingInputIteratorIllEEPS6_NSA_22TransformInputIteratorIbN2at6native12_GLOBAL__N_19NonZeroOpIN3c104HalfEEEPKSK_lEENS0_5tupleIJPlS6_EEENSP_IJSD_SD_EEES6_PiJS6_EEE10hipError_tPvRmT3_T4_T5_T6_T7_T9_mT8_P12ihipStream_tbDpT10_ENKUlT_T0_E_clISt17integral_constantIbLb1EES1C_IbLb0EEEEDaS18_S19_EUlS18_E_NS1_11comp_targetILNS1_3genE3ELNS1_11target_archE908ELNS1_3gpuE7ELNS1_3repE0EEENS1_30default_config_static_selectorELNS0_4arch9wavefront6targetE0EEEvT1_.num_named_barrier, 0
	.set _ZN7rocprim17ROCPRIM_400000_NS6detail17trampoline_kernelINS0_14default_configENS1_25partition_config_selectorILNS1_17partition_subalgoE5ElNS0_10empty_typeEbEEZZNS1_14partition_implILS5_5ELb0ES3_mN6hipcub16HIPCUB_304000_NS21CountingInputIteratorIllEEPS6_NSA_22TransformInputIteratorIbN2at6native12_GLOBAL__N_19NonZeroOpIN3c104HalfEEEPKSK_lEENS0_5tupleIJPlS6_EEENSP_IJSD_SD_EEES6_PiJS6_EEE10hipError_tPvRmT3_T4_T5_T6_T7_T9_mT8_P12ihipStream_tbDpT10_ENKUlT_T0_E_clISt17integral_constantIbLb1EES1C_IbLb0EEEEDaS18_S19_EUlS18_E_NS1_11comp_targetILNS1_3genE3ELNS1_11target_archE908ELNS1_3gpuE7ELNS1_3repE0EEENS1_30default_config_static_selectorELNS0_4arch9wavefront6targetE0EEEvT1_.private_seg_size, 0
	.set _ZN7rocprim17ROCPRIM_400000_NS6detail17trampoline_kernelINS0_14default_configENS1_25partition_config_selectorILNS1_17partition_subalgoE5ElNS0_10empty_typeEbEEZZNS1_14partition_implILS5_5ELb0ES3_mN6hipcub16HIPCUB_304000_NS21CountingInputIteratorIllEEPS6_NSA_22TransformInputIteratorIbN2at6native12_GLOBAL__N_19NonZeroOpIN3c104HalfEEEPKSK_lEENS0_5tupleIJPlS6_EEENSP_IJSD_SD_EEES6_PiJS6_EEE10hipError_tPvRmT3_T4_T5_T6_T7_T9_mT8_P12ihipStream_tbDpT10_ENKUlT_T0_E_clISt17integral_constantIbLb1EES1C_IbLb0EEEEDaS18_S19_EUlS18_E_NS1_11comp_targetILNS1_3genE3ELNS1_11target_archE908ELNS1_3gpuE7ELNS1_3repE0EEENS1_30default_config_static_selectorELNS0_4arch9wavefront6targetE0EEEvT1_.uses_vcc, 0
	.set _ZN7rocprim17ROCPRIM_400000_NS6detail17trampoline_kernelINS0_14default_configENS1_25partition_config_selectorILNS1_17partition_subalgoE5ElNS0_10empty_typeEbEEZZNS1_14partition_implILS5_5ELb0ES3_mN6hipcub16HIPCUB_304000_NS21CountingInputIteratorIllEEPS6_NSA_22TransformInputIteratorIbN2at6native12_GLOBAL__N_19NonZeroOpIN3c104HalfEEEPKSK_lEENS0_5tupleIJPlS6_EEENSP_IJSD_SD_EEES6_PiJS6_EEE10hipError_tPvRmT3_T4_T5_T6_T7_T9_mT8_P12ihipStream_tbDpT10_ENKUlT_T0_E_clISt17integral_constantIbLb1EES1C_IbLb0EEEEDaS18_S19_EUlS18_E_NS1_11comp_targetILNS1_3genE3ELNS1_11target_archE908ELNS1_3gpuE7ELNS1_3repE0EEENS1_30default_config_static_selectorELNS0_4arch9wavefront6targetE0EEEvT1_.uses_flat_scratch, 0
	.set _ZN7rocprim17ROCPRIM_400000_NS6detail17trampoline_kernelINS0_14default_configENS1_25partition_config_selectorILNS1_17partition_subalgoE5ElNS0_10empty_typeEbEEZZNS1_14partition_implILS5_5ELb0ES3_mN6hipcub16HIPCUB_304000_NS21CountingInputIteratorIllEEPS6_NSA_22TransformInputIteratorIbN2at6native12_GLOBAL__N_19NonZeroOpIN3c104HalfEEEPKSK_lEENS0_5tupleIJPlS6_EEENSP_IJSD_SD_EEES6_PiJS6_EEE10hipError_tPvRmT3_T4_T5_T6_T7_T9_mT8_P12ihipStream_tbDpT10_ENKUlT_T0_E_clISt17integral_constantIbLb1EES1C_IbLb0EEEEDaS18_S19_EUlS18_E_NS1_11comp_targetILNS1_3genE3ELNS1_11target_archE908ELNS1_3gpuE7ELNS1_3repE0EEENS1_30default_config_static_selectorELNS0_4arch9wavefront6targetE0EEEvT1_.has_dyn_sized_stack, 0
	.set _ZN7rocprim17ROCPRIM_400000_NS6detail17trampoline_kernelINS0_14default_configENS1_25partition_config_selectorILNS1_17partition_subalgoE5ElNS0_10empty_typeEbEEZZNS1_14partition_implILS5_5ELb0ES3_mN6hipcub16HIPCUB_304000_NS21CountingInputIteratorIllEEPS6_NSA_22TransformInputIteratorIbN2at6native12_GLOBAL__N_19NonZeroOpIN3c104HalfEEEPKSK_lEENS0_5tupleIJPlS6_EEENSP_IJSD_SD_EEES6_PiJS6_EEE10hipError_tPvRmT3_T4_T5_T6_T7_T9_mT8_P12ihipStream_tbDpT10_ENKUlT_T0_E_clISt17integral_constantIbLb1EES1C_IbLb0EEEEDaS18_S19_EUlS18_E_NS1_11comp_targetILNS1_3genE3ELNS1_11target_archE908ELNS1_3gpuE7ELNS1_3repE0EEENS1_30default_config_static_selectorELNS0_4arch9wavefront6targetE0EEEvT1_.has_recursion, 0
	.set _ZN7rocprim17ROCPRIM_400000_NS6detail17trampoline_kernelINS0_14default_configENS1_25partition_config_selectorILNS1_17partition_subalgoE5ElNS0_10empty_typeEbEEZZNS1_14partition_implILS5_5ELb0ES3_mN6hipcub16HIPCUB_304000_NS21CountingInputIteratorIllEEPS6_NSA_22TransformInputIteratorIbN2at6native12_GLOBAL__N_19NonZeroOpIN3c104HalfEEEPKSK_lEENS0_5tupleIJPlS6_EEENSP_IJSD_SD_EEES6_PiJS6_EEE10hipError_tPvRmT3_T4_T5_T6_T7_T9_mT8_P12ihipStream_tbDpT10_ENKUlT_T0_E_clISt17integral_constantIbLb1EES1C_IbLb0EEEEDaS18_S19_EUlS18_E_NS1_11comp_targetILNS1_3genE3ELNS1_11target_archE908ELNS1_3gpuE7ELNS1_3repE0EEENS1_30default_config_static_selectorELNS0_4arch9wavefront6targetE0EEEvT1_.has_indirect_call, 0
	.section	.AMDGPU.csdata,"",@progbits
; Kernel info:
; codeLenInByte = 0
; TotalNumSgprs: 0
; NumVgprs: 0
; ScratchSize: 0
; MemoryBound: 0
; FloatMode: 240
; IeeeMode: 1
; LDSByteSize: 0 bytes/workgroup (compile time only)
; SGPRBlocks: 0
; VGPRBlocks: 0
; NumSGPRsForWavesPerEU: 1
; NumVGPRsForWavesPerEU: 1
; Occupancy: 16
; WaveLimiterHint : 0
; COMPUTE_PGM_RSRC2:SCRATCH_EN: 0
; COMPUTE_PGM_RSRC2:USER_SGPR: 2
; COMPUTE_PGM_RSRC2:TRAP_HANDLER: 0
; COMPUTE_PGM_RSRC2:TGID_X_EN: 1
; COMPUTE_PGM_RSRC2:TGID_Y_EN: 0
; COMPUTE_PGM_RSRC2:TGID_Z_EN: 0
; COMPUTE_PGM_RSRC2:TIDIG_COMP_CNT: 0
	.section	.text._ZN7rocprim17ROCPRIM_400000_NS6detail17trampoline_kernelINS0_14default_configENS1_25partition_config_selectorILNS1_17partition_subalgoE5ElNS0_10empty_typeEbEEZZNS1_14partition_implILS5_5ELb0ES3_mN6hipcub16HIPCUB_304000_NS21CountingInputIteratorIllEEPS6_NSA_22TransformInputIteratorIbN2at6native12_GLOBAL__N_19NonZeroOpIN3c104HalfEEEPKSK_lEENS0_5tupleIJPlS6_EEENSP_IJSD_SD_EEES6_PiJS6_EEE10hipError_tPvRmT3_T4_T5_T6_T7_T9_mT8_P12ihipStream_tbDpT10_ENKUlT_T0_E_clISt17integral_constantIbLb1EES1C_IbLb0EEEEDaS18_S19_EUlS18_E_NS1_11comp_targetILNS1_3genE2ELNS1_11target_archE906ELNS1_3gpuE6ELNS1_3repE0EEENS1_30default_config_static_selectorELNS0_4arch9wavefront6targetE0EEEvT1_,"axG",@progbits,_ZN7rocprim17ROCPRIM_400000_NS6detail17trampoline_kernelINS0_14default_configENS1_25partition_config_selectorILNS1_17partition_subalgoE5ElNS0_10empty_typeEbEEZZNS1_14partition_implILS5_5ELb0ES3_mN6hipcub16HIPCUB_304000_NS21CountingInputIteratorIllEEPS6_NSA_22TransformInputIteratorIbN2at6native12_GLOBAL__N_19NonZeroOpIN3c104HalfEEEPKSK_lEENS0_5tupleIJPlS6_EEENSP_IJSD_SD_EEES6_PiJS6_EEE10hipError_tPvRmT3_T4_T5_T6_T7_T9_mT8_P12ihipStream_tbDpT10_ENKUlT_T0_E_clISt17integral_constantIbLb1EES1C_IbLb0EEEEDaS18_S19_EUlS18_E_NS1_11comp_targetILNS1_3genE2ELNS1_11target_archE906ELNS1_3gpuE6ELNS1_3repE0EEENS1_30default_config_static_selectorELNS0_4arch9wavefront6targetE0EEEvT1_,comdat
	.globl	_ZN7rocprim17ROCPRIM_400000_NS6detail17trampoline_kernelINS0_14default_configENS1_25partition_config_selectorILNS1_17partition_subalgoE5ElNS0_10empty_typeEbEEZZNS1_14partition_implILS5_5ELb0ES3_mN6hipcub16HIPCUB_304000_NS21CountingInputIteratorIllEEPS6_NSA_22TransformInputIteratorIbN2at6native12_GLOBAL__N_19NonZeroOpIN3c104HalfEEEPKSK_lEENS0_5tupleIJPlS6_EEENSP_IJSD_SD_EEES6_PiJS6_EEE10hipError_tPvRmT3_T4_T5_T6_T7_T9_mT8_P12ihipStream_tbDpT10_ENKUlT_T0_E_clISt17integral_constantIbLb1EES1C_IbLb0EEEEDaS18_S19_EUlS18_E_NS1_11comp_targetILNS1_3genE2ELNS1_11target_archE906ELNS1_3gpuE6ELNS1_3repE0EEENS1_30default_config_static_selectorELNS0_4arch9wavefront6targetE0EEEvT1_ ; -- Begin function _ZN7rocprim17ROCPRIM_400000_NS6detail17trampoline_kernelINS0_14default_configENS1_25partition_config_selectorILNS1_17partition_subalgoE5ElNS0_10empty_typeEbEEZZNS1_14partition_implILS5_5ELb0ES3_mN6hipcub16HIPCUB_304000_NS21CountingInputIteratorIllEEPS6_NSA_22TransformInputIteratorIbN2at6native12_GLOBAL__N_19NonZeroOpIN3c104HalfEEEPKSK_lEENS0_5tupleIJPlS6_EEENSP_IJSD_SD_EEES6_PiJS6_EEE10hipError_tPvRmT3_T4_T5_T6_T7_T9_mT8_P12ihipStream_tbDpT10_ENKUlT_T0_E_clISt17integral_constantIbLb1EES1C_IbLb0EEEEDaS18_S19_EUlS18_E_NS1_11comp_targetILNS1_3genE2ELNS1_11target_archE906ELNS1_3gpuE6ELNS1_3repE0EEENS1_30default_config_static_selectorELNS0_4arch9wavefront6targetE0EEEvT1_
	.p2align	8
	.type	_ZN7rocprim17ROCPRIM_400000_NS6detail17trampoline_kernelINS0_14default_configENS1_25partition_config_selectorILNS1_17partition_subalgoE5ElNS0_10empty_typeEbEEZZNS1_14partition_implILS5_5ELb0ES3_mN6hipcub16HIPCUB_304000_NS21CountingInputIteratorIllEEPS6_NSA_22TransformInputIteratorIbN2at6native12_GLOBAL__N_19NonZeroOpIN3c104HalfEEEPKSK_lEENS0_5tupleIJPlS6_EEENSP_IJSD_SD_EEES6_PiJS6_EEE10hipError_tPvRmT3_T4_T5_T6_T7_T9_mT8_P12ihipStream_tbDpT10_ENKUlT_T0_E_clISt17integral_constantIbLb1EES1C_IbLb0EEEEDaS18_S19_EUlS18_E_NS1_11comp_targetILNS1_3genE2ELNS1_11target_archE906ELNS1_3gpuE6ELNS1_3repE0EEENS1_30default_config_static_selectorELNS0_4arch9wavefront6targetE0EEEvT1_,@function
_ZN7rocprim17ROCPRIM_400000_NS6detail17trampoline_kernelINS0_14default_configENS1_25partition_config_selectorILNS1_17partition_subalgoE5ElNS0_10empty_typeEbEEZZNS1_14partition_implILS5_5ELb0ES3_mN6hipcub16HIPCUB_304000_NS21CountingInputIteratorIllEEPS6_NSA_22TransformInputIteratorIbN2at6native12_GLOBAL__N_19NonZeroOpIN3c104HalfEEEPKSK_lEENS0_5tupleIJPlS6_EEENSP_IJSD_SD_EEES6_PiJS6_EEE10hipError_tPvRmT3_T4_T5_T6_T7_T9_mT8_P12ihipStream_tbDpT10_ENKUlT_T0_E_clISt17integral_constantIbLb1EES1C_IbLb0EEEEDaS18_S19_EUlS18_E_NS1_11comp_targetILNS1_3genE2ELNS1_11target_archE906ELNS1_3gpuE6ELNS1_3repE0EEENS1_30default_config_static_selectorELNS0_4arch9wavefront6targetE0EEEvT1_: ; @_ZN7rocprim17ROCPRIM_400000_NS6detail17trampoline_kernelINS0_14default_configENS1_25partition_config_selectorILNS1_17partition_subalgoE5ElNS0_10empty_typeEbEEZZNS1_14partition_implILS5_5ELb0ES3_mN6hipcub16HIPCUB_304000_NS21CountingInputIteratorIllEEPS6_NSA_22TransformInputIteratorIbN2at6native12_GLOBAL__N_19NonZeroOpIN3c104HalfEEEPKSK_lEENS0_5tupleIJPlS6_EEENSP_IJSD_SD_EEES6_PiJS6_EEE10hipError_tPvRmT3_T4_T5_T6_T7_T9_mT8_P12ihipStream_tbDpT10_ENKUlT_T0_E_clISt17integral_constantIbLb1EES1C_IbLb0EEEEDaS18_S19_EUlS18_E_NS1_11comp_targetILNS1_3genE2ELNS1_11target_archE906ELNS1_3gpuE6ELNS1_3repE0EEENS1_30default_config_static_selectorELNS0_4arch9wavefront6targetE0EEEvT1_
; %bb.0:
	.section	.rodata,"a",@progbits
	.p2align	6, 0x0
	.amdhsa_kernel _ZN7rocprim17ROCPRIM_400000_NS6detail17trampoline_kernelINS0_14default_configENS1_25partition_config_selectorILNS1_17partition_subalgoE5ElNS0_10empty_typeEbEEZZNS1_14partition_implILS5_5ELb0ES3_mN6hipcub16HIPCUB_304000_NS21CountingInputIteratorIllEEPS6_NSA_22TransformInputIteratorIbN2at6native12_GLOBAL__N_19NonZeroOpIN3c104HalfEEEPKSK_lEENS0_5tupleIJPlS6_EEENSP_IJSD_SD_EEES6_PiJS6_EEE10hipError_tPvRmT3_T4_T5_T6_T7_T9_mT8_P12ihipStream_tbDpT10_ENKUlT_T0_E_clISt17integral_constantIbLb1EES1C_IbLb0EEEEDaS18_S19_EUlS18_E_NS1_11comp_targetILNS1_3genE2ELNS1_11target_archE906ELNS1_3gpuE6ELNS1_3repE0EEENS1_30default_config_static_selectorELNS0_4arch9wavefront6targetE0EEEvT1_
		.amdhsa_group_segment_fixed_size 0
		.amdhsa_private_segment_fixed_size 0
		.amdhsa_kernarg_size 120
		.amdhsa_user_sgpr_count 2
		.amdhsa_user_sgpr_dispatch_ptr 0
		.amdhsa_user_sgpr_queue_ptr 0
		.amdhsa_user_sgpr_kernarg_segment_ptr 1
		.amdhsa_user_sgpr_dispatch_id 0
		.amdhsa_user_sgpr_private_segment_size 0
		.amdhsa_wavefront_size32 1
		.amdhsa_uses_dynamic_stack 0
		.amdhsa_enable_private_segment 0
		.amdhsa_system_sgpr_workgroup_id_x 1
		.amdhsa_system_sgpr_workgroup_id_y 0
		.amdhsa_system_sgpr_workgroup_id_z 0
		.amdhsa_system_sgpr_workgroup_info 0
		.amdhsa_system_vgpr_workitem_id 0
		.amdhsa_next_free_vgpr 1
		.amdhsa_next_free_sgpr 1
		.amdhsa_reserve_vcc 0
		.amdhsa_float_round_mode_32 0
		.amdhsa_float_round_mode_16_64 0
		.amdhsa_float_denorm_mode_32 3
		.amdhsa_float_denorm_mode_16_64 3
		.amdhsa_fp16_overflow 0
		.amdhsa_workgroup_processor_mode 1
		.amdhsa_memory_ordered 1
		.amdhsa_forward_progress 1
		.amdhsa_inst_pref_size 0
		.amdhsa_round_robin_scheduling 0
		.amdhsa_exception_fp_ieee_invalid_op 0
		.amdhsa_exception_fp_denorm_src 0
		.amdhsa_exception_fp_ieee_div_zero 0
		.amdhsa_exception_fp_ieee_overflow 0
		.amdhsa_exception_fp_ieee_underflow 0
		.amdhsa_exception_fp_ieee_inexact 0
		.amdhsa_exception_int_div_zero 0
	.end_amdhsa_kernel
	.section	.text._ZN7rocprim17ROCPRIM_400000_NS6detail17trampoline_kernelINS0_14default_configENS1_25partition_config_selectorILNS1_17partition_subalgoE5ElNS0_10empty_typeEbEEZZNS1_14partition_implILS5_5ELb0ES3_mN6hipcub16HIPCUB_304000_NS21CountingInputIteratorIllEEPS6_NSA_22TransformInputIteratorIbN2at6native12_GLOBAL__N_19NonZeroOpIN3c104HalfEEEPKSK_lEENS0_5tupleIJPlS6_EEENSP_IJSD_SD_EEES6_PiJS6_EEE10hipError_tPvRmT3_T4_T5_T6_T7_T9_mT8_P12ihipStream_tbDpT10_ENKUlT_T0_E_clISt17integral_constantIbLb1EES1C_IbLb0EEEEDaS18_S19_EUlS18_E_NS1_11comp_targetILNS1_3genE2ELNS1_11target_archE906ELNS1_3gpuE6ELNS1_3repE0EEENS1_30default_config_static_selectorELNS0_4arch9wavefront6targetE0EEEvT1_,"axG",@progbits,_ZN7rocprim17ROCPRIM_400000_NS6detail17trampoline_kernelINS0_14default_configENS1_25partition_config_selectorILNS1_17partition_subalgoE5ElNS0_10empty_typeEbEEZZNS1_14partition_implILS5_5ELb0ES3_mN6hipcub16HIPCUB_304000_NS21CountingInputIteratorIllEEPS6_NSA_22TransformInputIteratorIbN2at6native12_GLOBAL__N_19NonZeroOpIN3c104HalfEEEPKSK_lEENS0_5tupleIJPlS6_EEENSP_IJSD_SD_EEES6_PiJS6_EEE10hipError_tPvRmT3_T4_T5_T6_T7_T9_mT8_P12ihipStream_tbDpT10_ENKUlT_T0_E_clISt17integral_constantIbLb1EES1C_IbLb0EEEEDaS18_S19_EUlS18_E_NS1_11comp_targetILNS1_3genE2ELNS1_11target_archE906ELNS1_3gpuE6ELNS1_3repE0EEENS1_30default_config_static_selectorELNS0_4arch9wavefront6targetE0EEEvT1_,comdat
.Lfunc_end886:
	.size	_ZN7rocprim17ROCPRIM_400000_NS6detail17trampoline_kernelINS0_14default_configENS1_25partition_config_selectorILNS1_17partition_subalgoE5ElNS0_10empty_typeEbEEZZNS1_14partition_implILS5_5ELb0ES3_mN6hipcub16HIPCUB_304000_NS21CountingInputIteratorIllEEPS6_NSA_22TransformInputIteratorIbN2at6native12_GLOBAL__N_19NonZeroOpIN3c104HalfEEEPKSK_lEENS0_5tupleIJPlS6_EEENSP_IJSD_SD_EEES6_PiJS6_EEE10hipError_tPvRmT3_T4_T5_T6_T7_T9_mT8_P12ihipStream_tbDpT10_ENKUlT_T0_E_clISt17integral_constantIbLb1EES1C_IbLb0EEEEDaS18_S19_EUlS18_E_NS1_11comp_targetILNS1_3genE2ELNS1_11target_archE906ELNS1_3gpuE6ELNS1_3repE0EEENS1_30default_config_static_selectorELNS0_4arch9wavefront6targetE0EEEvT1_, .Lfunc_end886-_ZN7rocprim17ROCPRIM_400000_NS6detail17trampoline_kernelINS0_14default_configENS1_25partition_config_selectorILNS1_17partition_subalgoE5ElNS0_10empty_typeEbEEZZNS1_14partition_implILS5_5ELb0ES3_mN6hipcub16HIPCUB_304000_NS21CountingInputIteratorIllEEPS6_NSA_22TransformInputIteratorIbN2at6native12_GLOBAL__N_19NonZeroOpIN3c104HalfEEEPKSK_lEENS0_5tupleIJPlS6_EEENSP_IJSD_SD_EEES6_PiJS6_EEE10hipError_tPvRmT3_T4_T5_T6_T7_T9_mT8_P12ihipStream_tbDpT10_ENKUlT_T0_E_clISt17integral_constantIbLb1EES1C_IbLb0EEEEDaS18_S19_EUlS18_E_NS1_11comp_targetILNS1_3genE2ELNS1_11target_archE906ELNS1_3gpuE6ELNS1_3repE0EEENS1_30default_config_static_selectorELNS0_4arch9wavefront6targetE0EEEvT1_
                                        ; -- End function
	.set _ZN7rocprim17ROCPRIM_400000_NS6detail17trampoline_kernelINS0_14default_configENS1_25partition_config_selectorILNS1_17partition_subalgoE5ElNS0_10empty_typeEbEEZZNS1_14partition_implILS5_5ELb0ES3_mN6hipcub16HIPCUB_304000_NS21CountingInputIteratorIllEEPS6_NSA_22TransformInputIteratorIbN2at6native12_GLOBAL__N_19NonZeroOpIN3c104HalfEEEPKSK_lEENS0_5tupleIJPlS6_EEENSP_IJSD_SD_EEES6_PiJS6_EEE10hipError_tPvRmT3_T4_T5_T6_T7_T9_mT8_P12ihipStream_tbDpT10_ENKUlT_T0_E_clISt17integral_constantIbLb1EES1C_IbLb0EEEEDaS18_S19_EUlS18_E_NS1_11comp_targetILNS1_3genE2ELNS1_11target_archE906ELNS1_3gpuE6ELNS1_3repE0EEENS1_30default_config_static_selectorELNS0_4arch9wavefront6targetE0EEEvT1_.num_vgpr, 0
	.set _ZN7rocprim17ROCPRIM_400000_NS6detail17trampoline_kernelINS0_14default_configENS1_25partition_config_selectorILNS1_17partition_subalgoE5ElNS0_10empty_typeEbEEZZNS1_14partition_implILS5_5ELb0ES3_mN6hipcub16HIPCUB_304000_NS21CountingInputIteratorIllEEPS6_NSA_22TransformInputIteratorIbN2at6native12_GLOBAL__N_19NonZeroOpIN3c104HalfEEEPKSK_lEENS0_5tupleIJPlS6_EEENSP_IJSD_SD_EEES6_PiJS6_EEE10hipError_tPvRmT3_T4_T5_T6_T7_T9_mT8_P12ihipStream_tbDpT10_ENKUlT_T0_E_clISt17integral_constantIbLb1EES1C_IbLb0EEEEDaS18_S19_EUlS18_E_NS1_11comp_targetILNS1_3genE2ELNS1_11target_archE906ELNS1_3gpuE6ELNS1_3repE0EEENS1_30default_config_static_selectorELNS0_4arch9wavefront6targetE0EEEvT1_.num_agpr, 0
	.set _ZN7rocprim17ROCPRIM_400000_NS6detail17trampoline_kernelINS0_14default_configENS1_25partition_config_selectorILNS1_17partition_subalgoE5ElNS0_10empty_typeEbEEZZNS1_14partition_implILS5_5ELb0ES3_mN6hipcub16HIPCUB_304000_NS21CountingInputIteratorIllEEPS6_NSA_22TransformInputIteratorIbN2at6native12_GLOBAL__N_19NonZeroOpIN3c104HalfEEEPKSK_lEENS0_5tupleIJPlS6_EEENSP_IJSD_SD_EEES6_PiJS6_EEE10hipError_tPvRmT3_T4_T5_T6_T7_T9_mT8_P12ihipStream_tbDpT10_ENKUlT_T0_E_clISt17integral_constantIbLb1EES1C_IbLb0EEEEDaS18_S19_EUlS18_E_NS1_11comp_targetILNS1_3genE2ELNS1_11target_archE906ELNS1_3gpuE6ELNS1_3repE0EEENS1_30default_config_static_selectorELNS0_4arch9wavefront6targetE0EEEvT1_.numbered_sgpr, 0
	.set _ZN7rocprim17ROCPRIM_400000_NS6detail17trampoline_kernelINS0_14default_configENS1_25partition_config_selectorILNS1_17partition_subalgoE5ElNS0_10empty_typeEbEEZZNS1_14partition_implILS5_5ELb0ES3_mN6hipcub16HIPCUB_304000_NS21CountingInputIteratorIllEEPS6_NSA_22TransformInputIteratorIbN2at6native12_GLOBAL__N_19NonZeroOpIN3c104HalfEEEPKSK_lEENS0_5tupleIJPlS6_EEENSP_IJSD_SD_EEES6_PiJS6_EEE10hipError_tPvRmT3_T4_T5_T6_T7_T9_mT8_P12ihipStream_tbDpT10_ENKUlT_T0_E_clISt17integral_constantIbLb1EES1C_IbLb0EEEEDaS18_S19_EUlS18_E_NS1_11comp_targetILNS1_3genE2ELNS1_11target_archE906ELNS1_3gpuE6ELNS1_3repE0EEENS1_30default_config_static_selectorELNS0_4arch9wavefront6targetE0EEEvT1_.num_named_barrier, 0
	.set _ZN7rocprim17ROCPRIM_400000_NS6detail17trampoline_kernelINS0_14default_configENS1_25partition_config_selectorILNS1_17partition_subalgoE5ElNS0_10empty_typeEbEEZZNS1_14partition_implILS5_5ELb0ES3_mN6hipcub16HIPCUB_304000_NS21CountingInputIteratorIllEEPS6_NSA_22TransformInputIteratorIbN2at6native12_GLOBAL__N_19NonZeroOpIN3c104HalfEEEPKSK_lEENS0_5tupleIJPlS6_EEENSP_IJSD_SD_EEES6_PiJS6_EEE10hipError_tPvRmT3_T4_T5_T6_T7_T9_mT8_P12ihipStream_tbDpT10_ENKUlT_T0_E_clISt17integral_constantIbLb1EES1C_IbLb0EEEEDaS18_S19_EUlS18_E_NS1_11comp_targetILNS1_3genE2ELNS1_11target_archE906ELNS1_3gpuE6ELNS1_3repE0EEENS1_30default_config_static_selectorELNS0_4arch9wavefront6targetE0EEEvT1_.private_seg_size, 0
	.set _ZN7rocprim17ROCPRIM_400000_NS6detail17trampoline_kernelINS0_14default_configENS1_25partition_config_selectorILNS1_17partition_subalgoE5ElNS0_10empty_typeEbEEZZNS1_14partition_implILS5_5ELb0ES3_mN6hipcub16HIPCUB_304000_NS21CountingInputIteratorIllEEPS6_NSA_22TransformInputIteratorIbN2at6native12_GLOBAL__N_19NonZeroOpIN3c104HalfEEEPKSK_lEENS0_5tupleIJPlS6_EEENSP_IJSD_SD_EEES6_PiJS6_EEE10hipError_tPvRmT3_T4_T5_T6_T7_T9_mT8_P12ihipStream_tbDpT10_ENKUlT_T0_E_clISt17integral_constantIbLb1EES1C_IbLb0EEEEDaS18_S19_EUlS18_E_NS1_11comp_targetILNS1_3genE2ELNS1_11target_archE906ELNS1_3gpuE6ELNS1_3repE0EEENS1_30default_config_static_selectorELNS0_4arch9wavefront6targetE0EEEvT1_.uses_vcc, 0
	.set _ZN7rocprim17ROCPRIM_400000_NS6detail17trampoline_kernelINS0_14default_configENS1_25partition_config_selectorILNS1_17partition_subalgoE5ElNS0_10empty_typeEbEEZZNS1_14partition_implILS5_5ELb0ES3_mN6hipcub16HIPCUB_304000_NS21CountingInputIteratorIllEEPS6_NSA_22TransformInputIteratorIbN2at6native12_GLOBAL__N_19NonZeroOpIN3c104HalfEEEPKSK_lEENS0_5tupleIJPlS6_EEENSP_IJSD_SD_EEES6_PiJS6_EEE10hipError_tPvRmT3_T4_T5_T6_T7_T9_mT8_P12ihipStream_tbDpT10_ENKUlT_T0_E_clISt17integral_constantIbLb1EES1C_IbLb0EEEEDaS18_S19_EUlS18_E_NS1_11comp_targetILNS1_3genE2ELNS1_11target_archE906ELNS1_3gpuE6ELNS1_3repE0EEENS1_30default_config_static_selectorELNS0_4arch9wavefront6targetE0EEEvT1_.uses_flat_scratch, 0
	.set _ZN7rocprim17ROCPRIM_400000_NS6detail17trampoline_kernelINS0_14default_configENS1_25partition_config_selectorILNS1_17partition_subalgoE5ElNS0_10empty_typeEbEEZZNS1_14partition_implILS5_5ELb0ES3_mN6hipcub16HIPCUB_304000_NS21CountingInputIteratorIllEEPS6_NSA_22TransformInputIteratorIbN2at6native12_GLOBAL__N_19NonZeroOpIN3c104HalfEEEPKSK_lEENS0_5tupleIJPlS6_EEENSP_IJSD_SD_EEES6_PiJS6_EEE10hipError_tPvRmT3_T4_T5_T6_T7_T9_mT8_P12ihipStream_tbDpT10_ENKUlT_T0_E_clISt17integral_constantIbLb1EES1C_IbLb0EEEEDaS18_S19_EUlS18_E_NS1_11comp_targetILNS1_3genE2ELNS1_11target_archE906ELNS1_3gpuE6ELNS1_3repE0EEENS1_30default_config_static_selectorELNS0_4arch9wavefront6targetE0EEEvT1_.has_dyn_sized_stack, 0
	.set _ZN7rocprim17ROCPRIM_400000_NS6detail17trampoline_kernelINS0_14default_configENS1_25partition_config_selectorILNS1_17partition_subalgoE5ElNS0_10empty_typeEbEEZZNS1_14partition_implILS5_5ELb0ES3_mN6hipcub16HIPCUB_304000_NS21CountingInputIteratorIllEEPS6_NSA_22TransformInputIteratorIbN2at6native12_GLOBAL__N_19NonZeroOpIN3c104HalfEEEPKSK_lEENS0_5tupleIJPlS6_EEENSP_IJSD_SD_EEES6_PiJS6_EEE10hipError_tPvRmT3_T4_T5_T6_T7_T9_mT8_P12ihipStream_tbDpT10_ENKUlT_T0_E_clISt17integral_constantIbLb1EES1C_IbLb0EEEEDaS18_S19_EUlS18_E_NS1_11comp_targetILNS1_3genE2ELNS1_11target_archE906ELNS1_3gpuE6ELNS1_3repE0EEENS1_30default_config_static_selectorELNS0_4arch9wavefront6targetE0EEEvT1_.has_recursion, 0
	.set _ZN7rocprim17ROCPRIM_400000_NS6detail17trampoline_kernelINS0_14default_configENS1_25partition_config_selectorILNS1_17partition_subalgoE5ElNS0_10empty_typeEbEEZZNS1_14partition_implILS5_5ELb0ES3_mN6hipcub16HIPCUB_304000_NS21CountingInputIteratorIllEEPS6_NSA_22TransformInputIteratorIbN2at6native12_GLOBAL__N_19NonZeroOpIN3c104HalfEEEPKSK_lEENS0_5tupleIJPlS6_EEENSP_IJSD_SD_EEES6_PiJS6_EEE10hipError_tPvRmT3_T4_T5_T6_T7_T9_mT8_P12ihipStream_tbDpT10_ENKUlT_T0_E_clISt17integral_constantIbLb1EES1C_IbLb0EEEEDaS18_S19_EUlS18_E_NS1_11comp_targetILNS1_3genE2ELNS1_11target_archE906ELNS1_3gpuE6ELNS1_3repE0EEENS1_30default_config_static_selectorELNS0_4arch9wavefront6targetE0EEEvT1_.has_indirect_call, 0
	.section	.AMDGPU.csdata,"",@progbits
; Kernel info:
; codeLenInByte = 0
; TotalNumSgprs: 0
; NumVgprs: 0
; ScratchSize: 0
; MemoryBound: 0
; FloatMode: 240
; IeeeMode: 1
; LDSByteSize: 0 bytes/workgroup (compile time only)
; SGPRBlocks: 0
; VGPRBlocks: 0
; NumSGPRsForWavesPerEU: 1
; NumVGPRsForWavesPerEU: 1
; Occupancy: 16
; WaveLimiterHint : 0
; COMPUTE_PGM_RSRC2:SCRATCH_EN: 0
; COMPUTE_PGM_RSRC2:USER_SGPR: 2
; COMPUTE_PGM_RSRC2:TRAP_HANDLER: 0
; COMPUTE_PGM_RSRC2:TGID_X_EN: 1
; COMPUTE_PGM_RSRC2:TGID_Y_EN: 0
; COMPUTE_PGM_RSRC2:TGID_Z_EN: 0
; COMPUTE_PGM_RSRC2:TIDIG_COMP_CNT: 0
	.section	.text._ZN7rocprim17ROCPRIM_400000_NS6detail17trampoline_kernelINS0_14default_configENS1_25partition_config_selectorILNS1_17partition_subalgoE5ElNS0_10empty_typeEbEEZZNS1_14partition_implILS5_5ELb0ES3_mN6hipcub16HIPCUB_304000_NS21CountingInputIteratorIllEEPS6_NSA_22TransformInputIteratorIbN2at6native12_GLOBAL__N_19NonZeroOpIN3c104HalfEEEPKSK_lEENS0_5tupleIJPlS6_EEENSP_IJSD_SD_EEES6_PiJS6_EEE10hipError_tPvRmT3_T4_T5_T6_T7_T9_mT8_P12ihipStream_tbDpT10_ENKUlT_T0_E_clISt17integral_constantIbLb1EES1C_IbLb0EEEEDaS18_S19_EUlS18_E_NS1_11comp_targetILNS1_3genE10ELNS1_11target_archE1200ELNS1_3gpuE4ELNS1_3repE0EEENS1_30default_config_static_selectorELNS0_4arch9wavefront6targetE0EEEvT1_,"axG",@progbits,_ZN7rocprim17ROCPRIM_400000_NS6detail17trampoline_kernelINS0_14default_configENS1_25partition_config_selectorILNS1_17partition_subalgoE5ElNS0_10empty_typeEbEEZZNS1_14partition_implILS5_5ELb0ES3_mN6hipcub16HIPCUB_304000_NS21CountingInputIteratorIllEEPS6_NSA_22TransformInputIteratorIbN2at6native12_GLOBAL__N_19NonZeroOpIN3c104HalfEEEPKSK_lEENS0_5tupleIJPlS6_EEENSP_IJSD_SD_EEES6_PiJS6_EEE10hipError_tPvRmT3_T4_T5_T6_T7_T9_mT8_P12ihipStream_tbDpT10_ENKUlT_T0_E_clISt17integral_constantIbLb1EES1C_IbLb0EEEEDaS18_S19_EUlS18_E_NS1_11comp_targetILNS1_3genE10ELNS1_11target_archE1200ELNS1_3gpuE4ELNS1_3repE0EEENS1_30default_config_static_selectorELNS0_4arch9wavefront6targetE0EEEvT1_,comdat
	.globl	_ZN7rocprim17ROCPRIM_400000_NS6detail17trampoline_kernelINS0_14default_configENS1_25partition_config_selectorILNS1_17partition_subalgoE5ElNS0_10empty_typeEbEEZZNS1_14partition_implILS5_5ELb0ES3_mN6hipcub16HIPCUB_304000_NS21CountingInputIteratorIllEEPS6_NSA_22TransformInputIteratorIbN2at6native12_GLOBAL__N_19NonZeroOpIN3c104HalfEEEPKSK_lEENS0_5tupleIJPlS6_EEENSP_IJSD_SD_EEES6_PiJS6_EEE10hipError_tPvRmT3_T4_T5_T6_T7_T9_mT8_P12ihipStream_tbDpT10_ENKUlT_T0_E_clISt17integral_constantIbLb1EES1C_IbLb0EEEEDaS18_S19_EUlS18_E_NS1_11comp_targetILNS1_3genE10ELNS1_11target_archE1200ELNS1_3gpuE4ELNS1_3repE0EEENS1_30default_config_static_selectorELNS0_4arch9wavefront6targetE0EEEvT1_ ; -- Begin function _ZN7rocprim17ROCPRIM_400000_NS6detail17trampoline_kernelINS0_14default_configENS1_25partition_config_selectorILNS1_17partition_subalgoE5ElNS0_10empty_typeEbEEZZNS1_14partition_implILS5_5ELb0ES3_mN6hipcub16HIPCUB_304000_NS21CountingInputIteratorIllEEPS6_NSA_22TransformInputIteratorIbN2at6native12_GLOBAL__N_19NonZeroOpIN3c104HalfEEEPKSK_lEENS0_5tupleIJPlS6_EEENSP_IJSD_SD_EEES6_PiJS6_EEE10hipError_tPvRmT3_T4_T5_T6_T7_T9_mT8_P12ihipStream_tbDpT10_ENKUlT_T0_E_clISt17integral_constantIbLb1EES1C_IbLb0EEEEDaS18_S19_EUlS18_E_NS1_11comp_targetILNS1_3genE10ELNS1_11target_archE1200ELNS1_3gpuE4ELNS1_3repE0EEENS1_30default_config_static_selectorELNS0_4arch9wavefront6targetE0EEEvT1_
	.p2align	8
	.type	_ZN7rocprim17ROCPRIM_400000_NS6detail17trampoline_kernelINS0_14default_configENS1_25partition_config_selectorILNS1_17partition_subalgoE5ElNS0_10empty_typeEbEEZZNS1_14partition_implILS5_5ELb0ES3_mN6hipcub16HIPCUB_304000_NS21CountingInputIteratorIllEEPS6_NSA_22TransformInputIteratorIbN2at6native12_GLOBAL__N_19NonZeroOpIN3c104HalfEEEPKSK_lEENS0_5tupleIJPlS6_EEENSP_IJSD_SD_EEES6_PiJS6_EEE10hipError_tPvRmT3_T4_T5_T6_T7_T9_mT8_P12ihipStream_tbDpT10_ENKUlT_T0_E_clISt17integral_constantIbLb1EES1C_IbLb0EEEEDaS18_S19_EUlS18_E_NS1_11comp_targetILNS1_3genE10ELNS1_11target_archE1200ELNS1_3gpuE4ELNS1_3repE0EEENS1_30default_config_static_selectorELNS0_4arch9wavefront6targetE0EEEvT1_,@function
_ZN7rocprim17ROCPRIM_400000_NS6detail17trampoline_kernelINS0_14default_configENS1_25partition_config_selectorILNS1_17partition_subalgoE5ElNS0_10empty_typeEbEEZZNS1_14partition_implILS5_5ELb0ES3_mN6hipcub16HIPCUB_304000_NS21CountingInputIteratorIllEEPS6_NSA_22TransformInputIteratorIbN2at6native12_GLOBAL__N_19NonZeroOpIN3c104HalfEEEPKSK_lEENS0_5tupleIJPlS6_EEENSP_IJSD_SD_EEES6_PiJS6_EEE10hipError_tPvRmT3_T4_T5_T6_T7_T9_mT8_P12ihipStream_tbDpT10_ENKUlT_T0_E_clISt17integral_constantIbLb1EES1C_IbLb0EEEEDaS18_S19_EUlS18_E_NS1_11comp_targetILNS1_3genE10ELNS1_11target_archE1200ELNS1_3gpuE4ELNS1_3repE0EEENS1_30default_config_static_selectorELNS0_4arch9wavefront6targetE0EEEvT1_: ; @_ZN7rocprim17ROCPRIM_400000_NS6detail17trampoline_kernelINS0_14default_configENS1_25partition_config_selectorILNS1_17partition_subalgoE5ElNS0_10empty_typeEbEEZZNS1_14partition_implILS5_5ELb0ES3_mN6hipcub16HIPCUB_304000_NS21CountingInputIteratorIllEEPS6_NSA_22TransformInputIteratorIbN2at6native12_GLOBAL__N_19NonZeroOpIN3c104HalfEEEPKSK_lEENS0_5tupleIJPlS6_EEENSP_IJSD_SD_EEES6_PiJS6_EEE10hipError_tPvRmT3_T4_T5_T6_T7_T9_mT8_P12ihipStream_tbDpT10_ENKUlT_T0_E_clISt17integral_constantIbLb1EES1C_IbLb0EEEEDaS18_S19_EUlS18_E_NS1_11comp_targetILNS1_3genE10ELNS1_11target_archE1200ELNS1_3gpuE4ELNS1_3repE0EEENS1_30default_config_static_selectorELNS0_4arch9wavefront6targetE0EEEvT1_
; %bb.0:
	s_endpgm
	.section	.rodata,"a",@progbits
	.p2align	6, 0x0
	.amdhsa_kernel _ZN7rocprim17ROCPRIM_400000_NS6detail17trampoline_kernelINS0_14default_configENS1_25partition_config_selectorILNS1_17partition_subalgoE5ElNS0_10empty_typeEbEEZZNS1_14partition_implILS5_5ELb0ES3_mN6hipcub16HIPCUB_304000_NS21CountingInputIteratorIllEEPS6_NSA_22TransformInputIteratorIbN2at6native12_GLOBAL__N_19NonZeroOpIN3c104HalfEEEPKSK_lEENS0_5tupleIJPlS6_EEENSP_IJSD_SD_EEES6_PiJS6_EEE10hipError_tPvRmT3_T4_T5_T6_T7_T9_mT8_P12ihipStream_tbDpT10_ENKUlT_T0_E_clISt17integral_constantIbLb1EES1C_IbLb0EEEEDaS18_S19_EUlS18_E_NS1_11comp_targetILNS1_3genE10ELNS1_11target_archE1200ELNS1_3gpuE4ELNS1_3repE0EEENS1_30default_config_static_selectorELNS0_4arch9wavefront6targetE0EEEvT1_
		.amdhsa_group_segment_fixed_size 0
		.amdhsa_private_segment_fixed_size 0
		.amdhsa_kernarg_size 120
		.amdhsa_user_sgpr_count 2
		.amdhsa_user_sgpr_dispatch_ptr 0
		.amdhsa_user_sgpr_queue_ptr 0
		.amdhsa_user_sgpr_kernarg_segment_ptr 1
		.amdhsa_user_sgpr_dispatch_id 0
		.amdhsa_user_sgpr_private_segment_size 0
		.amdhsa_wavefront_size32 1
		.amdhsa_uses_dynamic_stack 0
		.amdhsa_enable_private_segment 0
		.amdhsa_system_sgpr_workgroup_id_x 1
		.amdhsa_system_sgpr_workgroup_id_y 0
		.amdhsa_system_sgpr_workgroup_id_z 0
		.amdhsa_system_sgpr_workgroup_info 0
		.amdhsa_system_vgpr_workitem_id 0
		.amdhsa_next_free_vgpr 1
		.amdhsa_next_free_sgpr 1
		.amdhsa_reserve_vcc 0
		.amdhsa_float_round_mode_32 0
		.amdhsa_float_round_mode_16_64 0
		.amdhsa_float_denorm_mode_32 3
		.amdhsa_float_denorm_mode_16_64 3
		.amdhsa_fp16_overflow 0
		.amdhsa_workgroup_processor_mode 1
		.amdhsa_memory_ordered 1
		.amdhsa_forward_progress 1
		.amdhsa_inst_pref_size 1
		.amdhsa_round_robin_scheduling 0
		.amdhsa_exception_fp_ieee_invalid_op 0
		.amdhsa_exception_fp_denorm_src 0
		.amdhsa_exception_fp_ieee_div_zero 0
		.amdhsa_exception_fp_ieee_overflow 0
		.amdhsa_exception_fp_ieee_underflow 0
		.amdhsa_exception_fp_ieee_inexact 0
		.amdhsa_exception_int_div_zero 0
	.end_amdhsa_kernel
	.section	.text._ZN7rocprim17ROCPRIM_400000_NS6detail17trampoline_kernelINS0_14default_configENS1_25partition_config_selectorILNS1_17partition_subalgoE5ElNS0_10empty_typeEbEEZZNS1_14partition_implILS5_5ELb0ES3_mN6hipcub16HIPCUB_304000_NS21CountingInputIteratorIllEEPS6_NSA_22TransformInputIteratorIbN2at6native12_GLOBAL__N_19NonZeroOpIN3c104HalfEEEPKSK_lEENS0_5tupleIJPlS6_EEENSP_IJSD_SD_EEES6_PiJS6_EEE10hipError_tPvRmT3_T4_T5_T6_T7_T9_mT8_P12ihipStream_tbDpT10_ENKUlT_T0_E_clISt17integral_constantIbLb1EES1C_IbLb0EEEEDaS18_S19_EUlS18_E_NS1_11comp_targetILNS1_3genE10ELNS1_11target_archE1200ELNS1_3gpuE4ELNS1_3repE0EEENS1_30default_config_static_selectorELNS0_4arch9wavefront6targetE0EEEvT1_,"axG",@progbits,_ZN7rocprim17ROCPRIM_400000_NS6detail17trampoline_kernelINS0_14default_configENS1_25partition_config_selectorILNS1_17partition_subalgoE5ElNS0_10empty_typeEbEEZZNS1_14partition_implILS5_5ELb0ES3_mN6hipcub16HIPCUB_304000_NS21CountingInputIteratorIllEEPS6_NSA_22TransformInputIteratorIbN2at6native12_GLOBAL__N_19NonZeroOpIN3c104HalfEEEPKSK_lEENS0_5tupleIJPlS6_EEENSP_IJSD_SD_EEES6_PiJS6_EEE10hipError_tPvRmT3_T4_T5_T6_T7_T9_mT8_P12ihipStream_tbDpT10_ENKUlT_T0_E_clISt17integral_constantIbLb1EES1C_IbLb0EEEEDaS18_S19_EUlS18_E_NS1_11comp_targetILNS1_3genE10ELNS1_11target_archE1200ELNS1_3gpuE4ELNS1_3repE0EEENS1_30default_config_static_selectorELNS0_4arch9wavefront6targetE0EEEvT1_,comdat
.Lfunc_end887:
	.size	_ZN7rocprim17ROCPRIM_400000_NS6detail17trampoline_kernelINS0_14default_configENS1_25partition_config_selectorILNS1_17partition_subalgoE5ElNS0_10empty_typeEbEEZZNS1_14partition_implILS5_5ELb0ES3_mN6hipcub16HIPCUB_304000_NS21CountingInputIteratorIllEEPS6_NSA_22TransformInputIteratorIbN2at6native12_GLOBAL__N_19NonZeroOpIN3c104HalfEEEPKSK_lEENS0_5tupleIJPlS6_EEENSP_IJSD_SD_EEES6_PiJS6_EEE10hipError_tPvRmT3_T4_T5_T6_T7_T9_mT8_P12ihipStream_tbDpT10_ENKUlT_T0_E_clISt17integral_constantIbLb1EES1C_IbLb0EEEEDaS18_S19_EUlS18_E_NS1_11comp_targetILNS1_3genE10ELNS1_11target_archE1200ELNS1_3gpuE4ELNS1_3repE0EEENS1_30default_config_static_selectorELNS0_4arch9wavefront6targetE0EEEvT1_, .Lfunc_end887-_ZN7rocprim17ROCPRIM_400000_NS6detail17trampoline_kernelINS0_14default_configENS1_25partition_config_selectorILNS1_17partition_subalgoE5ElNS0_10empty_typeEbEEZZNS1_14partition_implILS5_5ELb0ES3_mN6hipcub16HIPCUB_304000_NS21CountingInputIteratorIllEEPS6_NSA_22TransformInputIteratorIbN2at6native12_GLOBAL__N_19NonZeroOpIN3c104HalfEEEPKSK_lEENS0_5tupleIJPlS6_EEENSP_IJSD_SD_EEES6_PiJS6_EEE10hipError_tPvRmT3_T4_T5_T6_T7_T9_mT8_P12ihipStream_tbDpT10_ENKUlT_T0_E_clISt17integral_constantIbLb1EES1C_IbLb0EEEEDaS18_S19_EUlS18_E_NS1_11comp_targetILNS1_3genE10ELNS1_11target_archE1200ELNS1_3gpuE4ELNS1_3repE0EEENS1_30default_config_static_selectorELNS0_4arch9wavefront6targetE0EEEvT1_
                                        ; -- End function
	.set _ZN7rocprim17ROCPRIM_400000_NS6detail17trampoline_kernelINS0_14default_configENS1_25partition_config_selectorILNS1_17partition_subalgoE5ElNS0_10empty_typeEbEEZZNS1_14partition_implILS5_5ELb0ES3_mN6hipcub16HIPCUB_304000_NS21CountingInputIteratorIllEEPS6_NSA_22TransformInputIteratorIbN2at6native12_GLOBAL__N_19NonZeroOpIN3c104HalfEEEPKSK_lEENS0_5tupleIJPlS6_EEENSP_IJSD_SD_EEES6_PiJS6_EEE10hipError_tPvRmT3_T4_T5_T6_T7_T9_mT8_P12ihipStream_tbDpT10_ENKUlT_T0_E_clISt17integral_constantIbLb1EES1C_IbLb0EEEEDaS18_S19_EUlS18_E_NS1_11comp_targetILNS1_3genE10ELNS1_11target_archE1200ELNS1_3gpuE4ELNS1_3repE0EEENS1_30default_config_static_selectorELNS0_4arch9wavefront6targetE0EEEvT1_.num_vgpr, 0
	.set _ZN7rocprim17ROCPRIM_400000_NS6detail17trampoline_kernelINS0_14default_configENS1_25partition_config_selectorILNS1_17partition_subalgoE5ElNS0_10empty_typeEbEEZZNS1_14partition_implILS5_5ELb0ES3_mN6hipcub16HIPCUB_304000_NS21CountingInputIteratorIllEEPS6_NSA_22TransformInputIteratorIbN2at6native12_GLOBAL__N_19NonZeroOpIN3c104HalfEEEPKSK_lEENS0_5tupleIJPlS6_EEENSP_IJSD_SD_EEES6_PiJS6_EEE10hipError_tPvRmT3_T4_T5_T6_T7_T9_mT8_P12ihipStream_tbDpT10_ENKUlT_T0_E_clISt17integral_constantIbLb1EES1C_IbLb0EEEEDaS18_S19_EUlS18_E_NS1_11comp_targetILNS1_3genE10ELNS1_11target_archE1200ELNS1_3gpuE4ELNS1_3repE0EEENS1_30default_config_static_selectorELNS0_4arch9wavefront6targetE0EEEvT1_.num_agpr, 0
	.set _ZN7rocprim17ROCPRIM_400000_NS6detail17trampoline_kernelINS0_14default_configENS1_25partition_config_selectorILNS1_17partition_subalgoE5ElNS0_10empty_typeEbEEZZNS1_14partition_implILS5_5ELb0ES3_mN6hipcub16HIPCUB_304000_NS21CountingInputIteratorIllEEPS6_NSA_22TransformInputIteratorIbN2at6native12_GLOBAL__N_19NonZeroOpIN3c104HalfEEEPKSK_lEENS0_5tupleIJPlS6_EEENSP_IJSD_SD_EEES6_PiJS6_EEE10hipError_tPvRmT3_T4_T5_T6_T7_T9_mT8_P12ihipStream_tbDpT10_ENKUlT_T0_E_clISt17integral_constantIbLb1EES1C_IbLb0EEEEDaS18_S19_EUlS18_E_NS1_11comp_targetILNS1_3genE10ELNS1_11target_archE1200ELNS1_3gpuE4ELNS1_3repE0EEENS1_30default_config_static_selectorELNS0_4arch9wavefront6targetE0EEEvT1_.numbered_sgpr, 0
	.set _ZN7rocprim17ROCPRIM_400000_NS6detail17trampoline_kernelINS0_14default_configENS1_25partition_config_selectorILNS1_17partition_subalgoE5ElNS0_10empty_typeEbEEZZNS1_14partition_implILS5_5ELb0ES3_mN6hipcub16HIPCUB_304000_NS21CountingInputIteratorIllEEPS6_NSA_22TransformInputIteratorIbN2at6native12_GLOBAL__N_19NonZeroOpIN3c104HalfEEEPKSK_lEENS0_5tupleIJPlS6_EEENSP_IJSD_SD_EEES6_PiJS6_EEE10hipError_tPvRmT3_T4_T5_T6_T7_T9_mT8_P12ihipStream_tbDpT10_ENKUlT_T0_E_clISt17integral_constantIbLb1EES1C_IbLb0EEEEDaS18_S19_EUlS18_E_NS1_11comp_targetILNS1_3genE10ELNS1_11target_archE1200ELNS1_3gpuE4ELNS1_3repE0EEENS1_30default_config_static_selectorELNS0_4arch9wavefront6targetE0EEEvT1_.num_named_barrier, 0
	.set _ZN7rocprim17ROCPRIM_400000_NS6detail17trampoline_kernelINS0_14default_configENS1_25partition_config_selectorILNS1_17partition_subalgoE5ElNS0_10empty_typeEbEEZZNS1_14partition_implILS5_5ELb0ES3_mN6hipcub16HIPCUB_304000_NS21CountingInputIteratorIllEEPS6_NSA_22TransformInputIteratorIbN2at6native12_GLOBAL__N_19NonZeroOpIN3c104HalfEEEPKSK_lEENS0_5tupleIJPlS6_EEENSP_IJSD_SD_EEES6_PiJS6_EEE10hipError_tPvRmT3_T4_T5_T6_T7_T9_mT8_P12ihipStream_tbDpT10_ENKUlT_T0_E_clISt17integral_constantIbLb1EES1C_IbLb0EEEEDaS18_S19_EUlS18_E_NS1_11comp_targetILNS1_3genE10ELNS1_11target_archE1200ELNS1_3gpuE4ELNS1_3repE0EEENS1_30default_config_static_selectorELNS0_4arch9wavefront6targetE0EEEvT1_.private_seg_size, 0
	.set _ZN7rocprim17ROCPRIM_400000_NS6detail17trampoline_kernelINS0_14default_configENS1_25partition_config_selectorILNS1_17partition_subalgoE5ElNS0_10empty_typeEbEEZZNS1_14partition_implILS5_5ELb0ES3_mN6hipcub16HIPCUB_304000_NS21CountingInputIteratorIllEEPS6_NSA_22TransformInputIteratorIbN2at6native12_GLOBAL__N_19NonZeroOpIN3c104HalfEEEPKSK_lEENS0_5tupleIJPlS6_EEENSP_IJSD_SD_EEES6_PiJS6_EEE10hipError_tPvRmT3_T4_T5_T6_T7_T9_mT8_P12ihipStream_tbDpT10_ENKUlT_T0_E_clISt17integral_constantIbLb1EES1C_IbLb0EEEEDaS18_S19_EUlS18_E_NS1_11comp_targetILNS1_3genE10ELNS1_11target_archE1200ELNS1_3gpuE4ELNS1_3repE0EEENS1_30default_config_static_selectorELNS0_4arch9wavefront6targetE0EEEvT1_.uses_vcc, 0
	.set _ZN7rocprim17ROCPRIM_400000_NS6detail17trampoline_kernelINS0_14default_configENS1_25partition_config_selectorILNS1_17partition_subalgoE5ElNS0_10empty_typeEbEEZZNS1_14partition_implILS5_5ELb0ES3_mN6hipcub16HIPCUB_304000_NS21CountingInputIteratorIllEEPS6_NSA_22TransformInputIteratorIbN2at6native12_GLOBAL__N_19NonZeroOpIN3c104HalfEEEPKSK_lEENS0_5tupleIJPlS6_EEENSP_IJSD_SD_EEES6_PiJS6_EEE10hipError_tPvRmT3_T4_T5_T6_T7_T9_mT8_P12ihipStream_tbDpT10_ENKUlT_T0_E_clISt17integral_constantIbLb1EES1C_IbLb0EEEEDaS18_S19_EUlS18_E_NS1_11comp_targetILNS1_3genE10ELNS1_11target_archE1200ELNS1_3gpuE4ELNS1_3repE0EEENS1_30default_config_static_selectorELNS0_4arch9wavefront6targetE0EEEvT1_.uses_flat_scratch, 0
	.set _ZN7rocprim17ROCPRIM_400000_NS6detail17trampoline_kernelINS0_14default_configENS1_25partition_config_selectorILNS1_17partition_subalgoE5ElNS0_10empty_typeEbEEZZNS1_14partition_implILS5_5ELb0ES3_mN6hipcub16HIPCUB_304000_NS21CountingInputIteratorIllEEPS6_NSA_22TransformInputIteratorIbN2at6native12_GLOBAL__N_19NonZeroOpIN3c104HalfEEEPKSK_lEENS0_5tupleIJPlS6_EEENSP_IJSD_SD_EEES6_PiJS6_EEE10hipError_tPvRmT3_T4_T5_T6_T7_T9_mT8_P12ihipStream_tbDpT10_ENKUlT_T0_E_clISt17integral_constantIbLb1EES1C_IbLb0EEEEDaS18_S19_EUlS18_E_NS1_11comp_targetILNS1_3genE10ELNS1_11target_archE1200ELNS1_3gpuE4ELNS1_3repE0EEENS1_30default_config_static_selectorELNS0_4arch9wavefront6targetE0EEEvT1_.has_dyn_sized_stack, 0
	.set _ZN7rocprim17ROCPRIM_400000_NS6detail17trampoline_kernelINS0_14default_configENS1_25partition_config_selectorILNS1_17partition_subalgoE5ElNS0_10empty_typeEbEEZZNS1_14partition_implILS5_5ELb0ES3_mN6hipcub16HIPCUB_304000_NS21CountingInputIteratorIllEEPS6_NSA_22TransformInputIteratorIbN2at6native12_GLOBAL__N_19NonZeroOpIN3c104HalfEEEPKSK_lEENS0_5tupleIJPlS6_EEENSP_IJSD_SD_EEES6_PiJS6_EEE10hipError_tPvRmT3_T4_T5_T6_T7_T9_mT8_P12ihipStream_tbDpT10_ENKUlT_T0_E_clISt17integral_constantIbLb1EES1C_IbLb0EEEEDaS18_S19_EUlS18_E_NS1_11comp_targetILNS1_3genE10ELNS1_11target_archE1200ELNS1_3gpuE4ELNS1_3repE0EEENS1_30default_config_static_selectorELNS0_4arch9wavefront6targetE0EEEvT1_.has_recursion, 0
	.set _ZN7rocprim17ROCPRIM_400000_NS6detail17trampoline_kernelINS0_14default_configENS1_25partition_config_selectorILNS1_17partition_subalgoE5ElNS0_10empty_typeEbEEZZNS1_14partition_implILS5_5ELb0ES3_mN6hipcub16HIPCUB_304000_NS21CountingInputIteratorIllEEPS6_NSA_22TransformInputIteratorIbN2at6native12_GLOBAL__N_19NonZeroOpIN3c104HalfEEEPKSK_lEENS0_5tupleIJPlS6_EEENSP_IJSD_SD_EEES6_PiJS6_EEE10hipError_tPvRmT3_T4_T5_T6_T7_T9_mT8_P12ihipStream_tbDpT10_ENKUlT_T0_E_clISt17integral_constantIbLb1EES1C_IbLb0EEEEDaS18_S19_EUlS18_E_NS1_11comp_targetILNS1_3genE10ELNS1_11target_archE1200ELNS1_3gpuE4ELNS1_3repE0EEENS1_30default_config_static_selectorELNS0_4arch9wavefront6targetE0EEEvT1_.has_indirect_call, 0
	.section	.AMDGPU.csdata,"",@progbits
; Kernel info:
; codeLenInByte = 4
; TotalNumSgprs: 0
; NumVgprs: 0
; ScratchSize: 0
; MemoryBound: 0
; FloatMode: 240
; IeeeMode: 1
; LDSByteSize: 0 bytes/workgroup (compile time only)
; SGPRBlocks: 0
; VGPRBlocks: 0
; NumSGPRsForWavesPerEU: 1
; NumVGPRsForWavesPerEU: 1
; Occupancy: 16
; WaveLimiterHint : 0
; COMPUTE_PGM_RSRC2:SCRATCH_EN: 0
; COMPUTE_PGM_RSRC2:USER_SGPR: 2
; COMPUTE_PGM_RSRC2:TRAP_HANDLER: 0
; COMPUTE_PGM_RSRC2:TGID_X_EN: 1
; COMPUTE_PGM_RSRC2:TGID_Y_EN: 0
; COMPUTE_PGM_RSRC2:TGID_Z_EN: 0
; COMPUTE_PGM_RSRC2:TIDIG_COMP_CNT: 0
	.section	.text._ZN7rocprim17ROCPRIM_400000_NS6detail17trampoline_kernelINS0_14default_configENS1_25partition_config_selectorILNS1_17partition_subalgoE5ElNS0_10empty_typeEbEEZZNS1_14partition_implILS5_5ELb0ES3_mN6hipcub16HIPCUB_304000_NS21CountingInputIteratorIllEEPS6_NSA_22TransformInputIteratorIbN2at6native12_GLOBAL__N_19NonZeroOpIN3c104HalfEEEPKSK_lEENS0_5tupleIJPlS6_EEENSP_IJSD_SD_EEES6_PiJS6_EEE10hipError_tPvRmT3_T4_T5_T6_T7_T9_mT8_P12ihipStream_tbDpT10_ENKUlT_T0_E_clISt17integral_constantIbLb1EES1C_IbLb0EEEEDaS18_S19_EUlS18_E_NS1_11comp_targetILNS1_3genE9ELNS1_11target_archE1100ELNS1_3gpuE3ELNS1_3repE0EEENS1_30default_config_static_selectorELNS0_4arch9wavefront6targetE0EEEvT1_,"axG",@progbits,_ZN7rocprim17ROCPRIM_400000_NS6detail17trampoline_kernelINS0_14default_configENS1_25partition_config_selectorILNS1_17partition_subalgoE5ElNS0_10empty_typeEbEEZZNS1_14partition_implILS5_5ELb0ES3_mN6hipcub16HIPCUB_304000_NS21CountingInputIteratorIllEEPS6_NSA_22TransformInputIteratorIbN2at6native12_GLOBAL__N_19NonZeroOpIN3c104HalfEEEPKSK_lEENS0_5tupleIJPlS6_EEENSP_IJSD_SD_EEES6_PiJS6_EEE10hipError_tPvRmT3_T4_T5_T6_T7_T9_mT8_P12ihipStream_tbDpT10_ENKUlT_T0_E_clISt17integral_constantIbLb1EES1C_IbLb0EEEEDaS18_S19_EUlS18_E_NS1_11comp_targetILNS1_3genE9ELNS1_11target_archE1100ELNS1_3gpuE3ELNS1_3repE0EEENS1_30default_config_static_selectorELNS0_4arch9wavefront6targetE0EEEvT1_,comdat
	.globl	_ZN7rocprim17ROCPRIM_400000_NS6detail17trampoline_kernelINS0_14default_configENS1_25partition_config_selectorILNS1_17partition_subalgoE5ElNS0_10empty_typeEbEEZZNS1_14partition_implILS5_5ELb0ES3_mN6hipcub16HIPCUB_304000_NS21CountingInputIteratorIllEEPS6_NSA_22TransformInputIteratorIbN2at6native12_GLOBAL__N_19NonZeroOpIN3c104HalfEEEPKSK_lEENS0_5tupleIJPlS6_EEENSP_IJSD_SD_EEES6_PiJS6_EEE10hipError_tPvRmT3_T4_T5_T6_T7_T9_mT8_P12ihipStream_tbDpT10_ENKUlT_T0_E_clISt17integral_constantIbLb1EES1C_IbLb0EEEEDaS18_S19_EUlS18_E_NS1_11comp_targetILNS1_3genE9ELNS1_11target_archE1100ELNS1_3gpuE3ELNS1_3repE0EEENS1_30default_config_static_selectorELNS0_4arch9wavefront6targetE0EEEvT1_ ; -- Begin function _ZN7rocprim17ROCPRIM_400000_NS6detail17trampoline_kernelINS0_14default_configENS1_25partition_config_selectorILNS1_17partition_subalgoE5ElNS0_10empty_typeEbEEZZNS1_14partition_implILS5_5ELb0ES3_mN6hipcub16HIPCUB_304000_NS21CountingInputIteratorIllEEPS6_NSA_22TransformInputIteratorIbN2at6native12_GLOBAL__N_19NonZeroOpIN3c104HalfEEEPKSK_lEENS0_5tupleIJPlS6_EEENSP_IJSD_SD_EEES6_PiJS6_EEE10hipError_tPvRmT3_T4_T5_T6_T7_T9_mT8_P12ihipStream_tbDpT10_ENKUlT_T0_E_clISt17integral_constantIbLb1EES1C_IbLb0EEEEDaS18_S19_EUlS18_E_NS1_11comp_targetILNS1_3genE9ELNS1_11target_archE1100ELNS1_3gpuE3ELNS1_3repE0EEENS1_30default_config_static_selectorELNS0_4arch9wavefront6targetE0EEEvT1_
	.p2align	8
	.type	_ZN7rocprim17ROCPRIM_400000_NS6detail17trampoline_kernelINS0_14default_configENS1_25partition_config_selectorILNS1_17partition_subalgoE5ElNS0_10empty_typeEbEEZZNS1_14partition_implILS5_5ELb0ES3_mN6hipcub16HIPCUB_304000_NS21CountingInputIteratorIllEEPS6_NSA_22TransformInputIteratorIbN2at6native12_GLOBAL__N_19NonZeroOpIN3c104HalfEEEPKSK_lEENS0_5tupleIJPlS6_EEENSP_IJSD_SD_EEES6_PiJS6_EEE10hipError_tPvRmT3_T4_T5_T6_T7_T9_mT8_P12ihipStream_tbDpT10_ENKUlT_T0_E_clISt17integral_constantIbLb1EES1C_IbLb0EEEEDaS18_S19_EUlS18_E_NS1_11comp_targetILNS1_3genE9ELNS1_11target_archE1100ELNS1_3gpuE3ELNS1_3repE0EEENS1_30default_config_static_selectorELNS0_4arch9wavefront6targetE0EEEvT1_,@function
_ZN7rocprim17ROCPRIM_400000_NS6detail17trampoline_kernelINS0_14default_configENS1_25partition_config_selectorILNS1_17partition_subalgoE5ElNS0_10empty_typeEbEEZZNS1_14partition_implILS5_5ELb0ES3_mN6hipcub16HIPCUB_304000_NS21CountingInputIteratorIllEEPS6_NSA_22TransformInputIteratorIbN2at6native12_GLOBAL__N_19NonZeroOpIN3c104HalfEEEPKSK_lEENS0_5tupleIJPlS6_EEENSP_IJSD_SD_EEES6_PiJS6_EEE10hipError_tPvRmT3_T4_T5_T6_T7_T9_mT8_P12ihipStream_tbDpT10_ENKUlT_T0_E_clISt17integral_constantIbLb1EES1C_IbLb0EEEEDaS18_S19_EUlS18_E_NS1_11comp_targetILNS1_3genE9ELNS1_11target_archE1100ELNS1_3gpuE3ELNS1_3repE0EEENS1_30default_config_static_selectorELNS0_4arch9wavefront6targetE0EEEvT1_: ; @_ZN7rocprim17ROCPRIM_400000_NS6detail17trampoline_kernelINS0_14default_configENS1_25partition_config_selectorILNS1_17partition_subalgoE5ElNS0_10empty_typeEbEEZZNS1_14partition_implILS5_5ELb0ES3_mN6hipcub16HIPCUB_304000_NS21CountingInputIteratorIllEEPS6_NSA_22TransformInputIteratorIbN2at6native12_GLOBAL__N_19NonZeroOpIN3c104HalfEEEPKSK_lEENS0_5tupleIJPlS6_EEENSP_IJSD_SD_EEES6_PiJS6_EEE10hipError_tPvRmT3_T4_T5_T6_T7_T9_mT8_P12ihipStream_tbDpT10_ENKUlT_T0_E_clISt17integral_constantIbLb1EES1C_IbLb0EEEEDaS18_S19_EUlS18_E_NS1_11comp_targetILNS1_3genE9ELNS1_11target_archE1100ELNS1_3gpuE3ELNS1_3repE0EEENS1_30default_config_static_selectorELNS0_4arch9wavefront6targetE0EEEvT1_
; %bb.0:
	.section	.rodata,"a",@progbits
	.p2align	6, 0x0
	.amdhsa_kernel _ZN7rocprim17ROCPRIM_400000_NS6detail17trampoline_kernelINS0_14default_configENS1_25partition_config_selectorILNS1_17partition_subalgoE5ElNS0_10empty_typeEbEEZZNS1_14partition_implILS5_5ELb0ES3_mN6hipcub16HIPCUB_304000_NS21CountingInputIteratorIllEEPS6_NSA_22TransformInputIteratorIbN2at6native12_GLOBAL__N_19NonZeroOpIN3c104HalfEEEPKSK_lEENS0_5tupleIJPlS6_EEENSP_IJSD_SD_EEES6_PiJS6_EEE10hipError_tPvRmT3_T4_T5_T6_T7_T9_mT8_P12ihipStream_tbDpT10_ENKUlT_T0_E_clISt17integral_constantIbLb1EES1C_IbLb0EEEEDaS18_S19_EUlS18_E_NS1_11comp_targetILNS1_3genE9ELNS1_11target_archE1100ELNS1_3gpuE3ELNS1_3repE0EEENS1_30default_config_static_selectorELNS0_4arch9wavefront6targetE0EEEvT1_
		.amdhsa_group_segment_fixed_size 0
		.amdhsa_private_segment_fixed_size 0
		.amdhsa_kernarg_size 120
		.amdhsa_user_sgpr_count 2
		.amdhsa_user_sgpr_dispatch_ptr 0
		.amdhsa_user_sgpr_queue_ptr 0
		.amdhsa_user_sgpr_kernarg_segment_ptr 1
		.amdhsa_user_sgpr_dispatch_id 0
		.amdhsa_user_sgpr_private_segment_size 0
		.amdhsa_wavefront_size32 1
		.amdhsa_uses_dynamic_stack 0
		.amdhsa_enable_private_segment 0
		.amdhsa_system_sgpr_workgroup_id_x 1
		.amdhsa_system_sgpr_workgroup_id_y 0
		.amdhsa_system_sgpr_workgroup_id_z 0
		.amdhsa_system_sgpr_workgroup_info 0
		.amdhsa_system_vgpr_workitem_id 0
		.amdhsa_next_free_vgpr 1
		.amdhsa_next_free_sgpr 1
		.amdhsa_reserve_vcc 0
		.amdhsa_float_round_mode_32 0
		.amdhsa_float_round_mode_16_64 0
		.amdhsa_float_denorm_mode_32 3
		.amdhsa_float_denorm_mode_16_64 3
		.amdhsa_fp16_overflow 0
		.amdhsa_workgroup_processor_mode 1
		.amdhsa_memory_ordered 1
		.amdhsa_forward_progress 1
		.amdhsa_inst_pref_size 0
		.amdhsa_round_robin_scheduling 0
		.amdhsa_exception_fp_ieee_invalid_op 0
		.amdhsa_exception_fp_denorm_src 0
		.amdhsa_exception_fp_ieee_div_zero 0
		.amdhsa_exception_fp_ieee_overflow 0
		.amdhsa_exception_fp_ieee_underflow 0
		.amdhsa_exception_fp_ieee_inexact 0
		.amdhsa_exception_int_div_zero 0
	.end_amdhsa_kernel
	.section	.text._ZN7rocprim17ROCPRIM_400000_NS6detail17trampoline_kernelINS0_14default_configENS1_25partition_config_selectorILNS1_17partition_subalgoE5ElNS0_10empty_typeEbEEZZNS1_14partition_implILS5_5ELb0ES3_mN6hipcub16HIPCUB_304000_NS21CountingInputIteratorIllEEPS6_NSA_22TransformInputIteratorIbN2at6native12_GLOBAL__N_19NonZeroOpIN3c104HalfEEEPKSK_lEENS0_5tupleIJPlS6_EEENSP_IJSD_SD_EEES6_PiJS6_EEE10hipError_tPvRmT3_T4_T5_T6_T7_T9_mT8_P12ihipStream_tbDpT10_ENKUlT_T0_E_clISt17integral_constantIbLb1EES1C_IbLb0EEEEDaS18_S19_EUlS18_E_NS1_11comp_targetILNS1_3genE9ELNS1_11target_archE1100ELNS1_3gpuE3ELNS1_3repE0EEENS1_30default_config_static_selectorELNS0_4arch9wavefront6targetE0EEEvT1_,"axG",@progbits,_ZN7rocprim17ROCPRIM_400000_NS6detail17trampoline_kernelINS0_14default_configENS1_25partition_config_selectorILNS1_17partition_subalgoE5ElNS0_10empty_typeEbEEZZNS1_14partition_implILS5_5ELb0ES3_mN6hipcub16HIPCUB_304000_NS21CountingInputIteratorIllEEPS6_NSA_22TransformInputIteratorIbN2at6native12_GLOBAL__N_19NonZeroOpIN3c104HalfEEEPKSK_lEENS0_5tupleIJPlS6_EEENSP_IJSD_SD_EEES6_PiJS6_EEE10hipError_tPvRmT3_T4_T5_T6_T7_T9_mT8_P12ihipStream_tbDpT10_ENKUlT_T0_E_clISt17integral_constantIbLb1EES1C_IbLb0EEEEDaS18_S19_EUlS18_E_NS1_11comp_targetILNS1_3genE9ELNS1_11target_archE1100ELNS1_3gpuE3ELNS1_3repE0EEENS1_30default_config_static_selectorELNS0_4arch9wavefront6targetE0EEEvT1_,comdat
.Lfunc_end888:
	.size	_ZN7rocprim17ROCPRIM_400000_NS6detail17trampoline_kernelINS0_14default_configENS1_25partition_config_selectorILNS1_17partition_subalgoE5ElNS0_10empty_typeEbEEZZNS1_14partition_implILS5_5ELb0ES3_mN6hipcub16HIPCUB_304000_NS21CountingInputIteratorIllEEPS6_NSA_22TransformInputIteratorIbN2at6native12_GLOBAL__N_19NonZeroOpIN3c104HalfEEEPKSK_lEENS0_5tupleIJPlS6_EEENSP_IJSD_SD_EEES6_PiJS6_EEE10hipError_tPvRmT3_T4_T5_T6_T7_T9_mT8_P12ihipStream_tbDpT10_ENKUlT_T0_E_clISt17integral_constantIbLb1EES1C_IbLb0EEEEDaS18_S19_EUlS18_E_NS1_11comp_targetILNS1_3genE9ELNS1_11target_archE1100ELNS1_3gpuE3ELNS1_3repE0EEENS1_30default_config_static_selectorELNS0_4arch9wavefront6targetE0EEEvT1_, .Lfunc_end888-_ZN7rocprim17ROCPRIM_400000_NS6detail17trampoline_kernelINS0_14default_configENS1_25partition_config_selectorILNS1_17partition_subalgoE5ElNS0_10empty_typeEbEEZZNS1_14partition_implILS5_5ELb0ES3_mN6hipcub16HIPCUB_304000_NS21CountingInputIteratorIllEEPS6_NSA_22TransformInputIteratorIbN2at6native12_GLOBAL__N_19NonZeroOpIN3c104HalfEEEPKSK_lEENS0_5tupleIJPlS6_EEENSP_IJSD_SD_EEES6_PiJS6_EEE10hipError_tPvRmT3_T4_T5_T6_T7_T9_mT8_P12ihipStream_tbDpT10_ENKUlT_T0_E_clISt17integral_constantIbLb1EES1C_IbLb0EEEEDaS18_S19_EUlS18_E_NS1_11comp_targetILNS1_3genE9ELNS1_11target_archE1100ELNS1_3gpuE3ELNS1_3repE0EEENS1_30default_config_static_selectorELNS0_4arch9wavefront6targetE0EEEvT1_
                                        ; -- End function
	.set _ZN7rocprim17ROCPRIM_400000_NS6detail17trampoline_kernelINS0_14default_configENS1_25partition_config_selectorILNS1_17partition_subalgoE5ElNS0_10empty_typeEbEEZZNS1_14partition_implILS5_5ELb0ES3_mN6hipcub16HIPCUB_304000_NS21CountingInputIteratorIllEEPS6_NSA_22TransformInputIteratorIbN2at6native12_GLOBAL__N_19NonZeroOpIN3c104HalfEEEPKSK_lEENS0_5tupleIJPlS6_EEENSP_IJSD_SD_EEES6_PiJS6_EEE10hipError_tPvRmT3_T4_T5_T6_T7_T9_mT8_P12ihipStream_tbDpT10_ENKUlT_T0_E_clISt17integral_constantIbLb1EES1C_IbLb0EEEEDaS18_S19_EUlS18_E_NS1_11comp_targetILNS1_3genE9ELNS1_11target_archE1100ELNS1_3gpuE3ELNS1_3repE0EEENS1_30default_config_static_selectorELNS0_4arch9wavefront6targetE0EEEvT1_.num_vgpr, 0
	.set _ZN7rocprim17ROCPRIM_400000_NS6detail17trampoline_kernelINS0_14default_configENS1_25partition_config_selectorILNS1_17partition_subalgoE5ElNS0_10empty_typeEbEEZZNS1_14partition_implILS5_5ELb0ES3_mN6hipcub16HIPCUB_304000_NS21CountingInputIteratorIllEEPS6_NSA_22TransformInputIteratorIbN2at6native12_GLOBAL__N_19NonZeroOpIN3c104HalfEEEPKSK_lEENS0_5tupleIJPlS6_EEENSP_IJSD_SD_EEES6_PiJS6_EEE10hipError_tPvRmT3_T4_T5_T6_T7_T9_mT8_P12ihipStream_tbDpT10_ENKUlT_T0_E_clISt17integral_constantIbLb1EES1C_IbLb0EEEEDaS18_S19_EUlS18_E_NS1_11comp_targetILNS1_3genE9ELNS1_11target_archE1100ELNS1_3gpuE3ELNS1_3repE0EEENS1_30default_config_static_selectorELNS0_4arch9wavefront6targetE0EEEvT1_.num_agpr, 0
	.set _ZN7rocprim17ROCPRIM_400000_NS6detail17trampoline_kernelINS0_14default_configENS1_25partition_config_selectorILNS1_17partition_subalgoE5ElNS0_10empty_typeEbEEZZNS1_14partition_implILS5_5ELb0ES3_mN6hipcub16HIPCUB_304000_NS21CountingInputIteratorIllEEPS6_NSA_22TransformInputIteratorIbN2at6native12_GLOBAL__N_19NonZeroOpIN3c104HalfEEEPKSK_lEENS0_5tupleIJPlS6_EEENSP_IJSD_SD_EEES6_PiJS6_EEE10hipError_tPvRmT3_T4_T5_T6_T7_T9_mT8_P12ihipStream_tbDpT10_ENKUlT_T0_E_clISt17integral_constantIbLb1EES1C_IbLb0EEEEDaS18_S19_EUlS18_E_NS1_11comp_targetILNS1_3genE9ELNS1_11target_archE1100ELNS1_3gpuE3ELNS1_3repE0EEENS1_30default_config_static_selectorELNS0_4arch9wavefront6targetE0EEEvT1_.numbered_sgpr, 0
	.set _ZN7rocprim17ROCPRIM_400000_NS6detail17trampoline_kernelINS0_14default_configENS1_25partition_config_selectorILNS1_17partition_subalgoE5ElNS0_10empty_typeEbEEZZNS1_14partition_implILS5_5ELb0ES3_mN6hipcub16HIPCUB_304000_NS21CountingInputIteratorIllEEPS6_NSA_22TransformInputIteratorIbN2at6native12_GLOBAL__N_19NonZeroOpIN3c104HalfEEEPKSK_lEENS0_5tupleIJPlS6_EEENSP_IJSD_SD_EEES6_PiJS6_EEE10hipError_tPvRmT3_T4_T5_T6_T7_T9_mT8_P12ihipStream_tbDpT10_ENKUlT_T0_E_clISt17integral_constantIbLb1EES1C_IbLb0EEEEDaS18_S19_EUlS18_E_NS1_11comp_targetILNS1_3genE9ELNS1_11target_archE1100ELNS1_3gpuE3ELNS1_3repE0EEENS1_30default_config_static_selectorELNS0_4arch9wavefront6targetE0EEEvT1_.num_named_barrier, 0
	.set _ZN7rocprim17ROCPRIM_400000_NS6detail17trampoline_kernelINS0_14default_configENS1_25partition_config_selectorILNS1_17partition_subalgoE5ElNS0_10empty_typeEbEEZZNS1_14partition_implILS5_5ELb0ES3_mN6hipcub16HIPCUB_304000_NS21CountingInputIteratorIllEEPS6_NSA_22TransformInputIteratorIbN2at6native12_GLOBAL__N_19NonZeroOpIN3c104HalfEEEPKSK_lEENS0_5tupleIJPlS6_EEENSP_IJSD_SD_EEES6_PiJS6_EEE10hipError_tPvRmT3_T4_T5_T6_T7_T9_mT8_P12ihipStream_tbDpT10_ENKUlT_T0_E_clISt17integral_constantIbLb1EES1C_IbLb0EEEEDaS18_S19_EUlS18_E_NS1_11comp_targetILNS1_3genE9ELNS1_11target_archE1100ELNS1_3gpuE3ELNS1_3repE0EEENS1_30default_config_static_selectorELNS0_4arch9wavefront6targetE0EEEvT1_.private_seg_size, 0
	.set _ZN7rocprim17ROCPRIM_400000_NS6detail17trampoline_kernelINS0_14default_configENS1_25partition_config_selectorILNS1_17partition_subalgoE5ElNS0_10empty_typeEbEEZZNS1_14partition_implILS5_5ELb0ES3_mN6hipcub16HIPCUB_304000_NS21CountingInputIteratorIllEEPS6_NSA_22TransformInputIteratorIbN2at6native12_GLOBAL__N_19NonZeroOpIN3c104HalfEEEPKSK_lEENS0_5tupleIJPlS6_EEENSP_IJSD_SD_EEES6_PiJS6_EEE10hipError_tPvRmT3_T4_T5_T6_T7_T9_mT8_P12ihipStream_tbDpT10_ENKUlT_T0_E_clISt17integral_constantIbLb1EES1C_IbLb0EEEEDaS18_S19_EUlS18_E_NS1_11comp_targetILNS1_3genE9ELNS1_11target_archE1100ELNS1_3gpuE3ELNS1_3repE0EEENS1_30default_config_static_selectorELNS0_4arch9wavefront6targetE0EEEvT1_.uses_vcc, 0
	.set _ZN7rocprim17ROCPRIM_400000_NS6detail17trampoline_kernelINS0_14default_configENS1_25partition_config_selectorILNS1_17partition_subalgoE5ElNS0_10empty_typeEbEEZZNS1_14partition_implILS5_5ELb0ES3_mN6hipcub16HIPCUB_304000_NS21CountingInputIteratorIllEEPS6_NSA_22TransformInputIteratorIbN2at6native12_GLOBAL__N_19NonZeroOpIN3c104HalfEEEPKSK_lEENS0_5tupleIJPlS6_EEENSP_IJSD_SD_EEES6_PiJS6_EEE10hipError_tPvRmT3_T4_T5_T6_T7_T9_mT8_P12ihipStream_tbDpT10_ENKUlT_T0_E_clISt17integral_constantIbLb1EES1C_IbLb0EEEEDaS18_S19_EUlS18_E_NS1_11comp_targetILNS1_3genE9ELNS1_11target_archE1100ELNS1_3gpuE3ELNS1_3repE0EEENS1_30default_config_static_selectorELNS0_4arch9wavefront6targetE0EEEvT1_.uses_flat_scratch, 0
	.set _ZN7rocprim17ROCPRIM_400000_NS6detail17trampoline_kernelINS0_14default_configENS1_25partition_config_selectorILNS1_17partition_subalgoE5ElNS0_10empty_typeEbEEZZNS1_14partition_implILS5_5ELb0ES3_mN6hipcub16HIPCUB_304000_NS21CountingInputIteratorIllEEPS6_NSA_22TransformInputIteratorIbN2at6native12_GLOBAL__N_19NonZeroOpIN3c104HalfEEEPKSK_lEENS0_5tupleIJPlS6_EEENSP_IJSD_SD_EEES6_PiJS6_EEE10hipError_tPvRmT3_T4_T5_T6_T7_T9_mT8_P12ihipStream_tbDpT10_ENKUlT_T0_E_clISt17integral_constantIbLb1EES1C_IbLb0EEEEDaS18_S19_EUlS18_E_NS1_11comp_targetILNS1_3genE9ELNS1_11target_archE1100ELNS1_3gpuE3ELNS1_3repE0EEENS1_30default_config_static_selectorELNS0_4arch9wavefront6targetE0EEEvT1_.has_dyn_sized_stack, 0
	.set _ZN7rocprim17ROCPRIM_400000_NS6detail17trampoline_kernelINS0_14default_configENS1_25partition_config_selectorILNS1_17partition_subalgoE5ElNS0_10empty_typeEbEEZZNS1_14partition_implILS5_5ELb0ES3_mN6hipcub16HIPCUB_304000_NS21CountingInputIteratorIllEEPS6_NSA_22TransformInputIteratorIbN2at6native12_GLOBAL__N_19NonZeroOpIN3c104HalfEEEPKSK_lEENS0_5tupleIJPlS6_EEENSP_IJSD_SD_EEES6_PiJS6_EEE10hipError_tPvRmT3_T4_T5_T6_T7_T9_mT8_P12ihipStream_tbDpT10_ENKUlT_T0_E_clISt17integral_constantIbLb1EES1C_IbLb0EEEEDaS18_S19_EUlS18_E_NS1_11comp_targetILNS1_3genE9ELNS1_11target_archE1100ELNS1_3gpuE3ELNS1_3repE0EEENS1_30default_config_static_selectorELNS0_4arch9wavefront6targetE0EEEvT1_.has_recursion, 0
	.set _ZN7rocprim17ROCPRIM_400000_NS6detail17trampoline_kernelINS0_14default_configENS1_25partition_config_selectorILNS1_17partition_subalgoE5ElNS0_10empty_typeEbEEZZNS1_14partition_implILS5_5ELb0ES3_mN6hipcub16HIPCUB_304000_NS21CountingInputIteratorIllEEPS6_NSA_22TransformInputIteratorIbN2at6native12_GLOBAL__N_19NonZeroOpIN3c104HalfEEEPKSK_lEENS0_5tupleIJPlS6_EEENSP_IJSD_SD_EEES6_PiJS6_EEE10hipError_tPvRmT3_T4_T5_T6_T7_T9_mT8_P12ihipStream_tbDpT10_ENKUlT_T0_E_clISt17integral_constantIbLb1EES1C_IbLb0EEEEDaS18_S19_EUlS18_E_NS1_11comp_targetILNS1_3genE9ELNS1_11target_archE1100ELNS1_3gpuE3ELNS1_3repE0EEENS1_30default_config_static_selectorELNS0_4arch9wavefront6targetE0EEEvT1_.has_indirect_call, 0
	.section	.AMDGPU.csdata,"",@progbits
; Kernel info:
; codeLenInByte = 0
; TotalNumSgprs: 0
; NumVgprs: 0
; ScratchSize: 0
; MemoryBound: 0
; FloatMode: 240
; IeeeMode: 1
; LDSByteSize: 0 bytes/workgroup (compile time only)
; SGPRBlocks: 0
; VGPRBlocks: 0
; NumSGPRsForWavesPerEU: 1
; NumVGPRsForWavesPerEU: 1
; Occupancy: 16
; WaveLimiterHint : 0
; COMPUTE_PGM_RSRC2:SCRATCH_EN: 0
; COMPUTE_PGM_RSRC2:USER_SGPR: 2
; COMPUTE_PGM_RSRC2:TRAP_HANDLER: 0
; COMPUTE_PGM_RSRC2:TGID_X_EN: 1
; COMPUTE_PGM_RSRC2:TGID_Y_EN: 0
; COMPUTE_PGM_RSRC2:TGID_Z_EN: 0
; COMPUTE_PGM_RSRC2:TIDIG_COMP_CNT: 0
	.section	.text._ZN7rocprim17ROCPRIM_400000_NS6detail17trampoline_kernelINS0_14default_configENS1_25partition_config_selectorILNS1_17partition_subalgoE5ElNS0_10empty_typeEbEEZZNS1_14partition_implILS5_5ELb0ES3_mN6hipcub16HIPCUB_304000_NS21CountingInputIteratorIllEEPS6_NSA_22TransformInputIteratorIbN2at6native12_GLOBAL__N_19NonZeroOpIN3c104HalfEEEPKSK_lEENS0_5tupleIJPlS6_EEENSP_IJSD_SD_EEES6_PiJS6_EEE10hipError_tPvRmT3_T4_T5_T6_T7_T9_mT8_P12ihipStream_tbDpT10_ENKUlT_T0_E_clISt17integral_constantIbLb1EES1C_IbLb0EEEEDaS18_S19_EUlS18_E_NS1_11comp_targetILNS1_3genE8ELNS1_11target_archE1030ELNS1_3gpuE2ELNS1_3repE0EEENS1_30default_config_static_selectorELNS0_4arch9wavefront6targetE0EEEvT1_,"axG",@progbits,_ZN7rocprim17ROCPRIM_400000_NS6detail17trampoline_kernelINS0_14default_configENS1_25partition_config_selectorILNS1_17partition_subalgoE5ElNS0_10empty_typeEbEEZZNS1_14partition_implILS5_5ELb0ES3_mN6hipcub16HIPCUB_304000_NS21CountingInputIteratorIllEEPS6_NSA_22TransformInputIteratorIbN2at6native12_GLOBAL__N_19NonZeroOpIN3c104HalfEEEPKSK_lEENS0_5tupleIJPlS6_EEENSP_IJSD_SD_EEES6_PiJS6_EEE10hipError_tPvRmT3_T4_T5_T6_T7_T9_mT8_P12ihipStream_tbDpT10_ENKUlT_T0_E_clISt17integral_constantIbLb1EES1C_IbLb0EEEEDaS18_S19_EUlS18_E_NS1_11comp_targetILNS1_3genE8ELNS1_11target_archE1030ELNS1_3gpuE2ELNS1_3repE0EEENS1_30default_config_static_selectorELNS0_4arch9wavefront6targetE0EEEvT1_,comdat
	.globl	_ZN7rocprim17ROCPRIM_400000_NS6detail17trampoline_kernelINS0_14default_configENS1_25partition_config_selectorILNS1_17partition_subalgoE5ElNS0_10empty_typeEbEEZZNS1_14partition_implILS5_5ELb0ES3_mN6hipcub16HIPCUB_304000_NS21CountingInputIteratorIllEEPS6_NSA_22TransformInputIteratorIbN2at6native12_GLOBAL__N_19NonZeroOpIN3c104HalfEEEPKSK_lEENS0_5tupleIJPlS6_EEENSP_IJSD_SD_EEES6_PiJS6_EEE10hipError_tPvRmT3_T4_T5_T6_T7_T9_mT8_P12ihipStream_tbDpT10_ENKUlT_T0_E_clISt17integral_constantIbLb1EES1C_IbLb0EEEEDaS18_S19_EUlS18_E_NS1_11comp_targetILNS1_3genE8ELNS1_11target_archE1030ELNS1_3gpuE2ELNS1_3repE0EEENS1_30default_config_static_selectorELNS0_4arch9wavefront6targetE0EEEvT1_ ; -- Begin function _ZN7rocprim17ROCPRIM_400000_NS6detail17trampoline_kernelINS0_14default_configENS1_25partition_config_selectorILNS1_17partition_subalgoE5ElNS0_10empty_typeEbEEZZNS1_14partition_implILS5_5ELb0ES3_mN6hipcub16HIPCUB_304000_NS21CountingInputIteratorIllEEPS6_NSA_22TransformInputIteratorIbN2at6native12_GLOBAL__N_19NonZeroOpIN3c104HalfEEEPKSK_lEENS0_5tupleIJPlS6_EEENSP_IJSD_SD_EEES6_PiJS6_EEE10hipError_tPvRmT3_T4_T5_T6_T7_T9_mT8_P12ihipStream_tbDpT10_ENKUlT_T0_E_clISt17integral_constantIbLb1EES1C_IbLb0EEEEDaS18_S19_EUlS18_E_NS1_11comp_targetILNS1_3genE8ELNS1_11target_archE1030ELNS1_3gpuE2ELNS1_3repE0EEENS1_30default_config_static_selectorELNS0_4arch9wavefront6targetE0EEEvT1_
	.p2align	8
	.type	_ZN7rocprim17ROCPRIM_400000_NS6detail17trampoline_kernelINS0_14default_configENS1_25partition_config_selectorILNS1_17partition_subalgoE5ElNS0_10empty_typeEbEEZZNS1_14partition_implILS5_5ELb0ES3_mN6hipcub16HIPCUB_304000_NS21CountingInputIteratorIllEEPS6_NSA_22TransformInputIteratorIbN2at6native12_GLOBAL__N_19NonZeroOpIN3c104HalfEEEPKSK_lEENS0_5tupleIJPlS6_EEENSP_IJSD_SD_EEES6_PiJS6_EEE10hipError_tPvRmT3_T4_T5_T6_T7_T9_mT8_P12ihipStream_tbDpT10_ENKUlT_T0_E_clISt17integral_constantIbLb1EES1C_IbLb0EEEEDaS18_S19_EUlS18_E_NS1_11comp_targetILNS1_3genE8ELNS1_11target_archE1030ELNS1_3gpuE2ELNS1_3repE0EEENS1_30default_config_static_selectorELNS0_4arch9wavefront6targetE0EEEvT1_,@function
_ZN7rocprim17ROCPRIM_400000_NS6detail17trampoline_kernelINS0_14default_configENS1_25partition_config_selectorILNS1_17partition_subalgoE5ElNS0_10empty_typeEbEEZZNS1_14partition_implILS5_5ELb0ES3_mN6hipcub16HIPCUB_304000_NS21CountingInputIteratorIllEEPS6_NSA_22TransformInputIteratorIbN2at6native12_GLOBAL__N_19NonZeroOpIN3c104HalfEEEPKSK_lEENS0_5tupleIJPlS6_EEENSP_IJSD_SD_EEES6_PiJS6_EEE10hipError_tPvRmT3_T4_T5_T6_T7_T9_mT8_P12ihipStream_tbDpT10_ENKUlT_T0_E_clISt17integral_constantIbLb1EES1C_IbLb0EEEEDaS18_S19_EUlS18_E_NS1_11comp_targetILNS1_3genE8ELNS1_11target_archE1030ELNS1_3gpuE2ELNS1_3repE0EEENS1_30default_config_static_selectorELNS0_4arch9wavefront6targetE0EEEvT1_: ; @_ZN7rocprim17ROCPRIM_400000_NS6detail17trampoline_kernelINS0_14default_configENS1_25partition_config_selectorILNS1_17partition_subalgoE5ElNS0_10empty_typeEbEEZZNS1_14partition_implILS5_5ELb0ES3_mN6hipcub16HIPCUB_304000_NS21CountingInputIteratorIllEEPS6_NSA_22TransformInputIteratorIbN2at6native12_GLOBAL__N_19NonZeroOpIN3c104HalfEEEPKSK_lEENS0_5tupleIJPlS6_EEENSP_IJSD_SD_EEES6_PiJS6_EEE10hipError_tPvRmT3_T4_T5_T6_T7_T9_mT8_P12ihipStream_tbDpT10_ENKUlT_T0_E_clISt17integral_constantIbLb1EES1C_IbLb0EEEEDaS18_S19_EUlS18_E_NS1_11comp_targetILNS1_3genE8ELNS1_11target_archE1030ELNS1_3gpuE2ELNS1_3repE0EEENS1_30default_config_static_selectorELNS0_4arch9wavefront6targetE0EEEvT1_
; %bb.0:
	.section	.rodata,"a",@progbits
	.p2align	6, 0x0
	.amdhsa_kernel _ZN7rocprim17ROCPRIM_400000_NS6detail17trampoline_kernelINS0_14default_configENS1_25partition_config_selectorILNS1_17partition_subalgoE5ElNS0_10empty_typeEbEEZZNS1_14partition_implILS5_5ELb0ES3_mN6hipcub16HIPCUB_304000_NS21CountingInputIteratorIllEEPS6_NSA_22TransformInputIteratorIbN2at6native12_GLOBAL__N_19NonZeroOpIN3c104HalfEEEPKSK_lEENS0_5tupleIJPlS6_EEENSP_IJSD_SD_EEES6_PiJS6_EEE10hipError_tPvRmT3_T4_T5_T6_T7_T9_mT8_P12ihipStream_tbDpT10_ENKUlT_T0_E_clISt17integral_constantIbLb1EES1C_IbLb0EEEEDaS18_S19_EUlS18_E_NS1_11comp_targetILNS1_3genE8ELNS1_11target_archE1030ELNS1_3gpuE2ELNS1_3repE0EEENS1_30default_config_static_selectorELNS0_4arch9wavefront6targetE0EEEvT1_
		.amdhsa_group_segment_fixed_size 0
		.amdhsa_private_segment_fixed_size 0
		.amdhsa_kernarg_size 120
		.amdhsa_user_sgpr_count 2
		.amdhsa_user_sgpr_dispatch_ptr 0
		.amdhsa_user_sgpr_queue_ptr 0
		.amdhsa_user_sgpr_kernarg_segment_ptr 1
		.amdhsa_user_sgpr_dispatch_id 0
		.amdhsa_user_sgpr_private_segment_size 0
		.amdhsa_wavefront_size32 1
		.amdhsa_uses_dynamic_stack 0
		.amdhsa_enable_private_segment 0
		.amdhsa_system_sgpr_workgroup_id_x 1
		.amdhsa_system_sgpr_workgroup_id_y 0
		.amdhsa_system_sgpr_workgroup_id_z 0
		.amdhsa_system_sgpr_workgroup_info 0
		.amdhsa_system_vgpr_workitem_id 0
		.amdhsa_next_free_vgpr 1
		.amdhsa_next_free_sgpr 1
		.amdhsa_reserve_vcc 0
		.amdhsa_float_round_mode_32 0
		.amdhsa_float_round_mode_16_64 0
		.amdhsa_float_denorm_mode_32 3
		.amdhsa_float_denorm_mode_16_64 3
		.amdhsa_fp16_overflow 0
		.amdhsa_workgroup_processor_mode 1
		.amdhsa_memory_ordered 1
		.amdhsa_forward_progress 1
		.amdhsa_inst_pref_size 0
		.amdhsa_round_robin_scheduling 0
		.amdhsa_exception_fp_ieee_invalid_op 0
		.amdhsa_exception_fp_denorm_src 0
		.amdhsa_exception_fp_ieee_div_zero 0
		.amdhsa_exception_fp_ieee_overflow 0
		.amdhsa_exception_fp_ieee_underflow 0
		.amdhsa_exception_fp_ieee_inexact 0
		.amdhsa_exception_int_div_zero 0
	.end_amdhsa_kernel
	.section	.text._ZN7rocprim17ROCPRIM_400000_NS6detail17trampoline_kernelINS0_14default_configENS1_25partition_config_selectorILNS1_17partition_subalgoE5ElNS0_10empty_typeEbEEZZNS1_14partition_implILS5_5ELb0ES3_mN6hipcub16HIPCUB_304000_NS21CountingInputIteratorIllEEPS6_NSA_22TransformInputIteratorIbN2at6native12_GLOBAL__N_19NonZeroOpIN3c104HalfEEEPKSK_lEENS0_5tupleIJPlS6_EEENSP_IJSD_SD_EEES6_PiJS6_EEE10hipError_tPvRmT3_T4_T5_T6_T7_T9_mT8_P12ihipStream_tbDpT10_ENKUlT_T0_E_clISt17integral_constantIbLb1EES1C_IbLb0EEEEDaS18_S19_EUlS18_E_NS1_11comp_targetILNS1_3genE8ELNS1_11target_archE1030ELNS1_3gpuE2ELNS1_3repE0EEENS1_30default_config_static_selectorELNS0_4arch9wavefront6targetE0EEEvT1_,"axG",@progbits,_ZN7rocprim17ROCPRIM_400000_NS6detail17trampoline_kernelINS0_14default_configENS1_25partition_config_selectorILNS1_17partition_subalgoE5ElNS0_10empty_typeEbEEZZNS1_14partition_implILS5_5ELb0ES3_mN6hipcub16HIPCUB_304000_NS21CountingInputIteratorIllEEPS6_NSA_22TransformInputIteratorIbN2at6native12_GLOBAL__N_19NonZeroOpIN3c104HalfEEEPKSK_lEENS0_5tupleIJPlS6_EEENSP_IJSD_SD_EEES6_PiJS6_EEE10hipError_tPvRmT3_T4_T5_T6_T7_T9_mT8_P12ihipStream_tbDpT10_ENKUlT_T0_E_clISt17integral_constantIbLb1EES1C_IbLb0EEEEDaS18_S19_EUlS18_E_NS1_11comp_targetILNS1_3genE8ELNS1_11target_archE1030ELNS1_3gpuE2ELNS1_3repE0EEENS1_30default_config_static_selectorELNS0_4arch9wavefront6targetE0EEEvT1_,comdat
.Lfunc_end889:
	.size	_ZN7rocprim17ROCPRIM_400000_NS6detail17trampoline_kernelINS0_14default_configENS1_25partition_config_selectorILNS1_17partition_subalgoE5ElNS0_10empty_typeEbEEZZNS1_14partition_implILS5_5ELb0ES3_mN6hipcub16HIPCUB_304000_NS21CountingInputIteratorIllEEPS6_NSA_22TransformInputIteratorIbN2at6native12_GLOBAL__N_19NonZeroOpIN3c104HalfEEEPKSK_lEENS0_5tupleIJPlS6_EEENSP_IJSD_SD_EEES6_PiJS6_EEE10hipError_tPvRmT3_T4_T5_T6_T7_T9_mT8_P12ihipStream_tbDpT10_ENKUlT_T0_E_clISt17integral_constantIbLb1EES1C_IbLb0EEEEDaS18_S19_EUlS18_E_NS1_11comp_targetILNS1_3genE8ELNS1_11target_archE1030ELNS1_3gpuE2ELNS1_3repE0EEENS1_30default_config_static_selectorELNS0_4arch9wavefront6targetE0EEEvT1_, .Lfunc_end889-_ZN7rocprim17ROCPRIM_400000_NS6detail17trampoline_kernelINS0_14default_configENS1_25partition_config_selectorILNS1_17partition_subalgoE5ElNS0_10empty_typeEbEEZZNS1_14partition_implILS5_5ELb0ES3_mN6hipcub16HIPCUB_304000_NS21CountingInputIteratorIllEEPS6_NSA_22TransformInputIteratorIbN2at6native12_GLOBAL__N_19NonZeroOpIN3c104HalfEEEPKSK_lEENS0_5tupleIJPlS6_EEENSP_IJSD_SD_EEES6_PiJS6_EEE10hipError_tPvRmT3_T4_T5_T6_T7_T9_mT8_P12ihipStream_tbDpT10_ENKUlT_T0_E_clISt17integral_constantIbLb1EES1C_IbLb0EEEEDaS18_S19_EUlS18_E_NS1_11comp_targetILNS1_3genE8ELNS1_11target_archE1030ELNS1_3gpuE2ELNS1_3repE0EEENS1_30default_config_static_selectorELNS0_4arch9wavefront6targetE0EEEvT1_
                                        ; -- End function
	.set _ZN7rocprim17ROCPRIM_400000_NS6detail17trampoline_kernelINS0_14default_configENS1_25partition_config_selectorILNS1_17partition_subalgoE5ElNS0_10empty_typeEbEEZZNS1_14partition_implILS5_5ELb0ES3_mN6hipcub16HIPCUB_304000_NS21CountingInputIteratorIllEEPS6_NSA_22TransformInputIteratorIbN2at6native12_GLOBAL__N_19NonZeroOpIN3c104HalfEEEPKSK_lEENS0_5tupleIJPlS6_EEENSP_IJSD_SD_EEES6_PiJS6_EEE10hipError_tPvRmT3_T4_T5_T6_T7_T9_mT8_P12ihipStream_tbDpT10_ENKUlT_T0_E_clISt17integral_constantIbLb1EES1C_IbLb0EEEEDaS18_S19_EUlS18_E_NS1_11comp_targetILNS1_3genE8ELNS1_11target_archE1030ELNS1_3gpuE2ELNS1_3repE0EEENS1_30default_config_static_selectorELNS0_4arch9wavefront6targetE0EEEvT1_.num_vgpr, 0
	.set _ZN7rocprim17ROCPRIM_400000_NS6detail17trampoline_kernelINS0_14default_configENS1_25partition_config_selectorILNS1_17partition_subalgoE5ElNS0_10empty_typeEbEEZZNS1_14partition_implILS5_5ELb0ES3_mN6hipcub16HIPCUB_304000_NS21CountingInputIteratorIllEEPS6_NSA_22TransformInputIteratorIbN2at6native12_GLOBAL__N_19NonZeroOpIN3c104HalfEEEPKSK_lEENS0_5tupleIJPlS6_EEENSP_IJSD_SD_EEES6_PiJS6_EEE10hipError_tPvRmT3_T4_T5_T6_T7_T9_mT8_P12ihipStream_tbDpT10_ENKUlT_T0_E_clISt17integral_constantIbLb1EES1C_IbLb0EEEEDaS18_S19_EUlS18_E_NS1_11comp_targetILNS1_3genE8ELNS1_11target_archE1030ELNS1_3gpuE2ELNS1_3repE0EEENS1_30default_config_static_selectorELNS0_4arch9wavefront6targetE0EEEvT1_.num_agpr, 0
	.set _ZN7rocprim17ROCPRIM_400000_NS6detail17trampoline_kernelINS0_14default_configENS1_25partition_config_selectorILNS1_17partition_subalgoE5ElNS0_10empty_typeEbEEZZNS1_14partition_implILS5_5ELb0ES3_mN6hipcub16HIPCUB_304000_NS21CountingInputIteratorIllEEPS6_NSA_22TransformInputIteratorIbN2at6native12_GLOBAL__N_19NonZeroOpIN3c104HalfEEEPKSK_lEENS0_5tupleIJPlS6_EEENSP_IJSD_SD_EEES6_PiJS6_EEE10hipError_tPvRmT3_T4_T5_T6_T7_T9_mT8_P12ihipStream_tbDpT10_ENKUlT_T0_E_clISt17integral_constantIbLb1EES1C_IbLb0EEEEDaS18_S19_EUlS18_E_NS1_11comp_targetILNS1_3genE8ELNS1_11target_archE1030ELNS1_3gpuE2ELNS1_3repE0EEENS1_30default_config_static_selectorELNS0_4arch9wavefront6targetE0EEEvT1_.numbered_sgpr, 0
	.set _ZN7rocprim17ROCPRIM_400000_NS6detail17trampoline_kernelINS0_14default_configENS1_25partition_config_selectorILNS1_17partition_subalgoE5ElNS0_10empty_typeEbEEZZNS1_14partition_implILS5_5ELb0ES3_mN6hipcub16HIPCUB_304000_NS21CountingInputIteratorIllEEPS6_NSA_22TransformInputIteratorIbN2at6native12_GLOBAL__N_19NonZeroOpIN3c104HalfEEEPKSK_lEENS0_5tupleIJPlS6_EEENSP_IJSD_SD_EEES6_PiJS6_EEE10hipError_tPvRmT3_T4_T5_T6_T7_T9_mT8_P12ihipStream_tbDpT10_ENKUlT_T0_E_clISt17integral_constantIbLb1EES1C_IbLb0EEEEDaS18_S19_EUlS18_E_NS1_11comp_targetILNS1_3genE8ELNS1_11target_archE1030ELNS1_3gpuE2ELNS1_3repE0EEENS1_30default_config_static_selectorELNS0_4arch9wavefront6targetE0EEEvT1_.num_named_barrier, 0
	.set _ZN7rocprim17ROCPRIM_400000_NS6detail17trampoline_kernelINS0_14default_configENS1_25partition_config_selectorILNS1_17partition_subalgoE5ElNS0_10empty_typeEbEEZZNS1_14partition_implILS5_5ELb0ES3_mN6hipcub16HIPCUB_304000_NS21CountingInputIteratorIllEEPS6_NSA_22TransformInputIteratorIbN2at6native12_GLOBAL__N_19NonZeroOpIN3c104HalfEEEPKSK_lEENS0_5tupleIJPlS6_EEENSP_IJSD_SD_EEES6_PiJS6_EEE10hipError_tPvRmT3_T4_T5_T6_T7_T9_mT8_P12ihipStream_tbDpT10_ENKUlT_T0_E_clISt17integral_constantIbLb1EES1C_IbLb0EEEEDaS18_S19_EUlS18_E_NS1_11comp_targetILNS1_3genE8ELNS1_11target_archE1030ELNS1_3gpuE2ELNS1_3repE0EEENS1_30default_config_static_selectorELNS0_4arch9wavefront6targetE0EEEvT1_.private_seg_size, 0
	.set _ZN7rocprim17ROCPRIM_400000_NS6detail17trampoline_kernelINS0_14default_configENS1_25partition_config_selectorILNS1_17partition_subalgoE5ElNS0_10empty_typeEbEEZZNS1_14partition_implILS5_5ELb0ES3_mN6hipcub16HIPCUB_304000_NS21CountingInputIteratorIllEEPS6_NSA_22TransformInputIteratorIbN2at6native12_GLOBAL__N_19NonZeroOpIN3c104HalfEEEPKSK_lEENS0_5tupleIJPlS6_EEENSP_IJSD_SD_EEES6_PiJS6_EEE10hipError_tPvRmT3_T4_T5_T6_T7_T9_mT8_P12ihipStream_tbDpT10_ENKUlT_T0_E_clISt17integral_constantIbLb1EES1C_IbLb0EEEEDaS18_S19_EUlS18_E_NS1_11comp_targetILNS1_3genE8ELNS1_11target_archE1030ELNS1_3gpuE2ELNS1_3repE0EEENS1_30default_config_static_selectorELNS0_4arch9wavefront6targetE0EEEvT1_.uses_vcc, 0
	.set _ZN7rocprim17ROCPRIM_400000_NS6detail17trampoline_kernelINS0_14default_configENS1_25partition_config_selectorILNS1_17partition_subalgoE5ElNS0_10empty_typeEbEEZZNS1_14partition_implILS5_5ELb0ES3_mN6hipcub16HIPCUB_304000_NS21CountingInputIteratorIllEEPS6_NSA_22TransformInputIteratorIbN2at6native12_GLOBAL__N_19NonZeroOpIN3c104HalfEEEPKSK_lEENS0_5tupleIJPlS6_EEENSP_IJSD_SD_EEES6_PiJS6_EEE10hipError_tPvRmT3_T4_T5_T6_T7_T9_mT8_P12ihipStream_tbDpT10_ENKUlT_T0_E_clISt17integral_constantIbLb1EES1C_IbLb0EEEEDaS18_S19_EUlS18_E_NS1_11comp_targetILNS1_3genE8ELNS1_11target_archE1030ELNS1_3gpuE2ELNS1_3repE0EEENS1_30default_config_static_selectorELNS0_4arch9wavefront6targetE0EEEvT1_.uses_flat_scratch, 0
	.set _ZN7rocprim17ROCPRIM_400000_NS6detail17trampoline_kernelINS0_14default_configENS1_25partition_config_selectorILNS1_17partition_subalgoE5ElNS0_10empty_typeEbEEZZNS1_14partition_implILS5_5ELb0ES3_mN6hipcub16HIPCUB_304000_NS21CountingInputIteratorIllEEPS6_NSA_22TransformInputIteratorIbN2at6native12_GLOBAL__N_19NonZeroOpIN3c104HalfEEEPKSK_lEENS0_5tupleIJPlS6_EEENSP_IJSD_SD_EEES6_PiJS6_EEE10hipError_tPvRmT3_T4_T5_T6_T7_T9_mT8_P12ihipStream_tbDpT10_ENKUlT_T0_E_clISt17integral_constantIbLb1EES1C_IbLb0EEEEDaS18_S19_EUlS18_E_NS1_11comp_targetILNS1_3genE8ELNS1_11target_archE1030ELNS1_3gpuE2ELNS1_3repE0EEENS1_30default_config_static_selectorELNS0_4arch9wavefront6targetE0EEEvT1_.has_dyn_sized_stack, 0
	.set _ZN7rocprim17ROCPRIM_400000_NS6detail17trampoline_kernelINS0_14default_configENS1_25partition_config_selectorILNS1_17partition_subalgoE5ElNS0_10empty_typeEbEEZZNS1_14partition_implILS5_5ELb0ES3_mN6hipcub16HIPCUB_304000_NS21CountingInputIteratorIllEEPS6_NSA_22TransformInputIteratorIbN2at6native12_GLOBAL__N_19NonZeroOpIN3c104HalfEEEPKSK_lEENS0_5tupleIJPlS6_EEENSP_IJSD_SD_EEES6_PiJS6_EEE10hipError_tPvRmT3_T4_T5_T6_T7_T9_mT8_P12ihipStream_tbDpT10_ENKUlT_T0_E_clISt17integral_constantIbLb1EES1C_IbLb0EEEEDaS18_S19_EUlS18_E_NS1_11comp_targetILNS1_3genE8ELNS1_11target_archE1030ELNS1_3gpuE2ELNS1_3repE0EEENS1_30default_config_static_selectorELNS0_4arch9wavefront6targetE0EEEvT1_.has_recursion, 0
	.set _ZN7rocprim17ROCPRIM_400000_NS6detail17trampoline_kernelINS0_14default_configENS1_25partition_config_selectorILNS1_17partition_subalgoE5ElNS0_10empty_typeEbEEZZNS1_14partition_implILS5_5ELb0ES3_mN6hipcub16HIPCUB_304000_NS21CountingInputIteratorIllEEPS6_NSA_22TransformInputIteratorIbN2at6native12_GLOBAL__N_19NonZeroOpIN3c104HalfEEEPKSK_lEENS0_5tupleIJPlS6_EEENSP_IJSD_SD_EEES6_PiJS6_EEE10hipError_tPvRmT3_T4_T5_T6_T7_T9_mT8_P12ihipStream_tbDpT10_ENKUlT_T0_E_clISt17integral_constantIbLb1EES1C_IbLb0EEEEDaS18_S19_EUlS18_E_NS1_11comp_targetILNS1_3genE8ELNS1_11target_archE1030ELNS1_3gpuE2ELNS1_3repE0EEENS1_30default_config_static_selectorELNS0_4arch9wavefront6targetE0EEEvT1_.has_indirect_call, 0
	.section	.AMDGPU.csdata,"",@progbits
; Kernel info:
; codeLenInByte = 0
; TotalNumSgprs: 0
; NumVgprs: 0
; ScratchSize: 0
; MemoryBound: 0
; FloatMode: 240
; IeeeMode: 1
; LDSByteSize: 0 bytes/workgroup (compile time only)
; SGPRBlocks: 0
; VGPRBlocks: 0
; NumSGPRsForWavesPerEU: 1
; NumVGPRsForWavesPerEU: 1
; Occupancy: 16
; WaveLimiterHint : 0
; COMPUTE_PGM_RSRC2:SCRATCH_EN: 0
; COMPUTE_PGM_RSRC2:USER_SGPR: 2
; COMPUTE_PGM_RSRC2:TRAP_HANDLER: 0
; COMPUTE_PGM_RSRC2:TGID_X_EN: 1
; COMPUTE_PGM_RSRC2:TGID_Y_EN: 0
; COMPUTE_PGM_RSRC2:TGID_Z_EN: 0
; COMPUTE_PGM_RSRC2:TIDIG_COMP_CNT: 0
	.section	.text._ZN7rocprim17ROCPRIM_400000_NS6detail17trampoline_kernelINS0_14default_configENS1_25partition_config_selectorILNS1_17partition_subalgoE5ElNS0_10empty_typeEbEEZZNS1_14partition_implILS5_5ELb0ES3_mN6hipcub16HIPCUB_304000_NS21CountingInputIteratorIllEEPS6_NSA_22TransformInputIteratorIbN2at6native12_GLOBAL__N_19NonZeroOpIN3c104HalfEEEPKSK_lEENS0_5tupleIJPlS6_EEENSP_IJSD_SD_EEES6_PiJS6_EEE10hipError_tPvRmT3_T4_T5_T6_T7_T9_mT8_P12ihipStream_tbDpT10_ENKUlT_T0_E_clISt17integral_constantIbLb0EES1C_IbLb1EEEEDaS18_S19_EUlS18_E_NS1_11comp_targetILNS1_3genE0ELNS1_11target_archE4294967295ELNS1_3gpuE0ELNS1_3repE0EEENS1_30default_config_static_selectorELNS0_4arch9wavefront6targetE0EEEvT1_,"axG",@progbits,_ZN7rocprim17ROCPRIM_400000_NS6detail17trampoline_kernelINS0_14default_configENS1_25partition_config_selectorILNS1_17partition_subalgoE5ElNS0_10empty_typeEbEEZZNS1_14partition_implILS5_5ELb0ES3_mN6hipcub16HIPCUB_304000_NS21CountingInputIteratorIllEEPS6_NSA_22TransformInputIteratorIbN2at6native12_GLOBAL__N_19NonZeroOpIN3c104HalfEEEPKSK_lEENS0_5tupleIJPlS6_EEENSP_IJSD_SD_EEES6_PiJS6_EEE10hipError_tPvRmT3_T4_T5_T6_T7_T9_mT8_P12ihipStream_tbDpT10_ENKUlT_T0_E_clISt17integral_constantIbLb0EES1C_IbLb1EEEEDaS18_S19_EUlS18_E_NS1_11comp_targetILNS1_3genE0ELNS1_11target_archE4294967295ELNS1_3gpuE0ELNS1_3repE0EEENS1_30default_config_static_selectorELNS0_4arch9wavefront6targetE0EEEvT1_,comdat
	.globl	_ZN7rocprim17ROCPRIM_400000_NS6detail17trampoline_kernelINS0_14default_configENS1_25partition_config_selectorILNS1_17partition_subalgoE5ElNS0_10empty_typeEbEEZZNS1_14partition_implILS5_5ELb0ES3_mN6hipcub16HIPCUB_304000_NS21CountingInputIteratorIllEEPS6_NSA_22TransformInputIteratorIbN2at6native12_GLOBAL__N_19NonZeroOpIN3c104HalfEEEPKSK_lEENS0_5tupleIJPlS6_EEENSP_IJSD_SD_EEES6_PiJS6_EEE10hipError_tPvRmT3_T4_T5_T6_T7_T9_mT8_P12ihipStream_tbDpT10_ENKUlT_T0_E_clISt17integral_constantIbLb0EES1C_IbLb1EEEEDaS18_S19_EUlS18_E_NS1_11comp_targetILNS1_3genE0ELNS1_11target_archE4294967295ELNS1_3gpuE0ELNS1_3repE0EEENS1_30default_config_static_selectorELNS0_4arch9wavefront6targetE0EEEvT1_ ; -- Begin function _ZN7rocprim17ROCPRIM_400000_NS6detail17trampoline_kernelINS0_14default_configENS1_25partition_config_selectorILNS1_17partition_subalgoE5ElNS0_10empty_typeEbEEZZNS1_14partition_implILS5_5ELb0ES3_mN6hipcub16HIPCUB_304000_NS21CountingInputIteratorIllEEPS6_NSA_22TransformInputIteratorIbN2at6native12_GLOBAL__N_19NonZeroOpIN3c104HalfEEEPKSK_lEENS0_5tupleIJPlS6_EEENSP_IJSD_SD_EEES6_PiJS6_EEE10hipError_tPvRmT3_T4_T5_T6_T7_T9_mT8_P12ihipStream_tbDpT10_ENKUlT_T0_E_clISt17integral_constantIbLb0EES1C_IbLb1EEEEDaS18_S19_EUlS18_E_NS1_11comp_targetILNS1_3genE0ELNS1_11target_archE4294967295ELNS1_3gpuE0ELNS1_3repE0EEENS1_30default_config_static_selectorELNS0_4arch9wavefront6targetE0EEEvT1_
	.p2align	8
	.type	_ZN7rocprim17ROCPRIM_400000_NS6detail17trampoline_kernelINS0_14default_configENS1_25partition_config_selectorILNS1_17partition_subalgoE5ElNS0_10empty_typeEbEEZZNS1_14partition_implILS5_5ELb0ES3_mN6hipcub16HIPCUB_304000_NS21CountingInputIteratorIllEEPS6_NSA_22TransformInputIteratorIbN2at6native12_GLOBAL__N_19NonZeroOpIN3c104HalfEEEPKSK_lEENS0_5tupleIJPlS6_EEENSP_IJSD_SD_EEES6_PiJS6_EEE10hipError_tPvRmT3_T4_T5_T6_T7_T9_mT8_P12ihipStream_tbDpT10_ENKUlT_T0_E_clISt17integral_constantIbLb0EES1C_IbLb1EEEEDaS18_S19_EUlS18_E_NS1_11comp_targetILNS1_3genE0ELNS1_11target_archE4294967295ELNS1_3gpuE0ELNS1_3repE0EEENS1_30default_config_static_selectorELNS0_4arch9wavefront6targetE0EEEvT1_,@function
_ZN7rocprim17ROCPRIM_400000_NS6detail17trampoline_kernelINS0_14default_configENS1_25partition_config_selectorILNS1_17partition_subalgoE5ElNS0_10empty_typeEbEEZZNS1_14partition_implILS5_5ELb0ES3_mN6hipcub16HIPCUB_304000_NS21CountingInputIteratorIllEEPS6_NSA_22TransformInputIteratorIbN2at6native12_GLOBAL__N_19NonZeroOpIN3c104HalfEEEPKSK_lEENS0_5tupleIJPlS6_EEENSP_IJSD_SD_EEES6_PiJS6_EEE10hipError_tPvRmT3_T4_T5_T6_T7_T9_mT8_P12ihipStream_tbDpT10_ENKUlT_T0_E_clISt17integral_constantIbLb0EES1C_IbLb1EEEEDaS18_S19_EUlS18_E_NS1_11comp_targetILNS1_3genE0ELNS1_11target_archE4294967295ELNS1_3gpuE0ELNS1_3repE0EEENS1_30default_config_static_selectorELNS0_4arch9wavefront6targetE0EEEvT1_: ; @_ZN7rocprim17ROCPRIM_400000_NS6detail17trampoline_kernelINS0_14default_configENS1_25partition_config_selectorILNS1_17partition_subalgoE5ElNS0_10empty_typeEbEEZZNS1_14partition_implILS5_5ELb0ES3_mN6hipcub16HIPCUB_304000_NS21CountingInputIteratorIllEEPS6_NSA_22TransformInputIteratorIbN2at6native12_GLOBAL__N_19NonZeroOpIN3c104HalfEEEPKSK_lEENS0_5tupleIJPlS6_EEENSP_IJSD_SD_EEES6_PiJS6_EEE10hipError_tPvRmT3_T4_T5_T6_T7_T9_mT8_P12ihipStream_tbDpT10_ENKUlT_T0_E_clISt17integral_constantIbLb0EES1C_IbLb1EEEEDaS18_S19_EUlS18_E_NS1_11comp_targetILNS1_3genE0ELNS1_11target_archE4294967295ELNS1_3gpuE0ELNS1_3repE0EEENS1_30default_config_static_selectorELNS0_4arch9wavefront6targetE0EEEvT1_
; %bb.0:
	.section	.rodata,"a",@progbits
	.p2align	6, 0x0
	.amdhsa_kernel _ZN7rocprim17ROCPRIM_400000_NS6detail17trampoline_kernelINS0_14default_configENS1_25partition_config_selectorILNS1_17partition_subalgoE5ElNS0_10empty_typeEbEEZZNS1_14partition_implILS5_5ELb0ES3_mN6hipcub16HIPCUB_304000_NS21CountingInputIteratorIllEEPS6_NSA_22TransformInputIteratorIbN2at6native12_GLOBAL__N_19NonZeroOpIN3c104HalfEEEPKSK_lEENS0_5tupleIJPlS6_EEENSP_IJSD_SD_EEES6_PiJS6_EEE10hipError_tPvRmT3_T4_T5_T6_T7_T9_mT8_P12ihipStream_tbDpT10_ENKUlT_T0_E_clISt17integral_constantIbLb0EES1C_IbLb1EEEEDaS18_S19_EUlS18_E_NS1_11comp_targetILNS1_3genE0ELNS1_11target_archE4294967295ELNS1_3gpuE0ELNS1_3repE0EEENS1_30default_config_static_selectorELNS0_4arch9wavefront6targetE0EEEvT1_
		.amdhsa_group_segment_fixed_size 0
		.amdhsa_private_segment_fixed_size 0
		.amdhsa_kernarg_size 136
		.amdhsa_user_sgpr_count 2
		.amdhsa_user_sgpr_dispatch_ptr 0
		.amdhsa_user_sgpr_queue_ptr 0
		.amdhsa_user_sgpr_kernarg_segment_ptr 1
		.amdhsa_user_sgpr_dispatch_id 0
		.amdhsa_user_sgpr_private_segment_size 0
		.amdhsa_wavefront_size32 1
		.amdhsa_uses_dynamic_stack 0
		.amdhsa_enable_private_segment 0
		.amdhsa_system_sgpr_workgroup_id_x 1
		.amdhsa_system_sgpr_workgroup_id_y 0
		.amdhsa_system_sgpr_workgroup_id_z 0
		.amdhsa_system_sgpr_workgroup_info 0
		.amdhsa_system_vgpr_workitem_id 0
		.amdhsa_next_free_vgpr 1
		.amdhsa_next_free_sgpr 1
		.amdhsa_reserve_vcc 0
		.amdhsa_float_round_mode_32 0
		.amdhsa_float_round_mode_16_64 0
		.amdhsa_float_denorm_mode_32 3
		.amdhsa_float_denorm_mode_16_64 3
		.amdhsa_fp16_overflow 0
		.amdhsa_workgroup_processor_mode 1
		.amdhsa_memory_ordered 1
		.amdhsa_forward_progress 1
		.amdhsa_inst_pref_size 0
		.amdhsa_round_robin_scheduling 0
		.amdhsa_exception_fp_ieee_invalid_op 0
		.amdhsa_exception_fp_denorm_src 0
		.amdhsa_exception_fp_ieee_div_zero 0
		.amdhsa_exception_fp_ieee_overflow 0
		.amdhsa_exception_fp_ieee_underflow 0
		.amdhsa_exception_fp_ieee_inexact 0
		.amdhsa_exception_int_div_zero 0
	.end_amdhsa_kernel
	.section	.text._ZN7rocprim17ROCPRIM_400000_NS6detail17trampoline_kernelINS0_14default_configENS1_25partition_config_selectorILNS1_17partition_subalgoE5ElNS0_10empty_typeEbEEZZNS1_14partition_implILS5_5ELb0ES3_mN6hipcub16HIPCUB_304000_NS21CountingInputIteratorIllEEPS6_NSA_22TransformInputIteratorIbN2at6native12_GLOBAL__N_19NonZeroOpIN3c104HalfEEEPKSK_lEENS0_5tupleIJPlS6_EEENSP_IJSD_SD_EEES6_PiJS6_EEE10hipError_tPvRmT3_T4_T5_T6_T7_T9_mT8_P12ihipStream_tbDpT10_ENKUlT_T0_E_clISt17integral_constantIbLb0EES1C_IbLb1EEEEDaS18_S19_EUlS18_E_NS1_11comp_targetILNS1_3genE0ELNS1_11target_archE4294967295ELNS1_3gpuE0ELNS1_3repE0EEENS1_30default_config_static_selectorELNS0_4arch9wavefront6targetE0EEEvT1_,"axG",@progbits,_ZN7rocprim17ROCPRIM_400000_NS6detail17trampoline_kernelINS0_14default_configENS1_25partition_config_selectorILNS1_17partition_subalgoE5ElNS0_10empty_typeEbEEZZNS1_14partition_implILS5_5ELb0ES3_mN6hipcub16HIPCUB_304000_NS21CountingInputIteratorIllEEPS6_NSA_22TransformInputIteratorIbN2at6native12_GLOBAL__N_19NonZeroOpIN3c104HalfEEEPKSK_lEENS0_5tupleIJPlS6_EEENSP_IJSD_SD_EEES6_PiJS6_EEE10hipError_tPvRmT3_T4_T5_T6_T7_T9_mT8_P12ihipStream_tbDpT10_ENKUlT_T0_E_clISt17integral_constantIbLb0EES1C_IbLb1EEEEDaS18_S19_EUlS18_E_NS1_11comp_targetILNS1_3genE0ELNS1_11target_archE4294967295ELNS1_3gpuE0ELNS1_3repE0EEENS1_30default_config_static_selectorELNS0_4arch9wavefront6targetE0EEEvT1_,comdat
.Lfunc_end890:
	.size	_ZN7rocprim17ROCPRIM_400000_NS6detail17trampoline_kernelINS0_14default_configENS1_25partition_config_selectorILNS1_17partition_subalgoE5ElNS0_10empty_typeEbEEZZNS1_14partition_implILS5_5ELb0ES3_mN6hipcub16HIPCUB_304000_NS21CountingInputIteratorIllEEPS6_NSA_22TransformInputIteratorIbN2at6native12_GLOBAL__N_19NonZeroOpIN3c104HalfEEEPKSK_lEENS0_5tupleIJPlS6_EEENSP_IJSD_SD_EEES6_PiJS6_EEE10hipError_tPvRmT3_T4_T5_T6_T7_T9_mT8_P12ihipStream_tbDpT10_ENKUlT_T0_E_clISt17integral_constantIbLb0EES1C_IbLb1EEEEDaS18_S19_EUlS18_E_NS1_11comp_targetILNS1_3genE0ELNS1_11target_archE4294967295ELNS1_3gpuE0ELNS1_3repE0EEENS1_30default_config_static_selectorELNS0_4arch9wavefront6targetE0EEEvT1_, .Lfunc_end890-_ZN7rocprim17ROCPRIM_400000_NS6detail17trampoline_kernelINS0_14default_configENS1_25partition_config_selectorILNS1_17partition_subalgoE5ElNS0_10empty_typeEbEEZZNS1_14partition_implILS5_5ELb0ES3_mN6hipcub16HIPCUB_304000_NS21CountingInputIteratorIllEEPS6_NSA_22TransformInputIteratorIbN2at6native12_GLOBAL__N_19NonZeroOpIN3c104HalfEEEPKSK_lEENS0_5tupleIJPlS6_EEENSP_IJSD_SD_EEES6_PiJS6_EEE10hipError_tPvRmT3_T4_T5_T6_T7_T9_mT8_P12ihipStream_tbDpT10_ENKUlT_T0_E_clISt17integral_constantIbLb0EES1C_IbLb1EEEEDaS18_S19_EUlS18_E_NS1_11comp_targetILNS1_3genE0ELNS1_11target_archE4294967295ELNS1_3gpuE0ELNS1_3repE0EEENS1_30default_config_static_selectorELNS0_4arch9wavefront6targetE0EEEvT1_
                                        ; -- End function
	.set _ZN7rocprim17ROCPRIM_400000_NS6detail17trampoline_kernelINS0_14default_configENS1_25partition_config_selectorILNS1_17partition_subalgoE5ElNS0_10empty_typeEbEEZZNS1_14partition_implILS5_5ELb0ES3_mN6hipcub16HIPCUB_304000_NS21CountingInputIteratorIllEEPS6_NSA_22TransformInputIteratorIbN2at6native12_GLOBAL__N_19NonZeroOpIN3c104HalfEEEPKSK_lEENS0_5tupleIJPlS6_EEENSP_IJSD_SD_EEES6_PiJS6_EEE10hipError_tPvRmT3_T4_T5_T6_T7_T9_mT8_P12ihipStream_tbDpT10_ENKUlT_T0_E_clISt17integral_constantIbLb0EES1C_IbLb1EEEEDaS18_S19_EUlS18_E_NS1_11comp_targetILNS1_3genE0ELNS1_11target_archE4294967295ELNS1_3gpuE0ELNS1_3repE0EEENS1_30default_config_static_selectorELNS0_4arch9wavefront6targetE0EEEvT1_.num_vgpr, 0
	.set _ZN7rocprim17ROCPRIM_400000_NS6detail17trampoline_kernelINS0_14default_configENS1_25partition_config_selectorILNS1_17partition_subalgoE5ElNS0_10empty_typeEbEEZZNS1_14partition_implILS5_5ELb0ES3_mN6hipcub16HIPCUB_304000_NS21CountingInputIteratorIllEEPS6_NSA_22TransformInputIteratorIbN2at6native12_GLOBAL__N_19NonZeroOpIN3c104HalfEEEPKSK_lEENS0_5tupleIJPlS6_EEENSP_IJSD_SD_EEES6_PiJS6_EEE10hipError_tPvRmT3_T4_T5_T6_T7_T9_mT8_P12ihipStream_tbDpT10_ENKUlT_T0_E_clISt17integral_constantIbLb0EES1C_IbLb1EEEEDaS18_S19_EUlS18_E_NS1_11comp_targetILNS1_3genE0ELNS1_11target_archE4294967295ELNS1_3gpuE0ELNS1_3repE0EEENS1_30default_config_static_selectorELNS0_4arch9wavefront6targetE0EEEvT1_.num_agpr, 0
	.set _ZN7rocprim17ROCPRIM_400000_NS6detail17trampoline_kernelINS0_14default_configENS1_25partition_config_selectorILNS1_17partition_subalgoE5ElNS0_10empty_typeEbEEZZNS1_14partition_implILS5_5ELb0ES3_mN6hipcub16HIPCUB_304000_NS21CountingInputIteratorIllEEPS6_NSA_22TransformInputIteratorIbN2at6native12_GLOBAL__N_19NonZeroOpIN3c104HalfEEEPKSK_lEENS0_5tupleIJPlS6_EEENSP_IJSD_SD_EEES6_PiJS6_EEE10hipError_tPvRmT3_T4_T5_T6_T7_T9_mT8_P12ihipStream_tbDpT10_ENKUlT_T0_E_clISt17integral_constantIbLb0EES1C_IbLb1EEEEDaS18_S19_EUlS18_E_NS1_11comp_targetILNS1_3genE0ELNS1_11target_archE4294967295ELNS1_3gpuE0ELNS1_3repE0EEENS1_30default_config_static_selectorELNS0_4arch9wavefront6targetE0EEEvT1_.numbered_sgpr, 0
	.set _ZN7rocprim17ROCPRIM_400000_NS6detail17trampoline_kernelINS0_14default_configENS1_25partition_config_selectorILNS1_17partition_subalgoE5ElNS0_10empty_typeEbEEZZNS1_14partition_implILS5_5ELb0ES3_mN6hipcub16HIPCUB_304000_NS21CountingInputIteratorIllEEPS6_NSA_22TransformInputIteratorIbN2at6native12_GLOBAL__N_19NonZeroOpIN3c104HalfEEEPKSK_lEENS0_5tupleIJPlS6_EEENSP_IJSD_SD_EEES6_PiJS6_EEE10hipError_tPvRmT3_T4_T5_T6_T7_T9_mT8_P12ihipStream_tbDpT10_ENKUlT_T0_E_clISt17integral_constantIbLb0EES1C_IbLb1EEEEDaS18_S19_EUlS18_E_NS1_11comp_targetILNS1_3genE0ELNS1_11target_archE4294967295ELNS1_3gpuE0ELNS1_3repE0EEENS1_30default_config_static_selectorELNS0_4arch9wavefront6targetE0EEEvT1_.num_named_barrier, 0
	.set _ZN7rocprim17ROCPRIM_400000_NS6detail17trampoline_kernelINS0_14default_configENS1_25partition_config_selectorILNS1_17partition_subalgoE5ElNS0_10empty_typeEbEEZZNS1_14partition_implILS5_5ELb0ES3_mN6hipcub16HIPCUB_304000_NS21CountingInputIteratorIllEEPS6_NSA_22TransformInputIteratorIbN2at6native12_GLOBAL__N_19NonZeroOpIN3c104HalfEEEPKSK_lEENS0_5tupleIJPlS6_EEENSP_IJSD_SD_EEES6_PiJS6_EEE10hipError_tPvRmT3_T4_T5_T6_T7_T9_mT8_P12ihipStream_tbDpT10_ENKUlT_T0_E_clISt17integral_constantIbLb0EES1C_IbLb1EEEEDaS18_S19_EUlS18_E_NS1_11comp_targetILNS1_3genE0ELNS1_11target_archE4294967295ELNS1_3gpuE0ELNS1_3repE0EEENS1_30default_config_static_selectorELNS0_4arch9wavefront6targetE0EEEvT1_.private_seg_size, 0
	.set _ZN7rocprim17ROCPRIM_400000_NS6detail17trampoline_kernelINS0_14default_configENS1_25partition_config_selectorILNS1_17partition_subalgoE5ElNS0_10empty_typeEbEEZZNS1_14partition_implILS5_5ELb0ES3_mN6hipcub16HIPCUB_304000_NS21CountingInputIteratorIllEEPS6_NSA_22TransformInputIteratorIbN2at6native12_GLOBAL__N_19NonZeroOpIN3c104HalfEEEPKSK_lEENS0_5tupleIJPlS6_EEENSP_IJSD_SD_EEES6_PiJS6_EEE10hipError_tPvRmT3_T4_T5_T6_T7_T9_mT8_P12ihipStream_tbDpT10_ENKUlT_T0_E_clISt17integral_constantIbLb0EES1C_IbLb1EEEEDaS18_S19_EUlS18_E_NS1_11comp_targetILNS1_3genE0ELNS1_11target_archE4294967295ELNS1_3gpuE0ELNS1_3repE0EEENS1_30default_config_static_selectorELNS0_4arch9wavefront6targetE0EEEvT1_.uses_vcc, 0
	.set _ZN7rocprim17ROCPRIM_400000_NS6detail17trampoline_kernelINS0_14default_configENS1_25partition_config_selectorILNS1_17partition_subalgoE5ElNS0_10empty_typeEbEEZZNS1_14partition_implILS5_5ELb0ES3_mN6hipcub16HIPCUB_304000_NS21CountingInputIteratorIllEEPS6_NSA_22TransformInputIteratorIbN2at6native12_GLOBAL__N_19NonZeroOpIN3c104HalfEEEPKSK_lEENS0_5tupleIJPlS6_EEENSP_IJSD_SD_EEES6_PiJS6_EEE10hipError_tPvRmT3_T4_T5_T6_T7_T9_mT8_P12ihipStream_tbDpT10_ENKUlT_T0_E_clISt17integral_constantIbLb0EES1C_IbLb1EEEEDaS18_S19_EUlS18_E_NS1_11comp_targetILNS1_3genE0ELNS1_11target_archE4294967295ELNS1_3gpuE0ELNS1_3repE0EEENS1_30default_config_static_selectorELNS0_4arch9wavefront6targetE0EEEvT1_.uses_flat_scratch, 0
	.set _ZN7rocprim17ROCPRIM_400000_NS6detail17trampoline_kernelINS0_14default_configENS1_25partition_config_selectorILNS1_17partition_subalgoE5ElNS0_10empty_typeEbEEZZNS1_14partition_implILS5_5ELb0ES3_mN6hipcub16HIPCUB_304000_NS21CountingInputIteratorIllEEPS6_NSA_22TransformInputIteratorIbN2at6native12_GLOBAL__N_19NonZeroOpIN3c104HalfEEEPKSK_lEENS0_5tupleIJPlS6_EEENSP_IJSD_SD_EEES6_PiJS6_EEE10hipError_tPvRmT3_T4_T5_T6_T7_T9_mT8_P12ihipStream_tbDpT10_ENKUlT_T0_E_clISt17integral_constantIbLb0EES1C_IbLb1EEEEDaS18_S19_EUlS18_E_NS1_11comp_targetILNS1_3genE0ELNS1_11target_archE4294967295ELNS1_3gpuE0ELNS1_3repE0EEENS1_30default_config_static_selectorELNS0_4arch9wavefront6targetE0EEEvT1_.has_dyn_sized_stack, 0
	.set _ZN7rocprim17ROCPRIM_400000_NS6detail17trampoline_kernelINS0_14default_configENS1_25partition_config_selectorILNS1_17partition_subalgoE5ElNS0_10empty_typeEbEEZZNS1_14partition_implILS5_5ELb0ES3_mN6hipcub16HIPCUB_304000_NS21CountingInputIteratorIllEEPS6_NSA_22TransformInputIteratorIbN2at6native12_GLOBAL__N_19NonZeroOpIN3c104HalfEEEPKSK_lEENS0_5tupleIJPlS6_EEENSP_IJSD_SD_EEES6_PiJS6_EEE10hipError_tPvRmT3_T4_T5_T6_T7_T9_mT8_P12ihipStream_tbDpT10_ENKUlT_T0_E_clISt17integral_constantIbLb0EES1C_IbLb1EEEEDaS18_S19_EUlS18_E_NS1_11comp_targetILNS1_3genE0ELNS1_11target_archE4294967295ELNS1_3gpuE0ELNS1_3repE0EEENS1_30default_config_static_selectorELNS0_4arch9wavefront6targetE0EEEvT1_.has_recursion, 0
	.set _ZN7rocprim17ROCPRIM_400000_NS6detail17trampoline_kernelINS0_14default_configENS1_25partition_config_selectorILNS1_17partition_subalgoE5ElNS0_10empty_typeEbEEZZNS1_14partition_implILS5_5ELb0ES3_mN6hipcub16HIPCUB_304000_NS21CountingInputIteratorIllEEPS6_NSA_22TransformInputIteratorIbN2at6native12_GLOBAL__N_19NonZeroOpIN3c104HalfEEEPKSK_lEENS0_5tupleIJPlS6_EEENSP_IJSD_SD_EEES6_PiJS6_EEE10hipError_tPvRmT3_T4_T5_T6_T7_T9_mT8_P12ihipStream_tbDpT10_ENKUlT_T0_E_clISt17integral_constantIbLb0EES1C_IbLb1EEEEDaS18_S19_EUlS18_E_NS1_11comp_targetILNS1_3genE0ELNS1_11target_archE4294967295ELNS1_3gpuE0ELNS1_3repE0EEENS1_30default_config_static_selectorELNS0_4arch9wavefront6targetE0EEEvT1_.has_indirect_call, 0
	.section	.AMDGPU.csdata,"",@progbits
; Kernel info:
; codeLenInByte = 0
; TotalNumSgprs: 0
; NumVgprs: 0
; ScratchSize: 0
; MemoryBound: 0
; FloatMode: 240
; IeeeMode: 1
; LDSByteSize: 0 bytes/workgroup (compile time only)
; SGPRBlocks: 0
; VGPRBlocks: 0
; NumSGPRsForWavesPerEU: 1
; NumVGPRsForWavesPerEU: 1
; Occupancy: 16
; WaveLimiterHint : 0
; COMPUTE_PGM_RSRC2:SCRATCH_EN: 0
; COMPUTE_PGM_RSRC2:USER_SGPR: 2
; COMPUTE_PGM_RSRC2:TRAP_HANDLER: 0
; COMPUTE_PGM_RSRC2:TGID_X_EN: 1
; COMPUTE_PGM_RSRC2:TGID_Y_EN: 0
; COMPUTE_PGM_RSRC2:TGID_Z_EN: 0
; COMPUTE_PGM_RSRC2:TIDIG_COMP_CNT: 0
	.section	.text._ZN7rocprim17ROCPRIM_400000_NS6detail17trampoline_kernelINS0_14default_configENS1_25partition_config_selectorILNS1_17partition_subalgoE5ElNS0_10empty_typeEbEEZZNS1_14partition_implILS5_5ELb0ES3_mN6hipcub16HIPCUB_304000_NS21CountingInputIteratorIllEEPS6_NSA_22TransformInputIteratorIbN2at6native12_GLOBAL__N_19NonZeroOpIN3c104HalfEEEPKSK_lEENS0_5tupleIJPlS6_EEENSP_IJSD_SD_EEES6_PiJS6_EEE10hipError_tPvRmT3_T4_T5_T6_T7_T9_mT8_P12ihipStream_tbDpT10_ENKUlT_T0_E_clISt17integral_constantIbLb0EES1C_IbLb1EEEEDaS18_S19_EUlS18_E_NS1_11comp_targetILNS1_3genE5ELNS1_11target_archE942ELNS1_3gpuE9ELNS1_3repE0EEENS1_30default_config_static_selectorELNS0_4arch9wavefront6targetE0EEEvT1_,"axG",@progbits,_ZN7rocprim17ROCPRIM_400000_NS6detail17trampoline_kernelINS0_14default_configENS1_25partition_config_selectorILNS1_17partition_subalgoE5ElNS0_10empty_typeEbEEZZNS1_14partition_implILS5_5ELb0ES3_mN6hipcub16HIPCUB_304000_NS21CountingInputIteratorIllEEPS6_NSA_22TransformInputIteratorIbN2at6native12_GLOBAL__N_19NonZeroOpIN3c104HalfEEEPKSK_lEENS0_5tupleIJPlS6_EEENSP_IJSD_SD_EEES6_PiJS6_EEE10hipError_tPvRmT3_T4_T5_T6_T7_T9_mT8_P12ihipStream_tbDpT10_ENKUlT_T0_E_clISt17integral_constantIbLb0EES1C_IbLb1EEEEDaS18_S19_EUlS18_E_NS1_11comp_targetILNS1_3genE5ELNS1_11target_archE942ELNS1_3gpuE9ELNS1_3repE0EEENS1_30default_config_static_selectorELNS0_4arch9wavefront6targetE0EEEvT1_,comdat
	.globl	_ZN7rocprim17ROCPRIM_400000_NS6detail17trampoline_kernelINS0_14default_configENS1_25partition_config_selectorILNS1_17partition_subalgoE5ElNS0_10empty_typeEbEEZZNS1_14partition_implILS5_5ELb0ES3_mN6hipcub16HIPCUB_304000_NS21CountingInputIteratorIllEEPS6_NSA_22TransformInputIteratorIbN2at6native12_GLOBAL__N_19NonZeroOpIN3c104HalfEEEPKSK_lEENS0_5tupleIJPlS6_EEENSP_IJSD_SD_EEES6_PiJS6_EEE10hipError_tPvRmT3_T4_T5_T6_T7_T9_mT8_P12ihipStream_tbDpT10_ENKUlT_T0_E_clISt17integral_constantIbLb0EES1C_IbLb1EEEEDaS18_S19_EUlS18_E_NS1_11comp_targetILNS1_3genE5ELNS1_11target_archE942ELNS1_3gpuE9ELNS1_3repE0EEENS1_30default_config_static_selectorELNS0_4arch9wavefront6targetE0EEEvT1_ ; -- Begin function _ZN7rocprim17ROCPRIM_400000_NS6detail17trampoline_kernelINS0_14default_configENS1_25partition_config_selectorILNS1_17partition_subalgoE5ElNS0_10empty_typeEbEEZZNS1_14partition_implILS5_5ELb0ES3_mN6hipcub16HIPCUB_304000_NS21CountingInputIteratorIllEEPS6_NSA_22TransformInputIteratorIbN2at6native12_GLOBAL__N_19NonZeroOpIN3c104HalfEEEPKSK_lEENS0_5tupleIJPlS6_EEENSP_IJSD_SD_EEES6_PiJS6_EEE10hipError_tPvRmT3_T4_T5_T6_T7_T9_mT8_P12ihipStream_tbDpT10_ENKUlT_T0_E_clISt17integral_constantIbLb0EES1C_IbLb1EEEEDaS18_S19_EUlS18_E_NS1_11comp_targetILNS1_3genE5ELNS1_11target_archE942ELNS1_3gpuE9ELNS1_3repE0EEENS1_30default_config_static_selectorELNS0_4arch9wavefront6targetE0EEEvT1_
	.p2align	8
	.type	_ZN7rocprim17ROCPRIM_400000_NS6detail17trampoline_kernelINS0_14default_configENS1_25partition_config_selectorILNS1_17partition_subalgoE5ElNS0_10empty_typeEbEEZZNS1_14partition_implILS5_5ELb0ES3_mN6hipcub16HIPCUB_304000_NS21CountingInputIteratorIllEEPS6_NSA_22TransformInputIteratorIbN2at6native12_GLOBAL__N_19NonZeroOpIN3c104HalfEEEPKSK_lEENS0_5tupleIJPlS6_EEENSP_IJSD_SD_EEES6_PiJS6_EEE10hipError_tPvRmT3_T4_T5_T6_T7_T9_mT8_P12ihipStream_tbDpT10_ENKUlT_T0_E_clISt17integral_constantIbLb0EES1C_IbLb1EEEEDaS18_S19_EUlS18_E_NS1_11comp_targetILNS1_3genE5ELNS1_11target_archE942ELNS1_3gpuE9ELNS1_3repE0EEENS1_30default_config_static_selectorELNS0_4arch9wavefront6targetE0EEEvT1_,@function
_ZN7rocprim17ROCPRIM_400000_NS6detail17trampoline_kernelINS0_14default_configENS1_25partition_config_selectorILNS1_17partition_subalgoE5ElNS0_10empty_typeEbEEZZNS1_14partition_implILS5_5ELb0ES3_mN6hipcub16HIPCUB_304000_NS21CountingInputIteratorIllEEPS6_NSA_22TransformInputIteratorIbN2at6native12_GLOBAL__N_19NonZeroOpIN3c104HalfEEEPKSK_lEENS0_5tupleIJPlS6_EEENSP_IJSD_SD_EEES6_PiJS6_EEE10hipError_tPvRmT3_T4_T5_T6_T7_T9_mT8_P12ihipStream_tbDpT10_ENKUlT_T0_E_clISt17integral_constantIbLb0EES1C_IbLb1EEEEDaS18_S19_EUlS18_E_NS1_11comp_targetILNS1_3genE5ELNS1_11target_archE942ELNS1_3gpuE9ELNS1_3repE0EEENS1_30default_config_static_selectorELNS0_4arch9wavefront6targetE0EEEvT1_: ; @_ZN7rocprim17ROCPRIM_400000_NS6detail17trampoline_kernelINS0_14default_configENS1_25partition_config_selectorILNS1_17partition_subalgoE5ElNS0_10empty_typeEbEEZZNS1_14partition_implILS5_5ELb0ES3_mN6hipcub16HIPCUB_304000_NS21CountingInputIteratorIllEEPS6_NSA_22TransformInputIteratorIbN2at6native12_GLOBAL__N_19NonZeroOpIN3c104HalfEEEPKSK_lEENS0_5tupleIJPlS6_EEENSP_IJSD_SD_EEES6_PiJS6_EEE10hipError_tPvRmT3_T4_T5_T6_T7_T9_mT8_P12ihipStream_tbDpT10_ENKUlT_T0_E_clISt17integral_constantIbLb0EES1C_IbLb1EEEEDaS18_S19_EUlS18_E_NS1_11comp_targetILNS1_3genE5ELNS1_11target_archE942ELNS1_3gpuE9ELNS1_3repE0EEENS1_30default_config_static_selectorELNS0_4arch9wavefront6targetE0EEEvT1_
; %bb.0:
	.section	.rodata,"a",@progbits
	.p2align	6, 0x0
	.amdhsa_kernel _ZN7rocprim17ROCPRIM_400000_NS6detail17trampoline_kernelINS0_14default_configENS1_25partition_config_selectorILNS1_17partition_subalgoE5ElNS0_10empty_typeEbEEZZNS1_14partition_implILS5_5ELb0ES3_mN6hipcub16HIPCUB_304000_NS21CountingInputIteratorIllEEPS6_NSA_22TransformInputIteratorIbN2at6native12_GLOBAL__N_19NonZeroOpIN3c104HalfEEEPKSK_lEENS0_5tupleIJPlS6_EEENSP_IJSD_SD_EEES6_PiJS6_EEE10hipError_tPvRmT3_T4_T5_T6_T7_T9_mT8_P12ihipStream_tbDpT10_ENKUlT_T0_E_clISt17integral_constantIbLb0EES1C_IbLb1EEEEDaS18_S19_EUlS18_E_NS1_11comp_targetILNS1_3genE5ELNS1_11target_archE942ELNS1_3gpuE9ELNS1_3repE0EEENS1_30default_config_static_selectorELNS0_4arch9wavefront6targetE0EEEvT1_
		.amdhsa_group_segment_fixed_size 0
		.amdhsa_private_segment_fixed_size 0
		.amdhsa_kernarg_size 136
		.amdhsa_user_sgpr_count 2
		.amdhsa_user_sgpr_dispatch_ptr 0
		.amdhsa_user_sgpr_queue_ptr 0
		.amdhsa_user_sgpr_kernarg_segment_ptr 1
		.amdhsa_user_sgpr_dispatch_id 0
		.amdhsa_user_sgpr_private_segment_size 0
		.amdhsa_wavefront_size32 1
		.amdhsa_uses_dynamic_stack 0
		.amdhsa_enable_private_segment 0
		.amdhsa_system_sgpr_workgroup_id_x 1
		.amdhsa_system_sgpr_workgroup_id_y 0
		.amdhsa_system_sgpr_workgroup_id_z 0
		.amdhsa_system_sgpr_workgroup_info 0
		.amdhsa_system_vgpr_workitem_id 0
		.amdhsa_next_free_vgpr 1
		.amdhsa_next_free_sgpr 1
		.amdhsa_reserve_vcc 0
		.amdhsa_float_round_mode_32 0
		.amdhsa_float_round_mode_16_64 0
		.amdhsa_float_denorm_mode_32 3
		.amdhsa_float_denorm_mode_16_64 3
		.amdhsa_fp16_overflow 0
		.amdhsa_workgroup_processor_mode 1
		.amdhsa_memory_ordered 1
		.amdhsa_forward_progress 1
		.amdhsa_inst_pref_size 0
		.amdhsa_round_robin_scheduling 0
		.amdhsa_exception_fp_ieee_invalid_op 0
		.amdhsa_exception_fp_denorm_src 0
		.amdhsa_exception_fp_ieee_div_zero 0
		.amdhsa_exception_fp_ieee_overflow 0
		.amdhsa_exception_fp_ieee_underflow 0
		.amdhsa_exception_fp_ieee_inexact 0
		.amdhsa_exception_int_div_zero 0
	.end_amdhsa_kernel
	.section	.text._ZN7rocprim17ROCPRIM_400000_NS6detail17trampoline_kernelINS0_14default_configENS1_25partition_config_selectorILNS1_17partition_subalgoE5ElNS0_10empty_typeEbEEZZNS1_14partition_implILS5_5ELb0ES3_mN6hipcub16HIPCUB_304000_NS21CountingInputIteratorIllEEPS6_NSA_22TransformInputIteratorIbN2at6native12_GLOBAL__N_19NonZeroOpIN3c104HalfEEEPKSK_lEENS0_5tupleIJPlS6_EEENSP_IJSD_SD_EEES6_PiJS6_EEE10hipError_tPvRmT3_T4_T5_T6_T7_T9_mT8_P12ihipStream_tbDpT10_ENKUlT_T0_E_clISt17integral_constantIbLb0EES1C_IbLb1EEEEDaS18_S19_EUlS18_E_NS1_11comp_targetILNS1_3genE5ELNS1_11target_archE942ELNS1_3gpuE9ELNS1_3repE0EEENS1_30default_config_static_selectorELNS0_4arch9wavefront6targetE0EEEvT1_,"axG",@progbits,_ZN7rocprim17ROCPRIM_400000_NS6detail17trampoline_kernelINS0_14default_configENS1_25partition_config_selectorILNS1_17partition_subalgoE5ElNS0_10empty_typeEbEEZZNS1_14partition_implILS5_5ELb0ES3_mN6hipcub16HIPCUB_304000_NS21CountingInputIteratorIllEEPS6_NSA_22TransformInputIteratorIbN2at6native12_GLOBAL__N_19NonZeroOpIN3c104HalfEEEPKSK_lEENS0_5tupleIJPlS6_EEENSP_IJSD_SD_EEES6_PiJS6_EEE10hipError_tPvRmT3_T4_T5_T6_T7_T9_mT8_P12ihipStream_tbDpT10_ENKUlT_T0_E_clISt17integral_constantIbLb0EES1C_IbLb1EEEEDaS18_S19_EUlS18_E_NS1_11comp_targetILNS1_3genE5ELNS1_11target_archE942ELNS1_3gpuE9ELNS1_3repE0EEENS1_30default_config_static_selectorELNS0_4arch9wavefront6targetE0EEEvT1_,comdat
.Lfunc_end891:
	.size	_ZN7rocprim17ROCPRIM_400000_NS6detail17trampoline_kernelINS0_14default_configENS1_25partition_config_selectorILNS1_17partition_subalgoE5ElNS0_10empty_typeEbEEZZNS1_14partition_implILS5_5ELb0ES3_mN6hipcub16HIPCUB_304000_NS21CountingInputIteratorIllEEPS6_NSA_22TransformInputIteratorIbN2at6native12_GLOBAL__N_19NonZeroOpIN3c104HalfEEEPKSK_lEENS0_5tupleIJPlS6_EEENSP_IJSD_SD_EEES6_PiJS6_EEE10hipError_tPvRmT3_T4_T5_T6_T7_T9_mT8_P12ihipStream_tbDpT10_ENKUlT_T0_E_clISt17integral_constantIbLb0EES1C_IbLb1EEEEDaS18_S19_EUlS18_E_NS1_11comp_targetILNS1_3genE5ELNS1_11target_archE942ELNS1_3gpuE9ELNS1_3repE0EEENS1_30default_config_static_selectorELNS0_4arch9wavefront6targetE0EEEvT1_, .Lfunc_end891-_ZN7rocprim17ROCPRIM_400000_NS6detail17trampoline_kernelINS0_14default_configENS1_25partition_config_selectorILNS1_17partition_subalgoE5ElNS0_10empty_typeEbEEZZNS1_14partition_implILS5_5ELb0ES3_mN6hipcub16HIPCUB_304000_NS21CountingInputIteratorIllEEPS6_NSA_22TransformInputIteratorIbN2at6native12_GLOBAL__N_19NonZeroOpIN3c104HalfEEEPKSK_lEENS0_5tupleIJPlS6_EEENSP_IJSD_SD_EEES6_PiJS6_EEE10hipError_tPvRmT3_T4_T5_T6_T7_T9_mT8_P12ihipStream_tbDpT10_ENKUlT_T0_E_clISt17integral_constantIbLb0EES1C_IbLb1EEEEDaS18_S19_EUlS18_E_NS1_11comp_targetILNS1_3genE5ELNS1_11target_archE942ELNS1_3gpuE9ELNS1_3repE0EEENS1_30default_config_static_selectorELNS0_4arch9wavefront6targetE0EEEvT1_
                                        ; -- End function
	.set _ZN7rocprim17ROCPRIM_400000_NS6detail17trampoline_kernelINS0_14default_configENS1_25partition_config_selectorILNS1_17partition_subalgoE5ElNS0_10empty_typeEbEEZZNS1_14partition_implILS5_5ELb0ES3_mN6hipcub16HIPCUB_304000_NS21CountingInputIteratorIllEEPS6_NSA_22TransformInputIteratorIbN2at6native12_GLOBAL__N_19NonZeroOpIN3c104HalfEEEPKSK_lEENS0_5tupleIJPlS6_EEENSP_IJSD_SD_EEES6_PiJS6_EEE10hipError_tPvRmT3_T4_T5_T6_T7_T9_mT8_P12ihipStream_tbDpT10_ENKUlT_T0_E_clISt17integral_constantIbLb0EES1C_IbLb1EEEEDaS18_S19_EUlS18_E_NS1_11comp_targetILNS1_3genE5ELNS1_11target_archE942ELNS1_3gpuE9ELNS1_3repE0EEENS1_30default_config_static_selectorELNS0_4arch9wavefront6targetE0EEEvT1_.num_vgpr, 0
	.set _ZN7rocprim17ROCPRIM_400000_NS6detail17trampoline_kernelINS0_14default_configENS1_25partition_config_selectorILNS1_17partition_subalgoE5ElNS0_10empty_typeEbEEZZNS1_14partition_implILS5_5ELb0ES3_mN6hipcub16HIPCUB_304000_NS21CountingInputIteratorIllEEPS6_NSA_22TransformInputIteratorIbN2at6native12_GLOBAL__N_19NonZeroOpIN3c104HalfEEEPKSK_lEENS0_5tupleIJPlS6_EEENSP_IJSD_SD_EEES6_PiJS6_EEE10hipError_tPvRmT3_T4_T5_T6_T7_T9_mT8_P12ihipStream_tbDpT10_ENKUlT_T0_E_clISt17integral_constantIbLb0EES1C_IbLb1EEEEDaS18_S19_EUlS18_E_NS1_11comp_targetILNS1_3genE5ELNS1_11target_archE942ELNS1_3gpuE9ELNS1_3repE0EEENS1_30default_config_static_selectorELNS0_4arch9wavefront6targetE0EEEvT1_.num_agpr, 0
	.set _ZN7rocprim17ROCPRIM_400000_NS6detail17trampoline_kernelINS0_14default_configENS1_25partition_config_selectorILNS1_17partition_subalgoE5ElNS0_10empty_typeEbEEZZNS1_14partition_implILS5_5ELb0ES3_mN6hipcub16HIPCUB_304000_NS21CountingInputIteratorIllEEPS6_NSA_22TransformInputIteratorIbN2at6native12_GLOBAL__N_19NonZeroOpIN3c104HalfEEEPKSK_lEENS0_5tupleIJPlS6_EEENSP_IJSD_SD_EEES6_PiJS6_EEE10hipError_tPvRmT3_T4_T5_T6_T7_T9_mT8_P12ihipStream_tbDpT10_ENKUlT_T0_E_clISt17integral_constantIbLb0EES1C_IbLb1EEEEDaS18_S19_EUlS18_E_NS1_11comp_targetILNS1_3genE5ELNS1_11target_archE942ELNS1_3gpuE9ELNS1_3repE0EEENS1_30default_config_static_selectorELNS0_4arch9wavefront6targetE0EEEvT1_.numbered_sgpr, 0
	.set _ZN7rocprim17ROCPRIM_400000_NS6detail17trampoline_kernelINS0_14default_configENS1_25partition_config_selectorILNS1_17partition_subalgoE5ElNS0_10empty_typeEbEEZZNS1_14partition_implILS5_5ELb0ES3_mN6hipcub16HIPCUB_304000_NS21CountingInputIteratorIllEEPS6_NSA_22TransformInputIteratorIbN2at6native12_GLOBAL__N_19NonZeroOpIN3c104HalfEEEPKSK_lEENS0_5tupleIJPlS6_EEENSP_IJSD_SD_EEES6_PiJS6_EEE10hipError_tPvRmT3_T4_T5_T6_T7_T9_mT8_P12ihipStream_tbDpT10_ENKUlT_T0_E_clISt17integral_constantIbLb0EES1C_IbLb1EEEEDaS18_S19_EUlS18_E_NS1_11comp_targetILNS1_3genE5ELNS1_11target_archE942ELNS1_3gpuE9ELNS1_3repE0EEENS1_30default_config_static_selectorELNS0_4arch9wavefront6targetE0EEEvT1_.num_named_barrier, 0
	.set _ZN7rocprim17ROCPRIM_400000_NS6detail17trampoline_kernelINS0_14default_configENS1_25partition_config_selectorILNS1_17partition_subalgoE5ElNS0_10empty_typeEbEEZZNS1_14partition_implILS5_5ELb0ES3_mN6hipcub16HIPCUB_304000_NS21CountingInputIteratorIllEEPS6_NSA_22TransformInputIteratorIbN2at6native12_GLOBAL__N_19NonZeroOpIN3c104HalfEEEPKSK_lEENS0_5tupleIJPlS6_EEENSP_IJSD_SD_EEES6_PiJS6_EEE10hipError_tPvRmT3_T4_T5_T6_T7_T9_mT8_P12ihipStream_tbDpT10_ENKUlT_T0_E_clISt17integral_constantIbLb0EES1C_IbLb1EEEEDaS18_S19_EUlS18_E_NS1_11comp_targetILNS1_3genE5ELNS1_11target_archE942ELNS1_3gpuE9ELNS1_3repE0EEENS1_30default_config_static_selectorELNS0_4arch9wavefront6targetE0EEEvT1_.private_seg_size, 0
	.set _ZN7rocprim17ROCPRIM_400000_NS6detail17trampoline_kernelINS0_14default_configENS1_25partition_config_selectorILNS1_17partition_subalgoE5ElNS0_10empty_typeEbEEZZNS1_14partition_implILS5_5ELb0ES3_mN6hipcub16HIPCUB_304000_NS21CountingInputIteratorIllEEPS6_NSA_22TransformInputIteratorIbN2at6native12_GLOBAL__N_19NonZeroOpIN3c104HalfEEEPKSK_lEENS0_5tupleIJPlS6_EEENSP_IJSD_SD_EEES6_PiJS6_EEE10hipError_tPvRmT3_T4_T5_T6_T7_T9_mT8_P12ihipStream_tbDpT10_ENKUlT_T0_E_clISt17integral_constantIbLb0EES1C_IbLb1EEEEDaS18_S19_EUlS18_E_NS1_11comp_targetILNS1_3genE5ELNS1_11target_archE942ELNS1_3gpuE9ELNS1_3repE0EEENS1_30default_config_static_selectorELNS0_4arch9wavefront6targetE0EEEvT1_.uses_vcc, 0
	.set _ZN7rocprim17ROCPRIM_400000_NS6detail17trampoline_kernelINS0_14default_configENS1_25partition_config_selectorILNS1_17partition_subalgoE5ElNS0_10empty_typeEbEEZZNS1_14partition_implILS5_5ELb0ES3_mN6hipcub16HIPCUB_304000_NS21CountingInputIteratorIllEEPS6_NSA_22TransformInputIteratorIbN2at6native12_GLOBAL__N_19NonZeroOpIN3c104HalfEEEPKSK_lEENS0_5tupleIJPlS6_EEENSP_IJSD_SD_EEES6_PiJS6_EEE10hipError_tPvRmT3_T4_T5_T6_T7_T9_mT8_P12ihipStream_tbDpT10_ENKUlT_T0_E_clISt17integral_constantIbLb0EES1C_IbLb1EEEEDaS18_S19_EUlS18_E_NS1_11comp_targetILNS1_3genE5ELNS1_11target_archE942ELNS1_3gpuE9ELNS1_3repE0EEENS1_30default_config_static_selectorELNS0_4arch9wavefront6targetE0EEEvT1_.uses_flat_scratch, 0
	.set _ZN7rocprim17ROCPRIM_400000_NS6detail17trampoline_kernelINS0_14default_configENS1_25partition_config_selectorILNS1_17partition_subalgoE5ElNS0_10empty_typeEbEEZZNS1_14partition_implILS5_5ELb0ES3_mN6hipcub16HIPCUB_304000_NS21CountingInputIteratorIllEEPS6_NSA_22TransformInputIteratorIbN2at6native12_GLOBAL__N_19NonZeroOpIN3c104HalfEEEPKSK_lEENS0_5tupleIJPlS6_EEENSP_IJSD_SD_EEES6_PiJS6_EEE10hipError_tPvRmT3_T4_T5_T6_T7_T9_mT8_P12ihipStream_tbDpT10_ENKUlT_T0_E_clISt17integral_constantIbLb0EES1C_IbLb1EEEEDaS18_S19_EUlS18_E_NS1_11comp_targetILNS1_3genE5ELNS1_11target_archE942ELNS1_3gpuE9ELNS1_3repE0EEENS1_30default_config_static_selectorELNS0_4arch9wavefront6targetE0EEEvT1_.has_dyn_sized_stack, 0
	.set _ZN7rocprim17ROCPRIM_400000_NS6detail17trampoline_kernelINS0_14default_configENS1_25partition_config_selectorILNS1_17partition_subalgoE5ElNS0_10empty_typeEbEEZZNS1_14partition_implILS5_5ELb0ES3_mN6hipcub16HIPCUB_304000_NS21CountingInputIteratorIllEEPS6_NSA_22TransformInputIteratorIbN2at6native12_GLOBAL__N_19NonZeroOpIN3c104HalfEEEPKSK_lEENS0_5tupleIJPlS6_EEENSP_IJSD_SD_EEES6_PiJS6_EEE10hipError_tPvRmT3_T4_T5_T6_T7_T9_mT8_P12ihipStream_tbDpT10_ENKUlT_T0_E_clISt17integral_constantIbLb0EES1C_IbLb1EEEEDaS18_S19_EUlS18_E_NS1_11comp_targetILNS1_3genE5ELNS1_11target_archE942ELNS1_3gpuE9ELNS1_3repE0EEENS1_30default_config_static_selectorELNS0_4arch9wavefront6targetE0EEEvT1_.has_recursion, 0
	.set _ZN7rocprim17ROCPRIM_400000_NS6detail17trampoline_kernelINS0_14default_configENS1_25partition_config_selectorILNS1_17partition_subalgoE5ElNS0_10empty_typeEbEEZZNS1_14partition_implILS5_5ELb0ES3_mN6hipcub16HIPCUB_304000_NS21CountingInputIteratorIllEEPS6_NSA_22TransformInputIteratorIbN2at6native12_GLOBAL__N_19NonZeroOpIN3c104HalfEEEPKSK_lEENS0_5tupleIJPlS6_EEENSP_IJSD_SD_EEES6_PiJS6_EEE10hipError_tPvRmT3_T4_T5_T6_T7_T9_mT8_P12ihipStream_tbDpT10_ENKUlT_T0_E_clISt17integral_constantIbLb0EES1C_IbLb1EEEEDaS18_S19_EUlS18_E_NS1_11comp_targetILNS1_3genE5ELNS1_11target_archE942ELNS1_3gpuE9ELNS1_3repE0EEENS1_30default_config_static_selectorELNS0_4arch9wavefront6targetE0EEEvT1_.has_indirect_call, 0
	.section	.AMDGPU.csdata,"",@progbits
; Kernel info:
; codeLenInByte = 0
; TotalNumSgprs: 0
; NumVgprs: 0
; ScratchSize: 0
; MemoryBound: 0
; FloatMode: 240
; IeeeMode: 1
; LDSByteSize: 0 bytes/workgroup (compile time only)
; SGPRBlocks: 0
; VGPRBlocks: 0
; NumSGPRsForWavesPerEU: 1
; NumVGPRsForWavesPerEU: 1
; Occupancy: 16
; WaveLimiterHint : 0
; COMPUTE_PGM_RSRC2:SCRATCH_EN: 0
; COMPUTE_PGM_RSRC2:USER_SGPR: 2
; COMPUTE_PGM_RSRC2:TRAP_HANDLER: 0
; COMPUTE_PGM_RSRC2:TGID_X_EN: 1
; COMPUTE_PGM_RSRC2:TGID_Y_EN: 0
; COMPUTE_PGM_RSRC2:TGID_Z_EN: 0
; COMPUTE_PGM_RSRC2:TIDIG_COMP_CNT: 0
	.section	.text._ZN7rocprim17ROCPRIM_400000_NS6detail17trampoline_kernelINS0_14default_configENS1_25partition_config_selectorILNS1_17partition_subalgoE5ElNS0_10empty_typeEbEEZZNS1_14partition_implILS5_5ELb0ES3_mN6hipcub16HIPCUB_304000_NS21CountingInputIteratorIllEEPS6_NSA_22TransformInputIteratorIbN2at6native12_GLOBAL__N_19NonZeroOpIN3c104HalfEEEPKSK_lEENS0_5tupleIJPlS6_EEENSP_IJSD_SD_EEES6_PiJS6_EEE10hipError_tPvRmT3_T4_T5_T6_T7_T9_mT8_P12ihipStream_tbDpT10_ENKUlT_T0_E_clISt17integral_constantIbLb0EES1C_IbLb1EEEEDaS18_S19_EUlS18_E_NS1_11comp_targetILNS1_3genE4ELNS1_11target_archE910ELNS1_3gpuE8ELNS1_3repE0EEENS1_30default_config_static_selectorELNS0_4arch9wavefront6targetE0EEEvT1_,"axG",@progbits,_ZN7rocprim17ROCPRIM_400000_NS6detail17trampoline_kernelINS0_14default_configENS1_25partition_config_selectorILNS1_17partition_subalgoE5ElNS0_10empty_typeEbEEZZNS1_14partition_implILS5_5ELb0ES3_mN6hipcub16HIPCUB_304000_NS21CountingInputIteratorIllEEPS6_NSA_22TransformInputIteratorIbN2at6native12_GLOBAL__N_19NonZeroOpIN3c104HalfEEEPKSK_lEENS0_5tupleIJPlS6_EEENSP_IJSD_SD_EEES6_PiJS6_EEE10hipError_tPvRmT3_T4_T5_T6_T7_T9_mT8_P12ihipStream_tbDpT10_ENKUlT_T0_E_clISt17integral_constantIbLb0EES1C_IbLb1EEEEDaS18_S19_EUlS18_E_NS1_11comp_targetILNS1_3genE4ELNS1_11target_archE910ELNS1_3gpuE8ELNS1_3repE0EEENS1_30default_config_static_selectorELNS0_4arch9wavefront6targetE0EEEvT1_,comdat
	.globl	_ZN7rocprim17ROCPRIM_400000_NS6detail17trampoline_kernelINS0_14default_configENS1_25partition_config_selectorILNS1_17partition_subalgoE5ElNS0_10empty_typeEbEEZZNS1_14partition_implILS5_5ELb0ES3_mN6hipcub16HIPCUB_304000_NS21CountingInputIteratorIllEEPS6_NSA_22TransformInputIteratorIbN2at6native12_GLOBAL__N_19NonZeroOpIN3c104HalfEEEPKSK_lEENS0_5tupleIJPlS6_EEENSP_IJSD_SD_EEES6_PiJS6_EEE10hipError_tPvRmT3_T4_T5_T6_T7_T9_mT8_P12ihipStream_tbDpT10_ENKUlT_T0_E_clISt17integral_constantIbLb0EES1C_IbLb1EEEEDaS18_S19_EUlS18_E_NS1_11comp_targetILNS1_3genE4ELNS1_11target_archE910ELNS1_3gpuE8ELNS1_3repE0EEENS1_30default_config_static_selectorELNS0_4arch9wavefront6targetE0EEEvT1_ ; -- Begin function _ZN7rocprim17ROCPRIM_400000_NS6detail17trampoline_kernelINS0_14default_configENS1_25partition_config_selectorILNS1_17partition_subalgoE5ElNS0_10empty_typeEbEEZZNS1_14partition_implILS5_5ELb0ES3_mN6hipcub16HIPCUB_304000_NS21CountingInputIteratorIllEEPS6_NSA_22TransformInputIteratorIbN2at6native12_GLOBAL__N_19NonZeroOpIN3c104HalfEEEPKSK_lEENS0_5tupleIJPlS6_EEENSP_IJSD_SD_EEES6_PiJS6_EEE10hipError_tPvRmT3_T4_T5_T6_T7_T9_mT8_P12ihipStream_tbDpT10_ENKUlT_T0_E_clISt17integral_constantIbLb0EES1C_IbLb1EEEEDaS18_S19_EUlS18_E_NS1_11comp_targetILNS1_3genE4ELNS1_11target_archE910ELNS1_3gpuE8ELNS1_3repE0EEENS1_30default_config_static_selectorELNS0_4arch9wavefront6targetE0EEEvT1_
	.p2align	8
	.type	_ZN7rocprim17ROCPRIM_400000_NS6detail17trampoline_kernelINS0_14default_configENS1_25partition_config_selectorILNS1_17partition_subalgoE5ElNS0_10empty_typeEbEEZZNS1_14partition_implILS5_5ELb0ES3_mN6hipcub16HIPCUB_304000_NS21CountingInputIteratorIllEEPS6_NSA_22TransformInputIteratorIbN2at6native12_GLOBAL__N_19NonZeroOpIN3c104HalfEEEPKSK_lEENS0_5tupleIJPlS6_EEENSP_IJSD_SD_EEES6_PiJS6_EEE10hipError_tPvRmT3_T4_T5_T6_T7_T9_mT8_P12ihipStream_tbDpT10_ENKUlT_T0_E_clISt17integral_constantIbLb0EES1C_IbLb1EEEEDaS18_S19_EUlS18_E_NS1_11comp_targetILNS1_3genE4ELNS1_11target_archE910ELNS1_3gpuE8ELNS1_3repE0EEENS1_30default_config_static_selectorELNS0_4arch9wavefront6targetE0EEEvT1_,@function
_ZN7rocprim17ROCPRIM_400000_NS6detail17trampoline_kernelINS0_14default_configENS1_25partition_config_selectorILNS1_17partition_subalgoE5ElNS0_10empty_typeEbEEZZNS1_14partition_implILS5_5ELb0ES3_mN6hipcub16HIPCUB_304000_NS21CountingInputIteratorIllEEPS6_NSA_22TransformInputIteratorIbN2at6native12_GLOBAL__N_19NonZeroOpIN3c104HalfEEEPKSK_lEENS0_5tupleIJPlS6_EEENSP_IJSD_SD_EEES6_PiJS6_EEE10hipError_tPvRmT3_T4_T5_T6_T7_T9_mT8_P12ihipStream_tbDpT10_ENKUlT_T0_E_clISt17integral_constantIbLb0EES1C_IbLb1EEEEDaS18_S19_EUlS18_E_NS1_11comp_targetILNS1_3genE4ELNS1_11target_archE910ELNS1_3gpuE8ELNS1_3repE0EEENS1_30default_config_static_selectorELNS0_4arch9wavefront6targetE0EEEvT1_: ; @_ZN7rocprim17ROCPRIM_400000_NS6detail17trampoline_kernelINS0_14default_configENS1_25partition_config_selectorILNS1_17partition_subalgoE5ElNS0_10empty_typeEbEEZZNS1_14partition_implILS5_5ELb0ES3_mN6hipcub16HIPCUB_304000_NS21CountingInputIteratorIllEEPS6_NSA_22TransformInputIteratorIbN2at6native12_GLOBAL__N_19NonZeroOpIN3c104HalfEEEPKSK_lEENS0_5tupleIJPlS6_EEENSP_IJSD_SD_EEES6_PiJS6_EEE10hipError_tPvRmT3_T4_T5_T6_T7_T9_mT8_P12ihipStream_tbDpT10_ENKUlT_T0_E_clISt17integral_constantIbLb0EES1C_IbLb1EEEEDaS18_S19_EUlS18_E_NS1_11comp_targetILNS1_3genE4ELNS1_11target_archE910ELNS1_3gpuE8ELNS1_3repE0EEENS1_30default_config_static_selectorELNS0_4arch9wavefront6targetE0EEEvT1_
; %bb.0:
	.section	.rodata,"a",@progbits
	.p2align	6, 0x0
	.amdhsa_kernel _ZN7rocprim17ROCPRIM_400000_NS6detail17trampoline_kernelINS0_14default_configENS1_25partition_config_selectorILNS1_17partition_subalgoE5ElNS0_10empty_typeEbEEZZNS1_14partition_implILS5_5ELb0ES3_mN6hipcub16HIPCUB_304000_NS21CountingInputIteratorIllEEPS6_NSA_22TransformInputIteratorIbN2at6native12_GLOBAL__N_19NonZeroOpIN3c104HalfEEEPKSK_lEENS0_5tupleIJPlS6_EEENSP_IJSD_SD_EEES6_PiJS6_EEE10hipError_tPvRmT3_T4_T5_T6_T7_T9_mT8_P12ihipStream_tbDpT10_ENKUlT_T0_E_clISt17integral_constantIbLb0EES1C_IbLb1EEEEDaS18_S19_EUlS18_E_NS1_11comp_targetILNS1_3genE4ELNS1_11target_archE910ELNS1_3gpuE8ELNS1_3repE0EEENS1_30default_config_static_selectorELNS0_4arch9wavefront6targetE0EEEvT1_
		.amdhsa_group_segment_fixed_size 0
		.amdhsa_private_segment_fixed_size 0
		.amdhsa_kernarg_size 136
		.amdhsa_user_sgpr_count 2
		.amdhsa_user_sgpr_dispatch_ptr 0
		.amdhsa_user_sgpr_queue_ptr 0
		.amdhsa_user_sgpr_kernarg_segment_ptr 1
		.amdhsa_user_sgpr_dispatch_id 0
		.amdhsa_user_sgpr_private_segment_size 0
		.amdhsa_wavefront_size32 1
		.amdhsa_uses_dynamic_stack 0
		.amdhsa_enable_private_segment 0
		.amdhsa_system_sgpr_workgroup_id_x 1
		.amdhsa_system_sgpr_workgroup_id_y 0
		.amdhsa_system_sgpr_workgroup_id_z 0
		.amdhsa_system_sgpr_workgroup_info 0
		.amdhsa_system_vgpr_workitem_id 0
		.amdhsa_next_free_vgpr 1
		.amdhsa_next_free_sgpr 1
		.amdhsa_reserve_vcc 0
		.amdhsa_float_round_mode_32 0
		.amdhsa_float_round_mode_16_64 0
		.amdhsa_float_denorm_mode_32 3
		.amdhsa_float_denorm_mode_16_64 3
		.amdhsa_fp16_overflow 0
		.amdhsa_workgroup_processor_mode 1
		.amdhsa_memory_ordered 1
		.amdhsa_forward_progress 1
		.amdhsa_inst_pref_size 0
		.amdhsa_round_robin_scheduling 0
		.amdhsa_exception_fp_ieee_invalid_op 0
		.amdhsa_exception_fp_denorm_src 0
		.amdhsa_exception_fp_ieee_div_zero 0
		.amdhsa_exception_fp_ieee_overflow 0
		.amdhsa_exception_fp_ieee_underflow 0
		.amdhsa_exception_fp_ieee_inexact 0
		.amdhsa_exception_int_div_zero 0
	.end_amdhsa_kernel
	.section	.text._ZN7rocprim17ROCPRIM_400000_NS6detail17trampoline_kernelINS0_14default_configENS1_25partition_config_selectorILNS1_17partition_subalgoE5ElNS0_10empty_typeEbEEZZNS1_14partition_implILS5_5ELb0ES3_mN6hipcub16HIPCUB_304000_NS21CountingInputIteratorIllEEPS6_NSA_22TransformInputIteratorIbN2at6native12_GLOBAL__N_19NonZeroOpIN3c104HalfEEEPKSK_lEENS0_5tupleIJPlS6_EEENSP_IJSD_SD_EEES6_PiJS6_EEE10hipError_tPvRmT3_T4_T5_T6_T7_T9_mT8_P12ihipStream_tbDpT10_ENKUlT_T0_E_clISt17integral_constantIbLb0EES1C_IbLb1EEEEDaS18_S19_EUlS18_E_NS1_11comp_targetILNS1_3genE4ELNS1_11target_archE910ELNS1_3gpuE8ELNS1_3repE0EEENS1_30default_config_static_selectorELNS0_4arch9wavefront6targetE0EEEvT1_,"axG",@progbits,_ZN7rocprim17ROCPRIM_400000_NS6detail17trampoline_kernelINS0_14default_configENS1_25partition_config_selectorILNS1_17partition_subalgoE5ElNS0_10empty_typeEbEEZZNS1_14partition_implILS5_5ELb0ES3_mN6hipcub16HIPCUB_304000_NS21CountingInputIteratorIllEEPS6_NSA_22TransformInputIteratorIbN2at6native12_GLOBAL__N_19NonZeroOpIN3c104HalfEEEPKSK_lEENS0_5tupleIJPlS6_EEENSP_IJSD_SD_EEES6_PiJS6_EEE10hipError_tPvRmT3_T4_T5_T6_T7_T9_mT8_P12ihipStream_tbDpT10_ENKUlT_T0_E_clISt17integral_constantIbLb0EES1C_IbLb1EEEEDaS18_S19_EUlS18_E_NS1_11comp_targetILNS1_3genE4ELNS1_11target_archE910ELNS1_3gpuE8ELNS1_3repE0EEENS1_30default_config_static_selectorELNS0_4arch9wavefront6targetE0EEEvT1_,comdat
.Lfunc_end892:
	.size	_ZN7rocprim17ROCPRIM_400000_NS6detail17trampoline_kernelINS0_14default_configENS1_25partition_config_selectorILNS1_17partition_subalgoE5ElNS0_10empty_typeEbEEZZNS1_14partition_implILS5_5ELb0ES3_mN6hipcub16HIPCUB_304000_NS21CountingInputIteratorIllEEPS6_NSA_22TransformInputIteratorIbN2at6native12_GLOBAL__N_19NonZeroOpIN3c104HalfEEEPKSK_lEENS0_5tupleIJPlS6_EEENSP_IJSD_SD_EEES6_PiJS6_EEE10hipError_tPvRmT3_T4_T5_T6_T7_T9_mT8_P12ihipStream_tbDpT10_ENKUlT_T0_E_clISt17integral_constantIbLb0EES1C_IbLb1EEEEDaS18_S19_EUlS18_E_NS1_11comp_targetILNS1_3genE4ELNS1_11target_archE910ELNS1_3gpuE8ELNS1_3repE0EEENS1_30default_config_static_selectorELNS0_4arch9wavefront6targetE0EEEvT1_, .Lfunc_end892-_ZN7rocprim17ROCPRIM_400000_NS6detail17trampoline_kernelINS0_14default_configENS1_25partition_config_selectorILNS1_17partition_subalgoE5ElNS0_10empty_typeEbEEZZNS1_14partition_implILS5_5ELb0ES3_mN6hipcub16HIPCUB_304000_NS21CountingInputIteratorIllEEPS6_NSA_22TransformInputIteratorIbN2at6native12_GLOBAL__N_19NonZeroOpIN3c104HalfEEEPKSK_lEENS0_5tupleIJPlS6_EEENSP_IJSD_SD_EEES6_PiJS6_EEE10hipError_tPvRmT3_T4_T5_T6_T7_T9_mT8_P12ihipStream_tbDpT10_ENKUlT_T0_E_clISt17integral_constantIbLb0EES1C_IbLb1EEEEDaS18_S19_EUlS18_E_NS1_11comp_targetILNS1_3genE4ELNS1_11target_archE910ELNS1_3gpuE8ELNS1_3repE0EEENS1_30default_config_static_selectorELNS0_4arch9wavefront6targetE0EEEvT1_
                                        ; -- End function
	.set _ZN7rocprim17ROCPRIM_400000_NS6detail17trampoline_kernelINS0_14default_configENS1_25partition_config_selectorILNS1_17partition_subalgoE5ElNS0_10empty_typeEbEEZZNS1_14partition_implILS5_5ELb0ES3_mN6hipcub16HIPCUB_304000_NS21CountingInputIteratorIllEEPS6_NSA_22TransformInputIteratorIbN2at6native12_GLOBAL__N_19NonZeroOpIN3c104HalfEEEPKSK_lEENS0_5tupleIJPlS6_EEENSP_IJSD_SD_EEES6_PiJS6_EEE10hipError_tPvRmT3_T4_T5_T6_T7_T9_mT8_P12ihipStream_tbDpT10_ENKUlT_T0_E_clISt17integral_constantIbLb0EES1C_IbLb1EEEEDaS18_S19_EUlS18_E_NS1_11comp_targetILNS1_3genE4ELNS1_11target_archE910ELNS1_3gpuE8ELNS1_3repE0EEENS1_30default_config_static_selectorELNS0_4arch9wavefront6targetE0EEEvT1_.num_vgpr, 0
	.set _ZN7rocprim17ROCPRIM_400000_NS6detail17trampoline_kernelINS0_14default_configENS1_25partition_config_selectorILNS1_17partition_subalgoE5ElNS0_10empty_typeEbEEZZNS1_14partition_implILS5_5ELb0ES3_mN6hipcub16HIPCUB_304000_NS21CountingInputIteratorIllEEPS6_NSA_22TransformInputIteratorIbN2at6native12_GLOBAL__N_19NonZeroOpIN3c104HalfEEEPKSK_lEENS0_5tupleIJPlS6_EEENSP_IJSD_SD_EEES6_PiJS6_EEE10hipError_tPvRmT3_T4_T5_T6_T7_T9_mT8_P12ihipStream_tbDpT10_ENKUlT_T0_E_clISt17integral_constantIbLb0EES1C_IbLb1EEEEDaS18_S19_EUlS18_E_NS1_11comp_targetILNS1_3genE4ELNS1_11target_archE910ELNS1_3gpuE8ELNS1_3repE0EEENS1_30default_config_static_selectorELNS0_4arch9wavefront6targetE0EEEvT1_.num_agpr, 0
	.set _ZN7rocprim17ROCPRIM_400000_NS6detail17trampoline_kernelINS0_14default_configENS1_25partition_config_selectorILNS1_17partition_subalgoE5ElNS0_10empty_typeEbEEZZNS1_14partition_implILS5_5ELb0ES3_mN6hipcub16HIPCUB_304000_NS21CountingInputIteratorIllEEPS6_NSA_22TransformInputIteratorIbN2at6native12_GLOBAL__N_19NonZeroOpIN3c104HalfEEEPKSK_lEENS0_5tupleIJPlS6_EEENSP_IJSD_SD_EEES6_PiJS6_EEE10hipError_tPvRmT3_T4_T5_T6_T7_T9_mT8_P12ihipStream_tbDpT10_ENKUlT_T0_E_clISt17integral_constantIbLb0EES1C_IbLb1EEEEDaS18_S19_EUlS18_E_NS1_11comp_targetILNS1_3genE4ELNS1_11target_archE910ELNS1_3gpuE8ELNS1_3repE0EEENS1_30default_config_static_selectorELNS0_4arch9wavefront6targetE0EEEvT1_.numbered_sgpr, 0
	.set _ZN7rocprim17ROCPRIM_400000_NS6detail17trampoline_kernelINS0_14default_configENS1_25partition_config_selectorILNS1_17partition_subalgoE5ElNS0_10empty_typeEbEEZZNS1_14partition_implILS5_5ELb0ES3_mN6hipcub16HIPCUB_304000_NS21CountingInputIteratorIllEEPS6_NSA_22TransformInputIteratorIbN2at6native12_GLOBAL__N_19NonZeroOpIN3c104HalfEEEPKSK_lEENS0_5tupleIJPlS6_EEENSP_IJSD_SD_EEES6_PiJS6_EEE10hipError_tPvRmT3_T4_T5_T6_T7_T9_mT8_P12ihipStream_tbDpT10_ENKUlT_T0_E_clISt17integral_constantIbLb0EES1C_IbLb1EEEEDaS18_S19_EUlS18_E_NS1_11comp_targetILNS1_3genE4ELNS1_11target_archE910ELNS1_3gpuE8ELNS1_3repE0EEENS1_30default_config_static_selectorELNS0_4arch9wavefront6targetE0EEEvT1_.num_named_barrier, 0
	.set _ZN7rocprim17ROCPRIM_400000_NS6detail17trampoline_kernelINS0_14default_configENS1_25partition_config_selectorILNS1_17partition_subalgoE5ElNS0_10empty_typeEbEEZZNS1_14partition_implILS5_5ELb0ES3_mN6hipcub16HIPCUB_304000_NS21CountingInputIteratorIllEEPS6_NSA_22TransformInputIteratorIbN2at6native12_GLOBAL__N_19NonZeroOpIN3c104HalfEEEPKSK_lEENS0_5tupleIJPlS6_EEENSP_IJSD_SD_EEES6_PiJS6_EEE10hipError_tPvRmT3_T4_T5_T6_T7_T9_mT8_P12ihipStream_tbDpT10_ENKUlT_T0_E_clISt17integral_constantIbLb0EES1C_IbLb1EEEEDaS18_S19_EUlS18_E_NS1_11comp_targetILNS1_3genE4ELNS1_11target_archE910ELNS1_3gpuE8ELNS1_3repE0EEENS1_30default_config_static_selectorELNS0_4arch9wavefront6targetE0EEEvT1_.private_seg_size, 0
	.set _ZN7rocprim17ROCPRIM_400000_NS6detail17trampoline_kernelINS0_14default_configENS1_25partition_config_selectorILNS1_17partition_subalgoE5ElNS0_10empty_typeEbEEZZNS1_14partition_implILS5_5ELb0ES3_mN6hipcub16HIPCUB_304000_NS21CountingInputIteratorIllEEPS6_NSA_22TransformInputIteratorIbN2at6native12_GLOBAL__N_19NonZeroOpIN3c104HalfEEEPKSK_lEENS0_5tupleIJPlS6_EEENSP_IJSD_SD_EEES6_PiJS6_EEE10hipError_tPvRmT3_T4_T5_T6_T7_T9_mT8_P12ihipStream_tbDpT10_ENKUlT_T0_E_clISt17integral_constantIbLb0EES1C_IbLb1EEEEDaS18_S19_EUlS18_E_NS1_11comp_targetILNS1_3genE4ELNS1_11target_archE910ELNS1_3gpuE8ELNS1_3repE0EEENS1_30default_config_static_selectorELNS0_4arch9wavefront6targetE0EEEvT1_.uses_vcc, 0
	.set _ZN7rocprim17ROCPRIM_400000_NS6detail17trampoline_kernelINS0_14default_configENS1_25partition_config_selectorILNS1_17partition_subalgoE5ElNS0_10empty_typeEbEEZZNS1_14partition_implILS5_5ELb0ES3_mN6hipcub16HIPCUB_304000_NS21CountingInputIteratorIllEEPS6_NSA_22TransformInputIteratorIbN2at6native12_GLOBAL__N_19NonZeroOpIN3c104HalfEEEPKSK_lEENS0_5tupleIJPlS6_EEENSP_IJSD_SD_EEES6_PiJS6_EEE10hipError_tPvRmT3_T4_T5_T6_T7_T9_mT8_P12ihipStream_tbDpT10_ENKUlT_T0_E_clISt17integral_constantIbLb0EES1C_IbLb1EEEEDaS18_S19_EUlS18_E_NS1_11comp_targetILNS1_3genE4ELNS1_11target_archE910ELNS1_3gpuE8ELNS1_3repE0EEENS1_30default_config_static_selectorELNS0_4arch9wavefront6targetE0EEEvT1_.uses_flat_scratch, 0
	.set _ZN7rocprim17ROCPRIM_400000_NS6detail17trampoline_kernelINS0_14default_configENS1_25partition_config_selectorILNS1_17partition_subalgoE5ElNS0_10empty_typeEbEEZZNS1_14partition_implILS5_5ELb0ES3_mN6hipcub16HIPCUB_304000_NS21CountingInputIteratorIllEEPS6_NSA_22TransformInputIteratorIbN2at6native12_GLOBAL__N_19NonZeroOpIN3c104HalfEEEPKSK_lEENS0_5tupleIJPlS6_EEENSP_IJSD_SD_EEES6_PiJS6_EEE10hipError_tPvRmT3_T4_T5_T6_T7_T9_mT8_P12ihipStream_tbDpT10_ENKUlT_T0_E_clISt17integral_constantIbLb0EES1C_IbLb1EEEEDaS18_S19_EUlS18_E_NS1_11comp_targetILNS1_3genE4ELNS1_11target_archE910ELNS1_3gpuE8ELNS1_3repE0EEENS1_30default_config_static_selectorELNS0_4arch9wavefront6targetE0EEEvT1_.has_dyn_sized_stack, 0
	.set _ZN7rocprim17ROCPRIM_400000_NS6detail17trampoline_kernelINS0_14default_configENS1_25partition_config_selectorILNS1_17partition_subalgoE5ElNS0_10empty_typeEbEEZZNS1_14partition_implILS5_5ELb0ES3_mN6hipcub16HIPCUB_304000_NS21CountingInputIteratorIllEEPS6_NSA_22TransformInputIteratorIbN2at6native12_GLOBAL__N_19NonZeroOpIN3c104HalfEEEPKSK_lEENS0_5tupleIJPlS6_EEENSP_IJSD_SD_EEES6_PiJS6_EEE10hipError_tPvRmT3_T4_T5_T6_T7_T9_mT8_P12ihipStream_tbDpT10_ENKUlT_T0_E_clISt17integral_constantIbLb0EES1C_IbLb1EEEEDaS18_S19_EUlS18_E_NS1_11comp_targetILNS1_3genE4ELNS1_11target_archE910ELNS1_3gpuE8ELNS1_3repE0EEENS1_30default_config_static_selectorELNS0_4arch9wavefront6targetE0EEEvT1_.has_recursion, 0
	.set _ZN7rocprim17ROCPRIM_400000_NS6detail17trampoline_kernelINS0_14default_configENS1_25partition_config_selectorILNS1_17partition_subalgoE5ElNS0_10empty_typeEbEEZZNS1_14partition_implILS5_5ELb0ES3_mN6hipcub16HIPCUB_304000_NS21CountingInputIteratorIllEEPS6_NSA_22TransformInputIteratorIbN2at6native12_GLOBAL__N_19NonZeroOpIN3c104HalfEEEPKSK_lEENS0_5tupleIJPlS6_EEENSP_IJSD_SD_EEES6_PiJS6_EEE10hipError_tPvRmT3_T4_T5_T6_T7_T9_mT8_P12ihipStream_tbDpT10_ENKUlT_T0_E_clISt17integral_constantIbLb0EES1C_IbLb1EEEEDaS18_S19_EUlS18_E_NS1_11comp_targetILNS1_3genE4ELNS1_11target_archE910ELNS1_3gpuE8ELNS1_3repE0EEENS1_30default_config_static_selectorELNS0_4arch9wavefront6targetE0EEEvT1_.has_indirect_call, 0
	.section	.AMDGPU.csdata,"",@progbits
; Kernel info:
; codeLenInByte = 0
; TotalNumSgprs: 0
; NumVgprs: 0
; ScratchSize: 0
; MemoryBound: 0
; FloatMode: 240
; IeeeMode: 1
; LDSByteSize: 0 bytes/workgroup (compile time only)
; SGPRBlocks: 0
; VGPRBlocks: 0
; NumSGPRsForWavesPerEU: 1
; NumVGPRsForWavesPerEU: 1
; Occupancy: 16
; WaveLimiterHint : 0
; COMPUTE_PGM_RSRC2:SCRATCH_EN: 0
; COMPUTE_PGM_RSRC2:USER_SGPR: 2
; COMPUTE_PGM_RSRC2:TRAP_HANDLER: 0
; COMPUTE_PGM_RSRC2:TGID_X_EN: 1
; COMPUTE_PGM_RSRC2:TGID_Y_EN: 0
; COMPUTE_PGM_RSRC2:TGID_Z_EN: 0
; COMPUTE_PGM_RSRC2:TIDIG_COMP_CNT: 0
	.section	.text._ZN7rocprim17ROCPRIM_400000_NS6detail17trampoline_kernelINS0_14default_configENS1_25partition_config_selectorILNS1_17partition_subalgoE5ElNS0_10empty_typeEbEEZZNS1_14partition_implILS5_5ELb0ES3_mN6hipcub16HIPCUB_304000_NS21CountingInputIteratorIllEEPS6_NSA_22TransformInputIteratorIbN2at6native12_GLOBAL__N_19NonZeroOpIN3c104HalfEEEPKSK_lEENS0_5tupleIJPlS6_EEENSP_IJSD_SD_EEES6_PiJS6_EEE10hipError_tPvRmT3_T4_T5_T6_T7_T9_mT8_P12ihipStream_tbDpT10_ENKUlT_T0_E_clISt17integral_constantIbLb0EES1C_IbLb1EEEEDaS18_S19_EUlS18_E_NS1_11comp_targetILNS1_3genE3ELNS1_11target_archE908ELNS1_3gpuE7ELNS1_3repE0EEENS1_30default_config_static_selectorELNS0_4arch9wavefront6targetE0EEEvT1_,"axG",@progbits,_ZN7rocprim17ROCPRIM_400000_NS6detail17trampoline_kernelINS0_14default_configENS1_25partition_config_selectorILNS1_17partition_subalgoE5ElNS0_10empty_typeEbEEZZNS1_14partition_implILS5_5ELb0ES3_mN6hipcub16HIPCUB_304000_NS21CountingInputIteratorIllEEPS6_NSA_22TransformInputIteratorIbN2at6native12_GLOBAL__N_19NonZeroOpIN3c104HalfEEEPKSK_lEENS0_5tupleIJPlS6_EEENSP_IJSD_SD_EEES6_PiJS6_EEE10hipError_tPvRmT3_T4_T5_T6_T7_T9_mT8_P12ihipStream_tbDpT10_ENKUlT_T0_E_clISt17integral_constantIbLb0EES1C_IbLb1EEEEDaS18_S19_EUlS18_E_NS1_11comp_targetILNS1_3genE3ELNS1_11target_archE908ELNS1_3gpuE7ELNS1_3repE0EEENS1_30default_config_static_selectorELNS0_4arch9wavefront6targetE0EEEvT1_,comdat
	.globl	_ZN7rocprim17ROCPRIM_400000_NS6detail17trampoline_kernelINS0_14default_configENS1_25partition_config_selectorILNS1_17partition_subalgoE5ElNS0_10empty_typeEbEEZZNS1_14partition_implILS5_5ELb0ES3_mN6hipcub16HIPCUB_304000_NS21CountingInputIteratorIllEEPS6_NSA_22TransformInputIteratorIbN2at6native12_GLOBAL__N_19NonZeroOpIN3c104HalfEEEPKSK_lEENS0_5tupleIJPlS6_EEENSP_IJSD_SD_EEES6_PiJS6_EEE10hipError_tPvRmT3_T4_T5_T6_T7_T9_mT8_P12ihipStream_tbDpT10_ENKUlT_T0_E_clISt17integral_constantIbLb0EES1C_IbLb1EEEEDaS18_S19_EUlS18_E_NS1_11comp_targetILNS1_3genE3ELNS1_11target_archE908ELNS1_3gpuE7ELNS1_3repE0EEENS1_30default_config_static_selectorELNS0_4arch9wavefront6targetE0EEEvT1_ ; -- Begin function _ZN7rocprim17ROCPRIM_400000_NS6detail17trampoline_kernelINS0_14default_configENS1_25partition_config_selectorILNS1_17partition_subalgoE5ElNS0_10empty_typeEbEEZZNS1_14partition_implILS5_5ELb0ES3_mN6hipcub16HIPCUB_304000_NS21CountingInputIteratorIllEEPS6_NSA_22TransformInputIteratorIbN2at6native12_GLOBAL__N_19NonZeroOpIN3c104HalfEEEPKSK_lEENS0_5tupleIJPlS6_EEENSP_IJSD_SD_EEES6_PiJS6_EEE10hipError_tPvRmT3_T4_T5_T6_T7_T9_mT8_P12ihipStream_tbDpT10_ENKUlT_T0_E_clISt17integral_constantIbLb0EES1C_IbLb1EEEEDaS18_S19_EUlS18_E_NS1_11comp_targetILNS1_3genE3ELNS1_11target_archE908ELNS1_3gpuE7ELNS1_3repE0EEENS1_30default_config_static_selectorELNS0_4arch9wavefront6targetE0EEEvT1_
	.p2align	8
	.type	_ZN7rocprim17ROCPRIM_400000_NS6detail17trampoline_kernelINS0_14default_configENS1_25partition_config_selectorILNS1_17partition_subalgoE5ElNS0_10empty_typeEbEEZZNS1_14partition_implILS5_5ELb0ES3_mN6hipcub16HIPCUB_304000_NS21CountingInputIteratorIllEEPS6_NSA_22TransformInputIteratorIbN2at6native12_GLOBAL__N_19NonZeroOpIN3c104HalfEEEPKSK_lEENS0_5tupleIJPlS6_EEENSP_IJSD_SD_EEES6_PiJS6_EEE10hipError_tPvRmT3_T4_T5_T6_T7_T9_mT8_P12ihipStream_tbDpT10_ENKUlT_T0_E_clISt17integral_constantIbLb0EES1C_IbLb1EEEEDaS18_S19_EUlS18_E_NS1_11comp_targetILNS1_3genE3ELNS1_11target_archE908ELNS1_3gpuE7ELNS1_3repE0EEENS1_30default_config_static_selectorELNS0_4arch9wavefront6targetE0EEEvT1_,@function
_ZN7rocprim17ROCPRIM_400000_NS6detail17trampoline_kernelINS0_14default_configENS1_25partition_config_selectorILNS1_17partition_subalgoE5ElNS0_10empty_typeEbEEZZNS1_14partition_implILS5_5ELb0ES3_mN6hipcub16HIPCUB_304000_NS21CountingInputIteratorIllEEPS6_NSA_22TransformInputIteratorIbN2at6native12_GLOBAL__N_19NonZeroOpIN3c104HalfEEEPKSK_lEENS0_5tupleIJPlS6_EEENSP_IJSD_SD_EEES6_PiJS6_EEE10hipError_tPvRmT3_T4_T5_T6_T7_T9_mT8_P12ihipStream_tbDpT10_ENKUlT_T0_E_clISt17integral_constantIbLb0EES1C_IbLb1EEEEDaS18_S19_EUlS18_E_NS1_11comp_targetILNS1_3genE3ELNS1_11target_archE908ELNS1_3gpuE7ELNS1_3repE0EEENS1_30default_config_static_selectorELNS0_4arch9wavefront6targetE0EEEvT1_: ; @_ZN7rocprim17ROCPRIM_400000_NS6detail17trampoline_kernelINS0_14default_configENS1_25partition_config_selectorILNS1_17partition_subalgoE5ElNS0_10empty_typeEbEEZZNS1_14partition_implILS5_5ELb0ES3_mN6hipcub16HIPCUB_304000_NS21CountingInputIteratorIllEEPS6_NSA_22TransformInputIteratorIbN2at6native12_GLOBAL__N_19NonZeroOpIN3c104HalfEEEPKSK_lEENS0_5tupleIJPlS6_EEENSP_IJSD_SD_EEES6_PiJS6_EEE10hipError_tPvRmT3_T4_T5_T6_T7_T9_mT8_P12ihipStream_tbDpT10_ENKUlT_T0_E_clISt17integral_constantIbLb0EES1C_IbLb1EEEEDaS18_S19_EUlS18_E_NS1_11comp_targetILNS1_3genE3ELNS1_11target_archE908ELNS1_3gpuE7ELNS1_3repE0EEENS1_30default_config_static_selectorELNS0_4arch9wavefront6targetE0EEEvT1_
; %bb.0:
	.section	.rodata,"a",@progbits
	.p2align	6, 0x0
	.amdhsa_kernel _ZN7rocprim17ROCPRIM_400000_NS6detail17trampoline_kernelINS0_14default_configENS1_25partition_config_selectorILNS1_17partition_subalgoE5ElNS0_10empty_typeEbEEZZNS1_14partition_implILS5_5ELb0ES3_mN6hipcub16HIPCUB_304000_NS21CountingInputIteratorIllEEPS6_NSA_22TransformInputIteratorIbN2at6native12_GLOBAL__N_19NonZeroOpIN3c104HalfEEEPKSK_lEENS0_5tupleIJPlS6_EEENSP_IJSD_SD_EEES6_PiJS6_EEE10hipError_tPvRmT3_T4_T5_T6_T7_T9_mT8_P12ihipStream_tbDpT10_ENKUlT_T0_E_clISt17integral_constantIbLb0EES1C_IbLb1EEEEDaS18_S19_EUlS18_E_NS1_11comp_targetILNS1_3genE3ELNS1_11target_archE908ELNS1_3gpuE7ELNS1_3repE0EEENS1_30default_config_static_selectorELNS0_4arch9wavefront6targetE0EEEvT1_
		.amdhsa_group_segment_fixed_size 0
		.amdhsa_private_segment_fixed_size 0
		.amdhsa_kernarg_size 136
		.amdhsa_user_sgpr_count 2
		.amdhsa_user_sgpr_dispatch_ptr 0
		.amdhsa_user_sgpr_queue_ptr 0
		.amdhsa_user_sgpr_kernarg_segment_ptr 1
		.amdhsa_user_sgpr_dispatch_id 0
		.amdhsa_user_sgpr_private_segment_size 0
		.amdhsa_wavefront_size32 1
		.amdhsa_uses_dynamic_stack 0
		.amdhsa_enable_private_segment 0
		.amdhsa_system_sgpr_workgroup_id_x 1
		.amdhsa_system_sgpr_workgroup_id_y 0
		.amdhsa_system_sgpr_workgroup_id_z 0
		.amdhsa_system_sgpr_workgroup_info 0
		.amdhsa_system_vgpr_workitem_id 0
		.amdhsa_next_free_vgpr 1
		.amdhsa_next_free_sgpr 1
		.amdhsa_reserve_vcc 0
		.amdhsa_float_round_mode_32 0
		.amdhsa_float_round_mode_16_64 0
		.amdhsa_float_denorm_mode_32 3
		.amdhsa_float_denorm_mode_16_64 3
		.amdhsa_fp16_overflow 0
		.amdhsa_workgroup_processor_mode 1
		.amdhsa_memory_ordered 1
		.amdhsa_forward_progress 1
		.amdhsa_inst_pref_size 0
		.amdhsa_round_robin_scheduling 0
		.amdhsa_exception_fp_ieee_invalid_op 0
		.amdhsa_exception_fp_denorm_src 0
		.amdhsa_exception_fp_ieee_div_zero 0
		.amdhsa_exception_fp_ieee_overflow 0
		.amdhsa_exception_fp_ieee_underflow 0
		.amdhsa_exception_fp_ieee_inexact 0
		.amdhsa_exception_int_div_zero 0
	.end_amdhsa_kernel
	.section	.text._ZN7rocprim17ROCPRIM_400000_NS6detail17trampoline_kernelINS0_14default_configENS1_25partition_config_selectorILNS1_17partition_subalgoE5ElNS0_10empty_typeEbEEZZNS1_14partition_implILS5_5ELb0ES3_mN6hipcub16HIPCUB_304000_NS21CountingInputIteratorIllEEPS6_NSA_22TransformInputIteratorIbN2at6native12_GLOBAL__N_19NonZeroOpIN3c104HalfEEEPKSK_lEENS0_5tupleIJPlS6_EEENSP_IJSD_SD_EEES6_PiJS6_EEE10hipError_tPvRmT3_T4_T5_T6_T7_T9_mT8_P12ihipStream_tbDpT10_ENKUlT_T0_E_clISt17integral_constantIbLb0EES1C_IbLb1EEEEDaS18_S19_EUlS18_E_NS1_11comp_targetILNS1_3genE3ELNS1_11target_archE908ELNS1_3gpuE7ELNS1_3repE0EEENS1_30default_config_static_selectorELNS0_4arch9wavefront6targetE0EEEvT1_,"axG",@progbits,_ZN7rocprim17ROCPRIM_400000_NS6detail17trampoline_kernelINS0_14default_configENS1_25partition_config_selectorILNS1_17partition_subalgoE5ElNS0_10empty_typeEbEEZZNS1_14partition_implILS5_5ELb0ES3_mN6hipcub16HIPCUB_304000_NS21CountingInputIteratorIllEEPS6_NSA_22TransformInputIteratorIbN2at6native12_GLOBAL__N_19NonZeroOpIN3c104HalfEEEPKSK_lEENS0_5tupleIJPlS6_EEENSP_IJSD_SD_EEES6_PiJS6_EEE10hipError_tPvRmT3_T4_T5_T6_T7_T9_mT8_P12ihipStream_tbDpT10_ENKUlT_T0_E_clISt17integral_constantIbLb0EES1C_IbLb1EEEEDaS18_S19_EUlS18_E_NS1_11comp_targetILNS1_3genE3ELNS1_11target_archE908ELNS1_3gpuE7ELNS1_3repE0EEENS1_30default_config_static_selectorELNS0_4arch9wavefront6targetE0EEEvT1_,comdat
.Lfunc_end893:
	.size	_ZN7rocprim17ROCPRIM_400000_NS6detail17trampoline_kernelINS0_14default_configENS1_25partition_config_selectorILNS1_17partition_subalgoE5ElNS0_10empty_typeEbEEZZNS1_14partition_implILS5_5ELb0ES3_mN6hipcub16HIPCUB_304000_NS21CountingInputIteratorIllEEPS6_NSA_22TransformInputIteratorIbN2at6native12_GLOBAL__N_19NonZeroOpIN3c104HalfEEEPKSK_lEENS0_5tupleIJPlS6_EEENSP_IJSD_SD_EEES6_PiJS6_EEE10hipError_tPvRmT3_T4_T5_T6_T7_T9_mT8_P12ihipStream_tbDpT10_ENKUlT_T0_E_clISt17integral_constantIbLb0EES1C_IbLb1EEEEDaS18_S19_EUlS18_E_NS1_11comp_targetILNS1_3genE3ELNS1_11target_archE908ELNS1_3gpuE7ELNS1_3repE0EEENS1_30default_config_static_selectorELNS0_4arch9wavefront6targetE0EEEvT1_, .Lfunc_end893-_ZN7rocprim17ROCPRIM_400000_NS6detail17trampoline_kernelINS0_14default_configENS1_25partition_config_selectorILNS1_17partition_subalgoE5ElNS0_10empty_typeEbEEZZNS1_14partition_implILS5_5ELb0ES3_mN6hipcub16HIPCUB_304000_NS21CountingInputIteratorIllEEPS6_NSA_22TransformInputIteratorIbN2at6native12_GLOBAL__N_19NonZeroOpIN3c104HalfEEEPKSK_lEENS0_5tupleIJPlS6_EEENSP_IJSD_SD_EEES6_PiJS6_EEE10hipError_tPvRmT3_T4_T5_T6_T7_T9_mT8_P12ihipStream_tbDpT10_ENKUlT_T0_E_clISt17integral_constantIbLb0EES1C_IbLb1EEEEDaS18_S19_EUlS18_E_NS1_11comp_targetILNS1_3genE3ELNS1_11target_archE908ELNS1_3gpuE7ELNS1_3repE0EEENS1_30default_config_static_selectorELNS0_4arch9wavefront6targetE0EEEvT1_
                                        ; -- End function
	.set _ZN7rocprim17ROCPRIM_400000_NS6detail17trampoline_kernelINS0_14default_configENS1_25partition_config_selectorILNS1_17partition_subalgoE5ElNS0_10empty_typeEbEEZZNS1_14partition_implILS5_5ELb0ES3_mN6hipcub16HIPCUB_304000_NS21CountingInputIteratorIllEEPS6_NSA_22TransformInputIteratorIbN2at6native12_GLOBAL__N_19NonZeroOpIN3c104HalfEEEPKSK_lEENS0_5tupleIJPlS6_EEENSP_IJSD_SD_EEES6_PiJS6_EEE10hipError_tPvRmT3_T4_T5_T6_T7_T9_mT8_P12ihipStream_tbDpT10_ENKUlT_T0_E_clISt17integral_constantIbLb0EES1C_IbLb1EEEEDaS18_S19_EUlS18_E_NS1_11comp_targetILNS1_3genE3ELNS1_11target_archE908ELNS1_3gpuE7ELNS1_3repE0EEENS1_30default_config_static_selectorELNS0_4arch9wavefront6targetE0EEEvT1_.num_vgpr, 0
	.set _ZN7rocprim17ROCPRIM_400000_NS6detail17trampoline_kernelINS0_14default_configENS1_25partition_config_selectorILNS1_17partition_subalgoE5ElNS0_10empty_typeEbEEZZNS1_14partition_implILS5_5ELb0ES3_mN6hipcub16HIPCUB_304000_NS21CountingInputIteratorIllEEPS6_NSA_22TransformInputIteratorIbN2at6native12_GLOBAL__N_19NonZeroOpIN3c104HalfEEEPKSK_lEENS0_5tupleIJPlS6_EEENSP_IJSD_SD_EEES6_PiJS6_EEE10hipError_tPvRmT3_T4_T5_T6_T7_T9_mT8_P12ihipStream_tbDpT10_ENKUlT_T0_E_clISt17integral_constantIbLb0EES1C_IbLb1EEEEDaS18_S19_EUlS18_E_NS1_11comp_targetILNS1_3genE3ELNS1_11target_archE908ELNS1_3gpuE7ELNS1_3repE0EEENS1_30default_config_static_selectorELNS0_4arch9wavefront6targetE0EEEvT1_.num_agpr, 0
	.set _ZN7rocprim17ROCPRIM_400000_NS6detail17trampoline_kernelINS0_14default_configENS1_25partition_config_selectorILNS1_17partition_subalgoE5ElNS0_10empty_typeEbEEZZNS1_14partition_implILS5_5ELb0ES3_mN6hipcub16HIPCUB_304000_NS21CountingInputIteratorIllEEPS6_NSA_22TransformInputIteratorIbN2at6native12_GLOBAL__N_19NonZeroOpIN3c104HalfEEEPKSK_lEENS0_5tupleIJPlS6_EEENSP_IJSD_SD_EEES6_PiJS6_EEE10hipError_tPvRmT3_T4_T5_T6_T7_T9_mT8_P12ihipStream_tbDpT10_ENKUlT_T0_E_clISt17integral_constantIbLb0EES1C_IbLb1EEEEDaS18_S19_EUlS18_E_NS1_11comp_targetILNS1_3genE3ELNS1_11target_archE908ELNS1_3gpuE7ELNS1_3repE0EEENS1_30default_config_static_selectorELNS0_4arch9wavefront6targetE0EEEvT1_.numbered_sgpr, 0
	.set _ZN7rocprim17ROCPRIM_400000_NS6detail17trampoline_kernelINS0_14default_configENS1_25partition_config_selectorILNS1_17partition_subalgoE5ElNS0_10empty_typeEbEEZZNS1_14partition_implILS5_5ELb0ES3_mN6hipcub16HIPCUB_304000_NS21CountingInputIteratorIllEEPS6_NSA_22TransformInputIteratorIbN2at6native12_GLOBAL__N_19NonZeroOpIN3c104HalfEEEPKSK_lEENS0_5tupleIJPlS6_EEENSP_IJSD_SD_EEES6_PiJS6_EEE10hipError_tPvRmT3_T4_T5_T6_T7_T9_mT8_P12ihipStream_tbDpT10_ENKUlT_T0_E_clISt17integral_constantIbLb0EES1C_IbLb1EEEEDaS18_S19_EUlS18_E_NS1_11comp_targetILNS1_3genE3ELNS1_11target_archE908ELNS1_3gpuE7ELNS1_3repE0EEENS1_30default_config_static_selectorELNS0_4arch9wavefront6targetE0EEEvT1_.num_named_barrier, 0
	.set _ZN7rocprim17ROCPRIM_400000_NS6detail17trampoline_kernelINS0_14default_configENS1_25partition_config_selectorILNS1_17partition_subalgoE5ElNS0_10empty_typeEbEEZZNS1_14partition_implILS5_5ELb0ES3_mN6hipcub16HIPCUB_304000_NS21CountingInputIteratorIllEEPS6_NSA_22TransformInputIteratorIbN2at6native12_GLOBAL__N_19NonZeroOpIN3c104HalfEEEPKSK_lEENS0_5tupleIJPlS6_EEENSP_IJSD_SD_EEES6_PiJS6_EEE10hipError_tPvRmT3_T4_T5_T6_T7_T9_mT8_P12ihipStream_tbDpT10_ENKUlT_T0_E_clISt17integral_constantIbLb0EES1C_IbLb1EEEEDaS18_S19_EUlS18_E_NS1_11comp_targetILNS1_3genE3ELNS1_11target_archE908ELNS1_3gpuE7ELNS1_3repE0EEENS1_30default_config_static_selectorELNS0_4arch9wavefront6targetE0EEEvT1_.private_seg_size, 0
	.set _ZN7rocprim17ROCPRIM_400000_NS6detail17trampoline_kernelINS0_14default_configENS1_25partition_config_selectorILNS1_17partition_subalgoE5ElNS0_10empty_typeEbEEZZNS1_14partition_implILS5_5ELb0ES3_mN6hipcub16HIPCUB_304000_NS21CountingInputIteratorIllEEPS6_NSA_22TransformInputIteratorIbN2at6native12_GLOBAL__N_19NonZeroOpIN3c104HalfEEEPKSK_lEENS0_5tupleIJPlS6_EEENSP_IJSD_SD_EEES6_PiJS6_EEE10hipError_tPvRmT3_T4_T5_T6_T7_T9_mT8_P12ihipStream_tbDpT10_ENKUlT_T0_E_clISt17integral_constantIbLb0EES1C_IbLb1EEEEDaS18_S19_EUlS18_E_NS1_11comp_targetILNS1_3genE3ELNS1_11target_archE908ELNS1_3gpuE7ELNS1_3repE0EEENS1_30default_config_static_selectorELNS0_4arch9wavefront6targetE0EEEvT1_.uses_vcc, 0
	.set _ZN7rocprim17ROCPRIM_400000_NS6detail17trampoline_kernelINS0_14default_configENS1_25partition_config_selectorILNS1_17partition_subalgoE5ElNS0_10empty_typeEbEEZZNS1_14partition_implILS5_5ELb0ES3_mN6hipcub16HIPCUB_304000_NS21CountingInputIteratorIllEEPS6_NSA_22TransformInputIteratorIbN2at6native12_GLOBAL__N_19NonZeroOpIN3c104HalfEEEPKSK_lEENS0_5tupleIJPlS6_EEENSP_IJSD_SD_EEES6_PiJS6_EEE10hipError_tPvRmT3_T4_T5_T6_T7_T9_mT8_P12ihipStream_tbDpT10_ENKUlT_T0_E_clISt17integral_constantIbLb0EES1C_IbLb1EEEEDaS18_S19_EUlS18_E_NS1_11comp_targetILNS1_3genE3ELNS1_11target_archE908ELNS1_3gpuE7ELNS1_3repE0EEENS1_30default_config_static_selectorELNS0_4arch9wavefront6targetE0EEEvT1_.uses_flat_scratch, 0
	.set _ZN7rocprim17ROCPRIM_400000_NS6detail17trampoline_kernelINS0_14default_configENS1_25partition_config_selectorILNS1_17partition_subalgoE5ElNS0_10empty_typeEbEEZZNS1_14partition_implILS5_5ELb0ES3_mN6hipcub16HIPCUB_304000_NS21CountingInputIteratorIllEEPS6_NSA_22TransformInputIteratorIbN2at6native12_GLOBAL__N_19NonZeroOpIN3c104HalfEEEPKSK_lEENS0_5tupleIJPlS6_EEENSP_IJSD_SD_EEES6_PiJS6_EEE10hipError_tPvRmT3_T4_T5_T6_T7_T9_mT8_P12ihipStream_tbDpT10_ENKUlT_T0_E_clISt17integral_constantIbLb0EES1C_IbLb1EEEEDaS18_S19_EUlS18_E_NS1_11comp_targetILNS1_3genE3ELNS1_11target_archE908ELNS1_3gpuE7ELNS1_3repE0EEENS1_30default_config_static_selectorELNS0_4arch9wavefront6targetE0EEEvT1_.has_dyn_sized_stack, 0
	.set _ZN7rocprim17ROCPRIM_400000_NS6detail17trampoline_kernelINS0_14default_configENS1_25partition_config_selectorILNS1_17partition_subalgoE5ElNS0_10empty_typeEbEEZZNS1_14partition_implILS5_5ELb0ES3_mN6hipcub16HIPCUB_304000_NS21CountingInputIteratorIllEEPS6_NSA_22TransformInputIteratorIbN2at6native12_GLOBAL__N_19NonZeroOpIN3c104HalfEEEPKSK_lEENS0_5tupleIJPlS6_EEENSP_IJSD_SD_EEES6_PiJS6_EEE10hipError_tPvRmT3_T4_T5_T6_T7_T9_mT8_P12ihipStream_tbDpT10_ENKUlT_T0_E_clISt17integral_constantIbLb0EES1C_IbLb1EEEEDaS18_S19_EUlS18_E_NS1_11comp_targetILNS1_3genE3ELNS1_11target_archE908ELNS1_3gpuE7ELNS1_3repE0EEENS1_30default_config_static_selectorELNS0_4arch9wavefront6targetE0EEEvT1_.has_recursion, 0
	.set _ZN7rocprim17ROCPRIM_400000_NS6detail17trampoline_kernelINS0_14default_configENS1_25partition_config_selectorILNS1_17partition_subalgoE5ElNS0_10empty_typeEbEEZZNS1_14partition_implILS5_5ELb0ES3_mN6hipcub16HIPCUB_304000_NS21CountingInputIteratorIllEEPS6_NSA_22TransformInputIteratorIbN2at6native12_GLOBAL__N_19NonZeroOpIN3c104HalfEEEPKSK_lEENS0_5tupleIJPlS6_EEENSP_IJSD_SD_EEES6_PiJS6_EEE10hipError_tPvRmT3_T4_T5_T6_T7_T9_mT8_P12ihipStream_tbDpT10_ENKUlT_T0_E_clISt17integral_constantIbLb0EES1C_IbLb1EEEEDaS18_S19_EUlS18_E_NS1_11comp_targetILNS1_3genE3ELNS1_11target_archE908ELNS1_3gpuE7ELNS1_3repE0EEENS1_30default_config_static_selectorELNS0_4arch9wavefront6targetE0EEEvT1_.has_indirect_call, 0
	.section	.AMDGPU.csdata,"",@progbits
; Kernel info:
; codeLenInByte = 0
; TotalNumSgprs: 0
; NumVgprs: 0
; ScratchSize: 0
; MemoryBound: 0
; FloatMode: 240
; IeeeMode: 1
; LDSByteSize: 0 bytes/workgroup (compile time only)
; SGPRBlocks: 0
; VGPRBlocks: 0
; NumSGPRsForWavesPerEU: 1
; NumVGPRsForWavesPerEU: 1
; Occupancy: 16
; WaveLimiterHint : 0
; COMPUTE_PGM_RSRC2:SCRATCH_EN: 0
; COMPUTE_PGM_RSRC2:USER_SGPR: 2
; COMPUTE_PGM_RSRC2:TRAP_HANDLER: 0
; COMPUTE_PGM_RSRC2:TGID_X_EN: 1
; COMPUTE_PGM_RSRC2:TGID_Y_EN: 0
; COMPUTE_PGM_RSRC2:TGID_Z_EN: 0
; COMPUTE_PGM_RSRC2:TIDIG_COMP_CNT: 0
	.section	.text._ZN7rocprim17ROCPRIM_400000_NS6detail17trampoline_kernelINS0_14default_configENS1_25partition_config_selectorILNS1_17partition_subalgoE5ElNS0_10empty_typeEbEEZZNS1_14partition_implILS5_5ELb0ES3_mN6hipcub16HIPCUB_304000_NS21CountingInputIteratorIllEEPS6_NSA_22TransformInputIteratorIbN2at6native12_GLOBAL__N_19NonZeroOpIN3c104HalfEEEPKSK_lEENS0_5tupleIJPlS6_EEENSP_IJSD_SD_EEES6_PiJS6_EEE10hipError_tPvRmT3_T4_T5_T6_T7_T9_mT8_P12ihipStream_tbDpT10_ENKUlT_T0_E_clISt17integral_constantIbLb0EES1C_IbLb1EEEEDaS18_S19_EUlS18_E_NS1_11comp_targetILNS1_3genE2ELNS1_11target_archE906ELNS1_3gpuE6ELNS1_3repE0EEENS1_30default_config_static_selectorELNS0_4arch9wavefront6targetE0EEEvT1_,"axG",@progbits,_ZN7rocprim17ROCPRIM_400000_NS6detail17trampoline_kernelINS0_14default_configENS1_25partition_config_selectorILNS1_17partition_subalgoE5ElNS0_10empty_typeEbEEZZNS1_14partition_implILS5_5ELb0ES3_mN6hipcub16HIPCUB_304000_NS21CountingInputIteratorIllEEPS6_NSA_22TransformInputIteratorIbN2at6native12_GLOBAL__N_19NonZeroOpIN3c104HalfEEEPKSK_lEENS0_5tupleIJPlS6_EEENSP_IJSD_SD_EEES6_PiJS6_EEE10hipError_tPvRmT3_T4_T5_T6_T7_T9_mT8_P12ihipStream_tbDpT10_ENKUlT_T0_E_clISt17integral_constantIbLb0EES1C_IbLb1EEEEDaS18_S19_EUlS18_E_NS1_11comp_targetILNS1_3genE2ELNS1_11target_archE906ELNS1_3gpuE6ELNS1_3repE0EEENS1_30default_config_static_selectorELNS0_4arch9wavefront6targetE0EEEvT1_,comdat
	.globl	_ZN7rocprim17ROCPRIM_400000_NS6detail17trampoline_kernelINS0_14default_configENS1_25partition_config_selectorILNS1_17partition_subalgoE5ElNS0_10empty_typeEbEEZZNS1_14partition_implILS5_5ELb0ES3_mN6hipcub16HIPCUB_304000_NS21CountingInputIteratorIllEEPS6_NSA_22TransformInputIteratorIbN2at6native12_GLOBAL__N_19NonZeroOpIN3c104HalfEEEPKSK_lEENS0_5tupleIJPlS6_EEENSP_IJSD_SD_EEES6_PiJS6_EEE10hipError_tPvRmT3_T4_T5_T6_T7_T9_mT8_P12ihipStream_tbDpT10_ENKUlT_T0_E_clISt17integral_constantIbLb0EES1C_IbLb1EEEEDaS18_S19_EUlS18_E_NS1_11comp_targetILNS1_3genE2ELNS1_11target_archE906ELNS1_3gpuE6ELNS1_3repE0EEENS1_30default_config_static_selectorELNS0_4arch9wavefront6targetE0EEEvT1_ ; -- Begin function _ZN7rocprim17ROCPRIM_400000_NS6detail17trampoline_kernelINS0_14default_configENS1_25partition_config_selectorILNS1_17partition_subalgoE5ElNS0_10empty_typeEbEEZZNS1_14partition_implILS5_5ELb0ES3_mN6hipcub16HIPCUB_304000_NS21CountingInputIteratorIllEEPS6_NSA_22TransformInputIteratorIbN2at6native12_GLOBAL__N_19NonZeroOpIN3c104HalfEEEPKSK_lEENS0_5tupleIJPlS6_EEENSP_IJSD_SD_EEES6_PiJS6_EEE10hipError_tPvRmT3_T4_T5_T6_T7_T9_mT8_P12ihipStream_tbDpT10_ENKUlT_T0_E_clISt17integral_constantIbLb0EES1C_IbLb1EEEEDaS18_S19_EUlS18_E_NS1_11comp_targetILNS1_3genE2ELNS1_11target_archE906ELNS1_3gpuE6ELNS1_3repE0EEENS1_30default_config_static_selectorELNS0_4arch9wavefront6targetE0EEEvT1_
	.p2align	8
	.type	_ZN7rocprim17ROCPRIM_400000_NS6detail17trampoline_kernelINS0_14default_configENS1_25partition_config_selectorILNS1_17partition_subalgoE5ElNS0_10empty_typeEbEEZZNS1_14partition_implILS5_5ELb0ES3_mN6hipcub16HIPCUB_304000_NS21CountingInputIteratorIllEEPS6_NSA_22TransformInputIteratorIbN2at6native12_GLOBAL__N_19NonZeroOpIN3c104HalfEEEPKSK_lEENS0_5tupleIJPlS6_EEENSP_IJSD_SD_EEES6_PiJS6_EEE10hipError_tPvRmT3_T4_T5_T6_T7_T9_mT8_P12ihipStream_tbDpT10_ENKUlT_T0_E_clISt17integral_constantIbLb0EES1C_IbLb1EEEEDaS18_S19_EUlS18_E_NS1_11comp_targetILNS1_3genE2ELNS1_11target_archE906ELNS1_3gpuE6ELNS1_3repE0EEENS1_30default_config_static_selectorELNS0_4arch9wavefront6targetE0EEEvT1_,@function
_ZN7rocprim17ROCPRIM_400000_NS6detail17trampoline_kernelINS0_14default_configENS1_25partition_config_selectorILNS1_17partition_subalgoE5ElNS0_10empty_typeEbEEZZNS1_14partition_implILS5_5ELb0ES3_mN6hipcub16HIPCUB_304000_NS21CountingInputIteratorIllEEPS6_NSA_22TransformInputIteratorIbN2at6native12_GLOBAL__N_19NonZeroOpIN3c104HalfEEEPKSK_lEENS0_5tupleIJPlS6_EEENSP_IJSD_SD_EEES6_PiJS6_EEE10hipError_tPvRmT3_T4_T5_T6_T7_T9_mT8_P12ihipStream_tbDpT10_ENKUlT_T0_E_clISt17integral_constantIbLb0EES1C_IbLb1EEEEDaS18_S19_EUlS18_E_NS1_11comp_targetILNS1_3genE2ELNS1_11target_archE906ELNS1_3gpuE6ELNS1_3repE0EEENS1_30default_config_static_selectorELNS0_4arch9wavefront6targetE0EEEvT1_: ; @_ZN7rocprim17ROCPRIM_400000_NS6detail17trampoline_kernelINS0_14default_configENS1_25partition_config_selectorILNS1_17partition_subalgoE5ElNS0_10empty_typeEbEEZZNS1_14partition_implILS5_5ELb0ES3_mN6hipcub16HIPCUB_304000_NS21CountingInputIteratorIllEEPS6_NSA_22TransformInputIteratorIbN2at6native12_GLOBAL__N_19NonZeroOpIN3c104HalfEEEPKSK_lEENS0_5tupleIJPlS6_EEENSP_IJSD_SD_EEES6_PiJS6_EEE10hipError_tPvRmT3_T4_T5_T6_T7_T9_mT8_P12ihipStream_tbDpT10_ENKUlT_T0_E_clISt17integral_constantIbLb0EES1C_IbLb1EEEEDaS18_S19_EUlS18_E_NS1_11comp_targetILNS1_3genE2ELNS1_11target_archE906ELNS1_3gpuE6ELNS1_3repE0EEENS1_30default_config_static_selectorELNS0_4arch9wavefront6targetE0EEEvT1_
; %bb.0:
	.section	.rodata,"a",@progbits
	.p2align	6, 0x0
	.amdhsa_kernel _ZN7rocprim17ROCPRIM_400000_NS6detail17trampoline_kernelINS0_14default_configENS1_25partition_config_selectorILNS1_17partition_subalgoE5ElNS0_10empty_typeEbEEZZNS1_14partition_implILS5_5ELb0ES3_mN6hipcub16HIPCUB_304000_NS21CountingInputIteratorIllEEPS6_NSA_22TransformInputIteratorIbN2at6native12_GLOBAL__N_19NonZeroOpIN3c104HalfEEEPKSK_lEENS0_5tupleIJPlS6_EEENSP_IJSD_SD_EEES6_PiJS6_EEE10hipError_tPvRmT3_T4_T5_T6_T7_T9_mT8_P12ihipStream_tbDpT10_ENKUlT_T0_E_clISt17integral_constantIbLb0EES1C_IbLb1EEEEDaS18_S19_EUlS18_E_NS1_11comp_targetILNS1_3genE2ELNS1_11target_archE906ELNS1_3gpuE6ELNS1_3repE0EEENS1_30default_config_static_selectorELNS0_4arch9wavefront6targetE0EEEvT1_
		.amdhsa_group_segment_fixed_size 0
		.amdhsa_private_segment_fixed_size 0
		.amdhsa_kernarg_size 136
		.amdhsa_user_sgpr_count 2
		.amdhsa_user_sgpr_dispatch_ptr 0
		.amdhsa_user_sgpr_queue_ptr 0
		.amdhsa_user_sgpr_kernarg_segment_ptr 1
		.amdhsa_user_sgpr_dispatch_id 0
		.amdhsa_user_sgpr_private_segment_size 0
		.amdhsa_wavefront_size32 1
		.amdhsa_uses_dynamic_stack 0
		.amdhsa_enable_private_segment 0
		.amdhsa_system_sgpr_workgroup_id_x 1
		.amdhsa_system_sgpr_workgroup_id_y 0
		.amdhsa_system_sgpr_workgroup_id_z 0
		.amdhsa_system_sgpr_workgroup_info 0
		.amdhsa_system_vgpr_workitem_id 0
		.amdhsa_next_free_vgpr 1
		.amdhsa_next_free_sgpr 1
		.amdhsa_reserve_vcc 0
		.amdhsa_float_round_mode_32 0
		.amdhsa_float_round_mode_16_64 0
		.amdhsa_float_denorm_mode_32 3
		.amdhsa_float_denorm_mode_16_64 3
		.amdhsa_fp16_overflow 0
		.amdhsa_workgroup_processor_mode 1
		.amdhsa_memory_ordered 1
		.amdhsa_forward_progress 1
		.amdhsa_inst_pref_size 0
		.amdhsa_round_robin_scheduling 0
		.amdhsa_exception_fp_ieee_invalid_op 0
		.amdhsa_exception_fp_denorm_src 0
		.amdhsa_exception_fp_ieee_div_zero 0
		.amdhsa_exception_fp_ieee_overflow 0
		.amdhsa_exception_fp_ieee_underflow 0
		.amdhsa_exception_fp_ieee_inexact 0
		.amdhsa_exception_int_div_zero 0
	.end_amdhsa_kernel
	.section	.text._ZN7rocprim17ROCPRIM_400000_NS6detail17trampoline_kernelINS0_14default_configENS1_25partition_config_selectorILNS1_17partition_subalgoE5ElNS0_10empty_typeEbEEZZNS1_14partition_implILS5_5ELb0ES3_mN6hipcub16HIPCUB_304000_NS21CountingInputIteratorIllEEPS6_NSA_22TransformInputIteratorIbN2at6native12_GLOBAL__N_19NonZeroOpIN3c104HalfEEEPKSK_lEENS0_5tupleIJPlS6_EEENSP_IJSD_SD_EEES6_PiJS6_EEE10hipError_tPvRmT3_T4_T5_T6_T7_T9_mT8_P12ihipStream_tbDpT10_ENKUlT_T0_E_clISt17integral_constantIbLb0EES1C_IbLb1EEEEDaS18_S19_EUlS18_E_NS1_11comp_targetILNS1_3genE2ELNS1_11target_archE906ELNS1_3gpuE6ELNS1_3repE0EEENS1_30default_config_static_selectorELNS0_4arch9wavefront6targetE0EEEvT1_,"axG",@progbits,_ZN7rocprim17ROCPRIM_400000_NS6detail17trampoline_kernelINS0_14default_configENS1_25partition_config_selectorILNS1_17partition_subalgoE5ElNS0_10empty_typeEbEEZZNS1_14partition_implILS5_5ELb0ES3_mN6hipcub16HIPCUB_304000_NS21CountingInputIteratorIllEEPS6_NSA_22TransformInputIteratorIbN2at6native12_GLOBAL__N_19NonZeroOpIN3c104HalfEEEPKSK_lEENS0_5tupleIJPlS6_EEENSP_IJSD_SD_EEES6_PiJS6_EEE10hipError_tPvRmT3_T4_T5_T6_T7_T9_mT8_P12ihipStream_tbDpT10_ENKUlT_T0_E_clISt17integral_constantIbLb0EES1C_IbLb1EEEEDaS18_S19_EUlS18_E_NS1_11comp_targetILNS1_3genE2ELNS1_11target_archE906ELNS1_3gpuE6ELNS1_3repE0EEENS1_30default_config_static_selectorELNS0_4arch9wavefront6targetE0EEEvT1_,comdat
.Lfunc_end894:
	.size	_ZN7rocprim17ROCPRIM_400000_NS6detail17trampoline_kernelINS0_14default_configENS1_25partition_config_selectorILNS1_17partition_subalgoE5ElNS0_10empty_typeEbEEZZNS1_14partition_implILS5_5ELb0ES3_mN6hipcub16HIPCUB_304000_NS21CountingInputIteratorIllEEPS6_NSA_22TransformInputIteratorIbN2at6native12_GLOBAL__N_19NonZeroOpIN3c104HalfEEEPKSK_lEENS0_5tupleIJPlS6_EEENSP_IJSD_SD_EEES6_PiJS6_EEE10hipError_tPvRmT3_T4_T5_T6_T7_T9_mT8_P12ihipStream_tbDpT10_ENKUlT_T0_E_clISt17integral_constantIbLb0EES1C_IbLb1EEEEDaS18_S19_EUlS18_E_NS1_11comp_targetILNS1_3genE2ELNS1_11target_archE906ELNS1_3gpuE6ELNS1_3repE0EEENS1_30default_config_static_selectorELNS0_4arch9wavefront6targetE0EEEvT1_, .Lfunc_end894-_ZN7rocprim17ROCPRIM_400000_NS6detail17trampoline_kernelINS0_14default_configENS1_25partition_config_selectorILNS1_17partition_subalgoE5ElNS0_10empty_typeEbEEZZNS1_14partition_implILS5_5ELb0ES3_mN6hipcub16HIPCUB_304000_NS21CountingInputIteratorIllEEPS6_NSA_22TransformInputIteratorIbN2at6native12_GLOBAL__N_19NonZeroOpIN3c104HalfEEEPKSK_lEENS0_5tupleIJPlS6_EEENSP_IJSD_SD_EEES6_PiJS6_EEE10hipError_tPvRmT3_T4_T5_T6_T7_T9_mT8_P12ihipStream_tbDpT10_ENKUlT_T0_E_clISt17integral_constantIbLb0EES1C_IbLb1EEEEDaS18_S19_EUlS18_E_NS1_11comp_targetILNS1_3genE2ELNS1_11target_archE906ELNS1_3gpuE6ELNS1_3repE0EEENS1_30default_config_static_selectorELNS0_4arch9wavefront6targetE0EEEvT1_
                                        ; -- End function
	.set _ZN7rocprim17ROCPRIM_400000_NS6detail17trampoline_kernelINS0_14default_configENS1_25partition_config_selectorILNS1_17partition_subalgoE5ElNS0_10empty_typeEbEEZZNS1_14partition_implILS5_5ELb0ES3_mN6hipcub16HIPCUB_304000_NS21CountingInputIteratorIllEEPS6_NSA_22TransformInputIteratorIbN2at6native12_GLOBAL__N_19NonZeroOpIN3c104HalfEEEPKSK_lEENS0_5tupleIJPlS6_EEENSP_IJSD_SD_EEES6_PiJS6_EEE10hipError_tPvRmT3_T4_T5_T6_T7_T9_mT8_P12ihipStream_tbDpT10_ENKUlT_T0_E_clISt17integral_constantIbLb0EES1C_IbLb1EEEEDaS18_S19_EUlS18_E_NS1_11comp_targetILNS1_3genE2ELNS1_11target_archE906ELNS1_3gpuE6ELNS1_3repE0EEENS1_30default_config_static_selectorELNS0_4arch9wavefront6targetE0EEEvT1_.num_vgpr, 0
	.set _ZN7rocprim17ROCPRIM_400000_NS6detail17trampoline_kernelINS0_14default_configENS1_25partition_config_selectorILNS1_17partition_subalgoE5ElNS0_10empty_typeEbEEZZNS1_14partition_implILS5_5ELb0ES3_mN6hipcub16HIPCUB_304000_NS21CountingInputIteratorIllEEPS6_NSA_22TransformInputIteratorIbN2at6native12_GLOBAL__N_19NonZeroOpIN3c104HalfEEEPKSK_lEENS0_5tupleIJPlS6_EEENSP_IJSD_SD_EEES6_PiJS6_EEE10hipError_tPvRmT3_T4_T5_T6_T7_T9_mT8_P12ihipStream_tbDpT10_ENKUlT_T0_E_clISt17integral_constantIbLb0EES1C_IbLb1EEEEDaS18_S19_EUlS18_E_NS1_11comp_targetILNS1_3genE2ELNS1_11target_archE906ELNS1_3gpuE6ELNS1_3repE0EEENS1_30default_config_static_selectorELNS0_4arch9wavefront6targetE0EEEvT1_.num_agpr, 0
	.set _ZN7rocprim17ROCPRIM_400000_NS6detail17trampoline_kernelINS0_14default_configENS1_25partition_config_selectorILNS1_17partition_subalgoE5ElNS0_10empty_typeEbEEZZNS1_14partition_implILS5_5ELb0ES3_mN6hipcub16HIPCUB_304000_NS21CountingInputIteratorIllEEPS6_NSA_22TransformInputIteratorIbN2at6native12_GLOBAL__N_19NonZeroOpIN3c104HalfEEEPKSK_lEENS0_5tupleIJPlS6_EEENSP_IJSD_SD_EEES6_PiJS6_EEE10hipError_tPvRmT3_T4_T5_T6_T7_T9_mT8_P12ihipStream_tbDpT10_ENKUlT_T0_E_clISt17integral_constantIbLb0EES1C_IbLb1EEEEDaS18_S19_EUlS18_E_NS1_11comp_targetILNS1_3genE2ELNS1_11target_archE906ELNS1_3gpuE6ELNS1_3repE0EEENS1_30default_config_static_selectorELNS0_4arch9wavefront6targetE0EEEvT1_.numbered_sgpr, 0
	.set _ZN7rocprim17ROCPRIM_400000_NS6detail17trampoline_kernelINS0_14default_configENS1_25partition_config_selectorILNS1_17partition_subalgoE5ElNS0_10empty_typeEbEEZZNS1_14partition_implILS5_5ELb0ES3_mN6hipcub16HIPCUB_304000_NS21CountingInputIteratorIllEEPS6_NSA_22TransformInputIteratorIbN2at6native12_GLOBAL__N_19NonZeroOpIN3c104HalfEEEPKSK_lEENS0_5tupleIJPlS6_EEENSP_IJSD_SD_EEES6_PiJS6_EEE10hipError_tPvRmT3_T4_T5_T6_T7_T9_mT8_P12ihipStream_tbDpT10_ENKUlT_T0_E_clISt17integral_constantIbLb0EES1C_IbLb1EEEEDaS18_S19_EUlS18_E_NS1_11comp_targetILNS1_3genE2ELNS1_11target_archE906ELNS1_3gpuE6ELNS1_3repE0EEENS1_30default_config_static_selectorELNS0_4arch9wavefront6targetE0EEEvT1_.num_named_barrier, 0
	.set _ZN7rocprim17ROCPRIM_400000_NS6detail17trampoline_kernelINS0_14default_configENS1_25partition_config_selectorILNS1_17partition_subalgoE5ElNS0_10empty_typeEbEEZZNS1_14partition_implILS5_5ELb0ES3_mN6hipcub16HIPCUB_304000_NS21CountingInputIteratorIllEEPS6_NSA_22TransformInputIteratorIbN2at6native12_GLOBAL__N_19NonZeroOpIN3c104HalfEEEPKSK_lEENS0_5tupleIJPlS6_EEENSP_IJSD_SD_EEES6_PiJS6_EEE10hipError_tPvRmT3_T4_T5_T6_T7_T9_mT8_P12ihipStream_tbDpT10_ENKUlT_T0_E_clISt17integral_constantIbLb0EES1C_IbLb1EEEEDaS18_S19_EUlS18_E_NS1_11comp_targetILNS1_3genE2ELNS1_11target_archE906ELNS1_3gpuE6ELNS1_3repE0EEENS1_30default_config_static_selectorELNS0_4arch9wavefront6targetE0EEEvT1_.private_seg_size, 0
	.set _ZN7rocprim17ROCPRIM_400000_NS6detail17trampoline_kernelINS0_14default_configENS1_25partition_config_selectorILNS1_17partition_subalgoE5ElNS0_10empty_typeEbEEZZNS1_14partition_implILS5_5ELb0ES3_mN6hipcub16HIPCUB_304000_NS21CountingInputIteratorIllEEPS6_NSA_22TransformInputIteratorIbN2at6native12_GLOBAL__N_19NonZeroOpIN3c104HalfEEEPKSK_lEENS0_5tupleIJPlS6_EEENSP_IJSD_SD_EEES6_PiJS6_EEE10hipError_tPvRmT3_T4_T5_T6_T7_T9_mT8_P12ihipStream_tbDpT10_ENKUlT_T0_E_clISt17integral_constantIbLb0EES1C_IbLb1EEEEDaS18_S19_EUlS18_E_NS1_11comp_targetILNS1_3genE2ELNS1_11target_archE906ELNS1_3gpuE6ELNS1_3repE0EEENS1_30default_config_static_selectorELNS0_4arch9wavefront6targetE0EEEvT1_.uses_vcc, 0
	.set _ZN7rocprim17ROCPRIM_400000_NS6detail17trampoline_kernelINS0_14default_configENS1_25partition_config_selectorILNS1_17partition_subalgoE5ElNS0_10empty_typeEbEEZZNS1_14partition_implILS5_5ELb0ES3_mN6hipcub16HIPCUB_304000_NS21CountingInputIteratorIllEEPS6_NSA_22TransformInputIteratorIbN2at6native12_GLOBAL__N_19NonZeroOpIN3c104HalfEEEPKSK_lEENS0_5tupleIJPlS6_EEENSP_IJSD_SD_EEES6_PiJS6_EEE10hipError_tPvRmT3_T4_T5_T6_T7_T9_mT8_P12ihipStream_tbDpT10_ENKUlT_T0_E_clISt17integral_constantIbLb0EES1C_IbLb1EEEEDaS18_S19_EUlS18_E_NS1_11comp_targetILNS1_3genE2ELNS1_11target_archE906ELNS1_3gpuE6ELNS1_3repE0EEENS1_30default_config_static_selectorELNS0_4arch9wavefront6targetE0EEEvT1_.uses_flat_scratch, 0
	.set _ZN7rocprim17ROCPRIM_400000_NS6detail17trampoline_kernelINS0_14default_configENS1_25partition_config_selectorILNS1_17partition_subalgoE5ElNS0_10empty_typeEbEEZZNS1_14partition_implILS5_5ELb0ES3_mN6hipcub16HIPCUB_304000_NS21CountingInputIteratorIllEEPS6_NSA_22TransformInputIteratorIbN2at6native12_GLOBAL__N_19NonZeroOpIN3c104HalfEEEPKSK_lEENS0_5tupleIJPlS6_EEENSP_IJSD_SD_EEES6_PiJS6_EEE10hipError_tPvRmT3_T4_T5_T6_T7_T9_mT8_P12ihipStream_tbDpT10_ENKUlT_T0_E_clISt17integral_constantIbLb0EES1C_IbLb1EEEEDaS18_S19_EUlS18_E_NS1_11comp_targetILNS1_3genE2ELNS1_11target_archE906ELNS1_3gpuE6ELNS1_3repE0EEENS1_30default_config_static_selectorELNS0_4arch9wavefront6targetE0EEEvT1_.has_dyn_sized_stack, 0
	.set _ZN7rocprim17ROCPRIM_400000_NS6detail17trampoline_kernelINS0_14default_configENS1_25partition_config_selectorILNS1_17partition_subalgoE5ElNS0_10empty_typeEbEEZZNS1_14partition_implILS5_5ELb0ES3_mN6hipcub16HIPCUB_304000_NS21CountingInputIteratorIllEEPS6_NSA_22TransformInputIteratorIbN2at6native12_GLOBAL__N_19NonZeroOpIN3c104HalfEEEPKSK_lEENS0_5tupleIJPlS6_EEENSP_IJSD_SD_EEES6_PiJS6_EEE10hipError_tPvRmT3_T4_T5_T6_T7_T9_mT8_P12ihipStream_tbDpT10_ENKUlT_T0_E_clISt17integral_constantIbLb0EES1C_IbLb1EEEEDaS18_S19_EUlS18_E_NS1_11comp_targetILNS1_3genE2ELNS1_11target_archE906ELNS1_3gpuE6ELNS1_3repE0EEENS1_30default_config_static_selectorELNS0_4arch9wavefront6targetE0EEEvT1_.has_recursion, 0
	.set _ZN7rocprim17ROCPRIM_400000_NS6detail17trampoline_kernelINS0_14default_configENS1_25partition_config_selectorILNS1_17partition_subalgoE5ElNS0_10empty_typeEbEEZZNS1_14partition_implILS5_5ELb0ES3_mN6hipcub16HIPCUB_304000_NS21CountingInputIteratorIllEEPS6_NSA_22TransformInputIteratorIbN2at6native12_GLOBAL__N_19NonZeroOpIN3c104HalfEEEPKSK_lEENS0_5tupleIJPlS6_EEENSP_IJSD_SD_EEES6_PiJS6_EEE10hipError_tPvRmT3_T4_T5_T6_T7_T9_mT8_P12ihipStream_tbDpT10_ENKUlT_T0_E_clISt17integral_constantIbLb0EES1C_IbLb1EEEEDaS18_S19_EUlS18_E_NS1_11comp_targetILNS1_3genE2ELNS1_11target_archE906ELNS1_3gpuE6ELNS1_3repE0EEENS1_30default_config_static_selectorELNS0_4arch9wavefront6targetE0EEEvT1_.has_indirect_call, 0
	.section	.AMDGPU.csdata,"",@progbits
; Kernel info:
; codeLenInByte = 0
; TotalNumSgprs: 0
; NumVgprs: 0
; ScratchSize: 0
; MemoryBound: 0
; FloatMode: 240
; IeeeMode: 1
; LDSByteSize: 0 bytes/workgroup (compile time only)
; SGPRBlocks: 0
; VGPRBlocks: 0
; NumSGPRsForWavesPerEU: 1
; NumVGPRsForWavesPerEU: 1
; Occupancy: 16
; WaveLimiterHint : 0
; COMPUTE_PGM_RSRC2:SCRATCH_EN: 0
; COMPUTE_PGM_RSRC2:USER_SGPR: 2
; COMPUTE_PGM_RSRC2:TRAP_HANDLER: 0
; COMPUTE_PGM_RSRC2:TGID_X_EN: 1
; COMPUTE_PGM_RSRC2:TGID_Y_EN: 0
; COMPUTE_PGM_RSRC2:TGID_Z_EN: 0
; COMPUTE_PGM_RSRC2:TIDIG_COMP_CNT: 0
	.section	.text._ZN7rocprim17ROCPRIM_400000_NS6detail17trampoline_kernelINS0_14default_configENS1_25partition_config_selectorILNS1_17partition_subalgoE5ElNS0_10empty_typeEbEEZZNS1_14partition_implILS5_5ELb0ES3_mN6hipcub16HIPCUB_304000_NS21CountingInputIteratorIllEEPS6_NSA_22TransformInputIteratorIbN2at6native12_GLOBAL__N_19NonZeroOpIN3c104HalfEEEPKSK_lEENS0_5tupleIJPlS6_EEENSP_IJSD_SD_EEES6_PiJS6_EEE10hipError_tPvRmT3_T4_T5_T6_T7_T9_mT8_P12ihipStream_tbDpT10_ENKUlT_T0_E_clISt17integral_constantIbLb0EES1C_IbLb1EEEEDaS18_S19_EUlS18_E_NS1_11comp_targetILNS1_3genE10ELNS1_11target_archE1200ELNS1_3gpuE4ELNS1_3repE0EEENS1_30default_config_static_selectorELNS0_4arch9wavefront6targetE0EEEvT1_,"axG",@progbits,_ZN7rocprim17ROCPRIM_400000_NS6detail17trampoline_kernelINS0_14default_configENS1_25partition_config_selectorILNS1_17partition_subalgoE5ElNS0_10empty_typeEbEEZZNS1_14partition_implILS5_5ELb0ES3_mN6hipcub16HIPCUB_304000_NS21CountingInputIteratorIllEEPS6_NSA_22TransformInputIteratorIbN2at6native12_GLOBAL__N_19NonZeroOpIN3c104HalfEEEPKSK_lEENS0_5tupleIJPlS6_EEENSP_IJSD_SD_EEES6_PiJS6_EEE10hipError_tPvRmT3_T4_T5_T6_T7_T9_mT8_P12ihipStream_tbDpT10_ENKUlT_T0_E_clISt17integral_constantIbLb0EES1C_IbLb1EEEEDaS18_S19_EUlS18_E_NS1_11comp_targetILNS1_3genE10ELNS1_11target_archE1200ELNS1_3gpuE4ELNS1_3repE0EEENS1_30default_config_static_selectorELNS0_4arch9wavefront6targetE0EEEvT1_,comdat
	.globl	_ZN7rocprim17ROCPRIM_400000_NS6detail17trampoline_kernelINS0_14default_configENS1_25partition_config_selectorILNS1_17partition_subalgoE5ElNS0_10empty_typeEbEEZZNS1_14partition_implILS5_5ELb0ES3_mN6hipcub16HIPCUB_304000_NS21CountingInputIteratorIllEEPS6_NSA_22TransformInputIteratorIbN2at6native12_GLOBAL__N_19NonZeroOpIN3c104HalfEEEPKSK_lEENS0_5tupleIJPlS6_EEENSP_IJSD_SD_EEES6_PiJS6_EEE10hipError_tPvRmT3_T4_T5_T6_T7_T9_mT8_P12ihipStream_tbDpT10_ENKUlT_T0_E_clISt17integral_constantIbLb0EES1C_IbLb1EEEEDaS18_S19_EUlS18_E_NS1_11comp_targetILNS1_3genE10ELNS1_11target_archE1200ELNS1_3gpuE4ELNS1_3repE0EEENS1_30default_config_static_selectorELNS0_4arch9wavefront6targetE0EEEvT1_ ; -- Begin function _ZN7rocprim17ROCPRIM_400000_NS6detail17trampoline_kernelINS0_14default_configENS1_25partition_config_selectorILNS1_17partition_subalgoE5ElNS0_10empty_typeEbEEZZNS1_14partition_implILS5_5ELb0ES3_mN6hipcub16HIPCUB_304000_NS21CountingInputIteratorIllEEPS6_NSA_22TransformInputIteratorIbN2at6native12_GLOBAL__N_19NonZeroOpIN3c104HalfEEEPKSK_lEENS0_5tupleIJPlS6_EEENSP_IJSD_SD_EEES6_PiJS6_EEE10hipError_tPvRmT3_T4_T5_T6_T7_T9_mT8_P12ihipStream_tbDpT10_ENKUlT_T0_E_clISt17integral_constantIbLb0EES1C_IbLb1EEEEDaS18_S19_EUlS18_E_NS1_11comp_targetILNS1_3genE10ELNS1_11target_archE1200ELNS1_3gpuE4ELNS1_3repE0EEENS1_30default_config_static_selectorELNS0_4arch9wavefront6targetE0EEEvT1_
	.p2align	8
	.type	_ZN7rocprim17ROCPRIM_400000_NS6detail17trampoline_kernelINS0_14default_configENS1_25partition_config_selectorILNS1_17partition_subalgoE5ElNS0_10empty_typeEbEEZZNS1_14partition_implILS5_5ELb0ES3_mN6hipcub16HIPCUB_304000_NS21CountingInputIteratorIllEEPS6_NSA_22TransformInputIteratorIbN2at6native12_GLOBAL__N_19NonZeroOpIN3c104HalfEEEPKSK_lEENS0_5tupleIJPlS6_EEENSP_IJSD_SD_EEES6_PiJS6_EEE10hipError_tPvRmT3_T4_T5_T6_T7_T9_mT8_P12ihipStream_tbDpT10_ENKUlT_T0_E_clISt17integral_constantIbLb0EES1C_IbLb1EEEEDaS18_S19_EUlS18_E_NS1_11comp_targetILNS1_3genE10ELNS1_11target_archE1200ELNS1_3gpuE4ELNS1_3repE0EEENS1_30default_config_static_selectorELNS0_4arch9wavefront6targetE0EEEvT1_,@function
_ZN7rocprim17ROCPRIM_400000_NS6detail17trampoline_kernelINS0_14default_configENS1_25partition_config_selectorILNS1_17partition_subalgoE5ElNS0_10empty_typeEbEEZZNS1_14partition_implILS5_5ELb0ES3_mN6hipcub16HIPCUB_304000_NS21CountingInputIteratorIllEEPS6_NSA_22TransformInputIteratorIbN2at6native12_GLOBAL__N_19NonZeroOpIN3c104HalfEEEPKSK_lEENS0_5tupleIJPlS6_EEENSP_IJSD_SD_EEES6_PiJS6_EEE10hipError_tPvRmT3_T4_T5_T6_T7_T9_mT8_P12ihipStream_tbDpT10_ENKUlT_T0_E_clISt17integral_constantIbLb0EES1C_IbLb1EEEEDaS18_S19_EUlS18_E_NS1_11comp_targetILNS1_3genE10ELNS1_11target_archE1200ELNS1_3gpuE4ELNS1_3repE0EEENS1_30default_config_static_selectorELNS0_4arch9wavefront6targetE0EEEvT1_: ; @_ZN7rocprim17ROCPRIM_400000_NS6detail17trampoline_kernelINS0_14default_configENS1_25partition_config_selectorILNS1_17partition_subalgoE5ElNS0_10empty_typeEbEEZZNS1_14partition_implILS5_5ELb0ES3_mN6hipcub16HIPCUB_304000_NS21CountingInputIteratorIllEEPS6_NSA_22TransformInputIteratorIbN2at6native12_GLOBAL__N_19NonZeroOpIN3c104HalfEEEPKSK_lEENS0_5tupleIJPlS6_EEENSP_IJSD_SD_EEES6_PiJS6_EEE10hipError_tPvRmT3_T4_T5_T6_T7_T9_mT8_P12ihipStream_tbDpT10_ENKUlT_T0_E_clISt17integral_constantIbLb0EES1C_IbLb1EEEEDaS18_S19_EUlS18_E_NS1_11comp_targetILNS1_3genE10ELNS1_11target_archE1200ELNS1_3gpuE4ELNS1_3repE0EEENS1_30default_config_static_selectorELNS0_4arch9wavefront6targetE0EEEvT1_
; %bb.0:
	s_clause 0x3
	s_load_b64 s[12:13], s[0:1], 0x30
	s_load_b128 s[4:7], s[0:1], 0x48
	s_load_b64 s[18:19], s[0:1], 0x58
	s_load_b64 s[14:15], s[0:1], 0x68
	v_cmp_eq_u32_e64 s2, 0, v0
	s_and_saveexec_b32 s3, s2
	s_cbranch_execz .LBB895_4
; %bb.1:
	s_mov_b32 s9, exec_lo
	s_mov_b32 s8, exec_lo
	v_mbcnt_lo_u32_b32 v1, s9, 0
                                        ; implicit-def: $vgpr2
	s_delay_alu instid0(VALU_DEP_1)
	v_cmpx_eq_u32_e32 0, v1
	s_cbranch_execz .LBB895_3
; %bb.2:
	s_load_b64 s[10:11], s[0:1], 0x78
	s_bcnt1_i32_b32 s9, s9
	s_wait_alu 0xfffe
	v_dual_mov_b32 v2, 0 :: v_dual_mov_b32 v3, s9
	s_wait_kmcnt 0x0
	global_atomic_add_u32 v2, v2, v3, s[10:11] th:TH_ATOMIC_RETURN scope:SCOPE_DEV
.LBB895_3:
	s_or_b32 exec_lo, exec_lo, s8
	s_wait_loadcnt 0x0
	v_readfirstlane_b32 s8, v2
	s_wait_alu 0xf1ff
	s_delay_alu instid0(VALU_DEP_1)
	v_dual_mov_b32 v2, 0 :: v_dual_add_nc_u32 v1, s8, v1
	ds_store_b32 v2, v1
.LBB895_4:
	s_or_b32 exec_lo, exec_lo, s3
	v_mov_b32_e32 v1, 0
	s_clause 0x2
	s_load_b128 s[8:11], s[0:1], 0x8
	s_load_b64 s[16:17], s[0:1], 0x20
	s_load_b32 s0, s[0:1], 0x70
	s_wait_dscnt 0x0
	s_barrier_signal -1
	s_barrier_wait -1
	global_inv scope:SCOPE_SE
	ds_load_b32 v2, v1
	s_wait_loadcnt_dscnt 0x0
	s_barrier_signal -1
	s_barrier_wait -1
	global_inv scope:SCOPE_SE
	s_wait_kmcnt 0x0
	global_load_b64 v[17:18], v1, s[6:7]
	s_mov_b32 s7, 0
	v_lshrrev_b32_e32 v1, 2, v0
	v_or_b32_e32 v10, 0x200, v0
	v_or_b32_e32 v9, 0x300, v0
	s_add_nc_u64 s[8:9], s[10:11], s[8:9]
	s_lshl_b32 s6, s0, 10
	s_add_co_i32 s20, s0, -1
	s_add_nc_u64 s[0:1], s[10:11], s[6:7]
	s_lshl_b32 s6, s20, 10
	v_cmp_le_u64_e64 s1, s[18:19], s[0:1]
	v_readfirstlane_b32 s21, v2
	s_add_co_i32 s0, s10, s6
	s_lshl_b32 s3, s21, 10
	s_cmp_eq_u32 s21, s20
	s_mov_b32 s6, s3
	s_cselect_b32 s19, -1, 0
	s_wait_alu 0xfffe
	s_and_b32 s1, s1, s19
	s_wait_alu 0xfffe
	s_xor_b32 s20, s1, -1
	s_mov_b32 s1, -1
	s_and_b32 vcc_lo, exec_lo, s20
	s_cbranch_vccz .LBB895_6
; %bb.5:
	v_or_b32_e32 v8, 0x100, v0
	s_add_nc_u64 s[22:23], s[6:7], s[8:9]
	v_lshrrev_b32_e32 v11, 2, v10
	v_add_co_u32 v2, s1, s22, v0
	s_delay_alu instid0(VALU_DEP_3)
	v_lshrrev_b32_e32 v8, 2, v8
	v_lshrrev_b32_e32 v12, 2, v9
	s_wait_alu 0xf1fe
	v_add_co_ci_u32_e64 v3, null, s23, 0, s1
	v_and_b32_e32 v13, 56, v1
	v_lshlrev_b32_e32 v14, 3, v0
	v_and_b32_e32 v8, 0x78, v8
	v_add_co_u32 v4, vcc_lo, 0x100, v2
	v_and_b32_e32 v15, 0xb8, v11
	v_and_b32_e32 v16, 0xf8, v12
	v_add_co_ci_u32_e64 v5, null, 0, v3, vcc_lo
	v_add_co_u32 v6, vcc_lo, 0x200, v2
	v_add_nc_u32_e32 v13, v13, v14
	s_wait_alu 0xfffd
	v_add_co_ci_u32_e64 v7, null, 0, v3, vcc_lo
	v_add_co_u32 v11, vcc_lo, 0x300, v2
	v_add_nc_u32_e32 v8, v8, v14
	v_add_nc_u32_e32 v15, v15, v14
	s_wait_alu 0xfffd
	v_add_co_ci_u32_e64 v12, null, 0, v3, vcc_lo
	v_add_nc_u32_e32 v14, v16, v14
	ds_store_b64 v13, v[2:3]
	ds_store_b64 v8, v[4:5] offset:2048
	ds_store_b64 v15, v[6:7] offset:4096
	;; [unrolled: 1-line block ×3, first 2 shown]
	s_wait_loadcnt_dscnt 0x0
	s_barrier_signal -1
	s_mov_b32 s1, s7
	s_barrier_wait -1
.LBB895_6:
	s_sub_co_i32 s3, s18, s0
	s_wait_alu 0xfffe
	s_and_not1_b32 vcc_lo, exec_lo, s1
	v_cmp_gt_u32_e64 s0, s3, v0
	s_wait_alu 0xfffe
	s_cbranch_vccnz .LBB895_8
; %bb.7:
	v_or_b32_e32 v8, 0x100, v0
	s_add_nc_u64 s[8:9], s[8:9], s[6:7]
	v_lshrrev_b32_e32 v13, 2, v10
	s_wait_alu 0xfffe
	v_add_co_u32 v2, s1, s8, v0
	s_wait_alu 0xf1ff
	v_add_co_ci_u32_e64 v3, null, s9, 0, s1
	v_add_co_u32 v4, s1, s8, v8
	s_wait_alu 0xf1ff
	v_add_co_ci_u32_e64 v5, null, s9, 0, s1
	v_cmp_gt_u32_e32 vcc_lo, s3, v8
	v_add_co_u32 v11, s1, s8, v9
	s_wait_alu 0xf1ff
	v_add_co_ci_u32_e64 v12, null, s9, 0, s1
	s_wait_alu 0xfffd
	v_dual_cndmask_b32 v5, 0, v5 :: v_dual_cndmask_b32 v4, 0, v4
	v_cmp_gt_u32_e32 vcc_lo, s3, v9
	v_lshrrev_b32_e32 v8, 2, v8
	v_lshrrev_b32_e32 v14, 2, v9
	v_cndmask_b32_e64 v3, 0, v3, s0
	v_cndmask_b32_e64 v2, 0, v2, s0
	v_add_co_u32 v6, s0, s8, v10
	s_wait_alu 0xfffd
	v_dual_cndmask_b32 v12, 0, v12 :: v_dual_and_b32 v1, 56, v1
	v_lshlrev_b32_e32 v15, 3, v0
	v_dual_cndmask_b32 v11, 0, v11 :: v_dual_and_b32 v8, 0x78, v8
	s_wait_alu 0xf1ff
	v_add_co_ci_u32_e64 v7, null, s9, 0, s0
	v_cmp_gt_u32_e64 s0, s3, v10
	v_and_b32_e32 v13, 0xb8, v13
	v_and_b32_e32 v14, 0xf8, v14
	v_add_nc_u32_e32 v1, v1, v15
	v_add_nc_u32_e32 v8, v8, v15
	s_wait_alu 0xf1ff
	v_cndmask_b32_e64 v7, 0, v7, s0
	v_cndmask_b32_e64 v6, 0, v6, s0
	v_add_nc_u32_e32 v13, v13, v15
	v_add_nc_u32_e32 v14, v14, v15
	ds_store_b64 v1, v[2:3]
	ds_store_b64 v8, v[4:5] offset:2048
	ds_store_b64 v13, v[6:7] offset:4096
	;; [unrolled: 1-line block ×3, first 2 shown]
	s_wait_loadcnt_dscnt 0x0
	s_barrier_signal -1
	s_barrier_wait -1
.LBB895_8:
	v_and_b32_e32 v1, 0xf8, v0
	s_wait_loadcnt 0x0
	global_inv scope:SCOPE_SE
	s_lshl_b64 s[0:1], s[10:11], 1
	v_lshlrev_b32_e32 v11, 1, v0
	v_lshrrev_b32_e32 v28, 5, v0
	v_lshl_add_u32 v1, v0, 5, v1
	s_wait_alu 0xfffe
	s_add_nc_u64 s[0:1], s[16:17], s[0:1]
	s_lshl_b64 s[6:7], s[6:7], 1
	s_and_b32 vcc_lo, exec_lo, s20
	s_wait_alu 0xfffe
	s_add_nc_u64 s[0:1], s[0:1], s[6:7]
	ds_load_2addr_b64 v[5:8], v1 offset1:1
	ds_load_2addr_b64 v[1:4], v1 offset0:2 offset1:3
	s_mov_b32 s6, -1
	s_wait_loadcnt_dscnt 0x0
	s_barrier_signal -1
	s_barrier_wait -1
	global_inv scope:SCOPE_SE
	s_cbranch_vccz .LBB895_10
; %bb.9:
	s_clause 0x3
	global_load_u16 v12, v11, s[0:1]
	global_load_u16 v13, v11, s[0:1] offset:512
	global_load_u16 v14, v11, s[0:1] offset:1024
	global_load_u16 v15, v11, s[0:1] offset:1536
	v_or_b32_e32 v16, 0x100, v0
	v_lshrrev_b32_e32 v19, 5, v10
	v_lshrrev_b32_e32 v20, 5, v9
	v_and_b32_e32 v21, 4, v28
	s_mov_b32 s6, 0
	v_lshrrev_b32_e32 v16, 5, v16
	v_and_b32_e32 v19, 20, v19
	v_and_b32_e32 v20, 28, v20
	v_add_nc_u32_e32 v21, v21, v0
	s_delay_alu instid0(VALU_DEP_4) | instskip(NEXT) | instid1(VALU_DEP_4)
	v_and_b32_e32 v16, 12, v16
	v_add_nc_u32_e32 v19, v19, v0
	s_delay_alu instid0(VALU_DEP_4) | instskip(NEXT) | instid1(VALU_DEP_3)
	v_add_nc_u32_e32 v20, v20, v0
	v_add_nc_u32_e32 v16, v16, v0
	s_wait_loadcnt 0x3
	v_and_b32_e32 v12, 0x7fff, v12
	s_wait_loadcnt 0x2
	v_and_b32_e32 v13, 0x7fff, v13
	;; [unrolled: 2-line block ×4, first 2 shown]
	v_cmp_ne_u16_e32 vcc_lo, 0, v12
	s_wait_alu 0xfffd
	v_cndmask_b32_e64 v12, 0, 1, vcc_lo
	v_cmp_ne_u16_e32 vcc_lo, 0, v13
	s_wait_alu 0xfffd
	v_cndmask_b32_e64 v13, 0, 1, vcc_lo
	;; [unrolled: 3-line block ×4, first 2 shown]
	ds_store_b8 v21, v12
	ds_store_b8 v16, v13 offset:256
	ds_store_b8 v19, v14 offset:512
	;; [unrolled: 1-line block ×3, first 2 shown]
	s_wait_dscnt 0x0
	s_barrier_signal -1
	s_barrier_wait -1
.LBB895_10:
	v_lshlrev_b32_e32 v12, 2, v0
	v_lshrrev_b32_e32 v13, 3, v0
	s_and_not1_b32 vcc_lo, exec_lo, s6
	s_wait_alu 0xfffe
	s_cbranch_vccnz .LBB895_18
; %bb.11:
	v_dual_mov_b32 v14, 0 :: v_dual_mov_b32 v15, 0
	s_mov_b32 s6, exec_lo
	v_cmpx_gt_u32_e64 s3, v0
	s_cbranch_execz .LBB895_13
; %bb.12:
	global_load_u16 v14, v11, s[0:1]
	s_wait_loadcnt 0x0
	v_and_b32_e32 v14, 0x7fff, v14
	s_delay_alu instid0(VALU_DEP_1)
	v_cmp_ne_u16_e32 vcc_lo, 0, v14
	s_wait_alu 0xfffd
	v_cndmask_b32_e64 v14, 0, 1, vcc_lo
	v_cndmask_b32_e64 v15, 0, 1, vcc_lo
.LBB895_13:
	s_or_b32 exec_lo, exec_lo, s6
	v_or_b32_e32 v16, 0x100, v0
	s_mov_b32 s6, exec_lo
	s_delay_alu instid0(VALU_DEP_1)
	v_cmpx_gt_u32_e64 s3, v16
	s_cbranch_execnz .LBB895_132
; %bb.14:
	s_or_b32 exec_lo, exec_lo, s6
	s_delay_alu instid0(SALU_CYCLE_1)
	s_mov_b32 s6, exec_lo
	v_cmpx_gt_u32_e64 s3, v10
	s_cbranch_execnz .LBB895_133
.LBB895_15:
	s_or_b32 exec_lo, exec_lo, s6
	v_cmp_gt_u32_e32 vcc_lo, s3, v9
	s_and_saveexec_b32 s3, vcc_lo
	s_cbranch_execz .LBB895_17
.LBB895_16:
	global_load_u16 v11, v11, s[0:1] offset:1536
	v_lshrrev_b32_e32 v19, 16, v15
	s_wait_loadcnt 0x0
	v_and_b32_e32 v11, 0x7fff, v11
	s_delay_alu instid0(VALU_DEP_1) | instskip(SKIP_2) | instid1(VALU_DEP_1)
	v_cmp_ne_u16_e32 vcc_lo, 0, v11
	s_wait_alu 0xfffd
	v_cndmask_b32_e64 v11, 0, 1, vcc_lo
	v_lshlrev_b16 v11, 8, v11
	s_delay_alu instid0(VALU_DEP_1) | instskip(NEXT) | instid1(VALU_DEP_1)
	v_or_b32_e32 v11, v19, v11
	v_lshlrev_b32_e32 v11, 16, v11
	s_delay_alu instid0(VALU_DEP_1)
	v_and_or_b32 v15, 0xffff, v15, v11
.LBB895_17:
	s_wait_alu 0xfffe
	s_or_b32 exec_lo, exec_lo, s3
	v_lshrrev_b32_e32 v11, 5, v16
	v_lshrrev_b32_e32 v10, 5, v10
	;; [unrolled: 1-line block ×3, first 2 shown]
	v_and_b32_e32 v16, 4, v28
	v_lshrrev_b32_e32 v19, 8, v15
	v_and_b32_e32 v11, 12, v11
	v_and_b32_e32 v10, 28, v10
	;; [unrolled: 1-line block ×3, first 2 shown]
	v_add_nc_u32_e32 v16, v16, v0
	v_lshrrev_b32_e32 v20, 24, v15
	v_add_nc_u32_e32 v11, v11, v0
	v_add_nc_u32_e32 v10, v10, v0
	;; [unrolled: 1-line block ×3, first 2 shown]
	ds_store_b8 v16, v14
	ds_store_b8 v11, v19 offset:256
	ds_store_b8_d16_hi v10, v15 offset:512
	ds_store_b8 v9, v20 offset:768
	s_wait_loadcnt_dscnt 0x0
	s_barrier_signal -1
	s_barrier_wait -1
.LBB895_18:
	s_delay_alu instid0(VALU_DEP_1)
	v_dual_mov_b32 v10, 0 :: v_dual_and_b32 v9, 28, v13
	s_wait_loadcnt 0x0
	global_inv scope:SCOPE_SE
	v_mbcnt_lo_u32_b32 v33, -1, 0
	s_cmp_lg_u32 s21, 0
	v_add_nc_u32_e32 v9, v9, v12
	s_mov_b32 s1, -1
	s_delay_alu instid0(VALU_DEP_2)
	v_and_b32_e32 v34, 15, v33
	ds_load_b32 v29, v9
	s_wait_loadcnt_dscnt 0x0
	s_barrier_signal -1
	s_barrier_wait -1
	global_inv scope:SCOPE_SE
	v_and_b32_e32 v32, 0xff, v29
	v_bfe_u32 v31, v29, 8, 8
	v_bfe_u32 v30, v29, 16, 8
	v_lshrrev_b32_e32 v27, 24, v29
	s_delay_alu instid0(VALU_DEP_2) | instskip(NEXT) | instid1(VALU_DEP_1)
	v_add3_u32 v9, v31, v32, v30
	v_add_co_u32 v19, s0, v9, v27
	s_wait_alu 0xf1ff
	v_add_co_ci_u32_e64 v20, null, 0, 0, s0
	v_cmp_ne_u32_e64 s0, 0, v34
	s_cbranch_scc0 .LBB895_75
; %bb.19:
	v_mov_b32_e32 v11, v19
	v_mov_b32_dpp v9, v19 row_shr:1 row_mask:0xf bank_mask:0xf
	v_mov_b32_dpp v14, v10 row_shr:1 row_mask:0xf bank_mask:0xf
	v_dual_mov_b32 v13, v19 :: v_dual_mov_b32 v12, v20
	s_and_saveexec_b32 s1, s0
; %bb.20:
	s_delay_alu instid0(VALU_DEP_3) | instskip(SKIP_2) | instid1(VALU_DEP_2)
	v_add_co_u32 v13, vcc_lo, v19, v9
	s_wait_alu 0xfffd
	v_add_co_ci_u32_e64 v10, null, 0, v20, vcc_lo
	v_add_co_u32 v9, vcc_lo, 0, v13
	s_wait_alu 0xfffd
	s_delay_alu instid0(VALU_DEP_2) | instskip(NEXT) | instid1(VALU_DEP_1)
	v_add_co_ci_u32_e64 v10, null, v14, v10, vcc_lo
	v_dual_mov_b32 v12, v10 :: v_dual_mov_b32 v11, v9
; %bb.21:
	s_wait_alu 0xfffe
	s_or_b32 exec_lo, exec_lo, s1
	v_mov_b32_dpp v9, v13 row_shr:2 row_mask:0xf bank_mask:0xf
	v_mov_b32_dpp v14, v10 row_shr:2 row_mask:0xf bank_mask:0xf
	s_mov_b32 s1, exec_lo
	v_cmpx_lt_u32_e32 1, v34
; %bb.22:
	s_delay_alu instid0(VALU_DEP_3) | instskip(SKIP_2) | instid1(VALU_DEP_2)
	v_add_co_u32 v13, vcc_lo, v11, v9
	s_wait_alu 0xfffd
	v_add_co_ci_u32_e64 v10, null, 0, v12, vcc_lo
	v_add_co_u32 v9, vcc_lo, 0, v13
	s_wait_alu 0xfffd
	s_delay_alu instid0(VALU_DEP_2) | instskip(NEXT) | instid1(VALU_DEP_1)
	v_add_co_ci_u32_e64 v10, null, v14, v10, vcc_lo
	v_dual_mov_b32 v12, v10 :: v_dual_mov_b32 v11, v9
; %bb.23:
	s_wait_alu 0xfffe
	s_or_b32 exec_lo, exec_lo, s1
	v_mov_b32_dpp v9, v13 row_shr:4 row_mask:0xf bank_mask:0xf
	v_mov_b32_dpp v14, v10 row_shr:4 row_mask:0xf bank_mask:0xf
	s_mov_b32 s1, exec_lo
	v_cmpx_lt_u32_e32 3, v34
	;; [unrolled: 17-line block ×3, first 2 shown]
; %bb.26:
	s_delay_alu instid0(VALU_DEP_3) | instskip(SKIP_2) | instid1(VALU_DEP_2)
	v_add_co_u32 v13, vcc_lo, v11, v14
	s_wait_alu 0xfffd
	v_add_co_ci_u32_e64 v10, null, 0, v12, vcc_lo
	v_add_co_u32 v11, vcc_lo, 0, v13
	s_wait_alu 0xfffd
	s_delay_alu instid0(VALU_DEP_2) | instskip(NEXT) | instid1(VALU_DEP_1)
	v_add_co_ci_u32_e64 v12, null, v9, v10, vcc_lo
	v_mov_b32_e32 v10, v12
; %bb.27:
	s_wait_alu 0xfffe
	s_or_b32 exec_lo, exec_lo, s1
	ds_swizzle_b32 v9, v13 offset:swizzle(BROADCAST,32,15)
	ds_swizzle_b32 v14, v10 offset:swizzle(BROADCAST,32,15)
	v_and_b32_e32 v15, 16, v33
	s_mov_b32 s1, exec_lo
	s_delay_alu instid0(VALU_DEP_1)
	v_cmpx_ne_u32_e32 0, v15
	s_cbranch_execz .LBB895_29
; %bb.28:
	s_wait_dscnt 0x1
	v_add_co_u32 v13, vcc_lo, v11, v9
	s_wait_alu 0xfffd
	v_add_co_ci_u32_e64 v10, null, 0, v12, vcc_lo
	s_delay_alu instid0(VALU_DEP_2) | instskip(SKIP_2) | instid1(VALU_DEP_2)
	v_add_co_u32 v9, vcc_lo, 0, v13
	s_wait_dscnt 0x0
	s_wait_alu 0xfffd
	v_add_co_ci_u32_e64 v10, null, v14, v10, vcc_lo
	s_delay_alu instid0(VALU_DEP_1)
	v_dual_mov_b32 v12, v10 :: v_dual_mov_b32 v11, v9
.LBB895_29:
	s_wait_alu 0xfffe
	s_or_b32 exec_lo, exec_lo, s1
	s_wait_dscnt 0x1
	v_or_b32_e32 v9, 31, v0
	s_mov_b32 s1, exec_lo
	s_delay_alu instid0(VALU_DEP_1)
	v_cmpx_eq_u32_e64 v0, v9
; %bb.30:
	v_lshlrev_b32_e32 v9, 3, v28
	ds_store_b64 v9, v[11:12]
; %bb.31:
	s_wait_alu 0xfffe
	s_or_b32 exec_lo, exec_lo, s1
	s_delay_alu instid0(SALU_CYCLE_1)
	s_mov_b32 s1, exec_lo
	s_wait_loadcnt_dscnt 0x0
	s_barrier_signal -1
	s_barrier_wait -1
	global_inv scope:SCOPE_SE
	v_cmpx_gt_u32_e32 8, v0
	s_cbranch_execz .LBB895_39
; %bb.32:
	v_lshlrev_b32_e32 v9, 3, v0
	s_mov_b32 s3, exec_lo
	ds_load_b64 v[11:12], v9
	s_wait_dscnt 0x0
	v_dual_mov_b32 v15, v11 :: v_dual_and_b32 v14, 7, v33
	v_mov_b32_dpp v21, v11 row_shr:1 row_mask:0xf bank_mask:0xf
	v_mov_b32_dpp v16, v12 row_shr:1 row_mask:0xf bank_mask:0xf
	s_delay_alu instid0(VALU_DEP_3)
	v_cmpx_ne_u32_e32 0, v14
; %bb.33:
	s_delay_alu instid0(VALU_DEP_3) | instskip(SKIP_2) | instid1(VALU_DEP_2)
	v_add_co_u32 v15, vcc_lo, v11, v21
	s_wait_alu 0xfffd
	v_add_co_ci_u32_e64 v12, null, 0, v12, vcc_lo
	v_add_co_u32 v11, vcc_lo, 0, v15
	s_wait_alu 0xfffd
	s_delay_alu instid0(VALU_DEP_2)
	v_add_co_ci_u32_e64 v12, null, v16, v12, vcc_lo
; %bb.34:
	s_wait_alu 0xfffe
	s_or_b32 exec_lo, exec_lo, s3
	v_mov_b32_dpp v21, v15 row_shr:2 row_mask:0xf bank_mask:0xf
	s_delay_alu instid0(VALU_DEP_2)
	v_mov_b32_dpp v16, v12 row_shr:2 row_mask:0xf bank_mask:0xf
	s_mov_b32 s3, exec_lo
	v_cmpx_lt_u32_e32 1, v14
; %bb.35:
	s_delay_alu instid0(VALU_DEP_3) | instskip(SKIP_2) | instid1(VALU_DEP_2)
	v_add_co_u32 v15, vcc_lo, v11, v21
	s_wait_alu 0xfffd
	v_add_co_ci_u32_e64 v12, null, 0, v12, vcc_lo
	v_add_co_u32 v11, vcc_lo, 0, v15
	s_wait_alu 0xfffd
	s_delay_alu instid0(VALU_DEP_2)
	v_add_co_ci_u32_e64 v12, null, v16, v12, vcc_lo
; %bb.36:
	s_wait_alu 0xfffe
	s_or_b32 exec_lo, exec_lo, s3
	v_mov_b32_dpp v16, v15 row_shr:4 row_mask:0xf bank_mask:0xf
	s_delay_alu instid0(VALU_DEP_2)
	v_mov_b32_dpp v15, v12 row_shr:4 row_mask:0xf bank_mask:0xf
	s_mov_b32 s3, exec_lo
	v_cmpx_lt_u32_e32 3, v14
; %bb.37:
	s_delay_alu instid0(VALU_DEP_3) | instskip(SKIP_2) | instid1(VALU_DEP_2)
	v_add_co_u32 v11, vcc_lo, v11, v16
	s_wait_alu 0xfffd
	v_add_co_ci_u32_e64 v12, null, 0, v12, vcc_lo
	v_add_co_u32 v11, vcc_lo, v11, 0
	s_wait_alu 0xfffd
	s_delay_alu instid0(VALU_DEP_2)
	v_add_co_ci_u32_e64 v12, null, v12, v15, vcc_lo
; %bb.38:
	s_wait_alu 0xfffe
	s_or_b32 exec_lo, exec_lo, s3
	ds_store_b64 v9, v[11:12]
.LBB895_39:
	s_wait_alu 0xfffe
	s_or_b32 exec_lo, exec_lo, s1
	s_delay_alu instid0(SALU_CYCLE_1)
	s_mov_b32 s3, exec_lo
	v_cmp_gt_u32_e32 vcc_lo, 32, v0
	s_wait_loadcnt_dscnt 0x0
	s_barrier_signal -1
	s_barrier_wait -1
	global_inv scope:SCOPE_SE
                                        ; implicit-def: $vgpr21_vgpr22
	v_cmpx_lt_u32_e32 31, v0
	s_cbranch_execz .LBB895_41
; %bb.40:
	v_lshl_add_u32 v9, v28, 3, -8
	ds_load_b64 v[21:22], v9
	s_wait_dscnt 0x0
	v_add_co_u32 v13, s1, v13, v21
	s_wait_alu 0xf1ff
	v_add_co_ci_u32_e64 v10, null, v10, v22, s1
.LBB895_41:
	s_wait_alu 0xfffe
	s_or_b32 exec_lo, exec_lo, s3
	v_sub_co_u32 v9, s1, v33, 1
	s_delay_alu instid0(VALU_DEP_1) | instskip(SKIP_1) | instid1(VALU_DEP_1)
	v_cmp_gt_i32_e64 s3, 0, v9
	s_wait_alu 0xf1ff
	v_cndmask_b32_e64 v9, v9, v33, s3
	s_delay_alu instid0(VALU_DEP_1)
	v_lshlrev_b32_e32 v9, 2, v9
	ds_bpermute_b32 v35, v9, v13
	ds_bpermute_b32 v36, v9, v10
	s_and_saveexec_b32 s3, vcc_lo
	s_cbranch_execz .LBB895_80
; %bb.42:
	v_mov_b32_e32 v12, 0
	ds_load_b64 v[9:10], v12 offset:56
	s_and_saveexec_b32 s6, s1
	s_cbranch_execz .LBB895_44
; %bb.43:
	s_add_co_i32 s8, s21, 32
	s_mov_b32 s9, 0
	s_wait_alu 0xfffe
	s_lshl_b64 s[8:9], s[8:9], 4
	s_wait_alu 0xfffe
	s_add_nc_u64 s[8:9], s[14:15], s[8:9]
	s_wait_alu 0xfffe
	v_dual_mov_b32 v11, 1 :: v_dual_mov_b32 v14, s9
	v_mov_b32_e32 v13, s8
	s_wait_dscnt 0x0
	;;#ASMSTART
	global_store_b128 v[13:14], v[9:12] off scope:SCOPE_DEV	
s_wait_storecnt 0x0
	;;#ASMEND
.LBB895_44:
	s_or_b32 exec_lo, exec_lo, s6
	v_xad_u32 v23, v33, -1, s21
	s_mov_b32 s7, 0
	s_mov_b32 s6, exec_lo
	s_delay_alu instid0(VALU_DEP_1) | instskip(NEXT) | instid1(VALU_DEP_1)
	v_add_nc_u32_e32 v11, 32, v23
	v_lshlrev_b64_e32 v[11:12], 4, v[11:12]
	s_delay_alu instid0(VALU_DEP_1) | instskip(SKIP_1) | instid1(VALU_DEP_2)
	v_add_co_u32 v11, vcc_lo, s14, v11
	s_wait_alu 0xfffd
	v_add_co_ci_u32_e64 v12, null, s15, v12, vcc_lo
	;;#ASMSTART
	global_load_b128 v[13:16], v[11:12] off scope:SCOPE_DEV	
s_wait_loadcnt 0x0
	;;#ASMEND
	v_and_b32_e32 v16, 0xff, v15
	s_delay_alu instid0(VALU_DEP_1)
	v_cmpx_eq_u16_e32 0, v16
	s_cbranch_execz .LBB895_47
.LBB895_45:                             ; =>This Inner Loop Header: Depth=1
	;;#ASMSTART
	global_load_b128 v[13:16], v[11:12] off scope:SCOPE_DEV	
s_wait_loadcnt 0x0
	;;#ASMEND
	v_and_b32_e32 v16, 0xff, v15
	s_delay_alu instid0(VALU_DEP_1) | instskip(SKIP_1) | instid1(SALU_CYCLE_1)
	v_cmp_ne_u16_e32 vcc_lo, 0, v16
	s_or_b32 s7, vcc_lo, s7
	s_and_not1_b32 exec_lo, exec_lo, s7
	s_cbranch_execnz .LBB895_45
; %bb.46:
	s_or_b32 exec_lo, exec_lo, s7
.LBB895_47:
	s_delay_alu instid0(SALU_CYCLE_1)
	s_or_b32 exec_lo, exec_lo, s6
	v_cmp_ne_u32_e32 vcc_lo, 31, v33
	v_and_b32_e32 v12, 0xff, v15
	v_lshlrev_b32_e64 v38, v33, -1
	s_mov_b32 s6, exec_lo
	s_wait_alu 0xfffd
	v_add_co_ci_u32_e64 v11, null, 0, v33, vcc_lo
	v_cmp_eq_u16_e32 vcc_lo, 2, v12
	s_delay_alu instid0(VALU_DEP_2)
	v_dual_mov_b32 v12, v13 :: v_dual_lshlrev_b32 v37, 2, v11
	s_wait_alu 0xfffd
	v_and_or_b32 v11, vcc_lo, v38, 0x80000000
	ds_bpermute_b32 v24, v37, v13
	ds_bpermute_b32 v16, v37, v14
	v_ctz_i32_b32_e32 v11, v11
	s_delay_alu instid0(VALU_DEP_1)
	v_cmpx_lt_u32_e64 v33, v11
	s_cbranch_execz .LBB895_49
; %bb.48:
	s_wait_dscnt 0x1
	v_add_co_u32 v12, vcc_lo, v13, v24
	s_wait_alu 0xfffd
	v_add_co_ci_u32_e64 v14, null, 0, v14, vcc_lo
	s_delay_alu instid0(VALU_DEP_2) | instskip(SKIP_2) | instid1(VALU_DEP_2)
	v_add_co_u32 v13, vcc_lo, 0, v12
	s_wait_dscnt 0x0
	s_wait_alu 0xfffd
	v_add_co_ci_u32_e64 v14, null, v16, v14, vcc_lo
.LBB895_49:
	s_or_b32 exec_lo, exec_lo, s6
	v_cmp_gt_u32_e32 vcc_lo, 30, v33
	v_add_nc_u32_e32 v40, 2, v33
	s_mov_b32 s6, exec_lo
	s_wait_dscnt 0x0
	s_wait_alu 0xfffd
	v_cndmask_b32_e64 v16, 0, 2, vcc_lo
	s_delay_alu instid0(VALU_DEP_1)
	v_add_lshl_u32 v39, v16, v33, 2
	ds_bpermute_b32 v24, v39, v12
	ds_bpermute_b32 v16, v39, v14
	v_cmpx_le_u32_e64 v40, v11
	s_cbranch_execz .LBB895_51
; %bb.50:
	s_wait_dscnt 0x1
	v_add_co_u32 v12, vcc_lo, v13, v24
	s_wait_alu 0xfffd
	v_add_co_ci_u32_e64 v14, null, 0, v14, vcc_lo
	s_delay_alu instid0(VALU_DEP_2) | instskip(SKIP_2) | instid1(VALU_DEP_2)
	v_add_co_u32 v13, vcc_lo, 0, v12
	s_wait_dscnt 0x0
	s_wait_alu 0xfffd
	v_add_co_ci_u32_e64 v14, null, v16, v14, vcc_lo
.LBB895_51:
	s_or_b32 exec_lo, exec_lo, s6
	v_cmp_gt_u32_e32 vcc_lo, 28, v33
	v_add_nc_u32_e32 v42, 4, v33
	s_mov_b32 s6, exec_lo
	s_wait_dscnt 0x0
	s_wait_alu 0xfffd
	v_cndmask_b32_e64 v16, 0, 4, vcc_lo
	s_delay_alu instid0(VALU_DEP_1)
	v_add_lshl_u32 v41, v16, v33, 2
	ds_bpermute_b32 v24, v41, v12
	ds_bpermute_b32 v16, v41, v14
	v_cmpx_le_u32_e64 v42, v11
	;; [unrolled: 24-line block ×3, first 2 shown]
	s_cbranch_execz .LBB895_55
; %bb.54:
	s_wait_dscnt 0x1
	v_add_co_u32 v12, vcc_lo, v13, v24
	s_wait_alu 0xfffd
	v_add_co_ci_u32_e64 v14, null, 0, v14, vcc_lo
	s_delay_alu instid0(VALU_DEP_2) | instskip(SKIP_2) | instid1(VALU_DEP_2)
	v_add_co_u32 v13, vcc_lo, 0, v12
	s_wait_dscnt 0x0
	s_wait_alu 0xfffd
	v_add_co_ci_u32_e64 v14, null, v16, v14, vcc_lo
.LBB895_55:
	s_or_b32 exec_lo, exec_lo, s6
	v_lshl_or_b32 v45, v33, 2, 64
	v_add_nc_u32_e32 v46, 16, v33
	s_mov_b32 s6, exec_lo
	s_wait_dscnt 0x0
	ds_bpermute_b32 v16, v45, v12
	ds_bpermute_b32 v12, v45, v14
	v_cmpx_le_u32_e64 v46, v11
	s_cbranch_execz .LBB895_57
; %bb.56:
	s_wait_dscnt 0x1
	v_add_co_u32 v11, vcc_lo, v13, v16
	s_wait_alu 0xfffd
	v_add_co_ci_u32_e64 v14, null, 0, v14, vcc_lo
	s_delay_alu instid0(VALU_DEP_2) | instskip(SKIP_2) | instid1(VALU_DEP_2)
	v_add_co_u32 v13, vcc_lo, v11, 0
	s_wait_dscnt 0x0
	s_wait_alu 0xfffd
	v_add_co_ci_u32_e64 v14, null, v14, v12, vcc_lo
.LBB895_57:
	s_or_b32 exec_lo, exec_lo, s6
	v_mov_b32_e32 v24, 0
	s_branch .LBB895_60
.LBB895_58:                             ;   in Loop: Header=BB895_60 Depth=1
	s_or_b32 exec_lo, exec_lo, s6
	v_add_co_u32 v13, vcc_lo, v13, v11
	v_subrev_nc_u32_e32 v23, 32, v23
	s_wait_alu 0xfffd
	v_add_co_ci_u32_e64 v14, null, v14, v12, vcc_lo
	s_mov_b32 s6, 0
.LBB895_59:                             ;   in Loop: Header=BB895_60 Depth=1
	s_delay_alu instid0(SALU_CYCLE_1)
	s_and_b32 vcc_lo, exec_lo, s6
	s_wait_alu 0xfffe
	s_cbranch_vccnz .LBB895_76
.LBB895_60:                             ; =>This Loop Header: Depth=1
                                        ;     Child Loop BB895_63 Depth 2
	v_and_b32_e32 v11, 0xff, v15
	s_mov_b32 s6, -1
	s_delay_alu instid0(VALU_DEP_1)
	v_cmp_ne_u16_e32 vcc_lo, 2, v11
	s_wait_dscnt 0x0
	v_dual_mov_b32 v11, v13 :: v_dual_mov_b32 v12, v14
                                        ; implicit-def: $vgpr13_vgpr14
	s_cmp_lg_u32 vcc_lo, exec_lo
	s_cbranch_scc1 .LBB895_59
; %bb.61:                               ;   in Loop: Header=BB895_60 Depth=1
	v_lshlrev_b64_e32 v[13:14], 4, v[23:24]
	s_mov_b32 s6, exec_lo
	s_delay_alu instid0(VALU_DEP_1) | instskip(SKIP_1) | instid1(VALU_DEP_2)
	v_add_co_u32 v25, vcc_lo, s14, v13
	s_wait_alu 0xfffd
	v_add_co_ci_u32_e64 v26, null, s15, v14, vcc_lo
	;;#ASMSTART
	global_load_b128 v[13:16], v[25:26] off scope:SCOPE_DEV	
s_wait_loadcnt 0x0
	;;#ASMEND
	v_and_b32_e32 v16, 0xff, v15
	s_delay_alu instid0(VALU_DEP_1)
	v_cmpx_eq_u16_e32 0, v16
	s_cbranch_execz .LBB895_65
; %bb.62:                               ;   in Loop: Header=BB895_60 Depth=1
	s_mov_b32 s7, 0
.LBB895_63:                             ;   Parent Loop BB895_60 Depth=1
                                        ; =>  This Inner Loop Header: Depth=2
	;;#ASMSTART
	global_load_b128 v[13:16], v[25:26] off scope:SCOPE_DEV	
s_wait_loadcnt 0x0
	;;#ASMEND
	v_and_b32_e32 v16, 0xff, v15
	s_delay_alu instid0(VALU_DEP_1) | instskip(SKIP_1) | instid1(SALU_CYCLE_1)
	v_cmp_ne_u16_e32 vcc_lo, 0, v16
	s_or_b32 s7, vcc_lo, s7
	s_and_not1_b32 exec_lo, exec_lo, s7
	s_cbranch_execnz .LBB895_63
; %bb.64:                               ;   in Loop: Header=BB895_60 Depth=1
	s_or_b32 exec_lo, exec_lo, s7
.LBB895_65:                             ;   in Loop: Header=BB895_60 Depth=1
	s_delay_alu instid0(SALU_CYCLE_1)
	s_or_b32 exec_lo, exec_lo, s6
	v_dual_mov_b32 v25, v13 :: v_dual_and_b32 v16, 0xff, v15
	ds_bpermute_b32 v47, v37, v13
	ds_bpermute_b32 v26, v37, v14
	s_mov_b32 s6, exec_lo
	v_cmp_eq_u16_e32 vcc_lo, 2, v16
	s_wait_alu 0xfffd
	v_and_or_b32 v16, vcc_lo, v38, 0x80000000
	s_delay_alu instid0(VALU_DEP_1) | instskip(NEXT) | instid1(VALU_DEP_1)
	v_ctz_i32_b32_e32 v16, v16
	v_cmpx_lt_u32_e64 v33, v16
	s_cbranch_execz .LBB895_67
; %bb.66:                               ;   in Loop: Header=BB895_60 Depth=1
	s_wait_dscnt 0x1
	v_add_co_u32 v25, vcc_lo, v13, v47
	s_wait_alu 0xfffd
	v_add_co_ci_u32_e64 v14, null, 0, v14, vcc_lo
	s_delay_alu instid0(VALU_DEP_2) | instskip(SKIP_2) | instid1(VALU_DEP_2)
	v_add_co_u32 v13, vcc_lo, 0, v25
	s_wait_dscnt 0x0
	s_wait_alu 0xfffd
	v_add_co_ci_u32_e64 v14, null, v26, v14, vcc_lo
.LBB895_67:                             ;   in Loop: Header=BB895_60 Depth=1
	s_or_b32 exec_lo, exec_lo, s6
	s_wait_dscnt 0x1
	ds_bpermute_b32 v47, v39, v25
	s_wait_dscnt 0x1
	ds_bpermute_b32 v26, v39, v14
	s_mov_b32 s6, exec_lo
	v_cmpx_le_u32_e64 v40, v16
	s_cbranch_execz .LBB895_69
; %bb.68:                               ;   in Loop: Header=BB895_60 Depth=1
	s_wait_dscnt 0x1
	v_add_co_u32 v25, vcc_lo, v13, v47
	s_wait_alu 0xfffd
	v_add_co_ci_u32_e64 v14, null, 0, v14, vcc_lo
	s_delay_alu instid0(VALU_DEP_2) | instskip(SKIP_2) | instid1(VALU_DEP_2)
	v_add_co_u32 v13, vcc_lo, 0, v25
	s_wait_dscnt 0x0
	s_wait_alu 0xfffd
	v_add_co_ci_u32_e64 v14, null, v26, v14, vcc_lo
.LBB895_69:                             ;   in Loop: Header=BB895_60 Depth=1
	s_or_b32 exec_lo, exec_lo, s6
	s_wait_dscnt 0x1
	ds_bpermute_b32 v47, v41, v25
	s_wait_dscnt 0x1
	ds_bpermute_b32 v26, v41, v14
	s_mov_b32 s6, exec_lo
	v_cmpx_le_u32_e64 v42, v16
	s_cbranch_execz .LBB895_71
; %bb.70:                               ;   in Loop: Header=BB895_60 Depth=1
	s_wait_dscnt 0x1
	v_add_co_u32 v25, vcc_lo, v13, v47
	s_wait_alu 0xfffd
	v_add_co_ci_u32_e64 v14, null, 0, v14, vcc_lo
	s_delay_alu instid0(VALU_DEP_2) | instskip(SKIP_2) | instid1(VALU_DEP_2)
	v_add_co_u32 v13, vcc_lo, 0, v25
	s_wait_dscnt 0x0
	s_wait_alu 0xfffd
	v_add_co_ci_u32_e64 v14, null, v26, v14, vcc_lo
.LBB895_71:                             ;   in Loop: Header=BB895_60 Depth=1
	s_or_b32 exec_lo, exec_lo, s6
	s_wait_dscnt 0x1
	ds_bpermute_b32 v47, v43, v25
	s_wait_dscnt 0x1
	ds_bpermute_b32 v26, v43, v14
	s_mov_b32 s6, exec_lo
	v_cmpx_le_u32_e64 v44, v16
	s_cbranch_execz .LBB895_73
; %bb.72:                               ;   in Loop: Header=BB895_60 Depth=1
	s_wait_dscnt 0x1
	v_add_co_u32 v25, vcc_lo, v13, v47
	s_wait_alu 0xfffd
	v_add_co_ci_u32_e64 v14, null, 0, v14, vcc_lo
	s_delay_alu instid0(VALU_DEP_2) | instskip(SKIP_2) | instid1(VALU_DEP_2)
	v_add_co_u32 v13, vcc_lo, 0, v25
	s_wait_dscnt 0x0
	s_wait_alu 0xfffd
	v_add_co_ci_u32_e64 v14, null, v26, v14, vcc_lo
.LBB895_73:                             ;   in Loop: Header=BB895_60 Depth=1
	s_or_b32 exec_lo, exec_lo, s6
	s_wait_dscnt 0x0
	ds_bpermute_b32 v26, v45, v25
	ds_bpermute_b32 v25, v45, v14
	s_mov_b32 s6, exec_lo
	v_cmpx_le_u32_e64 v46, v16
	s_cbranch_execz .LBB895_58
; %bb.74:                               ;   in Loop: Header=BB895_60 Depth=1
	s_wait_dscnt 0x1
	v_add_co_u32 v13, vcc_lo, v13, v26
	s_wait_alu 0xfffd
	v_add_co_ci_u32_e64 v14, null, 0, v14, vcc_lo
	s_delay_alu instid0(VALU_DEP_2) | instskip(SKIP_2) | instid1(VALU_DEP_2)
	v_add_co_u32 v13, vcc_lo, v13, 0
	s_wait_dscnt 0x0
	s_wait_alu 0xfffd
	v_add_co_ci_u32_e64 v14, null, v14, v25, vcc_lo
	s_branch .LBB895_58
.LBB895_75:
                                        ; implicit-def: $vgpr15_vgpr16
                                        ; implicit-def: $vgpr13_vgpr14
                                        ; implicit-def: $vgpr21_vgpr22
                                        ; implicit-def: $vgpr23_vgpr24
                                        ; implicit-def: $vgpr11_vgpr12
	s_wait_alu 0xfffe
	s_and_b32 vcc_lo, exec_lo, s1
	s_wait_alu 0xfffe
	s_cbranch_vccnz .LBB895_81
	s_branch .LBB895_106
.LBB895_76:
	s_and_saveexec_b32 s6, s1
	s_cbranch_execz .LBB895_78
; %bb.77:
	s_add_co_i32 s8, s21, 32
	s_mov_b32 s9, 0
	v_add_co_u32 v13, vcc_lo, v11, v9
	s_wait_alu 0xfffe
	s_lshl_b64 s[8:9], s[8:9], 4
	v_dual_mov_b32 v15, 2 :: v_dual_mov_b32 v16, 0
	s_wait_alu 0xfffe
	s_add_nc_u64 s[8:9], s[14:15], s[8:9]
	s_wait_alu 0xfffd
	v_add_co_ci_u32_e64 v14, null, v12, v10, vcc_lo
	s_wait_alu 0xfffe
	v_dual_mov_b32 v24, s9 :: v_dual_mov_b32 v23, s8
	;;#ASMSTART
	global_store_b128 v[23:24], v[13:16] off scope:SCOPE_DEV	
s_wait_storecnt 0x0
	;;#ASMEND
	ds_store_b128 v16, v[9:12] offset:8448
.LBB895_78:
	s_or_b32 exec_lo, exec_lo, s6
	s_delay_alu instid0(SALU_CYCLE_1)
	s_and_b32 exec_lo, exec_lo, s2
; %bb.79:
	v_mov_b32_e32 v9, 0
	ds_store_b64 v9, v[11:12] offset:56
.LBB895_80:
	s_wait_alu 0xfffe
	s_or_b32 exec_lo, exec_lo, s3
	v_mov_b32_e32 v9, 0
	s_wait_loadcnt_dscnt 0x0
	s_barrier_signal -1
	s_barrier_wait -1
	global_inv scope:SCOPE_SE
	ds_load_b64 v[13:14], v9 offset:56
	v_cndmask_b32_e64 v11, v35, v21, s1
	v_cndmask_b32_e64 v10, v36, v22, s1
	s_wait_loadcnt_dscnt 0x0
	s_barrier_signal -1
	s_barrier_wait -1
	v_cndmask_b32_e64 v16, v11, 0, s2
	v_cndmask_b32_e64 v15, v10, 0, s2
	global_inv scope:SCOPE_SE
	ds_load_b128 v[9:12], v9 offset:8448
	v_add_co_u32 v23, vcc_lo, v13, v16
	s_wait_alu 0xfffd
	v_add_co_ci_u32_e64 v24, null, v14, v15, vcc_lo
	s_delay_alu instid0(VALU_DEP_2) | instskip(SKIP_1) | instid1(VALU_DEP_2)
	v_add_co_u32 v21, vcc_lo, v23, v32
	s_wait_alu 0xfffd
	v_add_co_ci_u32_e64 v22, null, 0, v24, vcc_lo
	s_delay_alu instid0(VALU_DEP_2) | instskip(SKIP_1) | instid1(VALU_DEP_2)
	v_add_co_u32 v13, vcc_lo, v21, v31
	s_wait_alu 0xfffd
	v_add_co_ci_u32_e64 v14, null, 0, v22, vcc_lo
	s_delay_alu instid0(VALU_DEP_2) | instskip(SKIP_1) | instid1(VALU_DEP_2)
	v_add_co_u32 v15, vcc_lo, v13, v30
	s_wait_alu 0xfffd
	v_add_co_ci_u32_e64 v16, null, 0, v14, vcc_lo
	s_branch .LBB895_106
.LBB895_81:
	s_wait_dscnt 0x0
	v_dual_mov_b32 v10, 0 :: v_dual_mov_b32 v11, v19
	v_mov_b32_dpp v12, v19 row_shr:1 row_mask:0xf bank_mask:0xf
	s_delay_alu instid0(VALU_DEP_2)
	v_mov_b32_dpp v9, v10 row_shr:1 row_mask:0xf bank_mask:0xf
	s_and_saveexec_b32 s1, s0
; %bb.82:
	s_delay_alu instid0(VALU_DEP_2) | instskip(SKIP_2) | instid1(VALU_DEP_2)
	v_add_co_u32 v11, vcc_lo, v19, v12
	s_wait_alu 0xfffd
	v_add_co_ci_u32_e64 v10, null, 0, v20, vcc_lo
	v_add_co_u32 v19, vcc_lo, 0, v11
	s_wait_alu 0xfffd
	s_delay_alu instid0(VALU_DEP_2) | instskip(NEXT) | instid1(VALU_DEP_1)
	v_add_co_ci_u32_e64 v20, null, v9, v10, vcc_lo
	v_mov_b32_e32 v10, v20
; %bb.83:
	s_wait_alu 0xfffe
	s_or_b32 exec_lo, exec_lo, s1
	v_mov_b32_dpp v9, v11 row_shr:2 row_mask:0xf bank_mask:0xf
	s_delay_alu instid0(VALU_DEP_2)
	v_mov_b32_dpp v12, v10 row_shr:2 row_mask:0xf bank_mask:0xf
	s_mov_b32 s0, exec_lo
	v_cmpx_lt_u32_e32 1, v34
; %bb.84:
	s_delay_alu instid0(VALU_DEP_3) | instskip(SKIP_2) | instid1(VALU_DEP_2)
	v_add_co_u32 v11, vcc_lo, v19, v9
	s_wait_alu 0xfffd
	v_add_co_ci_u32_e64 v10, null, 0, v20, vcc_lo
	v_add_co_u32 v9, vcc_lo, 0, v11
	s_wait_alu 0xfffd
	s_delay_alu instid0(VALU_DEP_2) | instskip(NEXT) | instid1(VALU_DEP_1)
	v_add_co_ci_u32_e64 v10, null, v12, v10, vcc_lo
	v_dual_mov_b32 v20, v10 :: v_dual_mov_b32 v19, v9
; %bb.85:
	s_wait_alu 0xfffe
	s_or_b32 exec_lo, exec_lo, s0
	v_mov_b32_dpp v9, v11 row_shr:4 row_mask:0xf bank_mask:0xf
	v_mov_b32_dpp v12, v10 row_shr:4 row_mask:0xf bank_mask:0xf
	s_mov_b32 s0, exec_lo
	v_cmpx_lt_u32_e32 3, v34
; %bb.86:
	s_delay_alu instid0(VALU_DEP_3) | instskip(SKIP_2) | instid1(VALU_DEP_2)
	v_add_co_u32 v11, vcc_lo, v19, v9
	s_wait_alu 0xfffd
	v_add_co_ci_u32_e64 v10, null, 0, v20, vcc_lo
	v_add_co_u32 v9, vcc_lo, 0, v11
	s_wait_alu 0xfffd
	s_delay_alu instid0(VALU_DEP_2) | instskip(NEXT) | instid1(VALU_DEP_1)
	v_add_co_ci_u32_e64 v10, null, v12, v10, vcc_lo
	v_dual_mov_b32 v20, v10 :: v_dual_mov_b32 v19, v9
; %bb.87:
	s_wait_alu 0xfffe
	s_or_b32 exec_lo, exec_lo, s0
	v_mov_b32_dpp v12, v11 row_shr:8 row_mask:0xf bank_mask:0xf
	v_mov_b32_dpp v9, v10 row_shr:8 row_mask:0xf bank_mask:0xf
	s_mov_b32 s0, exec_lo
	v_cmpx_lt_u32_e32 7, v34
; %bb.88:
	s_delay_alu instid0(VALU_DEP_3) | instskip(SKIP_2) | instid1(VALU_DEP_2)
	v_add_co_u32 v11, vcc_lo, v19, v12
	s_wait_alu 0xfffd
	v_add_co_ci_u32_e64 v10, null, 0, v20, vcc_lo
	v_add_co_u32 v19, vcc_lo, 0, v11
	s_wait_alu 0xfffd
	s_delay_alu instid0(VALU_DEP_2) | instskip(NEXT) | instid1(VALU_DEP_1)
	v_add_co_ci_u32_e64 v20, null, v9, v10, vcc_lo
	v_mov_b32_e32 v10, v20
; %bb.89:
	s_wait_alu 0xfffe
	s_or_b32 exec_lo, exec_lo, s0
	ds_swizzle_b32 v11, v11 offset:swizzle(BROADCAST,32,15)
	ds_swizzle_b32 v9, v10 offset:swizzle(BROADCAST,32,15)
	v_and_b32_e32 v10, 16, v33
	s_mov_b32 s0, exec_lo
	s_delay_alu instid0(VALU_DEP_1)
	v_cmpx_ne_u32_e32 0, v10
	s_cbranch_execz .LBB895_91
; %bb.90:
	s_wait_dscnt 0x1
	v_add_co_u32 v10, vcc_lo, v19, v11
	s_wait_alu 0xfffd
	v_add_co_ci_u32_e64 v11, null, 0, v20, vcc_lo
	s_delay_alu instid0(VALU_DEP_2) | instskip(SKIP_2) | instid1(VALU_DEP_2)
	v_add_co_u32 v19, vcc_lo, v10, 0
	s_wait_dscnt 0x0
	s_wait_alu 0xfffd
	v_add_co_ci_u32_e64 v20, null, v11, v9, vcc_lo
.LBB895_91:
	s_wait_alu 0xfffe
	s_or_b32 exec_lo, exec_lo, s0
	s_wait_dscnt 0x0
	v_or_b32_e32 v9, 31, v0
	s_mov_b32 s0, exec_lo
	s_delay_alu instid0(VALU_DEP_1)
	v_cmpx_eq_u32_e64 v0, v9
; %bb.92:
	v_lshlrev_b32_e32 v9, 3, v28
	ds_store_b64 v9, v[19:20]
; %bb.93:
	s_wait_alu 0xfffe
	s_or_b32 exec_lo, exec_lo, s0
	s_delay_alu instid0(SALU_CYCLE_1)
	s_mov_b32 s0, exec_lo
	s_wait_loadcnt_dscnt 0x0
	s_barrier_signal -1
	s_barrier_wait -1
	global_inv scope:SCOPE_SE
	v_cmpx_gt_u32_e32 8, v0
	s_cbranch_execz .LBB895_101
; %bb.94:
	v_lshlrev_b32_e32 v11, 3, v0
	s_mov_b32 s1, exec_lo
	ds_load_b64 v[9:10], v11
	s_wait_dscnt 0x0
	v_dual_mov_b32 v13, v9 :: v_dual_and_b32 v12, 7, v33
	v_mov_b32_dpp v15, v9 row_shr:1 row_mask:0xf bank_mask:0xf
	v_mov_b32_dpp v14, v10 row_shr:1 row_mask:0xf bank_mask:0xf
	s_delay_alu instid0(VALU_DEP_3)
	v_cmpx_ne_u32_e32 0, v12
; %bb.95:
	s_delay_alu instid0(VALU_DEP_3) | instskip(SKIP_2) | instid1(VALU_DEP_2)
	v_add_co_u32 v13, vcc_lo, v9, v15
	s_wait_alu 0xfffd
	v_add_co_ci_u32_e64 v10, null, 0, v10, vcc_lo
	v_add_co_u32 v9, vcc_lo, 0, v13
	s_wait_alu 0xfffd
	s_delay_alu instid0(VALU_DEP_2)
	v_add_co_ci_u32_e64 v10, null, v14, v10, vcc_lo
; %bb.96:
	s_wait_alu 0xfffe
	s_or_b32 exec_lo, exec_lo, s1
	v_mov_b32_dpp v15, v13 row_shr:2 row_mask:0xf bank_mask:0xf
	s_delay_alu instid0(VALU_DEP_2)
	v_mov_b32_dpp v14, v10 row_shr:2 row_mask:0xf bank_mask:0xf
	s_mov_b32 s1, exec_lo
	v_cmpx_lt_u32_e32 1, v12
; %bb.97:
	s_delay_alu instid0(VALU_DEP_3) | instskip(SKIP_2) | instid1(VALU_DEP_2)
	v_add_co_u32 v13, vcc_lo, v9, v15
	s_wait_alu 0xfffd
	v_add_co_ci_u32_e64 v10, null, 0, v10, vcc_lo
	v_add_co_u32 v9, vcc_lo, 0, v13
	s_wait_alu 0xfffd
	s_delay_alu instid0(VALU_DEP_2)
	v_add_co_ci_u32_e64 v10, null, v14, v10, vcc_lo
; %bb.98:
	s_wait_alu 0xfffe
	s_or_b32 exec_lo, exec_lo, s1
	v_mov_b32_dpp v14, v13 row_shr:4 row_mask:0xf bank_mask:0xf
	s_delay_alu instid0(VALU_DEP_2)
	v_mov_b32_dpp v13, v10 row_shr:4 row_mask:0xf bank_mask:0xf
	s_mov_b32 s1, exec_lo
	v_cmpx_lt_u32_e32 3, v12
; %bb.99:
	s_delay_alu instid0(VALU_DEP_3) | instskip(SKIP_2) | instid1(VALU_DEP_2)
	v_add_co_u32 v9, vcc_lo, v9, v14
	s_wait_alu 0xfffd
	v_add_co_ci_u32_e64 v10, null, 0, v10, vcc_lo
	v_add_co_u32 v9, vcc_lo, v9, 0
	s_wait_alu 0xfffd
	s_delay_alu instid0(VALU_DEP_2)
	v_add_co_ci_u32_e64 v10, null, v10, v13, vcc_lo
; %bb.100:
	s_wait_alu 0xfffe
	s_or_b32 exec_lo, exec_lo, s1
	ds_store_b64 v11, v[9:10]
.LBB895_101:
	s_wait_alu 0xfffe
	s_or_b32 exec_lo, exec_lo, s0
	v_mov_b32_e32 v13, 0
	v_mov_b32_e32 v14, 0
	s_mov_b32 s0, exec_lo
	s_wait_loadcnt_dscnt 0x0
	s_barrier_signal -1
	s_barrier_wait -1
	global_inv scope:SCOPE_SE
	v_cmpx_lt_u32_e32 31, v0
; %bb.102:
	v_lshl_add_u32 v9, v28, 3, -8
	ds_load_b64 v[13:14], v9
; %bb.103:
	s_wait_alu 0xfffe
	s_or_b32 exec_lo, exec_lo, s0
	v_sub_co_u32 v9, vcc_lo, v33, 1
	v_mov_b32_e32 v12, 0
	s_delay_alu instid0(VALU_DEP_2) | instskip(SKIP_1) | instid1(VALU_DEP_1)
	v_cmp_gt_i32_e64 s0, 0, v9
	s_wait_alu 0xf1ff
	v_cndmask_b32_e64 v9, v9, v33, s0
	s_wait_dscnt 0x0
	v_add_co_u32 v10, s0, v13, v19
	s_wait_alu 0xf1ff
	v_add_co_ci_u32_e64 v11, null, v14, v20, s0
	v_lshlrev_b32_e32 v9, 2, v9
	ds_bpermute_b32 v15, v9, v10
	ds_bpermute_b32 v16, v9, v11
	ds_load_b64 v[9:10], v12 offset:56
	s_and_saveexec_b32 s0, s2
	s_cbranch_execz .LBB895_105
; %bb.104:
	s_add_nc_u64 s[6:7], s[14:15], 0x200
	s_delay_alu instid0(SALU_CYCLE_1)
	v_dual_mov_b32 v11, 2 :: v_dual_mov_b32 v20, s7
	v_mov_b32_e32 v19, s6
	s_wait_dscnt 0x0
	;;#ASMSTART
	global_store_b128 v[19:20], v[9:12] off scope:SCOPE_DEV	
s_wait_storecnt 0x0
	;;#ASMEND
.LBB895_105:
	s_wait_alu 0xfffe
	s_or_b32 exec_lo, exec_lo, s0
	s_wait_dscnt 0x1
	s_wait_alu 0xfffd
	v_dual_cndmask_b32 v11, v15, v13 :: v_dual_cndmask_b32 v12, v16, v14
	s_wait_loadcnt_dscnt 0x0
	s_barrier_signal -1
	s_barrier_wait -1
	s_delay_alu instid0(VALU_DEP_1)
	v_cndmask_b32_e64 v23, v11, 0, s2
	v_cndmask_b32_e64 v24, v12, 0, s2
	v_mov_b32_e32 v11, 0
	v_mov_b32_e32 v12, 0
	global_inv scope:SCOPE_SE
	v_add_co_u32 v21, vcc_lo, v23, v32
	s_wait_alu 0xfffd
	v_add_co_ci_u32_e64 v22, null, 0, v24, vcc_lo
	s_delay_alu instid0(VALU_DEP_2) | instskip(SKIP_1) | instid1(VALU_DEP_2)
	v_add_co_u32 v13, vcc_lo, v21, v31
	s_wait_alu 0xfffd
	v_add_co_ci_u32_e64 v14, null, 0, v22, vcc_lo
	s_delay_alu instid0(VALU_DEP_2) | instskip(SKIP_1) | instid1(VALU_DEP_2)
	v_add_co_u32 v15, vcc_lo, v13, v30
	s_wait_alu 0xfffd
	v_add_co_ci_u32_e64 v16, null, 0, v14, vcc_lo
.LBB895_106:
	v_and_b32_e32 v28, 1, v29
	s_wait_dscnt 0x0
	v_cmp_gt_u64_e32 vcc_lo, 0x101, v[9:10]
	v_lshrrev_b32_e32 v25, 16, v29
	v_lshrrev_b32_e32 v26, 8, v29
	s_mov_b32 s1, -1
	v_cmp_eq_u32_e64 s0, 1, v28
	s_cbranch_vccnz .LBB895_110
; %bb.107:
	s_wait_alu 0xfffe
	s_and_b32 vcc_lo, exec_lo, s1
	s_wait_alu 0xfffe
	s_cbranch_vccnz .LBB895_119
.LBB895_108:
	s_and_b32 s0, s2, s19
	s_wait_alu 0xfffe
	s_and_saveexec_b32 s1, s0
	s_cbranch_execnz .LBB895_131
.LBB895_109:
	s_endpgm
.LBB895_110:
	v_add_co_u32 v19, vcc_lo, v11, v9
	s_wait_alu 0xfffd
	v_add_co_ci_u32_e64 v20, null, v12, v10, vcc_lo
	s_delay_alu instid0(VALU_DEP_1)
	v_cmp_lt_u64_e32 vcc_lo, v[23:24], v[19:20]
	s_or_b32 s1, s20, vcc_lo
	s_wait_alu 0xfffe
	s_and_b32 s1, s1, s0
	s_wait_alu 0xfffe
	s_and_saveexec_b32 s0, s1
	s_cbranch_execz .LBB895_112
; %bb.111:
	v_lshlrev_b64_e32 v[29:30], 3, v[17:18]
	v_lshlrev_b64_e32 v[31:32], 3, v[23:24]
	s_delay_alu instid0(VALU_DEP_2) | instskip(SKIP_1) | instid1(VALU_DEP_3)
	v_add_co_u32 v24, vcc_lo, s12, v29
	s_wait_alu 0xfffd
	v_add_co_ci_u32_e64 v30, null, s13, v30, vcc_lo
	s_delay_alu instid0(VALU_DEP_2) | instskip(SKIP_1) | instid1(VALU_DEP_2)
	v_add_co_u32 v29, vcc_lo, v24, v31
	s_wait_alu 0xfffd
	v_add_co_ci_u32_e64 v30, null, v30, v32, vcc_lo
	global_store_b64 v[29:30], v[5:6], off
.LBB895_112:
	s_wait_alu 0xfffe
	s_or_b32 exec_lo, exec_lo, s0
	v_and_b32_e32 v24, 1, v26
	v_cmp_lt_u64_e32 vcc_lo, v[21:22], v[19:20]
	s_delay_alu instid0(VALU_DEP_2)
	v_cmp_eq_u32_e64 s0, 1, v24
	s_or_b32 s1, s20, vcc_lo
	s_wait_alu 0xfffe
	s_and_b32 s1, s1, s0
	s_wait_alu 0xfffe
	s_and_saveexec_b32 s0, s1
	s_cbranch_execz .LBB895_114
; %bb.113:
	v_lshlrev_b64_e32 v[29:30], 3, v[17:18]
	v_lshlrev_b64_e32 v[31:32], 3, v[21:22]
	s_delay_alu instid0(VALU_DEP_2) | instskip(SKIP_1) | instid1(VALU_DEP_3)
	v_add_co_u32 v22, vcc_lo, s12, v29
	s_wait_alu 0xfffd
	v_add_co_ci_u32_e64 v24, null, s13, v30, vcc_lo
	s_delay_alu instid0(VALU_DEP_2) | instskip(SKIP_1) | instid1(VALU_DEP_2)
	v_add_co_u32 v29, vcc_lo, v22, v31
	s_wait_alu 0xfffd
	v_add_co_ci_u32_e64 v30, null, v24, v32, vcc_lo
	global_store_b64 v[29:30], v[7:8], off
.LBB895_114:
	s_wait_alu 0xfffe
	s_or_b32 exec_lo, exec_lo, s0
	v_and_b32_e32 v22, 1, v25
	v_cmp_lt_u64_e32 vcc_lo, v[13:14], v[19:20]
	s_delay_alu instid0(VALU_DEP_2)
	v_cmp_eq_u32_e64 s0, 1, v22
	;; [unrolled: 25-line block ×3, first 2 shown]
	s_or_b32 s1, s20, vcc_lo
	s_wait_alu 0xfffe
	s_and_b32 s1, s1, s0
	s_wait_alu 0xfffe
	s_and_saveexec_b32 s0, s1
	s_cbranch_execz .LBB895_118
; %bb.117:
	v_lshlrev_b64_e32 v[19:20], 3, v[17:18]
	v_lshlrev_b64_e32 v[29:30], 3, v[15:16]
	s_delay_alu instid0(VALU_DEP_2) | instskip(SKIP_1) | instid1(VALU_DEP_3)
	v_add_co_u32 v14, vcc_lo, s12, v19
	s_wait_alu 0xfffd
	v_add_co_ci_u32_e64 v16, null, s13, v20, vcc_lo
	s_delay_alu instid0(VALU_DEP_2) | instskip(SKIP_1) | instid1(VALU_DEP_2)
	v_add_co_u32 v19, vcc_lo, v14, v29
	s_wait_alu 0xfffd
	v_add_co_ci_u32_e64 v20, null, v16, v30, vcc_lo
	global_store_b64 v[19:20], v[3:4], off
.LBB895_118:
	s_wait_alu 0xfffe
	s_or_b32 exec_lo, exec_lo, s0
	s_branch .LBB895_108
.LBB895_119:
	s_mov_b32 s0, exec_lo
	v_cmpx_eq_u32_e32 1, v28
; %bb.120:
	v_sub_nc_u32_e32 v14, v23, v11
	s_delay_alu instid0(VALU_DEP_1)
	v_lshlrev_b32_e32 v14, 3, v14
	ds_store_b64 v14, v[5:6]
; %bb.121:
	s_wait_alu 0xfffe
	s_or_b32 exec_lo, exec_lo, s0
	v_and_b32_e32 v5, 1, v26
	s_mov_b32 s0, exec_lo
	s_delay_alu instid0(VALU_DEP_1)
	v_cmpx_eq_u32_e32 1, v5
; %bb.122:
	v_sub_nc_u32_e32 v5, v21, v11
	s_delay_alu instid0(VALU_DEP_1)
	v_lshlrev_b32_e32 v5, 3, v5
	ds_store_b64 v5, v[7:8]
; %bb.123:
	s_wait_alu 0xfffe
	s_or_b32 exec_lo, exec_lo, s0
	v_and_b32_e32 v5, 1, v25
	s_mov_b32 s0, exec_lo
	s_delay_alu instid0(VALU_DEP_1)
	;; [unrolled: 12-line block ×3, first 2 shown]
	v_cmpx_eq_u32_e32 1, v1
; %bb.126:
	v_sub_nc_u32_e32 v1, v15, v11
	s_delay_alu instid0(VALU_DEP_1)
	v_lshlrev_b32_e32 v1, 3, v1
	ds_store_b64 v1, v[3:4]
; %bb.127:
	s_wait_alu 0xfffe
	s_or_b32 exec_lo, exec_lo, s0
	v_mov_b32_e32 v1, 0
	s_mov_b32 s1, exec_lo
	s_wait_storecnt 0x0
	s_wait_loadcnt_dscnt 0x0
	s_barrier_signal -1
	s_barrier_wait -1
	global_inv scope:SCOPE_SE
	v_cmpx_gt_u64_e64 v[9:10], v[0:1]
	s_cbranch_execz .LBB895_130
; %bb.128:
	v_lshlrev_b64_e32 v[2:3], 3, v[11:12]
	v_lshlrev_b64_e32 v[4:5], 3, v[17:18]
	s_mov_b32 s3, 0
	s_delay_alu instid0(VALU_DEP_2) | instskip(SKIP_1) | instid1(VALU_DEP_3)
	v_add_co_u32 v6, vcc_lo, s12, v2
	s_wait_alu 0xfffd
	v_add_co_ci_u32_e64 v7, null, s13, v3, vcc_lo
	v_dual_mov_b32 v3, v1 :: v_dual_mov_b32 v2, v0
	s_delay_alu instid0(VALU_DEP_3) | instskip(SKIP_1) | instid1(VALU_DEP_3)
	v_add_co_u32 v4, vcc_lo, v6, v4
	s_wait_alu 0xfffd
	v_add_co_ci_u32_e64 v5, null, v7, v5, vcc_lo
	v_or_b32_e32 v0, 0x100, v0
.LBB895_129:                            ; =>This Inner Loop Header: Depth=1
	v_lshlrev_b32_e32 v6, 3, v2
	v_lshlrev_b64_e32 v[13:14], 3, v[2:3]
	v_mov_b32_e32 v3, v1
	s_delay_alu instid0(VALU_DEP_4)
	v_cmp_le_u64_e32 vcc_lo, v[9:10], v[0:1]
	v_mov_b32_e32 v2, v0
	ds_load_b64 v[6:7], v6
	v_add_nc_u32_e32 v0, 0x100, v0
	v_add_co_u32 v13, s0, v4, v13
	s_wait_alu 0xf1ff
	v_add_co_ci_u32_e64 v14, null, v5, v14, s0
	s_wait_alu 0xfffe
	s_or_b32 s3, vcc_lo, s3
	s_wait_dscnt 0x0
	global_store_b64 v[13:14], v[6:7], off
	s_wait_alu 0xfffe
	s_and_not1_b32 exec_lo, exec_lo, s3
	s_cbranch_execnz .LBB895_129
.LBB895_130:
	s_wait_alu 0xfffe
	s_or_b32 exec_lo, exec_lo, s1
	s_and_b32 s0, s2, s19
	s_wait_alu 0xfffe
	s_and_saveexec_b32 s1, s0
	s_cbranch_execz .LBB895_109
.LBB895_131:
	v_add_co_u32 v0, vcc_lo, v11, v9
	s_wait_alu 0xfffd
	v_add_co_ci_u32_e64 v1, null, v12, v10, vcc_lo
	v_mov_b32_e32 v2, 0
	s_delay_alu instid0(VALU_DEP_3) | instskip(SKIP_1) | instid1(VALU_DEP_3)
	v_add_co_u32 v0, vcc_lo, v0, v17
	s_wait_alu 0xfffd
	v_add_co_ci_u32_e64 v1, null, v1, v18, vcc_lo
	global_store_b64 v2, v[0:1], s[4:5]
	s_endpgm
.LBB895_132:
	global_load_u16 v19, v11, s[0:1] offset:512
	s_wait_loadcnt 0x0
	v_and_b32_e32 v19, 0x7fff, v19
	s_delay_alu instid0(VALU_DEP_1) | instskip(SKIP_2) | instid1(VALU_DEP_1)
	v_cmp_ne_u16_e32 vcc_lo, 0, v19
	s_wait_alu 0xfffd
	v_cndmask_b32_e64 v19, 0, 1, vcc_lo
	v_lshlrev_b16 v19, 8, v19
	s_delay_alu instid0(VALU_DEP_1) | instskip(NEXT) | instid1(VALU_DEP_1)
	v_or_b32_e32 v15, v15, v19
	v_and_b32_e32 v15, 0xffff, v15
	s_or_b32 exec_lo, exec_lo, s6
	s_delay_alu instid0(SALU_CYCLE_1)
	s_mov_b32 s6, exec_lo
	v_cmpx_gt_u32_e64 s3, v10
	s_cbranch_execz .LBB895_15
.LBB895_133:
	global_load_u16 v19, v11, s[0:1] offset:1024
	s_wait_loadcnt 0x0
	v_and_b32_e32 v19, 0x7fff, v19
	s_delay_alu instid0(VALU_DEP_1) | instskip(SKIP_2) | instid1(VALU_DEP_1)
	v_cmp_ne_u16_e32 vcc_lo, 0, v19
	s_wait_alu 0xfffd
	v_cndmask_b32_e64 v19, 0, 1, vcc_lo
	v_lshl_or_b32 v15, v19, 16, v15
	s_or_b32 exec_lo, exec_lo, s6
	v_cmp_gt_u32_e32 vcc_lo, s3, v9
	s_and_saveexec_b32 s3, vcc_lo
	s_cbranch_execnz .LBB895_16
	s_branch .LBB895_17
	.section	.rodata,"a",@progbits
	.p2align	6, 0x0
	.amdhsa_kernel _ZN7rocprim17ROCPRIM_400000_NS6detail17trampoline_kernelINS0_14default_configENS1_25partition_config_selectorILNS1_17partition_subalgoE5ElNS0_10empty_typeEbEEZZNS1_14partition_implILS5_5ELb0ES3_mN6hipcub16HIPCUB_304000_NS21CountingInputIteratorIllEEPS6_NSA_22TransformInputIteratorIbN2at6native12_GLOBAL__N_19NonZeroOpIN3c104HalfEEEPKSK_lEENS0_5tupleIJPlS6_EEENSP_IJSD_SD_EEES6_PiJS6_EEE10hipError_tPvRmT3_T4_T5_T6_T7_T9_mT8_P12ihipStream_tbDpT10_ENKUlT_T0_E_clISt17integral_constantIbLb0EES1C_IbLb1EEEEDaS18_S19_EUlS18_E_NS1_11comp_targetILNS1_3genE10ELNS1_11target_archE1200ELNS1_3gpuE4ELNS1_3repE0EEENS1_30default_config_static_selectorELNS0_4arch9wavefront6targetE0EEEvT1_
		.amdhsa_group_segment_fixed_size 8464
		.amdhsa_private_segment_fixed_size 0
		.amdhsa_kernarg_size 136
		.amdhsa_user_sgpr_count 2
		.amdhsa_user_sgpr_dispatch_ptr 0
		.amdhsa_user_sgpr_queue_ptr 0
		.amdhsa_user_sgpr_kernarg_segment_ptr 1
		.amdhsa_user_sgpr_dispatch_id 0
		.amdhsa_user_sgpr_private_segment_size 0
		.amdhsa_wavefront_size32 1
		.amdhsa_uses_dynamic_stack 0
		.amdhsa_enable_private_segment 0
		.amdhsa_system_sgpr_workgroup_id_x 1
		.amdhsa_system_sgpr_workgroup_id_y 0
		.amdhsa_system_sgpr_workgroup_id_z 0
		.amdhsa_system_sgpr_workgroup_info 0
		.amdhsa_system_vgpr_workitem_id 0
		.amdhsa_next_free_vgpr 48
		.amdhsa_next_free_sgpr 24
		.amdhsa_reserve_vcc 1
		.amdhsa_float_round_mode_32 0
		.amdhsa_float_round_mode_16_64 0
		.amdhsa_float_denorm_mode_32 3
		.amdhsa_float_denorm_mode_16_64 3
		.amdhsa_fp16_overflow 0
		.amdhsa_workgroup_processor_mode 1
		.amdhsa_memory_ordered 1
		.amdhsa_forward_progress 1
		.amdhsa_inst_pref_size 55
		.amdhsa_round_robin_scheduling 0
		.amdhsa_exception_fp_ieee_invalid_op 0
		.amdhsa_exception_fp_denorm_src 0
		.amdhsa_exception_fp_ieee_div_zero 0
		.amdhsa_exception_fp_ieee_overflow 0
		.amdhsa_exception_fp_ieee_underflow 0
		.amdhsa_exception_fp_ieee_inexact 0
		.amdhsa_exception_int_div_zero 0
	.end_amdhsa_kernel
	.section	.text._ZN7rocprim17ROCPRIM_400000_NS6detail17trampoline_kernelINS0_14default_configENS1_25partition_config_selectorILNS1_17partition_subalgoE5ElNS0_10empty_typeEbEEZZNS1_14partition_implILS5_5ELb0ES3_mN6hipcub16HIPCUB_304000_NS21CountingInputIteratorIllEEPS6_NSA_22TransformInputIteratorIbN2at6native12_GLOBAL__N_19NonZeroOpIN3c104HalfEEEPKSK_lEENS0_5tupleIJPlS6_EEENSP_IJSD_SD_EEES6_PiJS6_EEE10hipError_tPvRmT3_T4_T5_T6_T7_T9_mT8_P12ihipStream_tbDpT10_ENKUlT_T0_E_clISt17integral_constantIbLb0EES1C_IbLb1EEEEDaS18_S19_EUlS18_E_NS1_11comp_targetILNS1_3genE10ELNS1_11target_archE1200ELNS1_3gpuE4ELNS1_3repE0EEENS1_30default_config_static_selectorELNS0_4arch9wavefront6targetE0EEEvT1_,"axG",@progbits,_ZN7rocprim17ROCPRIM_400000_NS6detail17trampoline_kernelINS0_14default_configENS1_25partition_config_selectorILNS1_17partition_subalgoE5ElNS0_10empty_typeEbEEZZNS1_14partition_implILS5_5ELb0ES3_mN6hipcub16HIPCUB_304000_NS21CountingInputIteratorIllEEPS6_NSA_22TransformInputIteratorIbN2at6native12_GLOBAL__N_19NonZeroOpIN3c104HalfEEEPKSK_lEENS0_5tupleIJPlS6_EEENSP_IJSD_SD_EEES6_PiJS6_EEE10hipError_tPvRmT3_T4_T5_T6_T7_T9_mT8_P12ihipStream_tbDpT10_ENKUlT_T0_E_clISt17integral_constantIbLb0EES1C_IbLb1EEEEDaS18_S19_EUlS18_E_NS1_11comp_targetILNS1_3genE10ELNS1_11target_archE1200ELNS1_3gpuE4ELNS1_3repE0EEENS1_30default_config_static_selectorELNS0_4arch9wavefront6targetE0EEEvT1_,comdat
.Lfunc_end895:
	.size	_ZN7rocprim17ROCPRIM_400000_NS6detail17trampoline_kernelINS0_14default_configENS1_25partition_config_selectorILNS1_17partition_subalgoE5ElNS0_10empty_typeEbEEZZNS1_14partition_implILS5_5ELb0ES3_mN6hipcub16HIPCUB_304000_NS21CountingInputIteratorIllEEPS6_NSA_22TransformInputIteratorIbN2at6native12_GLOBAL__N_19NonZeroOpIN3c104HalfEEEPKSK_lEENS0_5tupleIJPlS6_EEENSP_IJSD_SD_EEES6_PiJS6_EEE10hipError_tPvRmT3_T4_T5_T6_T7_T9_mT8_P12ihipStream_tbDpT10_ENKUlT_T0_E_clISt17integral_constantIbLb0EES1C_IbLb1EEEEDaS18_S19_EUlS18_E_NS1_11comp_targetILNS1_3genE10ELNS1_11target_archE1200ELNS1_3gpuE4ELNS1_3repE0EEENS1_30default_config_static_selectorELNS0_4arch9wavefront6targetE0EEEvT1_, .Lfunc_end895-_ZN7rocprim17ROCPRIM_400000_NS6detail17trampoline_kernelINS0_14default_configENS1_25partition_config_selectorILNS1_17partition_subalgoE5ElNS0_10empty_typeEbEEZZNS1_14partition_implILS5_5ELb0ES3_mN6hipcub16HIPCUB_304000_NS21CountingInputIteratorIllEEPS6_NSA_22TransformInputIteratorIbN2at6native12_GLOBAL__N_19NonZeroOpIN3c104HalfEEEPKSK_lEENS0_5tupleIJPlS6_EEENSP_IJSD_SD_EEES6_PiJS6_EEE10hipError_tPvRmT3_T4_T5_T6_T7_T9_mT8_P12ihipStream_tbDpT10_ENKUlT_T0_E_clISt17integral_constantIbLb0EES1C_IbLb1EEEEDaS18_S19_EUlS18_E_NS1_11comp_targetILNS1_3genE10ELNS1_11target_archE1200ELNS1_3gpuE4ELNS1_3repE0EEENS1_30default_config_static_selectorELNS0_4arch9wavefront6targetE0EEEvT1_
                                        ; -- End function
	.set _ZN7rocprim17ROCPRIM_400000_NS6detail17trampoline_kernelINS0_14default_configENS1_25partition_config_selectorILNS1_17partition_subalgoE5ElNS0_10empty_typeEbEEZZNS1_14partition_implILS5_5ELb0ES3_mN6hipcub16HIPCUB_304000_NS21CountingInputIteratorIllEEPS6_NSA_22TransformInputIteratorIbN2at6native12_GLOBAL__N_19NonZeroOpIN3c104HalfEEEPKSK_lEENS0_5tupleIJPlS6_EEENSP_IJSD_SD_EEES6_PiJS6_EEE10hipError_tPvRmT3_T4_T5_T6_T7_T9_mT8_P12ihipStream_tbDpT10_ENKUlT_T0_E_clISt17integral_constantIbLb0EES1C_IbLb1EEEEDaS18_S19_EUlS18_E_NS1_11comp_targetILNS1_3genE10ELNS1_11target_archE1200ELNS1_3gpuE4ELNS1_3repE0EEENS1_30default_config_static_selectorELNS0_4arch9wavefront6targetE0EEEvT1_.num_vgpr, 48
	.set _ZN7rocprim17ROCPRIM_400000_NS6detail17trampoline_kernelINS0_14default_configENS1_25partition_config_selectorILNS1_17partition_subalgoE5ElNS0_10empty_typeEbEEZZNS1_14partition_implILS5_5ELb0ES3_mN6hipcub16HIPCUB_304000_NS21CountingInputIteratorIllEEPS6_NSA_22TransformInputIteratorIbN2at6native12_GLOBAL__N_19NonZeroOpIN3c104HalfEEEPKSK_lEENS0_5tupleIJPlS6_EEENSP_IJSD_SD_EEES6_PiJS6_EEE10hipError_tPvRmT3_T4_T5_T6_T7_T9_mT8_P12ihipStream_tbDpT10_ENKUlT_T0_E_clISt17integral_constantIbLb0EES1C_IbLb1EEEEDaS18_S19_EUlS18_E_NS1_11comp_targetILNS1_3genE10ELNS1_11target_archE1200ELNS1_3gpuE4ELNS1_3repE0EEENS1_30default_config_static_selectorELNS0_4arch9wavefront6targetE0EEEvT1_.num_agpr, 0
	.set _ZN7rocprim17ROCPRIM_400000_NS6detail17trampoline_kernelINS0_14default_configENS1_25partition_config_selectorILNS1_17partition_subalgoE5ElNS0_10empty_typeEbEEZZNS1_14partition_implILS5_5ELb0ES3_mN6hipcub16HIPCUB_304000_NS21CountingInputIteratorIllEEPS6_NSA_22TransformInputIteratorIbN2at6native12_GLOBAL__N_19NonZeroOpIN3c104HalfEEEPKSK_lEENS0_5tupleIJPlS6_EEENSP_IJSD_SD_EEES6_PiJS6_EEE10hipError_tPvRmT3_T4_T5_T6_T7_T9_mT8_P12ihipStream_tbDpT10_ENKUlT_T0_E_clISt17integral_constantIbLb0EES1C_IbLb1EEEEDaS18_S19_EUlS18_E_NS1_11comp_targetILNS1_3genE10ELNS1_11target_archE1200ELNS1_3gpuE4ELNS1_3repE0EEENS1_30default_config_static_selectorELNS0_4arch9wavefront6targetE0EEEvT1_.numbered_sgpr, 24
	.set _ZN7rocprim17ROCPRIM_400000_NS6detail17trampoline_kernelINS0_14default_configENS1_25partition_config_selectorILNS1_17partition_subalgoE5ElNS0_10empty_typeEbEEZZNS1_14partition_implILS5_5ELb0ES3_mN6hipcub16HIPCUB_304000_NS21CountingInputIteratorIllEEPS6_NSA_22TransformInputIteratorIbN2at6native12_GLOBAL__N_19NonZeroOpIN3c104HalfEEEPKSK_lEENS0_5tupleIJPlS6_EEENSP_IJSD_SD_EEES6_PiJS6_EEE10hipError_tPvRmT3_T4_T5_T6_T7_T9_mT8_P12ihipStream_tbDpT10_ENKUlT_T0_E_clISt17integral_constantIbLb0EES1C_IbLb1EEEEDaS18_S19_EUlS18_E_NS1_11comp_targetILNS1_3genE10ELNS1_11target_archE1200ELNS1_3gpuE4ELNS1_3repE0EEENS1_30default_config_static_selectorELNS0_4arch9wavefront6targetE0EEEvT1_.num_named_barrier, 0
	.set _ZN7rocprim17ROCPRIM_400000_NS6detail17trampoline_kernelINS0_14default_configENS1_25partition_config_selectorILNS1_17partition_subalgoE5ElNS0_10empty_typeEbEEZZNS1_14partition_implILS5_5ELb0ES3_mN6hipcub16HIPCUB_304000_NS21CountingInputIteratorIllEEPS6_NSA_22TransformInputIteratorIbN2at6native12_GLOBAL__N_19NonZeroOpIN3c104HalfEEEPKSK_lEENS0_5tupleIJPlS6_EEENSP_IJSD_SD_EEES6_PiJS6_EEE10hipError_tPvRmT3_T4_T5_T6_T7_T9_mT8_P12ihipStream_tbDpT10_ENKUlT_T0_E_clISt17integral_constantIbLb0EES1C_IbLb1EEEEDaS18_S19_EUlS18_E_NS1_11comp_targetILNS1_3genE10ELNS1_11target_archE1200ELNS1_3gpuE4ELNS1_3repE0EEENS1_30default_config_static_selectorELNS0_4arch9wavefront6targetE0EEEvT1_.private_seg_size, 0
	.set _ZN7rocprim17ROCPRIM_400000_NS6detail17trampoline_kernelINS0_14default_configENS1_25partition_config_selectorILNS1_17partition_subalgoE5ElNS0_10empty_typeEbEEZZNS1_14partition_implILS5_5ELb0ES3_mN6hipcub16HIPCUB_304000_NS21CountingInputIteratorIllEEPS6_NSA_22TransformInputIteratorIbN2at6native12_GLOBAL__N_19NonZeroOpIN3c104HalfEEEPKSK_lEENS0_5tupleIJPlS6_EEENSP_IJSD_SD_EEES6_PiJS6_EEE10hipError_tPvRmT3_T4_T5_T6_T7_T9_mT8_P12ihipStream_tbDpT10_ENKUlT_T0_E_clISt17integral_constantIbLb0EES1C_IbLb1EEEEDaS18_S19_EUlS18_E_NS1_11comp_targetILNS1_3genE10ELNS1_11target_archE1200ELNS1_3gpuE4ELNS1_3repE0EEENS1_30default_config_static_selectorELNS0_4arch9wavefront6targetE0EEEvT1_.uses_vcc, 1
	.set _ZN7rocprim17ROCPRIM_400000_NS6detail17trampoline_kernelINS0_14default_configENS1_25partition_config_selectorILNS1_17partition_subalgoE5ElNS0_10empty_typeEbEEZZNS1_14partition_implILS5_5ELb0ES3_mN6hipcub16HIPCUB_304000_NS21CountingInputIteratorIllEEPS6_NSA_22TransformInputIteratorIbN2at6native12_GLOBAL__N_19NonZeroOpIN3c104HalfEEEPKSK_lEENS0_5tupleIJPlS6_EEENSP_IJSD_SD_EEES6_PiJS6_EEE10hipError_tPvRmT3_T4_T5_T6_T7_T9_mT8_P12ihipStream_tbDpT10_ENKUlT_T0_E_clISt17integral_constantIbLb0EES1C_IbLb1EEEEDaS18_S19_EUlS18_E_NS1_11comp_targetILNS1_3genE10ELNS1_11target_archE1200ELNS1_3gpuE4ELNS1_3repE0EEENS1_30default_config_static_selectorELNS0_4arch9wavefront6targetE0EEEvT1_.uses_flat_scratch, 0
	.set _ZN7rocprim17ROCPRIM_400000_NS6detail17trampoline_kernelINS0_14default_configENS1_25partition_config_selectorILNS1_17partition_subalgoE5ElNS0_10empty_typeEbEEZZNS1_14partition_implILS5_5ELb0ES3_mN6hipcub16HIPCUB_304000_NS21CountingInputIteratorIllEEPS6_NSA_22TransformInputIteratorIbN2at6native12_GLOBAL__N_19NonZeroOpIN3c104HalfEEEPKSK_lEENS0_5tupleIJPlS6_EEENSP_IJSD_SD_EEES6_PiJS6_EEE10hipError_tPvRmT3_T4_T5_T6_T7_T9_mT8_P12ihipStream_tbDpT10_ENKUlT_T0_E_clISt17integral_constantIbLb0EES1C_IbLb1EEEEDaS18_S19_EUlS18_E_NS1_11comp_targetILNS1_3genE10ELNS1_11target_archE1200ELNS1_3gpuE4ELNS1_3repE0EEENS1_30default_config_static_selectorELNS0_4arch9wavefront6targetE0EEEvT1_.has_dyn_sized_stack, 0
	.set _ZN7rocprim17ROCPRIM_400000_NS6detail17trampoline_kernelINS0_14default_configENS1_25partition_config_selectorILNS1_17partition_subalgoE5ElNS0_10empty_typeEbEEZZNS1_14partition_implILS5_5ELb0ES3_mN6hipcub16HIPCUB_304000_NS21CountingInputIteratorIllEEPS6_NSA_22TransformInputIteratorIbN2at6native12_GLOBAL__N_19NonZeroOpIN3c104HalfEEEPKSK_lEENS0_5tupleIJPlS6_EEENSP_IJSD_SD_EEES6_PiJS6_EEE10hipError_tPvRmT3_T4_T5_T6_T7_T9_mT8_P12ihipStream_tbDpT10_ENKUlT_T0_E_clISt17integral_constantIbLb0EES1C_IbLb1EEEEDaS18_S19_EUlS18_E_NS1_11comp_targetILNS1_3genE10ELNS1_11target_archE1200ELNS1_3gpuE4ELNS1_3repE0EEENS1_30default_config_static_selectorELNS0_4arch9wavefront6targetE0EEEvT1_.has_recursion, 0
	.set _ZN7rocprim17ROCPRIM_400000_NS6detail17trampoline_kernelINS0_14default_configENS1_25partition_config_selectorILNS1_17partition_subalgoE5ElNS0_10empty_typeEbEEZZNS1_14partition_implILS5_5ELb0ES3_mN6hipcub16HIPCUB_304000_NS21CountingInputIteratorIllEEPS6_NSA_22TransformInputIteratorIbN2at6native12_GLOBAL__N_19NonZeroOpIN3c104HalfEEEPKSK_lEENS0_5tupleIJPlS6_EEENSP_IJSD_SD_EEES6_PiJS6_EEE10hipError_tPvRmT3_T4_T5_T6_T7_T9_mT8_P12ihipStream_tbDpT10_ENKUlT_T0_E_clISt17integral_constantIbLb0EES1C_IbLb1EEEEDaS18_S19_EUlS18_E_NS1_11comp_targetILNS1_3genE10ELNS1_11target_archE1200ELNS1_3gpuE4ELNS1_3repE0EEENS1_30default_config_static_selectorELNS0_4arch9wavefront6targetE0EEEvT1_.has_indirect_call, 0
	.section	.AMDGPU.csdata,"",@progbits
; Kernel info:
; codeLenInByte = 7000
; TotalNumSgprs: 26
; NumVgprs: 48
; ScratchSize: 0
; MemoryBound: 0
; FloatMode: 240
; IeeeMode: 1
; LDSByteSize: 8464 bytes/workgroup (compile time only)
; SGPRBlocks: 0
; VGPRBlocks: 5
; NumSGPRsForWavesPerEU: 26
; NumVGPRsForWavesPerEU: 48
; Occupancy: 16
; WaveLimiterHint : 1
; COMPUTE_PGM_RSRC2:SCRATCH_EN: 0
; COMPUTE_PGM_RSRC2:USER_SGPR: 2
; COMPUTE_PGM_RSRC2:TRAP_HANDLER: 0
; COMPUTE_PGM_RSRC2:TGID_X_EN: 1
; COMPUTE_PGM_RSRC2:TGID_Y_EN: 0
; COMPUTE_PGM_RSRC2:TGID_Z_EN: 0
; COMPUTE_PGM_RSRC2:TIDIG_COMP_CNT: 0
	.section	.text._ZN7rocprim17ROCPRIM_400000_NS6detail17trampoline_kernelINS0_14default_configENS1_25partition_config_selectorILNS1_17partition_subalgoE5ElNS0_10empty_typeEbEEZZNS1_14partition_implILS5_5ELb0ES3_mN6hipcub16HIPCUB_304000_NS21CountingInputIteratorIllEEPS6_NSA_22TransformInputIteratorIbN2at6native12_GLOBAL__N_19NonZeroOpIN3c104HalfEEEPKSK_lEENS0_5tupleIJPlS6_EEENSP_IJSD_SD_EEES6_PiJS6_EEE10hipError_tPvRmT3_T4_T5_T6_T7_T9_mT8_P12ihipStream_tbDpT10_ENKUlT_T0_E_clISt17integral_constantIbLb0EES1C_IbLb1EEEEDaS18_S19_EUlS18_E_NS1_11comp_targetILNS1_3genE9ELNS1_11target_archE1100ELNS1_3gpuE3ELNS1_3repE0EEENS1_30default_config_static_selectorELNS0_4arch9wavefront6targetE0EEEvT1_,"axG",@progbits,_ZN7rocprim17ROCPRIM_400000_NS6detail17trampoline_kernelINS0_14default_configENS1_25partition_config_selectorILNS1_17partition_subalgoE5ElNS0_10empty_typeEbEEZZNS1_14partition_implILS5_5ELb0ES3_mN6hipcub16HIPCUB_304000_NS21CountingInputIteratorIllEEPS6_NSA_22TransformInputIteratorIbN2at6native12_GLOBAL__N_19NonZeroOpIN3c104HalfEEEPKSK_lEENS0_5tupleIJPlS6_EEENSP_IJSD_SD_EEES6_PiJS6_EEE10hipError_tPvRmT3_T4_T5_T6_T7_T9_mT8_P12ihipStream_tbDpT10_ENKUlT_T0_E_clISt17integral_constantIbLb0EES1C_IbLb1EEEEDaS18_S19_EUlS18_E_NS1_11comp_targetILNS1_3genE9ELNS1_11target_archE1100ELNS1_3gpuE3ELNS1_3repE0EEENS1_30default_config_static_selectorELNS0_4arch9wavefront6targetE0EEEvT1_,comdat
	.globl	_ZN7rocprim17ROCPRIM_400000_NS6detail17trampoline_kernelINS0_14default_configENS1_25partition_config_selectorILNS1_17partition_subalgoE5ElNS0_10empty_typeEbEEZZNS1_14partition_implILS5_5ELb0ES3_mN6hipcub16HIPCUB_304000_NS21CountingInputIteratorIllEEPS6_NSA_22TransformInputIteratorIbN2at6native12_GLOBAL__N_19NonZeroOpIN3c104HalfEEEPKSK_lEENS0_5tupleIJPlS6_EEENSP_IJSD_SD_EEES6_PiJS6_EEE10hipError_tPvRmT3_T4_T5_T6_T7_T9_mT8_P12ihipStream_tbDpT10_ENKUlT_T0_E_clISt17integral_constantIbLb0EES1C_IbLb1EEEEDaS18_S19_EUlS18_E_NS1_11comp_targetILNS1_3genE9ELNS1_11target_archE1100ELNS1_3gpuE3ELNS1_3repE0EEENS1_30default_config_static_selectorELNS0_4arch9wavefront6targetE0EEEvT1_ ; -- Begin function _ZN7rocprim17ROCPRIM_400000_NS6detail17trampoline_kernelINS0_14default_configENS1_25partition_config_selectorILNS1_17partition_subalgoE5ElNS0_10empty_typeEbEEZZNS1_14partition_implILS5_5ELb0ES3_mN6hipcub16HIPCUB_304000_NS21CountingInputIteratorIllEEPS6_NSA_22TransformInputIteratorIbN2at6native12_GLOBAL__N_19NonZeroOpIN3c104HalfEEEPKSK_lEENS0_5tupleIJPlS6_EEENSP_IJSD_SD_EEES6_PiJS6_EEE10hipError_tPvRmT3_T4_T5_T6_T7_T9_mT8_P12ihipStream_tbDpT10_ENKUlT_T0_E_clISt17integral_constantIbLb0EES1C_IbLb1EEEEDaS18_S19_EUlS18_E_NS1_11comp_targetILNS1_3genE9ELNS1_11target_archE1100ELNS1_3gpuE3ELNS1_3repE0EEENS1_30default_config_static_selectorELNS0_4arch9wavefront6targetE0EEEvT1_
	.p2align	8
	.type	_ZN7rocprim17ROCPRIM_400000_NS6detail17trampoline_kernelINS0_14default_configENS1_25partition_config_selectorILNS1_17partition_subalgoE5ElNS0_10empty_typeEbEEZZNS1_14partition_implILS5_5ELb0ES3_mN6hipcub16HIPCUB_304000_NS21CountingInputIteratorIllEEPS6_NSA_22TransformInputIteratorIbN2at6native12_GLOBAL__N_19NonZeroOpIN3c104HalfEEEPKSK_lEENS0_5tupleIJPlS6_EEENSP_IJSD_SD_EEES6_PiJS6_EEE10hipError_tPvRmT3_T4_T5_T6_T7_T9_mT8_P12ihipStream_tbDpT10_ENKUlT_T0_E_clISt17integral_constantIbLb0EES1C_IbLb1EEEEDaS18_S19_EUlS18_E_NS1_11comp_targetILNS1_3genE9ELNS1_11target_archE1100ELNS1_3gpuE3ELNS1_3repE0EEENS1_30default_config_static_selectorELNS0_4arch9wavefront6targetE0EEEvT1_,@function
_ZN7rocprim17ROCPRIM_400000_NS6detail17trampoline_kernelINS0_14default_configENS1_25partition_config_selectorILNS1_17partition_subalgoE5ElNS0_10empty_typeEbEEZZNS1_14partition_implILS5_5ELb0ES3_mN6hipcub16HIPCUB_304000_NS21CountingInputIteratorIllEEPS6_NSA_22TransformInputIteratorIbN2at6native12_GLOBAL__N_19NonZeroOpIN3c104HalfEEEPKSK_lEENS0_5tupleIJPlS6_EEENSP_IJSD_SD_EEES6_PiJS6_EEE10hipError_tPvRmT3_T4_T5_T6_T7_T9_mT8_P12ihipStream_tbDpT10_ENKUlT_T0_E_clISt17integral_constantIbLb0EES1C_IbLb1EEEEDaS18_S19_EUlS18_E_NS1_11comp_targetILNS1_3genE9ELNS1_11target_archE1100ELNS1_3gpuE3ELNS1_3repE0EEENS1_30default_config_static_selectorELNS0_4arch9wavefront6targetE0EEEvT1_: ; @_ZN7rocprim17ROCPRIM_400000_NS6detail17trampoline_kernelINS0_14default_configENS1_25partition_config_selectorILNS1_17partition_subalgoE5ElNS0_10empty_typeEbEEZZNS1_14partition_implILS5_5ELb0ES3_mN6hipcub16HIPCUB_304000_NS21CountingInputIteratorIllEEPS6_NSA_22TransformInputIteratorIbN2at6native12_GLOBAL__N_19NonZeroOpIN3c104HalfEEEPKSK_lEENS0_5tupleIJPlS6_EEENSP_IJSD_SD_EEES6_PiJS6_EEE10hipError_tPvRmT3_T4_T5_T6_T7_T9_mT8_P12ihipStream_tbDpT10_ENKUlT_T0_E_clISt17integral_constantIbLb0EES1C_IbLb1EEEEDaS18_S19_EUlS18_E_NS1_11comp_targetILNS1_3genE9ELNS1_11target_archE1100ELNS1_3gpuE3ELNS1_3repE0EEENS1_30default_config_static_selectorELNS0_4arch9wavefront6targetE0EEEvT1_
; %bb.0:
	.section	.rodata,"a",@progbits
	.p2align	6, 0x0
	.amdhsa_kernel _ZN7rocprim17ROCPRIM_400000_NS6detail17trampoline_kernelINS0_14default_configENS1_25partition_config_selectorILNS1_17partition_subalgoE5ElNS0_10empty_typeEbEEZZNS1_14partition_implILS5_5ELb0ES3_mN6hipcub16HIPCUB_304000_NS21CountingInputIteratorIllEEPS6_NSA_22TransformInputIteratorIbN2at6native12_GLOBAL__N_19NonZeroOpIN3c104HalfEEEPKSK_lEENS0_5tupleIJPlS6_EEENSP_IJSD_SD_EEES6_PiJS6_EEE10hipError_tPvRmT3_T4_T5_T6_T7_T9_mT8_P12ihipStream_tbDpT10_ENKUlT_T0_E_clISt17integral_constantIbLb0EES1C_IbLb1EEEEDaS18_S19_EUlS18_E_NS1_11comp_targetILNS1_3genE9ELNS1_11target_archE1100ELNS1_3gpuE3ELNS1_3repE0EEENS1_30default_config_static_selectorELNS0_4arch9wavefront6targetE0EEEvT1_
		.amdhsa_group_segment_fixed_size 0
		.amdhsa_private_segment_fixed_size 0
		.amdhsa_kernarg_size 136
		.amdhsa_user_sgpr_count 2
		.amdhsa_user_sgpr_dispatch_ptr 0
		.amdhsa_user_sgpr_queue_ptr 0
		.amdhsa_user_sgpr_kernarg_segment_ptr 1
		.amdhsa_user_sgpr_dispatch_id 0
		.amdhsa_user_sgpr_private_segment_size 0
		.amdhsa_wavefront_size32 1
		.amdhsa_uses_dynamic_stack 0
		.amdhsa_enable_private_segment 0
		.amdhsa_system_sgpr_workgroup_id_x 1
		.amdhsa_system_sgpr_workgroup_id_y 0
		.amdhsa_system_sgpr_workgroup_id_z 0
		.amdhsa_system_sgpr_workgroup_info 0
		.amdhsa_system_vgpr_workitem_id 0
		.amdhsa_next_free_vgpr 1
		.amdhsa_next_free_sgpr 1
		.amdhsa_reserve_vcc 0
		.amdhsa_float_round_mode_32 0
		.amdhsa_float_round_mode_16_64 0
		.amdhsa_float_denorm_mode_32 3
		.amdhsa_float_denorm_mode_16_64 3
		.amdhsa_fp16_overflow 0
		.amdhsa_workgroup_processor_mode 1
		.amdhsa_memory_ordered 1
		.amdhsa_forward_progress 1
		.amdhsa_inst_pref_size 0
		.amdhsa_round_robin_scheduling 0
		.amdhsa_exception_fp_ieee_invalid_op 0
		.amdhsa_exception_fp_denorm_src 0
		.amdhsa_exception_fp_ieee_div_zero 0
		.amdhsa_exception_fp_ieee_overflow 0
		.amdhsa_exception_fp_ieee_underflow 0
		.amdhsa_exception_fp_ieee_inexact 0
		.amdhsa_exception_int_div_zero 0
	.end_amdhsa_kernel
	.section	.text._ZN7rocprim17ROCPRIM_400000_NS6detail17trampoline_kernelINS0_14default_configENS1_25partition_config_selectorILNS1_17partition_subalgoE5ElNS0_10empty_typeEbEEZZNS1_14partition_implILS5_5ELb0ES3_mN6hipcub16HIPCUB_304000_NS21CountingInputIteratorIllEEPS6_NSA_22TransformInputIteratorIbN2at6native12_GLOBAL__N_19NonZeroOpIN3c104HalfEEEPKSK_lEENS0_5tupleIJPlS6_EEENSP_IJSD_SD_EEES6_PiJS6_EEE10hipError_tPvRmT3_T4_T5_T6_T7_T9_mT8_P12ihipStream_tbDpT10_ENKUlT_T0_E_clISt17integral_constantIbLb0EES1C_IbLb1EEEEDaS18_S19_EUlS18_E_NS1_11comp_targetILNS1_3genE9ELNS1_11target_archE1100ELNS1_3gpuE3ELNS1_3repE0EEENS1_30default_config_static_selectorELNS0_4arch9wavefront6targetE0EEEvT1_,"axG",@progbits,_ZN7rocprim17ROCPRIM_400000_NS6detail17trampoline_kernelINS0_14default_configENS1_25partition_config_selectorILNS1_17partition_subalgoE5ElNS0_10empty_typeEbEEZZNS1_14partition_implILS5_5ELb0ES3_mN6hipcub16HIPCUB_304000_NS21CountingInputIteratorIllEEPS6_NSA_22TransformInputIteratorIbN2at6native12_GLOBAL__N_19NonZeroOpIN3c104HalfEEEPKSK_lEENS0_5tupleIJPlS6_EEENSP_IJSD_SD_EEES6_PiJS6_EEE10hipError_tPvRmT3_T4_T5_T6_T7_T9_mT8_P12ihipStream_tbDpT10_ENKUlT_T0_E_clISt17integral_constantIbLb0EES1C_IbLb1EEEEDaS18_S19_EUlS18_E_NS1_11comp_targetILNS1_3genE9ELNS1_11target_archE1100ELNS1_3gpuE3ELNS1_3repE0EEENS1_30default_config_static_selectorELNS0_4arch9wavefront6targetE0EEEvT1_,comdat
.Lfunc_end896:
	.size	_ZN7rocprim17ROCPRIM_400000_NS6detail17trampoline_kernelINS0_14default_configENS1_25partition_config_selectorILNS1_17partition_subalgoE5ElNS0_10empty_typeEbEEZZNS1_14partition_implILS5_5ELb0ES3_mN6hipcub16HIPCUB_304000_NS21CountingInputIteratorIllEEPS6_NSA_22TransformInputIteratorIbN2at6native12_GLOBAL__N_19NonZeroOpIN3c104HalfEEEPKSK_lEENS0_5tupleIJPlS6_EEENSP_IJSD_SD_EEES6_PiJS6_EEE10hipError_tPvRmT3_T4_T5_T6_T7_T9_mT8_P12ihipStream_tbDpT10_ENKUlT_T0_E_clISt17integral_constantIbLb0EES1C_IbLb1EEEEDaS18_S19_EUlS18_E_NS1_11comp_targetILNS1_3genE9ELNS1_11target_archE1100ELNS1_3gpuE3ELNS1_3repE0EEENS1_30default_config_static_selectorELNS0_4arch9wavefront6targetE0EEEvT1_, .Lfunc_end896-_ZN7rocprim17ROCPRIM_400000_NS6detail17trampoline_kernelINS0_14default_configENS1_25partition_config_selectorILNS1_17partition_subalgoE5ElNS0_10empty_typeEbEEZZNS1_14partition_implILS5_5ELb0ES3_mN6hipcub16HIPCUB_304000_NS21CountingInputIteratorIllEEPS6_NSA_22TransformInputIteratorIbN2at6native12_GLOBAL__N_19NonZeroOpIN3c104HalfEEEPKSK_lEENS0_5tupleIJPlS6_EEENSP_IJSD_SD_EEES6_PiJS6_EEE10hipError_tPvRmT3_T4_T5_T6_T7_T9_mT8_P12ihipStream_tbDpT10_ENKUlT_T0_E_clISt17integral_constantIbLb0EES1C_IbLb1EEEEDaS18_S19_EUlS18_E_NS1_11comp_targetILNS1_3genE9ELNS1_11target_archE1100ELNS1_3gpuE3ELNS1_3repE0EEENS1_30default_config_static_selectorELNS0_4arch9wavefront6targetE0EEEvT1_
                                        ; -- End function
	.set _ZN7rocprim17ROCPRIM_400000_NS6detail17trampoline_kernelINS0_14default_configENS1_25partition_config_selectorILNS1_17partition_subalgoE5ElNS0_10empty_typeEbEEZZNS1_14partition_implILS5_5ELb0ES3_mN6hipcub16HIPCUB_304000_NS21CountingInputIteratorIllEEPS6_NSA_22TransformInputIteratorIbN2at6native12_GLOBAL__N_19NonZeroOpIN3c104HalfEEEPKSK_lEENS0_5tupleIJPlS6_EEENSP_IJSD_SD_EEES6_PiJS6_EEE10hipError_tPvRmT3_T4_T5_T6_T7_T9_mT8_P12ihipStream_tbDpT10_ENKUlT_T0_E_clISt17integral_constantIbLb0EES1C_IbLb1EEEEDaS18_S19_EUlS18_E_NS1_11comp_targetILNS1_3genE9ELNS1_11target_archE1100ELNS1_3gpuE3ELNS1_3repE0EEENS1_30default_config_static_selectorELNS0_4arch9wavefront6targetE0EEEvT1_.num_vgpr, 0
	.set _ZN7rocprim17ROCPRIM_400000_NS6detail17trampoline_kernelINS0_14default_configENS1_25partition_config_selectorILNS1_17partition_subalgoE5ElNS0_10empty_typeEbEEZZNS1_14partition_implILS5_5ELb0ES3_mN6hipcub16HIPCUB_304000_NS21CountingInputIteratorIllEEPS6_NSA_22TransformInputIteratorIbN2at6native12_GLOBAL__N_19NonZeroOpIN3c104HalfEEEPKSK_lEENS0_5tupleIJPlS6_EEENSP_IJSD_SD_EEES6_PiJS6_EEE10hipError_tPvRmT3_T4_T5_T6_T7_T9_mT8_P12ihipStream_tbDpT10_ENKUlT_T0_E_clISt17integral_constantIbLb0EES1C_IbLb1EEEEDaS18_S19_EUlS18_E_NS1_11comp_targetILNS1_3genE9ELNS1_11target_archE1100ELNS1_3gpuE3ELNS1_3repE0EEENS1_30default_config_static_selectorELNS0_4arch9wavefront6targetE0EEEvT1_.num_agpr, 0
	.set _ZN7rocprim17ROCPRIM_400000_NS6detail17trampoline_kernelINS0_14default_configENS1_25partition_config_selectorILNS1_17partition_subalgoE5ElNS0_10empty_typeEbEEZZNS1_14partition_implILS5_5ELb0ES3_mN6hipcub16HIPCUB_304000_NS21CountingInputIteratorIllEEPS6_NSA_22TransformInputIteratorIbN2at6native12_GLOBAL__N_19NonZeroOpIN3c104HalfEEEPKSK_lEENS0_5tupleIJPlS6_EEENSP_IJSD_SD_EEES6_PiJS6_EEE10hipError_tPvRmT3_T4_T5_T6_T7_T9_mT8_P12ihipStream_tbDpT10_ENKUlT_T0_E_clISt17integral_constantIbLb0EES1C_IbLb1EEEEDaS18_S19_EUlS18_E_NS1_11comp_targetILNS1_3genE9ELNS1_11target_archE1100ELNS1_3gpuE3ELNS1_3repE0EEENS1_30default_config_static_selectorELNS0_4arch9wavefront6targetE0EEEvT1_.numbered_sgpr, 0
	.set _ZN7rocprim17ROCPRIM_400000_NS6detail17trampoline_kernelINS0_14default_configENS1_25partition_config_selectorILNS1_17partition_subalgoE5ElNS0_10empty_typeEbEEZZNS1_14partition_implILS5_5ELb0ES3_mN6hipcub16HIPCUB_304000_NS21CountingInputIteratorIllEEPS6_NSA_22TransformInputIteratorIbN2at6native12_GLOBAL__N_19NonZeroOpIN3c104HalfEEEPKSK_lEENS0_5tupleIJPlS6_EEENSP_IJSD_SD_EEES6_PiJS6_EEE10hipError_tPvRmT3_T4_T5_T6_T7_T9_mT8_P12ihipStream_tbDpT10_ENKUlT_T0_E_clISt17integral_constantIbLb0EES1C_IbLb1EEEEDaS18_S19_EUlS18_E_NS1_11comp_targetILNS1_3genE9ELNS1_11target_archE1100ELNS1_3gpuE3ELNS1_3repE0EEENS1_30default_config_static_selectorELNS0_4arch9wavefront6targetE0EEEvT1_.num_named_barrier, 0
	.set _ZN7rocprim17ROCPRIM_400000_NS6detail17trampoline_kernelINS0_14default_configENS1_25partition_config_selectorILNS1_17partition_subalgoE5ElNS0_10empty_typeEbEEZZNS1_14partition_implILS5_5ELb0ES3_mN6hipcub16HIPCUB_304000_NS21CountingInputIteratorIllEEPS6_NSA_22TransformInputIteratorIbN2at6native12_GLOBAL__N_19NonZeroOpIN3c104HalfEEEPKSK_lEENS0_5tupleIJPlS6_EEENSP_IJSD_SD_EEES6_PiJS6_EEE10hipError_tPvRmT3_T4_T5_T6_T7_T9_mT8_P12ihipStream_tbDpT10_ENKUlT_T0_E_clISt17integral_constantIbLb0EES1C_IbLb1EEEEDaS18_S19_EUlS18_E_NS1_11comp_targetILNS1_3genE9ELNS1_11target_archE1100ELNS1_3gpuE3ELNS1_3repE0EEENS1_30default_config_static_selectorELNS0_4arch9wavefront6targetE0EEEvT1_.private_seg_size, 0
	.set _ZN7rocprim17ROCPRIM_400000_NS6detail17trampoline_kernelINS0_14default_configENS1_25partition_config_selectorILNS1_17partition_subalgoE5ElNS0_10empty_typeEbEEZZNS1_14partition_implILS5_5ELb0ES3_mN6hipcub16HIPCUB_304000_NS21CountingInputIteratorIllEEPS6_NSA_22TransformInputIteratorIbN2at6native12_GLOBAL__N_19NonZeroOpIN3c104HalfEEEPKSK_lEENS0_5tupleIJPlS6_EEENSP_IJSD_SD_EEES6_PiJS6_EEE10hipError_tPvRmT3_T4_T5_T6_T7_T9_mT8_P12ihipStream_tbDpT10_ENKUlT_T0_E_clISt17integral_constantIbLb0EES1C_IbLb1EEEEDaS18_S19_EUlS18_E_NS1_11comp_targetILNS1_3genE9ELNS1_11target_archE1100ELNS1_3gpuE3ELNS1_3repE0EEENS1_30default_config_static_selectorELNS0_4arch9wavefront6targetE0EEEvT1_.uses_vcc, 0
	.set _ZN7rocprim17ROCPRIM_400000_NS6detail17trampoline_kernelINS0_14default_configENS1_25partition_config_selectorILNS1_17partition_subalgoE5ElNS0_10empty_typeEbEEZZNS1_14partition_implILS5_5ELb0ES3_mN6hipcub16HIPCUB_304000_NS21CountingInputIteratorIllEEPS6_NSA_22TransformInputIteratorIbN2at6native12_GLOBAL__N_19NonZeroOpIN3c104HalfEEEPKSK_lEENS0_5tupleIJPlS6_EEENSP_IJSD_SD_EEES6_PiJS6_EEE10hipError_tPvRmT3_T4_T5_T6_T7_T9_mT8_P12ihipStream_tbDpT10_ENKUlT_T0_E_clISt17integral_constantIbLb0EES1C_IbLb1EEEEDaS18_S19_EUlS18_E_NS1_11comp_targetILNS1_3genE9ELNS1_11target_archE1100ELNS1_3gpuE3ELNS1_3repE0EEENS1_30default_config_static_selectorELNS0_4arch9wavefront6targetE0EEEvT1_.uses_flat_scratch, 0
	.set _ZN7rocprim17ROCPRIM_400000_NS6detail17trampoline_kernelINS0_14default_configENS1_25partition_config_selectorILNS1_17partition_subalgoE5ElNS0_10empty_typeEbEEZZNS1_14partition_implILS5_5ELb0ES3_mN6hipcub16HIPCUB_304000_NS21CountingInputIteratorIllEEPS6_NSA_22TransformInputIteratorIbN2at6native12_GLOBAL__N_19NonZeroOpIN3c104HalfEEEPKSK_lEENS0_5tupleIJPlS6_EEENSP_IJSD_SD_EEES6_PiJS6_EEE10hipError_tPvRmT3_T4_T5_T6_T7_T9_mT8_P12ihipStream_tbDpT10_ENKUlT_T0_E_clISt17integral_constantIbLb0EES1C_IbLb1EEEEDaS18_S19_EUlS18_E_NS1_11comp_targetILNS1_3genE9ELNS1_11target_archE1100ELNS1_3gpuE3ELNS1_3repE0EEENS1_30default_config_static_selectorELNS0_4arch9wavefront6targetE0EEEvT1_.has_dyn_sized_stack, 0
	.set _ZN7rocprim17ROCPRIM_400000_NS6detail17trampoline_kernelINS0_14default_configENS1_25partition_config_selectorILNS1_17partition_subalgoE5ElNS0_10empty_typeEbEEZZNS1_14partition_implILS5_5ELb0ES3_mN6hipcub16HIPCUB_304000_NS21CountingInputIteratorIllEEPS6_NSA_22TransformInputIteratorIbN2at6native12_GLOBAL__N_19NonZeroOpIN3c104HalfEEEPKSK_lEENS0_5tupleIJPlS6_EEENSP_IJSD_SD_EEES6_PiJS6_EEE10hipError_tPvRmT3_T4_T5_T6_T7_T9_mT8_P12ihipStream_tbDpT10_ENKUlT_T0_E_clISt17integral_constantIbLb0EES1C_IbLb1EEEEDaS18_S19_EUlS18_E_NS1_11comp_targetILNS1_3genE9ELNS1_11target_archE1100ELNS1_3gpuE3ELNS1_3repE0EEENS1_30default_config_static_selectorELNS0_4arch9wavefront6targetE0EEEvT1_.has_recursion, 0
	.set _ZN7rocprim17ROCPRIM_400000_NS6detail17trampoline_kernelINS0_14default_configENS1_25partition_config_selectorILNS1_17partition_subalgoE5ElNS0_10empty_typeEbEEZZNS1_14partition_implILS5_5ELb0ES3_mN6hipcub16HIPCUB_304000_NS21CountingInputIteratorIllEEPS6_NSA_22TransformInputIteratorIbN2at6native12_GLOBAL__N_19NonZeroOpIN3c104HalfEEEPKSK_lEENS0_5tupleIJPlS6_EEENSP_IJSD_SD_EEES6_PiJS6_EEE10hipError_tPvRmT3_T4_T5_T6_T7_T9_mT8_P12ihipStream_tbDpT10_ENKUlT_T0_E_clISt17integral_constantIbLb0EES1C_IbLb1EEEEDaS18_S19_EUlS18_E_NS1_11comp_targetILNS1_3genE9ELNS1_11target_archE1100ELNS1_3gpuE3ELNS1_3repE0EEENS1_30default_config_static_selectorELNS0_4arch9wavefront6targetE0EEEvT1_.has_indirect_call, 0
	.section	.AMDGPU.csdata,"",@progbits
; Kernel info:
; codeLenInByte = 0
; TotalNumSgprs: 0
; NumVgprs: 0
; ScratchSize: 0
; MemoryBound: 0
; FloatMode: 240
; IeeeMode: 1
; LDSByteSize: 0 bytes/workgroup (compile time only)
; SGPRBlocks: 0
; VGPRBlocks: 0
; NumSGPRsForWavesPerEU: 1
; NumVGPRsForWavesPerEU: 1
; Occupancy: 16
; WaveLimiterHint : 0
; COMPUTE_PGM_RSRC2:SCRATCH_EN: 0
; COMPUTE_PGM_RSRC2:USER_SGPR: 2
; COMPUTE_PGM_RSRC2:TRAP_HANDLER: 0
; COMPUTE_PGM_RSRC2:TGID_X_EN: 1
; COMPUTE_PGM_RSRC2:TGID_Y_EN: 0
; COMPUTE_PGM_RSRC2:TGID_Z_EN: 0
; COMPUTE_PGM_RSRC2:TIDIG_COMP_CNT: 0
	.section	.text._ZN7rocprim17ROCPRIM_400000_NS6detail17trampoline_kernelINS0_14default_configENS1_25partition_config_selectorILNS1_17partition_subalgoE5ElNS0_10empty_typeEbEEZZNS1_14partition_implILS5_5ELb0ES3_mN6hipcub16HIPCUB_304000_NS21CountingInputIteratorIllEEPS6_NSA_22TransformInputIteratorIbN2at6native12_GLOBAL__N_19NonZeroOpIN3c104HalfEEEPKSK_lEENS0_5tupleIJPlS6_EEENSP_IJSD_SD_EEES6_PiJS6_EEE10hipError_tPvRmT3_T4_T5_T6_T7_T9_mT8_P12ihipStream_tbDpT10_ENKUlT_T0_E_clISt17integral_constantIbLb0EES1C_IbLb1EEEEDaS18_S19_EUlS18_E_NS1_11comp_targetILNS1_3genE8ELNS1_11target_archE1030ELNS1_3gpuE2ELNS1_3repE0EEENS1_30default_config_static_selectorELNS0_4arch9wavefront6targetE0EEEvT1_,"axG",@progbits,_ZN7rocprim17ROCPRIM_400000_NS6detail17trampoline_kernelINS0_14default_configENS1_25partition_config_selectorILNS1_17partition_subalgoE5ElNS0_10empty_typeEbEEZZNS1_14partition_implILS5_5ELb0ES3_mN6hipcub16HIPCUB_304000_NS21CountingInputIteratorIllEEPS6_NSA_22TransformInputIteratorIbN2at6native12_GLOBAL__N_19NonZeroOpIN3c104HalfEEEPKSK_lEENS0_5tupleIJPlS6_EEENSP_IJSD_SD_EEES6_PiJS6_EEE10hipError_tPvRmT3_T4_T5_T6_T7_T9_mT8_P12ihipStream_tbDpT10_ENKUlT_T0_E_clISt17integral_constantIbLb0EES1C_IbLb1EEEEDaS18_S19_EUlS18_E_NS1_11comp_targetILNS1_3genE8ELNS1_11target_archE1030ELNS1_3gpuE2ELNS1_3repE0EEENS1_30default_config_static_selectorELNS0_4arch9wavefront6targetE0EEEvT1_,comdat
	.globl	_ZN7rocprim17ROCPRIM_400000_NS6detail17trampoline_kernelINS0_14default_configENS1_25partition_config_selectorILNS1_17partition_subalgoE5ElNS0_10empty_typeEbEEZZNS1_14partition_implILS5_5ELb0ES3_mN6hipcub16HIPCUB_304000_NS21CountingInputIteratorIllEEPS6_NSA_22TransformInputIteratorIbN2at6native12_GLOBAL__N_19NonZeroOpIN3c104HalfEEEPKSK_lEENS0_5tupleIJPlS6_EEENSP_IJSD_SD_EEES6_PiJS6_EEE10hipError_tPvRmT3_T4_T5_T6_T7_T9_mT8_P12ihipStream_tbDpT10_ENKUlT_T0_E_clISt17integral_constantIbLb0EES1C_IbLb1EEEEDaS18_S19_EUlS18_E_NS1_11comp_targetILNS1_3genE8ELNS1_11target_archE1030ELNS1_3gpuE2ELNS1_3repE0EEENS1_30default_config_static_selectorELNS0_4arch9wavefront6targetE0EEEvT1_ ; -- Begin function _ZN7rocprim17ROCPRIM_400000_NS6detail17trampoline_kernelINS0_14default_configENS1_25partition_config_selectorILNS1_17partition_subalgoE5ElNS0_10empty_typeEbEEZZNS1_14partition_implILS5_5ELb0ES3_mN6hipcub16HIPCUB_304000_NS21CountingInputIteratorIllEEPS6_NSA_22TransformInputIteratorIbN2at6native12_GLOBAL__N_19NonZeroOpIN3c104HalfEEEPKSK_lEENS0_5tupleIJPlS6_EEENSP_IJSD_SD_EEES6_PiJS6_EEE10hipError_tPvRmT3_T4_T5_T6_T7_T9_mT8_P12ihipStream_tbDpT10_ENKUlT_T0_E_clISt17integral_constantIbLb0EES1C_IbLb1EEEEDaS18_S19_EUlS18_E_NS1_11comp_targetILNS1_3genE8ELNS1_11target_archE1030ELNS1_3gpuE2ELNS1_3repE0EEENS1_30default_config_static_selectorELNS0_4arch9wavefront6targetE0EEEvT1_
	.p2align	8
	.type	_ZN7rocprim17ROCPRIM_400000_NS6detail17trampoline_kernelINS0_14default_configENS1_25partition_config_selectorILNS1_17partition_subalgoE5ElNS0_10empty_typeEbEEZZNS1_14partition_implILS5_5ELb0ES3_mN6hipcub16HIPCUB_304000_NS21CountingInputIteratorIllEEPS6_NSA_22TransformInputIteratorIbN2at6native12_GLOBAL__N_19NonZeroOpIN3c104HalfEEEPKSK_lEENS0_5tupleIJPlS6_EEENSP_IJSD_SD_EEES6_PiJS6_EEE10hipError_tPvRmT3_T4_T5_T6_T7_T9_mT8_P12ihipStream_tbDpT10_ENKUlT_T0_E_clISt17integral_constantIbLb0EES1C_IbLb1EEEEDaS18_S19_EUlS18_E_NS1_11comp_targetILNS1_3genE8ELNS1_11target_archE1030ELNS1_3gpuE2ELNS1_3repE0EEENS1_30default_config_static_selectorELNS0_4arch9wavefront6targetE0EEEvT1_,@function
_ZN7rocprim17ROCPRIM_400000_NS6detail17trampoline_kernelINS0_14default_configENS1_25partition_config_selectorILNS1_17partition_subalgoE5ElNS0_10empty_typeEbEEZZNS1_14partition_implILS5_5ELb0ES3_mN6hipcub16HIPCUB_304000_NS21CountingInputIteratorIllEEPS6_NSA_22TransformInputIteratorIbN2at6native12_GLOBAL__N_19NonZeroOpIN3c104HalfEEEPKSK_lEENS0_5tupleIJPlS6_EEENSP_IJSD_SD_EEES6_PiJS6_EEE10hipError_tPvRmT3_T4_T5_T6_T7_T9_mT8_P12ihipStream_tbDpT10_ENKUlT_T0_E_clISt17integral_constantIbLb0EES1C_IbLb1EEEEDaS18_S19_EUlS18_E_NS1_11comp_targetILNS1_3genE8ELNS1_11target_archE1030ELNS1_3gpuE2ELNS1_3repE0EEENS1_30default_config_static_selectorELNS0_4arch9wavefront6targetE0EEEvT1_: ; @_ZN7rocprim17ROCPRIM_400000_NS6detail17trampoline_kernelINS0_14default_configENS1_25partition_config_selectorILNS1_17partition_subalgoE5ElNS0_10empty_typeEbEEZZNS1_14partition_implILS5_5ELb0ES3_mN6hipcub16HIPCUB_304000_NS21CountingInputIteratorIllEEPS6_NSA_22TransformInputIteratorIbN2at6native12_GLOBAL__N_19NonZeroOpIN3c104HalfEEEPKSK_lEENS0_5tupleIJPlS6_EEENSP_IJSD_SD_EEES6_PiJS6_EEE10hipError_tPvRmT3_T4_T5_T6_T7_T9_mT8_P12ihipStream_tbDpT10_ENKUlT_T0_E_clISt17integral_constantIbLb0EES1C_IbLb1EEEEDaS18_S19_EUlS18_E_NS1_11comp_targetILNS1_3genE8ELNS1_11target_archE1030ELNS1_3gpuE2ELNS1_3repE0EEENS1_30default_config_static_selectorELNS0_4arch9wavefront6targetE0EEEvT1_
; %bb.0:
	.section	.rodata,"a",@progbits
	.p2align	6, 0x0
	.amdhsa_kernel _ZN7rocprim17ROCPRIM_400000_NS6detail17trampoline_kernelINS0_14default_configENS1_25partition_config_selectorILNS1_17partition_subalgoE5ElNS0_10empty_typeEbEEZZNS1_14partition_implILS5_5ELb0ES3_mN6hipcub16HIPCUB_304000_NS21CountingInputIteratorIllEEPS6_NSA_22TransformInputIteratorIbN2at6native12_GLOBAL__N_19NonZeroOpIN3c104HalfEEEPKSK_lEENS0_5tupleIJPlS6_EEENSP_IJSD_SD_EEES6_PiJS6_EEE10hipError_tPvRmT3_T4_T5_T6_T7_T9_mT8_P12ihipStream_tbDpT10_ENKUlT_T0_E_clISt17integral_constantIbLb0EES1C_IbLb1EEEEDaS18_S19_EUlS18_E_NS1_11comp_targetILNS1_3genE8ELNS1_11target_archE1030ELNS1_3gpuE2ELNS1_3repE0EEENS1_30default_config_static_selectorELNS0_4arch9wavefront6targetE0EEEvT1_
		.amdhsa_group_segment_fixed_size 0
		.amdhsa_private_segment_fixed_size 0
		.amdhsa_kernarg_size 136
		.amdhsa_user_sgpr_count 2
		.amdhsa_user_sgpr_dispatch_ptr 0
		.amdhsa_user_sgpr_queue_ptr 0
		.amdhsa_user_sgpr_kernarg_segment_ptr 1
		.amdhsa_user_sgpr_dispatch_id 0
		.amdhsa_user_sgpr_private_segment_size 0
		.amdhsa_wavefront_size32 1
		.amdhsa_uses_dynamic_stack 0
		.amdhsa_enable_private_segment 0
		.amdhsa_system_sgpr_workgroup_id_x 1
		.amdhsa_system_sgpr_workgroup_id_y 0
		.amdhsa_system_sgpr_workgroup_id_z 0
		.amdhsa_system_sgpr_workgroup_info 0
		.amdhsa_system_vgpr_workitem_id 0
		.amdhsa_next_free_vgpr 1
		.amdhsa_next_free_sgpr 1
		.amdhsa_reserve_vcc 0
		.amdhsa_float_round_mode_32 0
		.amdhsa_float_round_mode_16_64 0
		.amdhsa_float_denorm_mode_32 3
		.amdhsa_float_denorm_mode_16_64 3
		.amdhsa_fp16_overflow 0
		.amdhsa_workgroup_processor_mode 1
		.amdhsa_memory_ordered 1
		.amdhsa_forward_progress 1
		.amdhsa_inst_pref_size 0
		.amdhsa_round_robin_scheduling 0
		.amdhsa_exception_fp_ieee_invalid_op 0
		.amdhsa_exception_fp_denorm_src 0
		.amdhsa_exception_fp_ieee_div_zero 0
		.amdhsa_exception_fp_ieee_overflow 0
		.amdhsa_exception_fp_ieee_underflow 0
		.amdhsa_exception_fp_ieee_inexact 0
		.amdhsa_exception_int_div_zero 0
	.end_amdhsa_kernel
	.section	.text._ZN7rocprim17ROCPRIM_400000_NS6detail17trampoline_kernelINS0_14default_configENS1_25partition_config_selectorILNS1_17partition_subalgoE5ElNS0_10empty_typeEbEEZZNS1_14partition_implILS5_5ELb0ES3_mN6hipcub16HIPCUB_304000_NS21CountingInputIteratorIllEEPS6_NSA_22TransformInputIteratorIbN2at6native12_GLOBAL__N_19NonZeroOpIN3c104HalfEEEPKSK_lEENS0_5tupleIJPlS6_EEENSP_IJSD_SD_EEES6_PiJS6_EEE10hipError_tPvRmT3_T4_T5_T6_T7_T9_mT8_P12ihipStream_tbDpT10_ENKUlT_T0_E_clISt17integral_constantIbLb0EES1C_IbLb1EEEEDaS18_S19_EUlS18_E_NS1_11comp_targetILNS1_3genE8ELNS1_11target_archE1030ELNS1_3gpuE2ELNS1_3repE0EEENS1_30default_config_static_selectorELNS0_4arch9wavefront6targetE0EEEvT1_,"axG",@progbits,_ZN7rocprim17ROCPRIM_400000_NS6detail17trampoline_kernelINS0_14default_configENS1_25partition_config_selectorILNS1_17partition_subalgoE5ElNS0_10empty_typeEbEEZZNS1_14partition_implILS5_5ELb0ES3_mN6hipcub16HIPCUB_304000_NS21CountingInputIteratorIllEEPS6_NSA_22TransformInputIteratorIbN2at6native12_GLOBAL__N_19NonZeroOpIN3c104HalfEEEPKSK_lEENS0_5tupleIJPlS6_EEENSP_IJSD_SD_EEES6_PiJS6_EEE10hipError_tPvRmT3_T4_T5_T6_T7_T9_mT8_P12ihipStream_tbDpT10_ENKUlT_T0_E_clISt17integral_constantIbLb0EES1C_IbLb1EEEEDaS18_S19_EUlS18_E_NS1_11comp_targetILNS1_3genE8ELNS1_11target_archE1030ELNS1_3gpuE2ELNS1_3repE0EEENS1_30default_config_static_selectorELNS0_4arch9wavefront6targetE0EEEvT1_,comdat
.Lfunc_end897:
	.size	_ZN7rocprim17ROCPRIM_400000_NS6detail17trampoline_kernelINS0_14default_configENS1_25partition_config_selectorILNS1_17partition_subalgoE5ElNS0_10empty_typeEbEEZZNS1_14partition_implILS5_5ELb0ES3_mN6hipcub16HIPCUB_304000_NS21CountingInputIteratorIllEEPS6_NSA_22TransformInputIteratorIbN2at6native12_GLOBAL__N_19NonZeroOpIN3c104HalfEEEPKSK_lEENS0_5tupleIJPlS6_EEENSP_IJSD_SD_EEES6_PiJS6_EEE10hipError_tPvRmT3_T4_T5_T6_T7_T9_mT8_P12ihipStream_tbDpT10_ENKUlT_T0_E_clISt17integral_constantIbLb0EES1C_IbLb1EEEEDaS18_S19_EUlS18_E_NS1_11comp_targetILNS1_3genE8ELNS1_11target_archE1030ELNS1_3gpuE2ELNS1_3repE0EEENS1_30default_config_static_selectorELNS0_4arch9wavefront6targetE0EEEvT1_, .Lfunc_end897-_ZN7rocprim17ROCPRIM_400000_NS6detail17trampoline_kernelINS0_14default_configENS1_25partition_config_selectorILNS1_17partition_subalgoE5ElNS0_10empty_typeEbEEZZNS1_14partition_implILS5_5ELb0ES3_mN6hipcub16HIPCUB_304000_NS21CountingInputIteratorIllEEPS6_NSA_22TransformInputIteratorIbN2at6native12_GLOBAL__N_19NonZeroOpIN3c104HalfEEEPKSK_lEENS0_5tupleIJPlS6_EEENSP_IJSD_SD_EEES6_PiJS6_EEE10hipError_tPvRmT3_T4_T5_T6_T7_T9_mT8_P12ihipStream_tbDpT10_ENKUlT_T0_E_clISt17integral_constantIbLb0EES1C_IbLb1EEEEDaS18_S19_EUlS18_E_NS1_11comp_targetILNS1_3genE8ELNS1_11target_archE1030ELNS1_3gpuE2ELNS1_3repE0EEENS1_30default_config_static_selectorELNS0_4arch9wavefront6targetE0EEEvT1_
                                        ; -- End function
	.set _ZN7rocprim17ROCPRIM_400000_NS6detail17trampoline_kernelINS0_14default_configENS1_25partition_config_selectorILNS1_17partition_subalgoE5ElNS0_10empty_typeEbEEZZNS1_14partition_implILS5_5ELb0ES3_mN6hipcub16HIPCUB_304000_NS21CountingInputIteratorIllEEPS6_NSA_22TransformInputIteratorIbN2at6native12_GLOBAL__N_19NonZeroOpIN3c104HalfEEEPKSK_lEENS0_5tupleIJPlS6_EEENSP_IJSD_SD_EEES6_PiJS6_EEE10hipError_tPvRmT3_T4_T5_T6_T7_T9_mT8_P12ihipStream_tbDpT10_ENKUlT_T0_E_clISt17integral_constantIbLb0EES1C_IbLb1EEEEDaS18_S19_EUlS18_E_NS1_11comp_targetILNS1_3genE8ELNS1_11target_archE1030ELNS1_3gpuE2ELNS1_3repE0EEENS1_30default_config_static_selectorELNS0_4arch9wavefront6targetE0EEEvT1_.num_vgpr, 0
	.set _ZN7rocprim17ROCPRIM_400000_NS6detail17trampoline_kernelINS0_14default_configENS1_25partition_config_selectorILNS1_17partition_subalgoE5ElNS0_10empty_typeEbEEZZNS1_14partition_implILS5_5ELb0ES3_mN6hipcub16HIPCUB_304000_NS21CountingInputIteratorIllEEPS6_NSA_22TransformInputIteratorIbN2at6native12_GLOBAL__N_19NonZeroOpIN3c104HalfEEEPKSK_lEENS0_5tupleIJPlS6_EEENSP_IJSD_SD_EEES6_PiJS6_EEE10hipError_tPvRmT3_T4_T5_T6_T7_T9_mT8_P12ihipStream_tbDpT10_ENKUlT_T0_E_clISt17integral_constantIbLb0EES1C_IbLb1EEEEDaS18_S19_EUlS18_E_NS1_11comp_targetILNS1_3genE8ELNS1_11target_archE1030ELNS1_3gpuE2ELNS1_3repE0EEENS1_30default_config_static_selectorELNS0_4arch9wavefront6targetE0EEEvT1_.num_agpr, 0
	.set _ZN7rocprim17ROCPRIM_400000_NS6detail17trampoline_kernelINS0_14default_configENS1_25partition_config_selectorILNS1_17partition_subalgoE5ElNS0_10empty_typeEbEEZZNS1_14partition_implILS5_5ELb0ES3_mN6hipcub16HIPCUB_304000_NS21CountingInputIteratorIllEEPS6_NSA_22TransformInputIteratorIbN2at6native12_GLOBAL__N_19NonZeroOpIN3c104HalfEEEPKSK_lEENS0_5tupleIJPlS6_EEENSP_IJSD_SD_EEES6_PiJS6_EEE10hipError_tPvRmT3_T4_T5_T6_T7_T9_mT8_P12ihipStream_tbDpT10_ENKUlT_T0_E_clISt17integral_constantIbLb0EES1C_IbLb1EEEEDaS18_S19_EUlS18_E_NS1_11comp_targetILNS1_3genE8ELNS1_11target_archE1030ELNS1_3gpuE2ELNS1_3repE0EEENS1_30default_config_static_selectorELNS0_4arch9wavefront6targetE0EEEvT1_.numbered_sgpr, 0
	.set _ZN7rocprim17ROCPRIM_400000_NS6detail17trampoline_kernelINS0_14default_configENS1_25partition_config_selectorILNS1_17partition_subalgoE5ElNS0_10empty_typeEbEEZZNS1_14partition_implILS5_5ELb0ES3_mN6hipcub16HIPCUB_304000_NS21CountingInputIteratorIllEEPS6_NSA_22TransformInputIteratorIbN2at6native12_GLOBAL__N_19NonZeroOpIN3c104HalfEEEPKSK_lEENS0_5tupleIJPlS6_EEENSP_IJSD_SD_EEES6_PiJS6_EEE10hipError_tPvRmT3_T4_T5_T6_T7_T9_mT8_P12ihipStream_tbDpT10_ENKUlT_T0_E_clISt17integral_constantIbLb0EES1C_IbLb1EEEEDaS18_S19_EUlS18_E_NS1_11comp_targetILNS1_3genE8ELNS1_11target_archE1030ELNS1_3gpuE2ELNS1_3repE0EEENS1_30default_config_static_selectorELNS0_4arch9wavefront6targetE0EEEvT1_.num_named_barrier, 0
	.set _ZN7rocprim17ROCPRIM_400000_NS6detail17trampoline_kernelINS0_14default_configENS1_25partition_config_selectorILNS1_17partition_subalgoE5ElNS0_10empty_typeEbEEZZNS1_14partition_implILS5_5ELb0ES3_mN6hipcub16HIPCUB_304000_NS21CountingInputIteratorIllEEPS6_NSA_22TransformInputIteratorIbN2at6native12_GLOBAL__N_19NonZeroOpIN3c104HalfEEEPKSK_lEENS0_5tupleIJPlS6_EEENSP_IJSD_SD_EEES6_PiJS6_EEE10hipError_tPvRmT3_T4_T5_T6_T7_T9_mT8_P12ihipStream_tbDpT10_ENKUlT_T0_E_clISt17integral_constantIbLb0EES1C_IbLb1EEEEDaS18_S19_EUlS18_E_NS1_11comp_targetILNS1_3genE8ELNS1_11target_archE1030ELNS1_3gpuE2ELNS1_3repE0EEENS1_30default_config_static_selectorELNS0_4arch9wavefront6targetE0EEEvT1_.private_seg_size, 0
	.set _ZN7rocprim17ROCPRIM_400000_NS6detail17trampoline_kernelINS0_14default_configENS1_25partition_config_selectorILNS1_17partition_subalgoE5ElNS0_10empty_typeEbEEZZNS1_14partition_implILS5_5ELb0ES3_mN6hipcub16HIPCUB_304000_NS21CountingInputIteratorIllEEPS6_NSA_22TransformInputIteratorIbN2at6native12_GLOBAL__N_19NonZeroOpIN3c104HalfEEEPKSK_lEENS0_5tupleIJPlS6_EEENSP_IJSD_SD_EEES6_PiJS6_EEE10hipError_tPvRmT3_T4_T5_T6_T7_T9_mT8_P12ihipStream_tbDpT10_ENKUlT_T0_E_clISt17integral_constantIbLb0EES1C_IbLb1EEEEDaS18_S19_EUlS18_E_NS1_11comp_targetILNS1_3genE8ELNS1_11target_archE1030ELNS1_3gpuE2ELNS1_3repE0EEENS1_30default_config_static_selectorELNS0_4arch9wavefront6targetE0EEEvT1_.uses_vcc, 0
	.set _ZN7rocprim17ROCPRIM_400000_NS6detail17trampoline_kernelINS0_14default_configENS1_25partition_config_selectorILNS1_17partition_subalgoE5ElNS0_10empty_typeEbEEZZNS1_14partition_implILS5_5ELb0ES3_mN6hipcub16HIPCUB_304000_NS21CountingInputIteratorIllEEPS6_NSA_22TransformInputIteratorIbN2at6native12_GLOBAL__N_19NonZeroOpIN3c104HalfEEEPKSK_lEENS0_5tupleIJPlS6_EEENSP_IJSD_SD_EEES6_PiJS6_EEE10hipError_tPvRmT3_T4_T5_T6_T7_T9_mT8_P12ihipStream_tbDpT10_ENKUlT_T0_E_clISt17integral_constantIbLb0EES1C_IbLb1EEEEDaS18_S19_EUlS18_E_NS1_11comp_targetILNS1_3genE8ELNS1_11target_archE1030ELNS1_3gpuE2ELNS1_3repE0EEENS1_30default_config_static_selectorELNS0_4arch9wavefront6targetE0EEEvT1_.uses_flat_scratch, 0
	.set _ZN7rocprim17ROCPRIM_400000_NS6detail17trampoline_kernelINS0_14default_configENS1_25partition_config_selectorILNS1_17partition_subalgoE5ElNS0_10empty_typeEbEEZZNS1_14partition_implILS5_5ELb0ES3_mN6hipcub16HIPCUB_304000_NS21CountingInputIteratorIllEEPS6_NSA_22TransformInputIteratorIbN2at6native12_GLOBAL__N_19NonZeroOpIN3c104HalfEEEPKSK_lEENS0_5tupleIJPlS6_EEENSP_IJSD_SD_EEES6_PiJS6_EEE10hipError_tPvRmT3_T4_T5_T6_T7_T9_mT8_P12ihipStream_tbDpT10_ENKUlT_T0_E_clISt17integral_constantIbLb0EES1C_IbLb1EEEEDaS18_S19_EUlS18_E_NS1_11comp_targetILNS1_3genE8ELNS1_11target_archE1030ELNS1_3gpuE2ELNS1_3repE0EEENS1_30default_config_static_selectorELNS0_4arch9wavefront6targetE0EEEvT1_.has_dyn_sized_stack, 0
	.set _ZN7rocprim17ROCPRIM_400000_NS6detail17trampoline_kernelINS0_14default_configENS1_25partition_config_selectorILNS1_17partition_subalgoE5ElNS0_10empty_typeEbEEZZNS1_14partition_implILS5_5ELb0ES3_mN6hipcub16HIPCUB_304000_NS21CountingInputIteratorIllEEPS6_NSA_22TransformInputIteratorIbN2at6native12_GLOBAL__N_19NonZeroOpIN3c104HalfEEEPKSK_lEENS0_5tupleIJPlS6_EEENSP_IJSD_SD_EEES6_PiJS6_EEE10hipError_tPvRmT3_T4_T5_T6_T7_T9_mT8_P12ihipStream_tbDpT10_ENKUlT_T0_E_clISt17integral_constantIbLb0EES1C_IbLb1EEEEDaS18_S19_EUlS18_E_NS1_11comp_targetILNS1_3genE8ELNS1_11target_archE1030ELNS1_3gpuE2ELNS1_3repE0EEENS1_30default_config_static_selectorELNS0_4arch9wavefront6targetE0EEEvT1_.has_recursion, 0
	.set _ZN7rocprim17ROCPRIM_400000_NS6detail17trampoline_kernelINS0_14default_configENS1_25partition_config_selectorILNS1_17partition_subalgoE5ElNS0_10empty_typeEbEEZZNS1_14partition_implILS5_5ELb0ES3_mN6hipcub16HIPCUB_304000_NS21CountingInputIteratorIllEEPS6_NSA_22TransformInputIteratorIbN2at6native12_GLOBAL__N_19NonZeroOpIN3c104HalfEEEPKSK_lEENS0_5tupleIJPlS6_EEENSP_IJSD_SD_EEES6_PiJS6_EEE10hipError_tPvRmT3_T4_T5_T6_T7_T9_mT8_P12ihipStream_tbDpT10_ENKUlT_T0_E_clISt17integral_constantIbLb0EES1C_IbLb1EEEEDaS18_S19_EUlS18_E_NS1_11comp_targetILNS1_3genE8ELNS1_11target_archE1030ELNS1_3gpuE2ELNS1_3repE0EEENS1_30default_config_static_selectorELNS0_4arch9wavefront6targetE0EEEvT1_.has_indirect_call, 0
	.section	.AMDGPU.csdata,"",@progbits
; Kernel info:
; codeLenInByte = 0
; TotalNumSgprs: 0
; NumVgprs: 0
; ScratchSize: 0
; MemoryBound: 0
; FloatMode: 240
; IeeeMode: 1
; LDSByteSize: 0 bytes/workgroup (compile time only)
; SGPRBlocks: 0
; VGPRBlocks: 0
; NumSGPRsForWavesPerEU: 1
; NumVGPRsForWavesPerEU: 1
; Occupancy: 16
; WaveLimiterHint : 0
; COMPUTE_PGM_RSRC2:SCRATCH_EN: 0
; COMPUTE_PGM_RSRC2:USER_SGPR: 2
; COMPUTE_PGM_RSRC2:TRAP_HANDLER: 0
; COMPUTE_PGM_RSRC2:TGID_X_EN: 1
; COMPUTE_PGM_RSRC2:TGID_Y_EN: 0
; COMPUTE_PGM_RSRC2:TGID_Z_EN: 0
; COMPUTE_PGM_RSRC2:TIDIG_COMP_CNT: 0
	.section	.text._ZN2at4cuda3cub15calc_block_sumsILi512ELi16ELb1EhiEEvPKT2_PT3_li,"axG",@progbits,_ZN2at4cuda3cub15calc_block_sumsILi512ELi16ELb1EhiEEvPKT2_PT3_li,comdat
	.protected	_ZN2at4cuda3cub15calc_block_sumsILi512ELi16ELb1EhiEEvPKT2_PT3_li ; -- Begin function _ZN2at4cuda3cub15calc_block_sumsILi512ELi16ELb1EhiEEvPKT2_PT3_li
	.globl	_ZN2at4cuda3cub15calc_block_sumsILi512ELi16ELb1EhiEEvPKT2_PT3_li
	.p2align	8
	.type	_ZN2at4cuda3cub15calc_block_sumsILi512ELi16ELb1EhiEEvPKT2_PT3_li,@function
_ZN2at4cuda3cub15calc_block_sumsILi512ELi16ELb1EhiEEvPKT2_PT3_li: ; @_ZN2at4cuda3cub15calc_block_sumsILi512ELi16ELb1EhiEEvPKT2_PT3_li
; %bb.0:
	s_load_b96 s[8:10], s[0:1], 0x10
	s_mov_b32 s2, ttmp9
	s_mov_b32 s3, 0
	s_wait_kmcnt 0x0
	s_lshl_b32 s4, s10, 13
	s_delay_alu instid0(SALU_CYCLE_1) | instskip(NEXT) | instid1(SALU_CYCLE_1)
	s_ashr_i32 s5, s4, 31
	s_mul_u64 s[14:15], s[4:5], s[2:3]
	s_delay_alu instid0(SALU_CYCLE_1) | instskip(NEXT) | instid1(SALU_CYCLE_1)
	s_sub_nc_u64 s[8:9], s[8:9], s[14:15]
	v_cmp_lt_i64_e64 s4, s[8:9], 1
	s_and_b32 vcc_lo, exec_lo, s4
	s_cbranch_vccnz .LBB898_58
; %bb.1:
	s_load_b128 s[4:7], s[0:1], 0x0
	s_mov_b32 s0, -1
	s_cmp_gt_i32 s10, 0
	s_mov_b32 s1, -1
	s_cbranch_scc1 .LBB898_3
; %bb.2:
	s_mov_b32 s1, 0
.LBB898_3:
	v_mov_b32_e32 v18, 0
	s_and_not1_b32 vcc_lo, exec_lo, s1
	s_cbranch_vccnz .LBB898_56
; %bb.4:
	v_lshrrev_b32_e32 v2, 3, v0
	v_mov_b32_e32 v1, 0
	v_dual_mov_b32 v18, 0 :: v_dual_add_nc_u32 v19, 0x200, v0
	v_or_b32_e32 v20, 0x400, v0
	v_add_nc_u32_e32 v21, 0x600, v0
	v_or_b32_e32 v22, 0x800, v0
	v_add_nc_u32_e32 v23, 0xa00, v0
	v_or_b32_e32 v24, 0xc00, v0
	v_add_nc_u32_e32 v25, 0xe00, v0
	v_or_b32_e32 v26, 0x1000, v0
	v_add_nc_u32_e32 v27, 0x1200, v0
	v_or_b32_e32 v28, 0x1400, v0
	v_add_nc_u32_e32 v29, 0x1600, v0
	v_or_b32_e32 v30, 0x1800, v0
	v_add_nc_u32_e32 v31, 0x1a00, v0
	v_or_b32_e32 v32, 0x1c00, v0
	v_add_nc_u32_e32 v33, 0x1e00, v0
	v_and_b32_e32 v34, 0x7c, v2
	v_cmp_gt_u32_e64 s0, 32, v0
	v_mbcnt_lo_u32_b32 v35, -1, 0
	s_movk_i32 s12, 0xe000
	s_mov_b32 s13, -1
	s_wait_kmcnt 0x0
	s_add_nc_u64 s[4:5], s[4:5], s[14:15]
	s_branch .LBB898_6
.LBB898_5:                              ;   in Loop: Header=BB898_6 Depth=1
	v_add_nc_u32_e32 v18, v2, v18
	s_wait_alu 0xfffe
	s_and_not1_b32 vcc_lo, exec_lo, s11
	s_wait_alu 0xfffe
	s_cbranch_vccz .LBB898_52
.LBB898_6:                              ; =>This Inner Loop Header: Depth=1
	v_cmp_gt_i64_e64 s1, 0x2000, s[8:9]
                                        ; implicit-def: $vgpr2
	s_and_b32 vcc_lo, exec_lo, s1
	s_mov_b32 s1, -1
	s_wait_alu 0xfffe
	s_cbranch_vccz .LBB898_29
; %bb.7:                                ;   in Loop: Header=BB898_6 Depth=1
	v_mov_b32_e32 v16, v1
	v_dual_mov_b32 v2, v1 :: v_dual_mov_b32 v3, v1
	v_dual_mov_b32 v4, v1 :: v_dual_mov_b32 v5, v1
	;; [unrolled: 1-line block ×7, first 2 shown]
	v_mov_b32_e32 v17, v16
	s_delay_alu instid0(VALU_DEP_2) | instskip(NEXT) | instid1(VALU_DEP_3)
	v_mov_b32_e32 v16, v15
	v_mov_b32_e32 v15, v14
	;; [unrolled: 1-line block ×15, first 2 shown]
	s_mov_b32 s1, exec_lo
	v_cmpx_gt_u32_e64 s8, v0
	s_cbranch_execnz .LBB898_37
; %bb.8:                                ;   in Loop: Header=BB898_6 Depth=1
	s_wait_alu 0xfffe
	s_or_b32 exec_lo, exec_lo, s1
	s_delay_alu instid0(SALU_CYCLE_1)
	s_mov_b32 s1, exec_lo
	v_cmpx_gt_u32_e64 s8, v19
	s_cbranch_execnz .LBB898_38
.LBB898_9:                              ;   in Loop: Header=BB898_6 Depth=1
	s_wait_alu 0xfffe
	s_or_b32 exec_lo, exec_lo, s1
	s_delay_alu instid0(SALU_CYCLE_1)
	s_mov_b32 s1, exec_lo
	v_cmpx_gt_u32_e64 s8, v20
	s_cbranch_execnz .LBB898_39
.LBB898_10:                             ;   in Loop: Header=BB898_6 Depth=1
	s_wait_alu 0xfffe
	s_or_b32 exec_lo, exec_lo, s1
	s_delay_alu instid0(SALU_CYCLE_1)
	s_mov_b32 s1, exec_lo
	v_cmpx_gt_u32_e64 s8, v21
	s_cbranch_execnz .LBB898_40
.LBB898_11:                             ;   in Loop: Header=BB898_6 Depth=1
	s_wait_alu 0xfffe
	s_or_b32 exec_lo, exec_lo, s1
	s_delay_alu instid0(SALU_CYCLE_1)
	s_mov_b32 s1, exec_lo
	v_cmpx_gt_u32_e64 s8, v22
	s_cbranch_execnz .LBB898_41
.LBB898_12:                             ;   in Loop: Header=BB898_6 Depth=1
	s_wait_alu 0xfffe
	s_or_b32 exec_lo, exec_lo, s1
	s_delay_alu instid0(SALU_CYCLE_1)
	s_mov_b32 s1, exec_lo
	v_cmpx_gt_u32_e64 s8, v23
	s_cbranch_execnz .LBB898_42
.LBB898_13:                             ;   in Loop: Header=BB898_6 Depth=1
	s_wait_alu 0xfffe
	s_or_b32 exec_lo, exec_lo, s1
	s_delay_alu instid0(SALU_CYCLE_1)
	s_mov_b32 s1, exec_lo
	v_cmpx_gt_u32_e64 s8, v24
	s_cbranch_execnz .LBB898_43
.LBB898_14:                             ;   in Loop: Header=BB898_6 Depth=1
	s_wait_alu 0xfffe
	s_or_b32 exec_lo, exec_lo, s1
	s_delay_alu instid0(SALU_CYCLE_1)
	s_mov_b32 s1, exec_lo
	v_cmpx_gt_u32_e64 s8, v25
	s_cbranch_execnz .LBB898_44
.LBB898_15:                             ;   in Loop: Header=BB898_6 Depth=1
	s_wait_alu 0xfffe
	s_or_b32 exec_lo, exec_lo, s1
	s_delay_alu instid0(SALU_CYCLE_1)
	s_mov_b32 s1, exec_lo
	v_cmpx_gt_u32_e64 s8, v26
	s_cbranch_execnz .LBB898_45
.LBB898_16:                             ;   in Loop: Header=BB898_6 Depth=1
	s_wait_alu 0xfffe
	s_or_b32 exec_lo, exec_lo, s1
	s_delay_alu instid0(SALU_CYCLE_1)
	s_mov_b32 s1, exec_lo
	v_cmpx_gt_u32_e64 s8, v27
	s_cbranch_execnz .LBB898_46
.LBB898_17:                             ;   in Loop: Header=BB898_6 Depth=1
	s_wait_alu 0xfffe
	s_or_b32 exec_lo, exec_lo, s1
	s_delay_alu instid0(SALU_CYCLE_1)
	s_mov_b32 s1, exec_lo
	v_cmpx_gt_u32_e64 s8, v28
	s_cbranch_execnz .LBB898_47
.LBB898_18:                             ;   in Loop: Header=BB898_6 Depth=1
	s_wait_alu 0xfffe
	s_or_b32 exec_lo, exec_lo, s1
	s_delay_alu instid0(SALU_CYCLE_1)
	s_mov_b32 s1, exec_lo
	v_cmpx_gt_u32_e64 s8, v29
	s_cbranch_execnz .LBB898_48
.LBB898_19:                             ;   in Loop: Header=BB898_6 Depth=1
	s_wait_alu 0xfffe
	s_or_b32 exec_lo, exec_lo, s1
	s_delay_alu instid0(SALU_CYCLE_1)
	s_mov_b32 s1, exec_lo
	v_cmpx_gt_u32_e64 s8, v30
	s_cbranch_execnz .LBB898_49
.LBB898_20:                             ;   in Loop: Header=BB898_6 Depth=1
	s_wait_alu 0xfffe
	s_or_b32 exec_lo, exec_lo, s1
	s_delay_alu instid0(SALU_CYCLE_1)
	s_mov_b32 s1, exec_lo
	v_cmpx_gt_u32_e64 s8, v31
	s_cbranch_execnz .LBB898_50
.LBB898_21:                             ;   in Loop: Header=BB898_6 Depth=1
	s_wait_alu 0xfffe
	s_or_b32 exec_lo, exec_lo, s1
	s_delay_alu instid0(SALU_CYCLE_1)
	s_mov_b32 s1, exec_lo
	v_cmpx_gt_u32_e64 s8, v32
	s_cbranch_execnz .LBB898_51
.LBB898_22:                             ;   in Loop: Header=BB898_6 Depth=1
	s_wait_alu 0xfffe
	s_or_b32 exec_lo, exec_lo, s1
	s_delay_alu instid0(SALU_CYCLE_1)
	s_mov_b32 s1, exec_lo
	v_cmpx_gt_u32_e64 s8, v33
	s_cbranch_execz .LBB898_24
.LBB898_23:                             ;   in Loop: Header=BB898_6 Depth=1
	v_add_co_u32 v36, s11, s4, v0
	s_wait_alu 0xf1ff
	v_add_co_ci_u32_e64 v37, null, s5, 0, s11
	global_load_u8 v17, v[36:37], off offset:7680
	s_wait_loadcnt 0x0
	v_cmp_ne_u16_e32 vcc_lo, 0, v17
	s_wait_alu 0xfffd
	v_cndmask_b32_e64 v17, 0, 1, vcc_lo
.LBB898_24:                             ;   in Loop: Header=BB898_6 Depth=1
	s_wait_alu 0xfffe
	s_or_b32 exec_lo, exec_lo, s1
	v_add_nc_u32_e32 v2, v3, v2
	s_mov_b32 s1, exec_lo
	s_barrier_signal -1
	s_barrier_wait -1
	s_delay_alu instid0(VALU_DEP_1) | instskip(SKIP_2) | instid1(VALU_DEP_1)
	v_add3_u32 v2, v2, v4, v5
	global_inv scope:SCOPE_SE
	v_add3_u32 v2, v2, v6, v7
	v_add3_u32 v2, v2, v8, v9
	s_delay_alu instid0(VALU_DEP_1) | instskip(NEXT) | instid1(VALU_DEP_1)
	v_add3_u32 v2, v2, v10, v11
	v_add3_u32 v2, v2, v12, v13
	s_delay_alu instid0(VALU_DEP_1) | instskip(NEXT) | instid1(VALU_DEP_1)
	;; [unrolled: 3-line block ×3, first 2 shown]
	v_mov_b32_dpp v3, v2 quad_perm:[1,0,3,2] row_mask:0xf bank_mask:0xf
	v_add_nc_u32_e32 v2, v2, v3
	s_delay_alu instid0(VALU_DEP_1) | instskip(NEXT) | instid1(VALU_DEP_1)
	v_mov_b32_dpp v3, v2 quad_perm:[2,3,0,1] row_mask:0xf bank_mask:0xf
	v_add_nc_u32_e32 v2, v2, v3
	s_delay_alu instid0(VALU_DEP_1) | instskip(NEXT) | instid1(VALU_DEP_1)
	v_mov_b32_dpp v3, v2 row_ror:4 row_mask:0xf bank_mask:0xf
	v_add_nc_u32_e32 v2, v2, v3
	s_delay_alu instid0(VALU_DEP_1) | instskip(NEXT) | instid1(VALU_DEP_1)
	v_mov_b32_dpp v3, v2 row_ror:8 row_mask:0xf bank_mask:0xf
	v_add_nc_u32_e32 v2, v2, v3
	ds_swizzle_b32 v3, v2 offset:swizzle(BROADCAST,32,15)
	s_wait_dscnt 0x0
	v_add_nc_u32_e32 v2, v2, v3
	ds_bpermute_b32 v2, v1, v2 offset:124
	v_cmpx_eq_u32_e32 0, v35
	s_cbranch_execz .LBB898_26
; %bb.25:                               ;   in Loop: Header=BB898_6 Depth=1
	s_wait_dscnt 0x0
	ds_store_b32 v34, v2
.LBB898_26:                             ;   in Loop: Header=BB898_6 Depth=1
	s_wait_alu 0xfffe
	s_or_b32 exec_lo, exec_lo, s1
	s_wait_loadcnt_dscnt 0x0
	s_barrier_signal -1
	s_barrier_wait -1
	global_inv scope:SCOPE_SE
	s_and_saveexec_b32 s1, s0
	s_cbranch_execz .LBB898_28
; %bb.27:                               ;   in Loop: Header=BB898_6 Depth=1
	v_and_b32_e32 v2, 15, v35
	s_delay_alu instid0(VALU_DEP_1)
	v_lshlrev_b32_e32 v3, 2, v2
	v_cmp_ne_u32_e32 vcc_lo, 15, v2
	ds_load_b32 v3, v3
	s_wait_alu 0xfffd
	v_add_co_ci_u32_e64 v4, null, 0, v35, vcc_lo
	v_cmp_gt_u32_e32 vcc_lo, 14, v2
	s_delay_alu instid0(VALU_DEP_2) | instskip(SKIP_3) | instid1(VALU_DEP_2)
	v_lshlrev_b32_e32 v4, 2, v4
	s_wait_alu 0xfffd
	v_cndmask_b32_e64 v5, 0, 2, vcc_lo
	v_cmp_gt_u32_e32 vcc_lo, 12, v2
	v_add_lshl_u32 v5, v5, v35, 2
	s_wait_alu 0xfffd
	v_cndmask_b32_e64 v2, 0, 4, vcc_lo
	s_delay_alu instid0(VALU_DEP_1)
	v_add_lshl_u32 v2, v2, v35, 2
	s_wait_dscnt 0x0
	ds_bpermute_b32 v4, v4, v3
	s_wait_dscnt 0x0
	v_add_nc_u32_e32 v3, v4, v3
	ds_bpermute_b32 v4, v5, v3
	s_wait_dscnt 0x0
	v_add_nc_u32_e32 v3, v4, v3
	v_lshlrev_b32_e32 v4, 2, v35
	ds_bpermute_b32 v2, v2, v3
	s_wait_dscnt 0x0
	v_add_nc_u32_e32 v2, v2, v3
	v_or_b32_e32 v3, 32, v4
	ds_bpermute_b32 v3, v3, v2
	s_wait_dscnt 0x0
	v_add_nc_u32_e32 v2, v3, v2
.LBB898_28:                             ;   in Loop: Header=BB898_6 Depth=1
	s_wait_alu 0xfffe
	s_or_b32 exec_lo, exec_lo, s1
	s_mov_b32 s1, 0
.LBB898_29:                             ;   in Loop: Header=BB898_6 Depth=1
	s_wait_alu 0xfffe
	s_and_b32 vcc_lo, exec_lo, s1
	s_wait_alu 0xfffe
	s_cbranch_vccz .LBB898_35
; %bb.30:                               ;   in Loop: Header=BB898_6 Depth=1
	v_add_co_u32 v2, s1, s4, v0
	s_wait_alu 0xf1ff
	v_add_co_ci_u32_e64 v3, null, s5, 0, s1
	s_mov_b32 s1, exec_lo
	s_clause 0xf
	global_load_u8 v4, v[2:3], off
	global_load_u8 v5, v[2:3], off offset:1024
	global_load_u8 v6, v[2:3], off offset:512
	global_load_u8 v7, v[2:3], off offset:2048
	global_load_u8 v8, v[2:3], off offset:1536
	global_load_u8 v9, v[2:3], off offset:3072
	global_load_u8 v10, v[2:3], off offset:2560
	global_load_u8 v11, v[2:3], off offset:4096
	global_load_u8 v12, v[2:3], off offset:3584
	global_load_u8 v13, v[2:3], off offset:5120
	global_load_u8 v14, v[2:3], off offset:4608
	global_load_u8 v15, v[2:3], off offset:6144
	global_load_u8 v16, v[2:3], off offset:5632
	global_load_u8 v17, v[2:3], off offset:7168
	global_load_u8 v36, v[2:3], off offset:6656
	global_load_u8 v2, v[2:3], off offset:7680
	s_wait_loadcnt 0x0
	s_barrier_signal -1
	s_barrier_wait -1
	global_inv scope:SCOPE_SE
	v_cmp_ne_u16_e32 vcc_lo, 0, v4
	s_wait_alu 0xfffd
	v_cndmask_b32_e64 v3, 0, 1, vcc_lo
	v_cmp_ne_u16_e32 vcc_lo, 0, v5
	s_wait_alu 0xfffd
	v_cndmask_b32_e64 v4, 0, 1, vcc_lo
	v_cmp_ne_u16_e32 vcc_lo, 0, v6
	s_wait_alu 0xfffd
	v_add_co_ci_u32_e64 v3, null, 0, v3, vcc_lo
	v_cmp_ne_u16_e32 vcc_lo, 0, v7
	s_wait_alu 0xfffd
	v_cndmask_b32_e64 v5, 0, 1, vcc_lo
	v_cmp_ne_u16_e32 vcc_lo, 0, v8
	s_wait_alu 0xfffd
	v_add_co_ci_u32_e64 v3, null, v3, v4, vcc_lo
	;; [unrolled: 6-line block ×7, first 2 shown]
	v_cmp_ne_u16_e32 vcc_lo, 0, v2
	s_wait_alu 0xfffd
	s_delay_alu instid0(VALU_DEP_2) | instskip(NEXT) | instid1(VALU_DEP_1)
	v_add_co_ci_u32_e64 v2, null, v3, v4, vcc_lo
	v_mov_b32_dpp v3, v2 quad_perm:[1,0,3,2] row_mask:0xf bank_mask:0xf
	s_delay_alu instid0(VALU_DEP_1) | instskip(NEXT) | instid1(VALU_DEP_1)
	v_add_nc_u32_e32 v2, v3, v2
	v_mov_b32_dpp v3, v2 quad_perm:[2,3,0,1] row_mask:0xf bank_mask:0xf
	s_delay_alu instid0(VALU_DEP_1) | instskip(NEXT) | instid1(VALU_DEP_1)
	v_add_nc_u32_e32 v2, v2, v3
	v_mov_b32_dpp v3, v2 row_ror:4 row_mask:0xf bank_mask:0xf
	s_delay_alu instid0(VALU_DEP_1) | instskip(NEXT) | instid1(VALU_DEP_1)
	v_add_nc_u32_e32 v2, v2, v3
	v_mov_b32_dpp v3, v2 row_ror:8 row_mask:0xf bank_mask:0xf
	s_delay_alu instid0(VALU_DEP_1)
	v_add_nc_u32_e32 v2, v2, v3
	ds_swizzle_b32 v3, v2 offset:swizzle(BROADCAST,32,15)
	s_wait_dscnt 0x0
	v_add_nc_u32_e32 v2, v2, v3
	ds_bpermute_b32 v2, v1, v2 offset:124
	v_cmpx_eq_u32_e32 0, v35
	s_cbranch_execz .LBB898_32
; %bb.31:                               ;   in Loop: Header=BB898_6 Depth=1
	s_wait_dscnt 0x0
	ds_store_b32 v34, v2
.LBB898_32:                             ;   in Loop: Header=BB898_6 Depth=1
	s_wait_alu 0xfffe
	s_or_b32 exec_lo, exec_lo, s1
	s_wait_loadcnt_dscnt 0x0
	s_barrier_signal -1
	s_barrier_wait -1
	global_inv scope:SCOPE_SE
	s_and_saveexec_b32 s1, s0
	s_cbranch_execz .LBB898_34
; %bb.33:                               ;   in Loop: Header=BB898_6 Depth=1
	v_and_b32_e32 v2, 15, v35
	s_delay_alu instid0(VALU_DEP_1)
	v_lshlrev_b32_e32 v3, 2, v2
	v_cmp_ne_u32_e32 vcc_lo, 15, v2
	ds_load_b32 v3, v3
	s_wait_alu 0xfffd
	v_add_co_ci_u32_e64 v4, null, 0, v35, vcc_lo
	v_cmp_gt_u32_e32 vcc_lo, 14, v2
	s_delay_alu instid0(VALU_DEP_2) | instskip(SKIP_3) | instid1(VALU_DEP_2)
	v_lshlrev_b32_e32 v4, 2, v4
	s_wait_alu 0xfffd
	v_cndmask_b32_e64 v5, 0, 2, vcc_lo
	v_cmp_gt_u32_e32 vcc_lo, 12, v2
	v_add_lshl_u32 v5, v5, v35, 2
	s_wait_alu 0xfffd
	v_cndmask_b32_e64 v2, 0, 4, vcc_lo
	s_delay_alu instid0(VALU_DEP_1)
	v_add_lshl_u32 v2, v2, v35, 2
	s_wait_dscnt 0x0
	ds_bpermute_b32 v4, v4, v3
	s_wait_dscnt 0x0
	v_add_nc_u32_e32 v3, v4, v3
	ds_bpermute_b32 v4, v5, v3
	s_wait_dscnt 0x0
	v_add_nc_u32_e32 v3, v4, v3
	v_lshlrev_b32_e32 v4, 2, v35
	ds_bpermute_b32 v2, v2, v3
	s_wait_dscnt 0x0
	v_add_nc_u32_e32 v2, v2, v3
	v_or_b32_e32 v3, 32, v4
	ds_bpermute_b32 v3, v3, v2
	s_wait_dscnt 0x0
	v_add_nc_u32_e32 v2, v3, v2
.LBB898_34:                             ;   in Loop: Header=BB898_6 Depth=1
	s_wait_alu 0xfffe
	s_or_b32 exec_lo, exec_lo, s1
.LBB898_35:                             ;   in Loop: Header=BB898_6 Depth=1
	v_cmp_lt_i64_e64 s11, 0x2000, s[8:9]
	s_mov_b32 s1, -1
	s_and_b32 vcc_lo, exec_lo, s11
	s_mov_b32 s11, -1
	s_wait_alu 0xfffe
	s_cbranch_vccz .LBB898_5
; %bb.36:                               ;   in Loop: Header=BB898_6 Depth=1
	s_add_co_i32 s10, s10, -1
	s_add_nc_u64 s[4:5], s[4:5], 0x2000
	s_wait_alu 0xfffe
	s_cmp_eq_u32 s10, 0
	s_add_nc_u64 s[8:9], s[8:9], s[12:13]
	s_mov_b32 s1, 0
	s_cselect_b32 s11, -1, 0
	s_wait_loadcnt 0x0
	s_barrier_signal -1
	s_barrier_wait -1
	global_inv scope:SCOPE_SE
	s_branch .LBB898_5
.LBB898_37:                             ;   in Loop: Header=BB898_6 Depth=1
	v_add_co_u32 v2, s11, s4, v0
	s_wait_alu 0xf1ff
	v_add_co_ci_u32_e64 v3, null, s5, 0, s11
	v_dual_mov_b32 v5, v1 :: v_dual_mov_b32 v6, v1
	v_dual_mov_b32 v7, v1 :: v_dual_mov_b32 v8, v1
	global_load_u8 v2, v[2:3], off
	v_dual_mov_b32 v3, v1 :: v_dual_mov_b32 v4, v1
	v_dual_mov_b32 v9, v1 :: v_dual_mov_b32 v10, v1
	v_dual_mov_b32 v11, v1 :: v_dual_mov_b32 v12, v1
	v_dual_mov_b32 v13, v1 :: v_dual_mov_b32 v14, v1
	v_dual_mov_b32 v15, v1 :: v_dual_mov_b32 v16, v1
	v_mov_b32_e32 v17, v1
	s_wait_loadcnt 0x0
	v_cmp_ne_u16_e32 vcc_lo, 0, v2
	s_wait_alu 0xfffd
	v_cndmask_b32_e64 v2, 0, 1, vcc_lo
	s_delay_alu instid0(VALU_DEP_1) | instskip(SKIP_2) | instid1(SALU_CYCLE_1)
	v_and_b32_e32 v2, 0xffff, v2
	s_wait_alu 0xfffe
	s_or_b32 exec_lo, exec_lo, s1
	s_mov_b32 s1, exec_lo
	v_cmpx_gt_u32_e64 s8, v19
	s_cbranch_execz .LBB898_9
.LBB898_38:                             ;   in Loop: Header=BB898_6 Depth=1
	v_add_co_u32 v36, s11, s4, v0
	s_wait_alu 0xf1ff
	v_add_co_ci_u32_e64 v37, null, s5, 0, s11
	global_load_u8 v3, v[36:37], off offset:512
	s_wait_loadcnt 0x0
	v_cmp_ne_u16_e32 vcc_lo, 0, v3
	s_wait_alu 0xfffd
	v_cndmask_b32_e64 v3, 0, 1, vcc_lo
	s_wait_alu 0xfffe
	s_or_b32 exec_lo, exec_lo, s1
	s_delay_alu instid0(SALU_CYCLE_1)
	s_mov_b32 s1, exec_lo
	v_cmpx_gt_u32_e64 s8, v20
	s_cbranch_execz .LBB898_10
.LBB898_39:                             ;   in Loop: Header=BB898_6 Depth=1
	v_add_co_u32 v36, s11, s4, v0
	s_wait_alu 0xf1ff
	v_add_co_ci_u32_e64 v37, null, s5, 0, s11
	global_load_u8 v4, v[36:37], off offset:1024
	s_wait_loadcnt 0x0
	v_cmp_ne_u16_e32 vcc_lo, 0, v4
	s_wait_alu 0xfffd
	v_cndmask_b32_e64 v4, 0, 1, vcc_lo
	s_wait_alu 0xfffe
	s_or_b32 exec_lo, exec_lo, s1
	s_delay_alu instid0(SALU_CYCLE_1)
	s_mov_b32 s1, exec_lo
	v_cmpx_gt_u32_e64 s8, v21
	s_cbranch_execz .LBB898_11
.LBB898_40:                             ;   in Loop: Header=BB898_6 Depth=1
	v_add_co_u32 v36, s11, s4, v0
	s_wait_alu 0xf1ff
	v_add_co_ci_u32_e64 v37, null, s5, 0, s11
	global_load_u8 v5, v[36:37], off offset:1536
	s_wait_loadcnt 0x0
	v_cmp_ne_u16_e32 vcc_lo, 0, v5
	s_wait_alu 0xfffd
	v_cndmask_b32_e64 v5, 0, 1, vcc_lo
	s_wait_alu 0xfffe
	s_or_b32 exec_lo, exec_lo, s1
	s_delay_alu instid0(SALU_CYCLE_1)
	s_mov_b32 s1, exec_lo
	v_cmpx_gt_u32_e64 s8, v22
	s_cbranch_execz .LBB898_12
.LBB898_41:                             ;   in Loop: Header=BB898_6 Depth=1
	v_add_co_u32 v36, s11, s4, v0
	s_wait_alu 0xf1ff
	v_add_co_ci_u32_e64 v37, null, s5, 0, s11
	global_load_u8 v6, v[36:37], off offset:2048
	s_wait_loadcnt 0x0
	v_cmp_ne_u16_e32 vcc_lo, 0, v6
	s_wait_alu 0xfffd
	v_cndmask_b32_e64 v6, 0, 1, vcc_lo
	s_wait_alu 0xfffe
	s_or_b32 exec_lo, exec_lo, s1
	s_delay_alu instid0(SALU_CYCLE_1)
	s_mov_b32 s1, exec_lo
	v_cmpx_gt_u32_e64 s8, v23
	s_cbranch_execz .LBB898_13
.LBB898_42:                             ;   in Loop: Header=BB898_6 Depth=1
	v_add_co_u32 v36, s11, s4, v0
	s_wait_alu 0xf1ff
	v_add_co_ci_u32_e64 v37, null, s5, 0, s11
	global_load_u8 v7, v[36:37], off offset:2560
	s_wait_loadcnt 0x0
	v_cmp_ne_u16_e32 vcc_lo, 0, v7
	s_wait_alu 0xfffd
	v_cndmask_b32_e64 v7, 0, 1, vcc_lo
	s_wait_alu 0xfffe
	s_or_b32 exec_lo, exec_lo, s1
	s_delay_alu instid0(SALU_CYCLE_1)
	s_mov_b32 s1, exec_lo
	v_cmpx_gt_u32_e64 s8, v24
	s_cbranch_execz .LBB898_14
.LBB898_43:                             ;   in Loop: Header=BB898_6 Depth=1
	v_add_co_u32 v36, s11, s4, v0
	s_wait_alu 0xf1ff
	v_add_co_ci_u32_e64 v37, null, s5, 0, s11
	global_load_u8 v8, v[36:37], off offset:3072
	s_wait_loadcnt 0x0
	v_cmp_ne_u16_e32 vcc_lo, 0, v8
	s_wait_alu 0xfffd
	v_cndmask_b32_e64 v8, 0, 1, vcc_lo
	s_wait_alu 0xfffe
	s_or_b32 exec_lo, exec_lo, s1
	s_delay_alu instid0(SALU_CYCLE_1)
	s_mov_b32 s1, exec_lo
	v_cmpx_gt_u32_e64 s8, v25
	s_cbranch_execz .LBB898_15
.LBB898_44:                             ;   in Loop: Header=BB898_6 Depth=1
	v_add_co_u32 v36, s11, s4, v0
	s_wait_alu 0xf1ff
	v_add_co_ci_u32_e64 v37, null, s5, 0, s11
	global_load_u8 v9, v[36:37], off offset:3584
	s_wait_loadcnt 0x0
	v_cmp_ne_u16_e32 vcc_lo, 0, v9
	s_wait_alu 0xfffd
	v_cndmask_b32_e64 v9, 0, 1, vcc_lo
	s_wait_alu 0xfffe
	s_or_b32 exec_lo, exec_lo, s1
	s_delay_alu instid0(SALU_CYCLE_1)
	s_mov_b32 s1, exec_lo
	v_cmpx_gt_u32_e64 s8, v26
	s_cbranch_execz .LBB898_16
.LBB898_45:                             ;   in Loop: Header=BB898_6 Depth=1
	v_add_co_u32 v36, s11, s4, v0
	s_wait_alu 0xf1ff
	v_add_co_ci_u32_e64 v37, null, s5, 0, s11
	global_load_u8 v10, v[36:37], off offset:4096
	s_wait_loadcnt 0x0
	v_cmp_ne_u16_e32 vcc_lo, 0, v10
	s_wait_alu 0xfffd
	v_cndmask_b32_e64 v10, 0, 1, vcc_lo
	s_wait_alu 0xfffe
	s_or_b32 exec_lo, exec_lo, s1
	s_delay_alu instid0(SALU_CYCLE_1)
	s_mov_b32 s1, exec_lo
	v_cmpx_gt_u32_e64 s8, v27
	s_cbranch_execz .LBB898_17
.LBB898_46:                             ;   in Loop: Header=BB898_6 Depth=1
	v_add_co_u32 v36, s11, s4, v0
	s_wait_alu 0xf1ff
	v_add_co_ci_u32_e64 v37, null, s5, 0, s11
	global_load_u8 v11, v[36:37], off offset:4608
	s_wait_loadcnt 0x0
	v_cmp_ne_u16_e32 vcc_lo, 0, v11
	s_wait_alu 0xfffd
	v_cndmask_b32_e64 v11, 0, 1, vcc_lo
	s_wait_alu 0xfffe
	s_or_b32 exec_lo, exec_lo, s1
	s_delay_alu instid0(SALU_CYCLE_1)
	s_mov_b32 s1, exec_lo
	v_cmpx_gt_u32_e64 s8, v28
	s_cbranch_execz .LBB898_18
.LBB898_47:                             ;   in Loop: Header=BB898_6 Depth=1
	v_add_co_u32 v36, s11, s4, v0
	s_wait_alu 0xf1ff
	v_add_co_ci_u32_e64 v37, null, s5, 0, s11
	global_load_u8 v12, v[36:37], off offset:5120
	s_wait_loadcnt 0x0
	v_cmp_ne_u16_e32 vcc_lo, 0, v12
	s_wait_alu 0xfffd
	v_cndmask_b32_e64 v12, 0, 1, vcc_lo
	s_wait_alu 0xfffe
	s_or_b32 exec_lo, exec_lo, s1
	s_delay_alu instid0(SALU_CYCLE_1)
	s_mov_b32 s1, exec_lo
	v_cmpx_gt_u32_e64 s8, v29
	s_cbranch_execz .LBB898_19
.LBB898_48:                             ;   in Loop: Header=BB898_6 Depth=1
	v_add_co_u32 v36, s11, s4, v0
	s_wait_alu 0xf1ff
	v_add_co_ci_u32_e64 v37, null, s5, 0, s11
	global_load_u8 v13, v[36:37], off offset:5632
	s_wait_loadcnt 0x0
	v_cmp_ne_u16_e32 vcc_lo, 0, v13
	s_wait_alu 0xfffd
	v_cndmask_b32_e64 v13, 0, 1, vcc_lo
	s_wait_alu 0xfffe
	s_or_b32 exec_lo, exec_lo, s1
	s_delay_alu instid0(SALU_CYCLE_1)
	s_mov_b32 s1, exec_lo
	v_cmpx_gt_u32_e64 s8, v30
	s_cbranch_execz .LBB898_20
.LBB898_49:                             ;   in Loop: Header=BB898_6 Depth=1
	v_add_co_u32 v36, s11, s4, v0
	s_wait_alu 0xf1ff
	v_add_co_ci_u32_e64 v37, null, s5, 0, s11
	global_load_u8 v14, v[36:37], off offset:6144
	s_wait_loadcnt 0x0
	v_cmp_ne_u16_e32 vcc_lo, 0, v14
	s_wait_alu 0xfffd
	v_cndmask_b32_e64 v14, 0, 1, vcc_lo
	s_wait_alu 0xfffe
	s_or_b32 exec_lo, exec_lo, s1
	s_delay_alu instid0(SALU_CYCLE_1)
	s_mov_b32 s1, exec_lo
	v_cmpx_gt_u32_e64 s8, v31
	s_cbranch_execz .LBB898_21
.LBB898_50:                             ;   in Loop: Header=BB898_6 Depth=1
	v_add_co_u32 v36, s11, s4, v0
	s_wait_alu 0xf1ff
	v_add_co_ci_u32_e64 v37, null, s5, 0, s11
	global_load_u8 v15, v[36:37], off offset:6656
	s_wait_loadcnt 0x0
	v_cmp_ne_u16_e32 vcc_lo, 0, v15
	s_wait_alu 0xfffd
	v_cndmask_b32_e64 v15, 0, 1, vcc_lo
	s_wait_alu 0xfffe
	s_or_b32 exec_lo, exec_lo, s1
	s_delay_alu instid0(SALU_CYCLE_1)
	s_mov_b32 s1, exec_lo
	v_cmpx_gt_u32_e64 s8, v32
	s_cbranch_execz .LBB898_22
.LBB898_51:                             ;   in Loop: Header=BB898_6 Depth=1
	v_add_co_u32 v36, s11, s4, v0
	s_wait_alu 0xf1ff
	v_add_co_ci_u32_e64 v37, null, s5, 0, s11
	global_load_u8 v16, v[36:37], off offset:7168
	s_wait_loadcnt 0x0
	v_cmp_ne_u16_e32 vcc_lo, 0, v16
	s_wait_alu 0xfffd
	v_cndmask_b32_e64 v16, 0, 1, vcc_lo
	s_wait_alu 0xfffe
	s_or_b32 exec_lo, exec_lo, s1
	s_delay_alu instid0(SALU_CYCLE_1)
	s_mov_b32 s1, exec_lo
	v_cmpx_gt_u32_e64 s8, v33
	s_cbranch_execnz .LBB898_23
	s_branch .LBB898_24
.LBB898_52:
	s_and_b32 vcc_lo, exec_lo, s1
	s_mov_b32 s0, -1
	s_wait_alu 0xfffe
	s_cbranch_vccz .LBB898_56
; %bb.53:
	s_mov_b32 s0, 0
	s_mov_b32 s1, exec_lo
	v_cmpx_eq_u32_e32 0, v0
	s_cbranch_execz .LBB898_55
; %bb.54:
	v_mov_b32_e32 v0, 0
	s_lshl_b64 s[4:5], s[2:3], 2
	s_wait_alu 0xfffe
	s_add_nc_u64 s[4:5], s[6:7], s[4:5]
	global_store_b32 v0, v18, s[4:5]
.LBB898_55:
	s_wait_alu 0xfffe
	s_or_b32 exec_lo, exec_lo, s1
.LBB898_56:
	v_cmp_eq_u32_e32 vcc_lo, 0, v0
	s_and_b32 s0, vcc_lo, s0
	s_wait_alu 0xfffe
	s_and_saveexec_b32 s1, s0
	s_cbranch_execz .LBB898_58
; %bb.57:
	v_mov_b32_e32 v0, 0
	s_lshl_b64 s[0:1], s[2:3], 2
	s_wait_kmcnt 0x0
	s_wait_alu 0xfffe
	s_add_nc_u64 s[0:1], s[6:7], s[0:1]
	global_store_b32 v0, v18, s[0:1]
.LBB898_58:
	s_endpgm
	.section	.rodata,"a",@progbits
	.p2align	6, 0x0
	.amdhsa_kernel _ZN2at4cuda3cub15calc_block_sumsILi512ELi16ELb1EhiEEvPKT2_PT3_li
		.amdhsa_group_segment_fixed_size 64
		.amdhsa_private_segment_fixed_size 0
		.amdhsa_kernarg_size 28
		.amdhsa_user_sgpr_count 2
		.amdhsa_user_sgpr_dispatch_ptr 0
		.amdhsa_user_sgpr_queue_ptr 0
		.amdhsa_user_sgpr_kernarg_segment_ptr 1
		.amdhsa_user_sgpr_dispatch_id 0
		.amdhsa_user_sgpr_private_segment_size 0
		.amdhsa_wavefront_size32 1
		.amdhsa_uses_dynamic_stack 0
		.amdhsa_enable_private_segment 0
		.amdhsa_system_sgpr_workgroup_id_x 1
		.amdhsa_system_sgpr_workgroup_id_y 0
		.amdhsa_system_sgpr_workgroup_id_z 0
		.amdhsa_system_sgpr_workgroup_info 0
		.amdhsa_system_vgpr_workitem_id 0
		.amdhsa_next_free_vgpr 38
		.amdhsa_next_free_sgpr 16
		.amdhsa_reserve_vcc 1
		.amdhsa_float_round_mode_32 0
		.amdhsa_float_round_mode_16_64 0
		.amdhsa_float_denorm_mode_32 3
		.amdhsa_float_denorm_mode_16_64 3
		.amdhsa_fp16_overflow 0
		.amdhsa_workgroup_processor_mode 1
		.amdhsa_memory_ordered 1
		.amdhsa_forward_progress 1
		.amdhsa_inst_pref_size 29
		.amdhsa_round_robin_scheduling 0
		.amdhsa_exception_fp_ieee_invalid_op 0
		.amdhsa_exception_fp_denorm_src 0
		.amdhsa_exception_fp_ieee_div_zero 0
		.amdhsa_exception_fp_ieee_overflow 0
		.amdhsa_exception_fp_ieee_underflow 0
		.amdhsa_exception_fp_ieee_inexact 0
		.amdhsa_exception_int_div_zero 0
	.end_amdhsa_kernel
	.section	.text._ZN2at4cuda3cub15calc_block_sumsILi512ELi16ELb1EhiEEvPKT2_PT3_li,"axG",@progbits,_ZN2at4cuda3cub15calc_block_sumsILi512ELi16ELb1EhiEEvPKT2_PT3_li,comdat
.Lfunc_end898:
	.size	_ZN2at4cuda3cub15calc_block_sumsILi512ELi16ELb1EhiEEvPKT2_PT3_li, .Lfunc_end898-_ZN2at4cuda3cub15calc_block_sumsILi512ELi16ELb1EhiEEvPKT2_PT3_li
                                        ; -- End function
	.set _ZN2at4cuda3cub15calc_block_sumsILi512ELi16ELb1EhiEEvPKT2_PT3_li.num_vgpr, 38
	.set _ZN2at4cuda3cub15calc_block_sumsILi512ELi16ELb1EhiEEvPKT2_PT3_li.num_agpr, 0
	.set _ZN2at4cuda3cub15calc_block_sumsILi512ELi16ELb1EhiEEvPKT2_PT3_li.numbered_sgpr, 16
	.set _ZN2at4cuda3cub15calc_block_sumsILi512ELi16ELb1EhiEEvPKT2_PT3_li.num_named_barrier, 0
	.set _ZN2at4cuda3cub15calc_block_sumsILi512ELi16ELb1EhiEEvPKT2_PT3_li.private_seg_size, 0
	.set _ZN2at4cuda3cub15calc_block_sumsILi512ELi16ELb1EhiEEvPKT2_PT3_li.uses_vcc, 1
	.set _ZN2at4cuda3cub15calc_block_sumsILi512ELi16ELb1EhiEEvPKT2_PT3_li.uses_flat_scratch, 0
	.set _ZN2at4cuda3cub15calc_block_sumsILi512ELi16ELb1EhiEEvPKT2_PT3_li.has_dyn_sized_stack, 0
	.set _ZN2at4cuda3cub15calc_block_sumsILi512ELi16ELb1EhiEEvPKT2_PT3_li.has_recursion, 0
	.set _ZN2at4cuda3cub15calc_block_sumsILi512ELi16ELb1EhiEEvPKT2_PT3_li.has_indirect_call, 0
	.section	.AMDGPU.csdata,"",@progbits
; Kernel info:
; codeLenInByte = 3712
; TotalNumSgprs: 18
; NumVgprs: 38
; ScratchSize: 0
; MemoryBound: 0
; FloatMode: 240
; IeeeMode: 1
; LDSByteSize: 64 bytes/workgroup (compile time only)
; SGPRBlocks: 0
; VGPRBlocks: 4
; NumSGPRsForWavesPerEU: 18
; NumVGPRsForWavesPerEU: 38
; Occupancy: 16
; WaveLimiterHint : 1
; COMPUTE_PGM_RSRC2:SCRATCH_EN: 0
; COMPUTE_PGM_RSRC2:USER_SGPR: 2
; COMPUTE_PGM_RSRC2:TRAP_HANDLER: 0
; COMPUTE_PGM_RSRC2:TGID_X_EN: 1
; COMPUTE_PGM_RSRC2:TGID_Y_EN: 0
; COMPUTE_PGM_RSRC2:TGID_Z_EN: 0
; COMPUTE_PGM_RSRC2:TIDIG_COMP_CNT: 0
	.section	.text._ZN2at6native12_GLOBAL__N_111compute_aggILi512EEEvPiPlj,"axG",@progbits,_ZN2at6native12_GLOBAL__N_111compute_aggILi512EEEvPiPlj,comdat
	.globl	_ZN2at6native12_GLOBAL__N_111compute_aggILi512EEEvPiPlj ; -- Begin function _ZN2at6native12_GLOBAL__N_111compute_aggILi512EEEvPiPlj
	.p2align	8
	.type	_ZN2at6native12_GLOBAL__N_111compute_aggILi512EEEvPiPlj,@function
_ZN2at6native12_GLOBAL__N_111compute_aggILi512EEEvPiPlj: ; @_ZN2at6native12_GLOBAL__N_111compute_aggILi512EEEvPiPlj
; %bb.0:
	s_clause 0x1
	s_load_b32 s2, s[0:1], 0x10
	s_load_b128 s[4:7], s[0:1], 0x0
	v_mov_b32_e32 v1, 0
	v_mov_b32_e32 v2, 0
	s_wait_kmcnt 0x0
	v_cmp_gt_u32_e32 vcc_lo, s2, v0
	s_and_saveexec_b32 s0, vcc_lo
	s_cbranch_execz .LBB899_2
; %bb.1:
	v_lshlrev_b32_e32 v1, 2, v0
	global_load_b32 v1, v1, s[4:5]
	s_wait_loadcnt 0x0
	v_ashrrev_i32_e32 v2, 31, v1
.LBB899_2:
	s_or_b32 exec_lo, exec_lo, s0
	v_mbcnt_lo_u32_b32 v3, -1, 0
	v_mov_b32_dpp v7, v1 row_shr:1 row_mask:0xf bank_mask:0xf
	s_delay_alu instid0(VALU_DEP_3) | instskip(NEXT) | instid1(VALU_DEP_3)
	v_mov_b32_dpp v6, v2 row_shr:1 row_mask:0xf bank_mask:0xf
	v_dual_mov_b32 v4, v1 :: v_dual_and_b32 v5, 15, v3
	s_delay_alu instid0(VALU_DEP_1)
	v_cmp_ne_u32_e64 s0, 0, v5
	s_and_saveexec_b32 s2, s0
; %bb.3:
	v_add_co_u32 v4, s1, v1, v7
	s_delay_alu instid0(VALU_DEP_1) | instskip(NEXT) | instid1(VALU_DEP_2)
	v_add_co_ci_u32_e64 v2, null, 0, v2, s1
	v_add_co_u32 v1, s1, 0, v4
	s_wait_alu 0xf1ff
	s_delay_alu instid0(VALU_DEP_2)
	v_add_co_ci_u32_e64 v2, null, v6, v2, s1
; %bb.4:
	s_wait_alu 0xfffe
	s_or_b32 exec_lo, exec_lo, s2
	v_mov_b32_dpp v7, v4 row_shr:2 row_mask:0xf bank_mask:0xf
	s_delay_alu instid0(VALU_DEP_2)
	v_mov_b32_dpp v6, v2 row_shr:2 row_mask:0xf bank_mask:0xf
	v_cmp_lt_u32_e64 s1, 1, v5
	s_and_saveexec_b32 s3, s1
; %bb.5:
	v_add_co_u32 v4, s2, v1, v7
	s_wait_alu 0xf1ff
	v_add_co_ci_u32_e64 v2, null, 0, v2, s2
	s_delay_alu instid0(VALU_DEP_2) | instskip(SKIP_1) | instid1(VALU_DEP_2)
	v_add_co_u32 v1, s2, 0, v4
	s_wait_alu 0xf1ff
	v_add_co_ci_u32_e64 v2, null, v6, v2, s2
; %bb.6:
	s_wait_alu 0xfffe
	s_or_b32 exec_lo, exec_lo, s3
	v_mov_b32_dpp v7, v4 row_shr:4 row_mask:0xf bank_mask:0xf
	s_delay_alu instid0(VALU_DEP_2)
	v_mov_b32_dpp v6, v2 row_shr:4 row_mask:0xf bank_mask:0xf
	v_cmp_lt_u32_e64 s2, 3, v5
	s_and_saveexec_b32 s4, s2
; %bb.7:
	v_add_co_u32 v4, s3, v1, v7
	s_wait_alu 0xf1ff
	v_add_co_ci_u32_e64 v2, null, 0, v2, s3
	s_delay_alu instid0(VALU_DEP_2) | instskip(SKIP_1) | instid1(VALU_DEP_2)
	v_add_co_u32 v1, s3, 0, v4
	s_wait_alu 0xf1ff
	v_add_co_ci_u32_e64 v2, null, v6, v2, s3
; %bb.8:
	s_or_b32 exec_lo, exec_lo, s4
	v_mov_b32_dpp v7, v4 row_shr:8 row_mask:0xf bank_mask:0xf
	s_delay_alu instid0(VALU_DEP_2)
	v_mov_b32_dpp v6, v2 row_shr:8 row_mask:0xf bank_mask:0xf
	v_cmp_lt_u32_e64 s3, 7, v5
	s_and_saveexec_b32 s5, s3
; %bb.9:
	v_add_co_u32 v4, s4, v1, v7
	s_delay_alu instid0(VALU_DEP_1) | instskip(NEXT) | instid1(VALU_DEP_2)
	v_add_co_ci_u32_e64 v2, null, 0, v2, s4
	v_add_co_u32 v1, s4, 0, v4
	s_wait_alu 0xf1ff
	s_delay_alu instid0(VALU_DEP_2)
	v_add_co_ci_u32_e64 v2, null, v6, v2, s4
; %bb.10:
	s_or_b32 exec_lo, exec_lo, s5
	ds_swizzle_b32 v5, v4 offset:swizzle(BROADCAST,32,15)
	ds_swizzle_b32 v4, v2 offset:swizzle(BROADCAST,32,15)
	v_and_b32_e32 v3, 16, v3
	s_mov_b32 s5, exec_lo
	s_delay_alu instid0(VALU_DEP_1)
	v_cmpx_ne_u32_e32 0, v3
	s_cbranch_execz .LBB899_12
; %bb.11:
	s_wait_dscnt 0x1
	v_add_co_u32 v1, s4, v1, v5
	s_wait_alu 0xf1ff
	v_add_co_ci_u32_e64 v2, null, 0, v2, s4
	s_delay_alu instid0(VALU_DEP_2) | instskip(SKIP_2) | instid1(VALU_DEP_2)
	v_add_co_u32 v1, s4, v1, 0
	s_wait_dscnt 0x0
	s_wait_alu 0xf1ff
	v_add_co_ci_u32_e64 v2, null, v2, v4, s4
.LBB899_12:
	s_wait_alu 0xfffe
	s_or_b32 exec_lo, exec_lo, s5
	v_and_b32_e32 v3, 0x3e0, v0
	v_lshrrev_b32_e32 v6, 5, v0
	s_mov_b32 s5, exec_lo
	s_delay_alu instid0(VALU_DEP_2) | instskip(NEXT) | instid1(VALU_DEP_1)
	v_min_u32_e32 v3, 0x1e0, v3
	v_or_b32_e32 v3, 31, v3
	s_delay_alu instid0(VALU_DEP_1)
	v_cmpx_eq_u32_e64 v0, v3
; %bb.13:
	v_lshlrev_b32_e32 v3, 3, v6
	ds_store_b64 v3, v[1:2]
; %bb.14:
	s_wait_alu 0xfffe
	s_or_b32 exec_lo, exec_lo, s5
	s_wait_dscnt 0x1
	v_lshlrev_b32_e32 v5, 3, v0
	s_mov_b32 s5, exec_lo
	s_wait_dscnt 0x0
	s_barrier_signal -1
	s_barrier_wait -1
	global_inv scope:SCOPE_SE
	v_cmpx_gt_u32_e32 16, v0
	s_cbranch_execz .LBB899_24
; %bb.15:
	ds_load_b64 v[3:4], v5
	s_wait_dscnt 0x0
	v_mov_b32_dpp v9, v3 row_shr:1 row_mask:0xf bank_mask:0xf
	v_mov_b32_dpp v8, v4 row_shr:1 row_mask:0xf bank_mask:0xf
	v_mov_b32_e32 v7, v3
	s_and_saveexec_b32 s4, s0
; %bb.16:
	s_delay_alu instid0(VALU_DEP_3) | instskip(SKIP_2) | instid1(VALU_DEP_2)
	v_add_co_u32 v7, s0, v3, v9
	s_wait_alu 0xf1ff
	v_add_co_ci_u32_e64 v4, null, 0, v4, s0
	v_add_co_u32 v3, s0, 0, v7
	s_wait_alu 0xf1ff
	s_delay_alu instid0(VALU_DEP_2)
	v_add_co_ci_u32_e64 v4, null, v8, v4, s0
; %bb.17:
	s_wait_alu 0xfffe
	s_or_b32 exec_lo, exec_lo, s4
	v_mov_b32_dpp v9, v7 row_shr:2 row_mask:0xf bank_mask:0xf
	s_delay_alu instid0(VALU_DEP_2)
	v_mov_b32_dpp v8, v4 row_shr:2 row_mask:0xf bank_mask:0xf
	s_and_saveexec_b32 s4, s1
; %bb.18:
	s_delay_alu instid0(VALU_DEP_2) | instskip(SKIP_2) | instid1(VALU_DEP_2)
	v_add_co_u32 v7, s0, v3, v9
	s_wait_alu 0xf1ff
	v_add_co_ci_u32_e64 v4, null, 0, v4, s0
	v_add_co_u32 v3, s0, 0, v7
	s_wait_alu 0xf1ff
	s_delay_alu instid0(VALU_DEP_2)
	v_add_co_ci_u32_e64 v4, null, v8, v4, s0
; %bb.19:
	s_wait_alu 0xfffe
	s_or_b32 exec_lo, exec_lo, s4
	v_mov_b32_dpp v9, v7 row_shr:4 row_mask:0xf bank_mask:0xf
	s_delay_alu instid0(VALU_DEP_2)
	v_mov_b32_dpp v8, v4 row_shr:4 row_mask:0xf bank_mask:0xf
	s_and_saveexec_b32 s1, s2
; %bb.20:
	s_delay_alu instid0(VALU_DEP_2) | instskip(SKIP_2) | instid1(VALU_DEP_2)
	;; [unrolled: 16-line block ×3, first 2 shown]
	v_add_co_u32 v3, s0, v3, v8
	s_wait_alu 0xf1ff
	v_add_co_ci_u32_e64 v4, null, 0, v4, s0
	v_add_co_u32 v3, s0, v3, 0
	s_wait_alu 0xf1ff
	s_delay_alu instid0(VALU_DEP_2)
	v_add_co_ci_u32_e64 v4, null, v4, v7, s0
; %bb.23:
	s_wait_alu 0xfffe
	s_or_b32 exec_lo, exec_lo, s1
	ds_store_b64 v5, v[3:4]
.LBB899_24:
	s_wait_alu 0xfffe
	s_or_b32 exec_lo, exec_lo, s5
	s_delay_alu instid0(SALU_CYCLE_1)
	s_mov_b32 s1, exec_lo
	s_wait_loadcnt_dscnt 0x0
	s_barrier_signal -1
	s_barrier_wait -1
	global_inv scope:SCOPE_SE
	v_cmpx_lt_u32_e32 31, v0
	s_cbranch_execnz .LBB899_27
; %bb.25:
	s_wait_alu 0xfffe
	s_or_b32 exec_lo, exec_lo, s1
	s_and_saveexec_b32 s0, vcc_lo
	s_cbranch_execnz .LBB899_28
.LBB899_26:
	s_endpgm
.LBB899_27:
	v_lshl_add_u32 v0, v6, 3, -8
	ds_load_b64 v[3:4], v0
	s_wait_dscnt 0x0
	v_add_co_u32 v1, s0, v3, v1
	s_wait_alu 0xf1ff
	v_add_co_ci_u32_e64 v2, null, v4, v2, s0
	s_wait_alu 0xfffe
	s_or_b32 exec_lo, exec_lo, s1
	s_and_saveexec_b32 s0, vcc_lo
	s_cbranch_execz .LBB899_26
.LBB899_28:
	global_store_b64 v5, v[1:2], s[6:7]
	s_endpgm
	.section	.rodata,"a",@progbits
	.p2align	6, 0x0
	.amdhsa_kernel _ZN2at6native12_GLOBAL__N_111compute_aggILi512EEEvPiPlj
		.amdhsa_group_segment_fixed_size 128
		.amdhsa_private_segment_fixed_size 0
		.amdhsa_kernarg_size 20
		.amdhsa_user_sgpr_count 2
		.amdhsa_user_sgpr_dispatch_ptr 0
		.amdhsa_user_sgpr_queue_ptr 0
		.amdhsa_user_sgpr_kernarg_segment_ptr 1
		.amdhsa_user_sgpr_dispatch_id 0
		.amdhsa_user_sgpr_private_segment_size 0
		.amdhsa_wavefront_size32 1
		.amdhsa_uses_dynamic_stack 0
		.amdhsa_enable_private_segment 0
		.amdhsa_system_sgpr_workgroup_id_x 1
		.amdhsa_system_sgpr_workgroup_id_y 0
		.amdhsa_system_sgpr_workgroup_id_z 0
		.amdhsa_system_sgpr_workgroup_info 0
		.amdhsa_system_vgpr_workitem_id 0
		.amdhsa_next_free_vgpr 10
		.amdhsa_next_free_sgpr 8
		.amdhsa_reserve_vcc 1
		.amdhsa_float_round_mode_32 0
		.amdhsa_float_round_mode_16_64 0
		.amdhsa_float_denorm_mode_32 3
		.amdhsa_float_denorm_mode_16_64 3
		.amdhsa_fp16_overflow 0
		.amdhsa_workgroup_processor_mode 1
		.amdhsa_memory_ordered 1
		.amdhsa_forward_progress 1
		.amdhsa_inst_pref_size 9
		.amdhsa_round_robin_scheduling 0
		.amdhsa_exception_fp_ieee_invalid_op 0
		.amdhsa_exception_fp_denorm_src 0
		.amdhsa_exception_fp_ieee_div_zero 0
		.amdhsa_exception_fp_ieee_overflow 0
		.amdhsa_exception_fp_ieee_underflow 0
		.amdhsa_exception_fp_ieee_inexact 0
		.amdhsa_exception_int_div_zero 0
	.end_amdhsa_kernel
	.section	.text._ZN2at6native12_GLOBAL__N_111compute_aggILi512EEEvPiPlj,"axG",@progbits,_ZN2at6native12_GLOBAL__N_111compute_aggILi512EEEvPiPlj,comdat
.Lfunc_end899:
	.size	_ZN2at6native12_GLOBAL__N_111compute_aggILi512EEEvPiPlj, .Lfunc_end899-_ZN2at6native12_GLOBAL__N_111compute_aggILi512EEEvPiPlj
                                        ; -- End function
	.set _ZN2at6native12_GLOBAL__N_111compute_aggILi512EEEvPiPlj.num_vgpr, 10
	.set _ZN2at6native12_GLOBAL__N_111compute_aggILi512EEEvPiPlj.num_agpr, 0
	.set _ZN2at6native12_GLOBAL__N_111compute_aggILi512EEEvPiPlj.numbered_sgpr, 8
	.set _ZN2at6native12_GLOBAL__N_111compute_aggILi512EEEvPiPlj.num_named_barrier, 0
	.set _ZN2at6native12_GLOBAL__N_111compute_aggILi512EEEvPiPlj.private_seg_size, 0
	.set _ZN2at6native12_GLOBAL__N_111compute_aggILi512EEEvPiPlj.uses_vcc, 1
	.set _ZN2at6native12_GLOBAL__N_111compute_aggILi512EEEvPiPlj.uses_flat_scratch, 0
	.set _ZN2at6native12_GLOBAL__N_111compute_aggILi512EEEvPiPlj.has_dyn_sized_stack, 0
	.set _ZN2at6native12_GLOBAL__N_111compute_aggILi512EEEvPiPlj.has_recursion, 0
	.set _ZN2at6native12_GLOBAL__N_111compute_aggILi512EEEvPiPlj.has_indirect_call, 0
	.section	.AMDGPU.csdata,"",@progbits
; Kernel info:
; codeLenInByte = 1104
; TotalNumSgprs: 10
; NumVgprs: 10
; ScratchSize: 0
; MemoryBound: 0
; FloatMode: 240
; IeeeMode: 1
; LDSByteSize: 128 bytes/workgroup (compile time only)
; SGPRBlocks: 0
; VGPRBlocks: 1
; NumSGPRsForWavesPerEU: 10
; NumVGPRsForWavesPerEU: 10
; Occupancy: 16
; WaveLimiterHint : 0
; COMPUTE_PGM_RSRC2:SCRATCH_EN: 0
; COMPUTE_PGM_RSRC2:USER_SGPR: 2
; COMPUTE_PGM_RSRC2:TRAP_HANDLER: 0
; COMPUTE_PGM_RSRC2:TGID_X_EN: 1
; COMPUTE_PGM_RSRC2:TGID_Y_EN: 0
; COMPUTE_PGM_RSRC2:TGID_Z_EN: 0
; COMPUTE_PGM_RSRC2:TIDIG_COMP_CNT: 0
	.section	.text._ZN2at6native12_GLOBAL__N_111flag_kernelILi512ELi16EhEEvPKT1_PlPKllli,"axG",@progbits,_ZN2at6native12_GLOBAL__N_111flag_kernelILi512ELi16EhEEvPKT1_PlPKllli,comdat
	.globl	_ZN2at6native12_GLOBAL__N_111flag_kernelILi512ELi16EhEEvPKT1_PlPKllli ; -- Begin function _ZN2at6native12_GLOBAL__N_111flag_kernelILi512ELi16EhEEvPKT1_PlPKllli
	.p2align	8
	.type	_ZN2at6native12_GLOBAL__N_111flag_kernelILi512ELi16EhEEvPKT1_PlPKllli,@function
_ZN2at6native12_GLOBAL__N_111flag_kernelILi512ELi16EhEEvPKT1_PlPKllli: ; @_ZN2at6native12_GLOBAL__N_111flag_kernelILi512ELi16EhEEvPKT1_PlPKllli
; %bb.0:
	s_clause 0x1
	s_load_b32 s26, s[0:1], 0x28
	s_load_b256 s[12:19], s[0:1], 0x0
	s_mov_b32 s2, ttmp9
	s_mov_b32 s3, 0
	s_wait_kmcnt 0x0
	s_lshl_b32 s4, s26, 13
	s_delay_alu instid0(SALU_CYCLE_1) | instskip(NEXT) | instid1(SALU_CYCLE_1)
	s_ashr_i32 s5, s4, 31
	s_mul_u64 s[20:21], s[4:5], s[2:3]
	s_delay_alu instid0(SALU_CYCLE_1)
	v_cmp_le_i64_e64 s2, s[18:19], s[20:21]
	s_and_b32 vcc_lo, exec_lo, s2
	s_cbranch_vccnz .LBB900_100
; %bb.1:
	s_load_b64 s[2:3], s[0:1], 0x20
	s_cmp_eq_u32 ttmp9, 0
	s_cbranch_scc1 .LBB900_3
; %bb.2:
	s_add_co_i32 s4, ttmp9, -1
	s_mov_b32 s5, 0
	s_delay_alu instid0(SALU_CYCLE_1) | instskip(NEXT) | instid1(SALU_CYCLE_1)
	s_lshl_b64 s[4:5], s[4:5], 3
	s_add_nc_u64 s[4:5], s[16:17], s[4:5]
	s_load_b64 s[4:5], s[4:5], 0x0
	s_cmp_lt_i32 s26, 1
	s_cbranch_scc0 .LBB900_4
	s_branch .LBB900_100
.LBB900_3:
	s_mov_b64 s[4:5], 0
	s_cmp_lt_i32 s26, 1
	s_cbranch_scc1 .LBB900_100
.LBB900_4:
	v_mbcnt_lo_u32_b32 v2, -1, 0
	v_lshlrev_b32_e32 v1, 4, v0
	s_wait_kmcnt 0x0
	s_sub_nc_u64 s[16:17], s[2:3], s[4:5]
	s_lshl_b64 s[24:25], s[4:5], 3
	v_lshrrev_b32_e32 v7, 3, v0
	v_and_b32_e32 v4, 15, v2
	v_and_b32_e32 v6, 0x3e00, v1
	;; [unrolled: 1-line block ×3, first 2 shown]
	v_or_b32_e32 v8, 0x800, v0
	v_and_b32_e32 v21, 0x7c, v7
	v_add_nc_u32_e32 v7, 0x200, v0
	v_add_nc_u32_e32 v9, 0xa00, v0
	v_cmp_eq_u32_e64 s6, 0, v1
	v_mov_b32_e32 v1, 0
	v_cmp_eq_u32_e64 s2, 0, v4
	v_cmp_lt_u32_e64 s3, 1, v4
	v_cmp_lt_u32_e64 s4, 3, v4
	;; [unrolled: 1-line block ×3, first 2 shown]
	v_sub_co_u32 v4, s8, v2, 1
	v_lshlrev_b32_e32 v22, 2, v0
	v_lshrrev_b32_e32 v8, 3, v8
	v_lshrrev_b32_e32 v9, 3, v9
	s_delay_alu instid0(VALU_DEP_4)
	v_cmp_gt_i32_e32 vcc_lo, 0, v4
	v_and_b32_e32 v3, 0x3e0, v0
	v_or_b32_e32 v38, v2, v6
	v_cmp_gt_u32_e64 s9, 16, v0
	v_cmp_lt_u32_e64 s10, 31, v0
	v_cndmask_b32_e32 v4, v4, v2, vcc_lo
	v_min_u32_e32 v5, 0x1e0, v3
	v_or_b32_e32 v43, 32, v38
	v_or_b32_e32 v44, 64, v38
	;; [unrolled: 1-line block ×3, first 2 shown]
	v_lshlrev_b32_e32 v24, 2, v4
	v_or_b32_e32 v5, 31, v5
	v_lshrrev_b32_e32 v4, 3, v7
	v_add_nc_u32_e32 v7, 0x600, v0
	v_or_b32_e32 v46, 0x80, v38
	v_or_b32_e32 v47, 0xa0, v38
	v_cmp_eq_u32_e64 s7, v0, v5
	v_lshlrev_b32_e32 v5, 1, v0
	v_and_b32_e32 v4, 0xfc, v4
	v_lshrrev_b32_e32 v7, 3, v7
	v_or_b32_e32 v48, 0xc0, v38
	v_or_b32_e32 v49, 0xe0, v38
	v_and_b32_e32 v5, 0x7fc, v5
	v_add_nc_u32_e32 v27, v22, v4
	v_or_b32_e32 v50, 0x100, v38
	v_or_b32_e32 v51, 0x120, v38
	;; [unrolled: 1-line block ×3, first 2 shown]
	v_lshl_add_u32 v25, v0, 6, v5
	v_or_b32_e32 v5, 0x400, v0
	v_or_b32_e32 v53, 0x160, v38
	;; [unrolled: 1-line block ×5, first 2 shown]
	v_lshrrev_b32_e32 v5, 3, v5
	v_or_b32_e32 v57, 0x1e0, v38
	v_or_b32_e32 v2, v2, v3
	v_add_co_u32 v75, s12, s12, v38
	s_delay_alu instid0(VALU_DEP_4)
	v_and_b32_e32 v4, 0xfc, v5
	v_and_b32_e32 v5, 0x1fc, v7
	;; [unrolled: 1-line block ×4, first 2 shown]
	v_or_b32_e32 v9, 0xc00, v0
	v_add_nc_u32_e32 v28, v22, v4
	v_add_nc_u32_e32 v29, v22, v5
	;; [unrolled: 1-line block ×4, first 2 shown]
	v_lshrrev_b32_e32 v4, 3, v9
	v_add_nc_u32_e32 v5, 0xe00, v0
	v_or_b32_e32 v7, 0x1000, v0
	v_add_nc_u32_e32 v8, 0x1200, v0
	v_or_b32_e32 v9, 0x1400, v0
	v_and_b32_e32 v4, 0x1fc, v4
	v_lshrrev_b32_e32 v5, 3, v5
	v_lshrrev_b32_e32 v7, 3, v7
	;; [unrolled: 1-line block ×4, first 2 shown]
	v_add_nc_u32_e32 v32, v22, v4
	v_and_b32_e32 v4, 0x3fc, v5
	v_and_b32_e32 v5, 0x27c, v7
	;; [unrolled: 1-line block ×4, first 2 shown]
	v_add_nc_u32_e32 v9, 0x1600, v0
	v_add_nc_u32_e32 v33, v22, v4
	;; [unrolled: 1-line block ×3, first 2 shown]
	v_or_b32_e32 v5, 0x1800, v0
	v_add_nc_u32_e32 v35, v22, v7
	v_lshrrev_b32_e32 v4, 3, v9
	v_add_nc_u32_e32 v7, 0x1a00, v0
	v_add_nc_u32_e32 v36, v22, v8
	v_lshrrev_b32_e32 v5, 3, v5
	v_or_b32_e32 v8, 0x1c00, v0
	v_and_b32_e32 v4, 0x3fc, v4
	v_add_nc_u32_e32 v9, 0x1e00, v0
	v_lshrrev_b32_e32 v7, 3, v7
	v_add_nc_u32_e32 v23, -4, v21
	v_lshrrev_b32_e32 v8, 3, v8
	v_add_nc_u32_e32 v37, v22, v4
	v_and_b32_e32 v4, 0x37c, v5
	v_lshrrev_b32_e32 v9, 3, v9
	v_and_b32_e32 v5, 0x3fc, v7
	v_and_b32_e32 v7, 0x3fc, v8
	v_cmp_eq_u32_e64 s11, 0, v0
	v_add_nc_u32_e32 v39, v22, v4
	v_lshrrev_b32_e32 v4, 3, v43
	v_and_b32_e32 v8, 0x7fc, v9
	v_add_nc_u32_e32 v40, v22, v5
	v_lshrrev_b32_e32 v5, 3, v6
	v_lshlrev_b32_e32 v6, 2, v38
	v_and_b32_e32 v4, 0x7c4, v4
	v_add_nc_u32_e32 v41, v22, v7
	v_add_nc_u32_e32 v42, v22, v8
	v_lshrrev_b32_e32 v7, 3, v46
	v_add_nc_u32_e32 v58, v5, v6
	v_add_nc_u32_e32 v59, v4, v6
	v_lshrrev_b32_e32 v4, 3, v44
	v_lshrrev_b32_e32 v5, 3, v45
	v_lshrrev_b32_e32 v8, 3, v47
	v_and_b32_e32 v7, 0x7d0, v7
	v_lshrrev_b32_e32 v9, 3, v48
	v_and_b32_e32 v4, 0x7c8, v4
	v_and_b32_e32 v5, 0x7cc, v5
	;; [unrolled: 1-line block ×3, first 2 shown]
	v_add_nc_u32_e32 v62, v7, v6
	v_lshrrev_b32_e32 v7, 3, v51
	v_add_nc_u32_e32 v60, v4, v6
	v_add_nc_u32_e32 v61, v5, v6
	;; [unrolled: 1-line block ×3, first 2 shown]
	v_lshrrev_b32_e32 v4, 3, v49
	v_lshrrev_b32_e32 v5, 3, v50
	;; [unrolled: 1-line block ×3, first 2 shown]
	v_and_b32_e32 v9, 0x7d8, v9
	v_and_b32_e32 v7, 0x7e4, v7
	;; [unrolled: 1-line block ×5, first 2 shown]
	v_add_nc_u32_e32 v64, v9, v6
	v_lshrrev_b32_e32 v9, 3, v53
	v_add_nc_u32_e32 v65, v4, v6
	v_add_nc_u32_e32 v66, v5, v6
	;; [unrolled: 1-line block ×4, first 2 shown]
	v_lshrrev_b32_e32 v4, 3, v54
	v_lshrrev_b32_e32 v5, 3, v55
	;; [unrolled: 1-line block ×4, first 2 shown]
	v_and_b32_e32 v9, 0x7ec, v9
	v_and_b32_e32 v3, 0x7f0, v4
	;; [unrolled: 1-line block ×5, first 2 shown]
	v_lshlrev_b32_e32 v8, 4, v2
	v_bfe_u32 v2, v2, 1, 27
	v_add_nc_u32_e32 v26, v21, v22
	v_add_nc_u32_e32 v69, v9, v6
	;; [unrolled: 1-line block ×6, first 2 shown]
	v_add_lshl_u32 v74, v2, v8, 2
	s_wait_alu 0xf1ff
	v_add_co_ci_u32_e64 v76, null, s13, 0, s12
	s_movk_i32 s22, 0xe000
	s_mov_b32 s23, -1
	s_sub_nc_u64 s[12:13], s[18:19], s[20:21]
	s_add_nc_u64 s[14:15], s[14:15], s[24:25]
	s_add_nc_u64 s[0:1], s[0:1], 48
	s_branch .LBB900_6
.LBB900_5:                              ;   in Loop: Header=BB900_6 Depth=1
	s_and_not1_b32 vcc_lo, exec_lo, s24
	s_wait_alu 0xfffe
	s_cbranch_vccz .LBB900_100
.LBB900_6:                              ; =>This Inner Loop Header: Depth=1
	s_wait_alu 0xfffe
	v_cmp_gt_i64_e64 s18, 0x2000, s[12:13]
                                        ; implicit-def: $vgpr3
                                        ; implicit-def: $vgpr5
                                        ; implicit-def: $vgpr13
                                        ; implicit-def: $vgpr17
                                        ; implicit-def: $vgpr15
                                        ; implicit-def: $vgpr11
                                        ; implicit-def: $vgpr9
                                        ; implicit-def: $vgpr7
	s_and_b32 vcc_lo, exec_lo, s18
	s_mov_b32 s18, -1
	s_wait_alu 0xfffe
	s_cbranch_vccz .LBB900_25
; %bb.7:                                ;   in Loop: Header=BB900_6 Depth=1
	v_dual_mov_b32 v14, v1 :: v_dual_mov_b32 v15, v1
	v_dual_mov_b32 v2, v1 :: v_dual_mov_b32 v3, v1
	;; [unrolled: 1-line block ×7, first 2 shown]
	v_add_co_u32 v18, vcc_lo, v75, s20
	v_mov_b32_e32 v17, v15
	s_delay_alu instid0(VALU_DEP_3) | instskip(NEXT) | instid1(VALU_DEP_4)
	v_dual_mov_b32 v16, v14 :: v_dual_mov_b32 v15, v13
	v_mov_b32_e32 v14, v12
	v_mov_b32_e32 v13, v11
	;; [unrolled: 1-line block ×13, first 2 shown]
	s_wait_alu 0xfffd
	v_add_co_ci_u32_e64 v19, null, s21, v76, vcc_lo
	v_mov_b32_e32 v2, 0
	s_mov_b32 s18, exec_lo
	v_cmpx_gt_u32_e64 s12, v38
	s_cbranch_execnz .LBB900_85
; %bb.8:                                ;   in Loop: Header=BB900_6 Depth=1
	s_wait_alu 0xfffe
	s_or_b32 exec_lo, exec_lo, s18
	s_delay_alu instid0(SALU_CYCLE_1)
	s_mov_b32 s18, exec_lo
	v_cmpx_gt_u32_e64 s12, v43
	s_cbranch_execnz .LBB900_86
.LBB900_9:                              ;   in Loop: Header=BB900_6 Depth=1
	s_wait_alu 0xfffe
	s_or_b32 exec_lo, exec_lo, s18
	s_delay_alu instid0(SALU_CYCLE_1)
	s_mov_b32 s18, exec_lo
	v_cmpx_gt_u32_e64 s12, v44
	s_cbranch_execnz .LBB900_87
.LBB900_10:                             ;   in Loop: Header=BB900_6 Depth=1
	s_wait_alu 0xfffe
	s_or_b32 exec_lo, exec_lo, s18
	s_delay_alu instid0(SALU_CYCLE_1)
	s_mov_b32 s18, exec_lo
	v_cmpx_gt_u32_e64 s12, v45
	s_cbranch_execnz .LBB900_88
.LBB900_11:                             ;   in Loop: Header=BB900_6 Depth=1
	s_wait_alu 0xfffe
	s_or_b32 exec_lo, exec_lo, s18
	s_delay_alu instid0(SALU_CYCLE_1)
	s_mov_b32 s18, exec_lo
	v_cmpx_gt_u32_e64 s12, v46
	s_cbranch_execnz .LBB900_89
.LBB900_12:                             ;   in Loop: Header=BB900_6 Depth=1
	s_wait_alu 0xfffe
	s_or_b32 exec_lo, exec_lo, s18
	s_delay_alu instid0(SALU_CYCLE_1)
	s_mov_b32 s18, exec_lo
	v_cmpx_gt_u32_e64 s12, v47
	s_cbranch_execnz .LBB900_90
.LBB900_13:                             ;   in Loop: Header=BB900_6 Depth=1
	s_wait_alu 0xfffe
	s_or_b32 exec_lo, exec_lo, s18
	s_delay_alu instid0(SALU_CYCLE_1)
	s_mov_b32 s18, exec_lo
	v_cmpx_gt_u32_e64 s12, v48
	s_cbranch_execnz .LBB900_91
.LBB900_14:                             ;   in Loop: Header=BB900_6 Depth=1
	s_wait_alu 0xfffe
	s_or_b32 exec_lo, exec_lo, s18
	s_delay_alu instid0(SALU_CYCLE_1)
	s_mov_b32 s18, exec_lo
	v_cmpx_gt_u32_e64 s12, v49
	s_cbranch_execnz .LBB900_92
.LBB900_15:                             ;   in Loop: Header=BB900_6 Depth=1
	s_wait_alu 0xfffe
	s_or_b32 exec_lo, exec_lo, s18
	s_delay_alu instid0(SALU_CYCLE_1)
	s_mov_b32 s18, exec_lo
	v_cmpx_gt_u32_e64 s12, v50
	s_cbranch_execnz .LBB900_93
.LBB900_16:                             ;   in Loop: Header=BB900_6 Depth=1
	s_wait_alu 0xfffe
	s_or_b32 exec_lo, exec_lo, s18
	s_delay_alu instid0(SALU_CYCLE_1)
	s_mov_b32 s18, exec_lo
	v_cmpx_gt_u32_e64 s12, v51
	s_cbranch_execnz .LBB900_94
.LBB900_17:                             ;   in Loop: Header=BB900_6 Depth=1
	s_wait_alu 0xfffe
	s_or_b32 exec_lo, exec_lo, s18
	s_delay_alu instid0(SALU_CYCLE_1)
	s_mov_b32 s18, exec_lo
	v_cmpx_gt_u32_e64 s12, v52
	s_cbranch_execnz .LBB900_95
.LBB900_18:                             ;   in Loop: Header=BB900_6 Depth=1
	s_wait_alu 0xfffe
	s_or_b32 exec_lo, exec_lo, s18
	s_delay_alu instid0(SALU_CYCLE_1)
	s_mov_b32 s18, exec_lo
	v_cmpx_gt_u32_e64 s12, v53
	s_cbranch_execnz .LBB900_96
.LBB900_19:                             ;   in Loop: Header=BB900_6 Depth=1
	s_wait_alu 0xfffe
	s_or_b32 exec_lo, exec_lo, s18
	s_delay_alu instid0(SALU_CYCLE_1)
	s_mov_b32 s18, exec_lo
	v_cmpx_gt_u32_e64 s12, v54
	s_cbranch_execnz .LBB900_97
.LBB900_20:                             ;   in Loop: Header=BB900_6 Depth=1
	s_wait_alu 0xfffe
	s_or_b32 exec_lo, exec_lo, s18
	s_delay_alu instid0(SALU_CYCLE_1)
	s_mov_b32 s18, exec_lo
	v_cmpx_gt_u32_e64 s12, v55
	s_cbranch_execnz .LBB900_98
.LBB900_21:                             ;   in Loop: Header=BB900_6 Depth=1
	s_wait_alu 0xfffe
	s_or_b32 exec_lo, exec_lo, s18
	s_delay_alu instid0(SALU_CYCLE_1)
	s_mov_b32 s18, exec_lo
	v_cmpx_gt_u32_e64 s12, v56
	s_cbranch_execnz .LBB900_99
.LBB900_22:                             ;   in Loop: Header=BB900_6 Depth=1
	s_wait_alu 0xfffe
	s_or_b32 exec_lo, exec_lo, s18
	s_delay_alu instid0(SALU_CYCLE_1)
	s_mov_b32 s18, exec_lo
	v_cmpx_gt_u32_e64 s12, v57
	s_cbranch_execz .LBB900_24
.LBB900_23:                             ;   in Loop: Header=BB900_6 Depth=1
	global_load_u8 v17, v[18:19], off offset:480
	s_wait_loadcnt 0x0
	v_cmp_ne_u16_e32 vcc_lo, 0, v17
	s_wait_alu 0xfffd
	v_cndmask_b32_e64 v17, 0, 1, vcc_lo
.LBB900_24:                             ;   in Loop: Header=BB900_6 Depth=1
	s_wait_alu 0xfffe
	s_or_b32 exec_lo, exec_lo, s18
	ds_store_b32 v58, v2
	ds_store_b32 v59, v3 offset:128
	ds_store_b32 v60, v4 offset:256
	;; [unrolled: 1-line block ×15, first 2 shown]
	; wave barrier
	ds_load_2addr_b32 v[6:7], v74 offset1:1
	ds_load_2addr_b32 v[8:9], v74 offset0:2 offset1:3
	ds_load_2addr_b32 v[10:11], v74 offset0:4 offset1:5
	;; [unrolled: 1-line block ×7, first 2 shown]
	s_mov_b32 s18, 0
.LBB900_25:                             ;   in Loop: Header=BB900_6 Depth=1
	s_wait_alu 0xfffe
	s_and_b32 vcc_lo, exec_lo, s18
	s_wait_alu 0xfffe
	s_cbranch_vccz .LBB900_27
; %bb.26:                               ;   in Loop: Header=BB900_6 Depth=1
	s_wait_dscnt 0x0
	v_add_co_u32 v2, vcc_lo, v75, s20
	s_wait_alu 0xfffd
	v_add_co_ci_u32_e64 v3, null, s21, v76, vcc_lo
	s_clause 0xf
	global_load_u8 v4, v[2:3], off
	global_load_u8 v5, v[2:3], off offset:32
	global_load_u8 v6, v[2:3], off offset:64
	;; [unrolled: 1-line block ×15, first 2 shown]
	s_wait_loadcnt 0xf
	v_cmp_ne_u16_e32 vcc_lo, 0, v4
	s_wait_alu 0xfffd
	v_cndmask_b32_e64 v3, 0, 1, vcc_lo
	s_wait_loadcnt 0xe
	v_cmp_ne_u16_e32 vcc_lo, 0, v5
	s_wait_alu 0xfffd
	v_cndmask_b32_e64 v4, 0, 1, vcc_lo
	;; [unrolled: 4-line block ×16, first 2 shown]
	ds_store_b32 v58, v3
	ds_store_b32 v59, v4 offset:128
	ds_store_b32 v60, v5 offset:256
	;; [unrolled: 1-line block ×15, first 2 shown]
	; wave barrier
	ds_load_2addr_b32 v[6:7], v74 offset1:1
	ds_load_2addr_b32 v[8:9], v74 offset0:2 offset1:3
	ds_load_2addr_b32 v[10:11], v74 offset0:4 offset1:5
	;; [unrolled: 1-line block ×7, first 2 shown]
.LBB900_27:                             ;   in Loop: Header=BB900_6 Depth=1
	s_wait_dscnt 0x7
	v_add_nc_u32_e32 v18, v7, v6
	s_wait_dscnt 0x0
	s_barrier_signal -1
	s_barrier_wait -1
	global_inv scope:SCOPE_SE
	v_add3_u32 v18, v18, v8, v9
	s_delay_alu instid0(VALU_DEP_1) | instskip(NEXT) | instid1(VALU_DEP_1)
	v_add3_u32 v18, v18, v10, v11
	v_add3_u32 v18, v18, v14, v15
	s_delay_alu instid0(VALU_DEP_1) | instskip(NEXT) | instid1(VALU_DEP_1)
	v_add3_u32 v18, v18, v16, v17
	v_add3_u32 v18, v18, v12, v13
	s_delay_alu instid0(VALU_DEP_1) | instskip(NEXT) | instid1(VALU_DEP_1)
	v_add3_u32 v18, v18, v4, v5
	v_add3_u32 v18, v18, v2, v3
	s_delay_alu instid0(VALU_DEP_1) | instskip(NEXT) | instid1(VALU_DEP_1)
	v_mov_b32_dpp v19, v18 row_shr:1 row_mask:0xf bank_mask:0xf
	v_cndmask_b32_e64 v19, v19, 0, s2
	s_delay_alu instid0(VALU_DEP_1) | instskip(NEXT) | instid1(VALU_DEP_1)
	v_add_nc_u32_e32 v18, v18, v19
	v_mov_b32_dpp v19, v18 row_shr:2 row_mask:0xf bank_mask:0xf
	s_delay_alu instid0(VALU_DEP_1) | instskip(NEXT) | instid1(VALU_DEP_1)
	v_cndmask_b32_e64 v19, 0, v19, s3
	v_add_nc_u32_e32 v18, v18, v19
	s_delay_alu instid0(VALU_DEP_1) | instskip(NEXT) | instid1(VALU_DEP_1)
	v_mov_b32_dpp v19, v18 row_shr:4 row_mask:0xf bank_mask:0xf
	v_cndmask_b32_e64 v19, 0, v19, s4
	s_delay_alu instid0(VALU_DEP_1) | instskip(NEXT) | instid1(VALU_DEP_1)
	v_add_nc_u32_e32 v18, v18, v19
	v_mov_b32_dpp v19, v18 row_shr:8 row_mask:0xf bank_mask:0xf
	s_delay_alu instid0(VALU_DEP_1) | instskip(NEXT) | instid1(VALU_DEP_1)
	v_cndmask_b32_e64 v19, 0, v19, s5
	v_add_nc_u32_e32 v18, v18, v19
	ds_swizzle_b32 v19, v18 offset:swizzle(BROADCAST,32,15)
	s_wait_dscnt 0x0
	v_cndmask_b32_e64 v19, v19, 0, s6
	s_delay_alu instid0(VALU_DEP_1)
	v_add_nc_u32_e32 v18, v18, v19
	s_and_saveexec_b32 s18, s7
; %bb.28:                               ;   in Loop: Header=BB900_6 Depth=1
	ds_store_b32 v21, v18
; %bb.29:                               ;   in Loop: Header=BB900_6 Depth=1
	s_wait_alu 0xfffe
	s_or_b32 exec_lo, exec_lo, s18
	s_wait_loadcnt_dscnt 0x0
	s_barrier_signal -1
	s_barrier_wait -1
	global_inv scope:SCOPE_SE
	s_and_saveexec_b32 s18, s9
	s_cbranch_execz .LBB900_31
; %bb.30:                               ;   in Loop: Header=BB900_6 Depth=1
	ds_load_b32 v19, v22
	s_wait_dscnt 0x0
	v_mov_b32_dpp v20, v19 row_shr:1 row_mask:0xf bank_mask:0xf
	s_delay_alu instid0(VALU_DEP_1) | instskip(NEXT) | instid1(VALU_DEP_1)
	v_cndmask_b32_e64 v20, v20, 0, s2
	v_add_nc_u32_e32 v19, v20, v19
	s_delay_alu instid0(VALU_DEP_1) | instskip(NEXT) | instid1(VALU_DEP_1)
	v_mov_b32_dpp v20, v19 row_shr:2 row_mask:0xf bank_mask:0xf
	v_cndmask_b32_e64 v20, 0, v20, s3
	s_delay_alu instid0(VALU_DEP_1) | instskip(NEXT) | instid1(VALU_DEP_1)
	v_add_nc_u32_e32 v19, v19, v20
	v_mov_b32_dpp v20, v19 row_shr:4 row_mask:0xf bank_mask:0xf
	s_delay_alu instid0(VALU_DEP_1) | instskip(NEXT) | instid1(VALU_DEP_1)
	v_cndmask_b32_e64 v20, 0, v20, s4
	v_add_nc_u32_e32 v19, v19, v20
	s_delay_alu instid0(VALU_DEP_1) | instskip(NEXT) | instid1(VALU_DEP_1)
	v_mov_b32_dpp v20, v19 row_shr:8 row_mask:0xf bank_mask:0xf
	v_cndmask_b32_e64 v20, 0, v20, s5
	s_delay_alu instid0(VALU_DEP_1)
	v_add_nc_u32_e32 v19, v19, v20
	ds_store_b32 v22, v19
.LBB900_31:                             ;   in Loop: Header=BB900_6 Depth=1
	s_wait_alu 0xfffe
	s_or_b32 exec_lo, exec_lo, s18
	v_mov_b32_e32 v19, 0
	s_wait_loadcnt_dscnt 0x0
	s_barrier_signal -1
	s_barrier_wait -1
	global_inv scope:SCOPE_SE
	s_and_saveexec_b32 s18, s10
; %bb.32:                               ;   in Loop: Header=BB900_6 Depth=1
	ds_load_b32 v19, v23
; %bb.33:                               ;   in Loop: Header=BB900_6 Depth=1
	s_wait_alu 0xfffe
	s_or_b32 exec_lo, exec_lo, s18
	s_wait_dscnt 0x0
	v_add_nc_u32_e32 v18, v19, v18
	ds_bpermute_b32 v18, v24, v18
	s_and_saveexec_b32 s18, s11
	s_cbranch_execz .LBB900_35
; %bb.34:                               ;   in Loop: Header=BB900_6 Depth=1
	ds_load_b32 v20, v1 offset:60
	s_wait_dscnt 0x0
	ds_store_b32 v1, v20 offset:33792
.LBB900_35:                             ;   in Loop: Header=BB900_6 Depth=1
	s_wait_alu 0xfffe
	s_or_b32 exec_lo, exec_lo, s18
	s_wait_dscnt 0x0
	v_cndmask_b32_e64 v18, v18, v19, s8
	s_wait_loadcnt 0x0
	s_barrier_signal -1
	s_barrier_wait -1
	global_inv scope:SCOPE_SE
	v_cndmask_b32_e64 v18, v18, 0, s11
	ds_store_2addr_b32 v25, v6, v7 offset1:1
	ds_store_2addr_b32 v25, v8, v9 offset0:2 offset1:3
	ds_store_2addr_b32 v25, v10, v11 offset0:4 offset1:5
	;; [unrolled: 1-line block ×7, first 2 shown]
	s_wait_loadcnt_dscnt 0x0
	s_barrier_signal -1
	v_add_nc_u32_e32 v19, v18, v6
	s_barrier_wait -1
	global_inv scope:SCOPE_SE
	ds_load_b32 v99, v26
	ds_load_b32 v91, v27 offset:2048
	ds_load_b32 v90, v28 offset:4096
	;; [unrolled: 1-line block ×15, first 2 shown]
	v_add_nc_u32_e32 v20, v19, v7
	s_wait_loadcnt_dscnt 0x0
	s_barrier_signal -1
	s_barrier_wait -1
	global_inv scope:SCOPE_SE
	v_add_nc_u32_e32 v92, v20, v8
	s_delay_alu instid0(VALU_DEP_1) | instskip(NEXT) | instid1(VALU_DEP_1)
	v_add_nc_u32_e32 v93, v92, v9
	v_add_nc_u32_e32 v94, v93, v10
	s_delay_alu instid0(VALU_DEP_1) | instskip(NEXT) | instid1(VALU_DEP_1)
	v_add_nc_u32_e32 v95, v94, v11
	;; [unrolled: 3-line block ×6, first 2 shown]
	v_add_nc_u32_e32 v2, v5, v2
	ds_store_2addr_b32 v25, v18, v19 offset1:1
	ds_store_2addr_b32 v25, v20, v92 offset0:2 offset1:3
	ds_store_2addr_b32 v25, v93, v94 offset0:4 offset1:5
	;; [unrolled: 1-line block ×7, first 2 shown]
	s_wait_loadcnt_dscnt 0x0
	s_barrier_signal -1
	s_barrier_wait -1
	global_inv scope:SCOPE_SE
	ds_load_b32 v18, v27 offset:2048
	ds_load_b32 v17, v28 offset:4096
	;; [unrolled: 1-line block ×15, first 2 shown]
	v_add_co_u32 v2, s18, v0, s20
	s_wait_alu 0xf1ff
	v_add_co_ci_u32_e64 v3, null, 0, s21, s18
	s_mov_b32 s18, exec_lo
	v_cmpx_ne_u32_e32 0, v99
	s_cbranch_execz .LBB900_38
; %bb.36:                               ;   in Loop: Header=BB900_6 Depth=1
	ds_load_b32 v19, v26
	s_wait_dscnt 0x0
	v_ashrrev_i32_e32 v20, 31, v19
	s_delay_alu instid0(VALU_DEP_1)
	v_cmp_gt_i64_e32 vcc_lo, s[16:17], v[19:20]
	s_and_b32 exec_lo, exec_lo, vcc_lo
	s_cbranch_execz .LBB900_38
; %bb.37:                               ;   in Loop: Header=BB900_6 Depth=1
	v_lshlrev_b64_e32 v[19:20], 3, v[19:20]
	s_delay_alu instid0(VALU_DEP_1) | instskip(SKIP_1) | instid1(VALU_DEP_2)
	v_add_co_u32 v19, vcc_lo, s14, v19
	s_wait_alu 0xfffd
	v_add_co_ci_u32_e64 v20, null, s15, v20, vcc_lo
	global_store_b64 v[19:20], v[2:3], off
.LBB900_38:                             ;   in Loop: Header=BB900_6 Depth=1
	s_wait_alu 0xfffe
	s_or_b32 exec_lo, exec_lo, s18
	s_delay_alu instid0(SALU_CYCLE_1)
	s_mov_b32 s18, exec_lo
	v_cmpx_ne_u32_e32 0, v91
	s_cbranch_execz .LBB900_41
; %bb.39:                               ;   in Loop: Header=BB900_6 Depth=1
	s_wait_dscnt 0xe
	v_ashrrev_i32_e32 v19, 31, v18
	s_delay_alu instid0(VALU_DEP_1)
	v_cmp_gt_i64_e32 vcc_lo, s[16:17], v[18:19]
	s_and_b32 exec_lo, exec_lo, vcc_lo
	s_cbranch_execz .LBB900_41
; %bb.40:                               ;   in Loop: Header=BB900_6 Depth=1
	s_load_b32 s19, s[0:1], 0xc
	v_lshlrev_b64_e32 v[18:19], 3, v[18:19]
	s_wait_kmcnt 0x0
	s_and_b32 s19, s19, 0xffff
	s_wait_alu 0xfffe
	v_add_co_u32 v91, vcc_lo, v2, s19
	s_wait_alu 0xfffd
	v_add_co_ci_u32_e64 v92, null, 0, v3, vcc_lo
	v_add_co_u32 v18, vcc_lo, s14, v18
	s_wait_alu 0xfffd
	v_add_co_ci_u32_e64 v19, null, s15, v19, vcc_lo
	global_store_b64 v[18:19], v[91:92], off
.LBB900_41:                             ;   in Loop: Header=BB900_6 Depth=1
	s_wait_alu 0xfffe
	s_or_b32 exec_lo, exec_lo, s18
	s_delay_alu instid0(SALU_CYCLE_1)
	s_mov_b32 s18, exec_lo
	v_cmpx_ne_u32_e32 0, v90
	s_cbranch_execz .LBB900_44
; %bb.42:                               ;   in Loop: Header=BB900_6 Depth=1
	s_wait_dscnt 0xd
	v_ashrrev_i32_e32 v18, 31, v17
	s_delay_alu instid0(VALU_DEP_1)
	v_cmp_gt_i64_e32 vcc_lo, s[16:17], v[17:18]
	s_and_b32 exec_lo, exec_lo, vcc_lo
	s_cbranch_execz .LBB900_44
; %bb.43:                               ;   in Loop: Header=BB900_6 Depth=1
	s_load_b32 s19, s[0:1], 0xc
	v_lshlrev_b64_e32 v[17:18], 3, v[17:18]
	s_wait_kmcnt 0x0
	s_and_b32 s19, s19, 0xffff
	s_wait_alu 0xfffe
	s_lshl_b32 s19, s19, 1
	s_wait_alu 0xfffe
	v_add_co_u32 v19, vcc_lo, v2, s19
	s_wait_alu 0xfffd
	v_add_co_ci_u32_e64 v20, null, 0, v3, vcc_lo
	v_add_co_u32 v17, vcc_lo, s14, v17
	s_wait_alu 0xfffd
	v_add_co_ci_u32_e64 v18, null, s15, v18, vcc_lo
	global_store_b64 v[17:18], v[19:20], off
.LBB900_44:                             ;   in Loop: Header=BB900_6 Depth=1
	s_wait_alu 0xfffe
	s_or_b32 exec_lo, exec_lo, s18
	s_delay_alu instid0(SALU_CYCLE_1)
	s_mov_b32 s18, exec_lo
	v_cmpx_ne_u32_e32 0, v89
	s_cbranch_execz .LBB900_47
; %bb.45:                               ;   in Loop: Header=BB900_6 Depth=1
	s_wait_dscnt 0xc
	v_ashrrev_i32_e32 v17, 31, v16
	s_delay_alu instid0(VALU_DEP_1)
	v_cmp_gt_i64_e32 vcc_lo, s[16:17], v[16:17]
	s_and_b32 exec_lo, exec_lo, vcc_lo
	s_cbranch_execz .LBB900_47
; %bb.46:                               ;   in Loop: Header=BB900_6 Depth=1
	s_load_b32 s19, s[0:1], 0xc
	v_lshlrev_b64_e32 v[16:17], 3, v[16:17]
	s_wait_kmcnt 0x0
	s_and_b32 s19, s19, 0xffff
	s_wait_alu 0xfffe
	s_mul_i32 s19, s19, 3
	s_wait_alu 0xfffe
	v_add_co_u32 v18, vcc_lo, v2, s19
	s_wait_alu 0xfffd
	v_add_co_ci_u32_e64 v19, null, 0, v3, vcc_lo
	v_add_co_u32 v16, vcc_lo, s14, v16
	s_wait_alu 0xfffd
	v_add_co_ci_u32_e64 v17, null, s15, v17, vcc_lo
	global_store_b64 v[16:17], v[18:19], off
.LBB900_47:                             ;   in Loop: Header=BB900_6 Depth=1
	s_wait_alu 0xfffe
	s_or_b32 exec_lo, exec_lo, s18
	s_delay_alu instid0(SALU_CYCLE_1)
	s_mov_b32 s18, exec_lo
	v_cmpx_ne_u32_e32 0, v88
	s_cbranch_execz .LBB900_50
; %bb.48:                               ;   in Loop: Header=BB900_6 Depth=1
	s_wait_dscnt 0xb
	v_ashrrev_i32_e32 v16, 31, v15
	s_delay_alu instid0(VALU_DEP_1)
	v_cmp_gt_i64_e32 vcc_lo, s[16:17], v[15:16]
	s_and_b32 exec_lo, exec_lo, vcc_lo
	s_cbranch_execz .LBB900_50
; %bb.49:                               ;   in Loop: Header=BB900_6 Depth=1
	s_load_b32 s19, s[0:1], 0xc
	v_lshlrev_b64_e32 v[15:16], 3, v[15:16]
	s_wait_kmcnt 0x0
	s_and_b32 s19, s19, 0xffff
	s_wait_alu 0xfffe
	s_lshl_b32 s19, s19, 2
	s_wait_alu 0xfffe
	v_add_co_u32 v17, vcc_lo, v2, s19
	s_wait_alu 0xfffd
	v_add_co_ci_u32_e64 v18, null, 0, v3, vcc_lo
	v_add_co_u32 v15, vcc_lo, s14, v15
	s_wait_alu 0xfffd
	v_add_co_ci_u32_e64 v16, null, s15, v16, vcc_lo
	global_store_b64 v[15:16], v[17:18], off
.LBB900_50:                             ;   in Loop: Header=BB900_6 Depth=1
	s_wait_alu 0xfffe
	s_or_b32 exec_lo, exec_lo, s18
	s_delay_alu instid0(SALU_CYCLE_1)
	s_mov_b32 s18, exec_lo
	v_cmpx_ne_u32_e32 0, v87
	s_cbranch_execz .LBB900_53
; %bb.51:                               ;   in Loop: Header=BB900_6 Depth=1
	s_wait_dscnt 0xa
	v_ashrrev_i32_e32 v15, 31, v14
	s_delay_alu instid0(VALU_DEP_1)
	v_cmp_gt_i64_e32 vcc_lo, s[16:17], v[14:15]
	s_and_b32 exec_lo, exec_lo, vcc_lo
	s_cbranch_execz .LBB900_53
; %bb.52:                               ;   in Loop: Header=BB900_6 Depth=1
	s_load_b32 s19, s[0:1], 0xc
	v_lshlrev_b64_e32 v[14:15], 3, v[14:15]
	s_wait_kmcnt 0x0
	s_and_b32 s19, s19, 0xffff
	s_wait_alu 0xfffe
	s_mul_i32 s19, s19, 5
	s_wait_alu 0xfffe
	v_add_co_u32 v16, vcc_lo, v2, s19
	s_wait_alu 0xfffd
	v_add_co_ci_u32_e64 v17, null, 0, v3, vcc_lo
	v_add_co_u32 v14, vcc_lo, s14, v14
	s_wait_alu 0xfffd
	v_add_co_ci_u32_e64 v15, null, s15, v15, vcc_lo
	global_store_b64 v[14:15], v[16:17], off
.LBB900_53:                             ;   in Loop: Header=BB900_6 Depth=1
	s_wait_alu 0xfffe
	s_or_b32 exec_lo, exec_lo, s18
	s_delay_alu instid0(SALU_CYCLE_1)
	s_mov_b32 s18, exec_lo
	v_cmpx_ne_u32_e32 0, v86
	s_cbranch_execz .LBB900_56
; %bb.54:                               ;   in Loop: Header=BB900_6 Depth=1
	s_wait_dscnt 0x9
	v_ashrrev_i32_e32 v14, 31, v13
	s_delay_alu instid0(VALU_DEP_1)
	v_cmp_gt_i64_e32 vcc_lo, s[16:17], v[13:14]
	s_and_b32 exec_lo, exec_lo, vcc_lo
	s_cbranch_execz .LBB900_56
; %bb.55:                               ;   in Loop: Header=BB900_6 Depth=1
	s_load_b32 s19, s[0:1], 0xc
	v_lshlrev_b64_e32 v[13:14], 3, v[13:14]
	s_wait_kmcnt 0x0
	s_and_b32 s19, s19, 0xffff
	s_wait_alu 0xfffe
	s_mul_i32 s19, s19, 6
	s_wait_alu 0xfffe
	v_add_co_u32 v15, vcc_lo, v2, s19
	s_wait_alu 0xfffd
	v_add_co_ci_u32_e64 v16, null, 0, v3, vcc_lo
	v_add_co_u32 v13, vcc_lo, s14, v13
	s_wait_alu 0xfffd
	v_add_co_ci_u32_e64 v14, null, s15, v14, vcc_lo
	global_store_b64 v[13:14], v[15:16], off
.LBB900_56:                             ;   in Loop: Header=BB900_6 Depth=1
	;; [unrolled: 29-line block ×3, first 2 shown]
	s_wait_alu 0xfffe
	s_or_b32 exec_lo, exec_lo, s18
	s_delay_alu instid0(SALU_CYCLE_1)
	s_mov_b32 s18, exec_lo
	v_cmpx_ne_u32_e32 0, v84
	s_cbranch_execz .LBB900_62
; %bb.60:                               ;   in Loop: Header=BB900_6 Depth=1
	s_wait_dscnt 0x7
	v_ashrrev_i32_e32 v12, 31, v11
	s_delay_alu instid0(VALU_DEP_1)
	v_cmp_gt_i64_e32 vcc_lo, s[16:17], v[11:12]
	s_and_b32 exec_lo, exec_lo, vcc_lo
	s_cbranch_execz .LBB900_62
; %bb.61:                               ;   in Loop: Header=BB900_6 Depth=1
	s_load_b32 s19, s[0:1], 0xc
	v_lshlrev_b64_e32 v[11:12], 3, v[11:12]
	s_wait_kmcnt 0x0
	s_and_b32 s19, s19, 0xffff
	s_wait_alu 0xfffe
	s_lshl_b32 s19, s19, 3
	s_wait_alu 0xfffe
	v_add_co_u32 v13, vcc_lo, v2, s19
	s_wait_alu 0xfffd
	v_add_co_ci_u32_e64 v14, null, 0, v3, vcc_lo
	v_add_co_u32 v11, vcc_lo, s14, v11
	s_wait_alu 0xfffd
	v_add_co_ci_u32_e64 v12, null, s15, v12, vcc_lo
	global_store_b64 v[11:12], v[13:14], off
.LBB900_62:                             ;   in Loop: Header=BB900_6 Depth=1
	s_wait_alu 0xfffe
	s_or_b32 exec_lo, exec_lo, s18
	s_delay_alu instid0(SALU_CYCLE_1)
	s_mov_b32 s18, exec_lo
	v_cmpx_ne_u32_e32 0, v83
	s_cbranch_execz .LBB900_65
; %bb.63:                               ;   in Loop: Header=BB900_6 Depth=1
	s_wait_dscnt 0x6
	v_ashrrev_i32_e32 v11, 31, v10
	s_delay_alu instid0(VALU_DEP_1)
	v_cmp_gt_i64_e32 vcc_lo, s[16:17], v[10:11]
	s_and_b32 exec_lo, exec_lo, vcc_lo
	s_cbranch_execz .LBB900_65
; %bb.64:                               ;   in Loop: Header=BB900_6 Depth=1
	s_load_b32 s19, s[0:1], 0xc
	v_lshlrev_b64_e32 v[10:11], 3, v[10:11]
	s_wait_kmcnt 0x0
	s_and_b32 s19, s19, 0xffff
	s_wait_alu 0xfffe
	s_mul_i32 s19, s19, 9
	s_wait_alu 0xfffe
	v_add_co_u32 v12, vcc_lo, v2, s19
	s_wait_alu 0xfffd
	v_add_co_ci_u32_e64 v13, null, 0, v3, vcc_lo
	v_add_co_u32 v10, vcc_lo, s14, v10
	s_wait_alu 0xfffd
	v_add_co_ci_u32_e64 v11, null, s15, v11, vcc_lo
	global_store_b64 v[10:11], v[12:13], off
.LBB900_65:                             ;   in Loop: Header=BB900_6 Depth=1
	s_wait_alu 0xfffe
	s_or_b32 exec_lo, exec_lo, s18
	s_delay_alu instid0(SALU_CYCLE_1)
	s_mov_b32 s18, exec_lo
	v_cmpx_ne_u32_e32 0, v82
	s_cbranch_execz .LBB900_68
; %bb.66:                               ;   in Loop: Header=BB900_6 Depth=1
	s_wait_dscnt 0x5
	v_ashrrev_i32_e32 v10, 31, v9
	s_delay_alu instid0(VALU_DEP_1)
	v_cmp_gt_i64_e32 vcc_lo, s[16:17], v[9:10]
	s_and_b32 exec_lo, exec_lo, vcc_lo
	s_cbranch_execz .LBB900_68
; %bb.67:                               ;   in Loop: Header=BB900_6 Depth=1
	s_load_b32 s19, s[0:1], 0xc
	v_lshlrev_b64_e32 v[9:10], 3, v[9:10]
	s_wait_kmcnt 0x0
	s_and_b32 s19, s19, 0xffff
	s_wait_alu 0xfffe
	s_mul_i32 s19, s19, 10
	s_wait_alu 0xfffe
	v_add_co_u32 v11, vcc_lo, v2, s19
	s_wait_alu 0xfffd
	v_add_co_ci_u32_e64 v12, null, 0, v3, vcc_lo
	v_add_co_u32 v9, vcc_lo, s14, v9
	s_wait_alu 0xfffd
	v_add_co_ci_u32_e64 v10, null, s15, v10, vcc_lo
	global_store_b64 v[9:10], v[11:12], off
.LBB900_68:                             ;   in Loop: Header=BB900_6 Depth=1
	;; [unrolled: 29-line block ×7, first 2 shown]
	s_wait_alu 0xfffe
	s_or_b32 exec_lo, exec_lo, s18
	ds_load_b32 v2, v1 offset:33792
	v_cmp_lt_i64_e64 s24, 0x2000, s[12:13]
	s_wait_dscnt 0x0
	v_readfirstlane_b32 s18, v2
	s_ashr_i32 s19, s18, 31
	s_wait_alu 0xfffe
	s_sub_nc_u64 s[16:17], s[16:17], s[18:19]
	s_wait_alu 0xfffe
	v_cmp_gt_i64_e64 s25, s[16:17], 0
	s_and_b32 s24, s24, s25
	s_delay_alu instid0(SALU_CYCLE_1)
	s_and_not1_b32 vcc_lo, exec_lo, s24
	s_mov_b32 s24, -1
	s_wait_alu 0xfffe
	s_cbranch_vccnz .LBB900_5
; %bb.84:                               ;   in Loop: Header=BB900_6 Depth=1
	s_add_co_i32 s26, s26, -1
	s_lshl_b64 s[18:19], s[18:19], 3
	s_cmp_eq_u32 s26, 0
	s_add_nc_u64 s[12:13], s[12:13], s[22:23]
	s_wait_alu 0xfffe
	s_add_nc_u64 s[14:15], s[14:15], s[18:19]
	s_add_nc_u64 s[20:21], s[20:21], 0x2000
	s_cselect_b32 s24, -1, 0
	s_wait_loadcnt 0x0
	s_wait_storecnt 0x0
	s_barrier_signal -1
	s_barrier_wait -1
	global_inv scope:SCOPE_SE
	s_branch .LBB900_5
.LBB900_85:                             ;   in Loop: Header=BB900_6 Depth=1
	global_load_u8 v20, v[18:19], off
	v_dual_mov_b32 v14, v1 :: v_dual_mov_b32 v15, v1
	v_dual_mov_b32 v2, v1 :: v_dual_mov_b32 v3, v1
	;; [unrolled: 1-line block ×7, first 2 shown]
	v_mov_b32_e32 v17, v15
	s_delay_alu instid0(VALU_DEP_2) | instskip(NEXT) | instid1(VALU_DEP_3)
	v_dual_mov_b32 v16, v14 :: v_dual_mov_b32 v15, v13
	v_mov_b32_e32 v14, v12
	v_mov_b32_e32 v13, v11
	;; [unrolled: 1-line block ×13, first 2 shown]
	s_wait_loadcnt 0x0
	v_cmp_ne_u16_e32 vcc_lo, 0, v20
	s_wait_alu 0xfffd
	v_cndmask_b32_e64 v2, 0, 1, vcc_lo
	s_wait_alu 0xfffe
	s_or_b32 exec_lo, exec_lo, s18
	s_delay_alu instid0(SALU_CYCLE_1)
	s_mov_b32 s18, exec_lo
	v_cmpx_gt_u32_e64 s12, v43
	s_cbranch_execz .LBB900_9
.LBB900_86:                             ;   in Loop: Header=BB900_6 Depth=1
	global_load_u8 v3, v[18:19], off offset:32
	s_wait_loadcnt 0x0
	v_cmp_ne_u16_e32 vcc_lo, 0, v3
	s_wait_alu 0xfffd
	v_cndmask_b32_e64 v3, 0, 1, vcc_lo
	s_wait_alu 0xfffe
	s_or_b32 exec_lo, exec_lo, s18
	s_delay_alu instid0(SALU_CYCLE_1)
	s_mov_b32 s18, exec_lo
	v_cmpx_gt_u32_e64 s12, v44
	s_cbranch_execz .LBB900_10
.LBB900_87:                             ;   in Loop: Header=BB900_6 Depth=1
	global_load_u8 v4, v[18:19], off offset:64
	s_wait_loadcnt 0x0
	v_cmp_ne_u16_e32 vcc_lo, 0, v4
	s_wait_alu 0xfffd
	v_cndmask_b32_e64 v4, 0, 1, vcc_lo
	s_wait_alu 0xfffe
	s_or_b32 exec_lo, exec_lo, s18
	s_delay_alu instid0(SALU_CYCLE_1)
	s_mov_b32 s18, exec_lo
	v_cmpx_gt_u32_e64 s12, v45
	s_cbranch_execz .LBB900_11
.LBB900_88:                             ;   in Loop: Header=BB900_6 Depth=1
	global_load_u8 v5, v[18:19], off offset:96
	s_wait_loadcnt 0x0
	v_cmp_ne_u16_e32 vcc_lo, 0, v5
	s_wait_alu 0xfffd
	v_cndmask_b32_e64 v5, 0, 1, vcc_lo
	s_wait_alu 0xfffe
	s_or_b32 exec_lo, exec_lo, s18
	s_delay_alu instid0(SALU_CYCLE_1)
	s_mov_b32 s18, exec_lo
	v_cmpx_gt_u32_e64 s12, v46
	s_cbranch_execz .LBB900_12
.LBB900_89:                             ;   in Loop: Header=BB900_6 Depth=1
	global_load_u8 v6, v[18:19], off offset:128
	s_wait_loadcnt 0x0
	v_cmp_ne_u16_e32 vcc_lo, 0, v6
	s_wait_alu 0xfffd
	v_cndmask_b32_e64 v6, 0, 1, vcc_lo
	s_wait_alu 0xfffe
	s_or_b32 exec_lo, exec_lo, s18
	s_delay_alu instid0(SALU_CYCLE_1)
	s_mov_b32 s18, exec_lo
	v_cmpx_gt_u32_e64 s12, v47
	s_cbranch_execz .LBB900_13
.LBB900_90:                             ;   in Loop: Header=BB900_6 Depth=1
	global_load_u8 v7, v[18:19], off offset:160
	s_wait_loadcnt 0x0
	v_cmp_ne_u16_e32 vcc_lo, 0, v7
	s_wait_alu 0xfffd
	v_cndmask_b32_e64 v7, 0, 1, vcc_lo
	s_wait_alu 0xfffe
	s_or_b32 exec_lo, exec_lo, s18
	s_delay_alu instid0(SALU_CYCLE_1)
	s_mov_b32 s18, exec_lo
	v_cmpx_gt_u32_e64 s12, v48
	s_cbranch_execz .LBB900_14
.LBB900_91:                             ;   in Loop: Header=BB900_6 Depth=1
	global_load_u8 v8, v[18:19], off offset:192
	s_wait_loadcnt 0x0
	v_cmp_ne_u16_e32 vcc_lo, 0, v8
	s_wait_alu 0xfffd
	v_cndmask_b32_e64 v8, 0, 1, vcc_lo
	s_wait_alu 0xfffe
	s_or_b32 exec_lo, exec_lo, s18
	s_delay_alu instid0(SALU_CYCLE_1)
	s_mov_b32 s18, exec_lo
	v_cmpx_gt_u32_e64 s12, v49
	s_cbranch_execz .LBB900_15
.LBB900_92:                             ;   in Loop: Header=BB900_6 Depth=1
	global_load_u8 v9, v[18:19], off offset:224
	s_wait_loadcnt 0x0
	v_cmp_ne_u16_e32 vcc_lo, 0, v9
	s_wait_alu 0xfffd
	v_cndmask_b32_e64 v9, 0, 1, vcc_lo
	s_wait_alu 0xfffe
	s_or_b32 exec_lo, exec_lo, s18
	s_delay_alu instid0(SALU_CYCLE_1)
	s_mov_b32 s18, exec_lo
	v_cmpx_gt_u32_e64 s12, v50
	s_cbranch_execz .LBB900_16
.LBB900_93:                             ;   in Loop: Header=BB900_6 Depth=1
	global_load_u8 v10, v[18:19], off offset:256
	s_wait_loadcnt 0x0
	v_cmp_ne_u16_e32 vcc_lo, 0, v10
	s_wait_alu 0xfffd
	v_cndmask_b32_e64 v10, 0, 1, vcc_lo
	s_wait_alu 0xfffe
	s_or_b32 exec_lo, exec_lo, s18
	s_delay_alu instid0(SALU_CYCLE_1)
	s_mov_b32 s18, exec_lo
	v_cmpx_gt_u32_e64 s12, v51
	s_cbranch_execz .LBB900_17
.LBB900_94:                             ;   in Loop: Header=BB900_6 Depth=1
	global_load_u8 v11, v[18:19], off offset:288
	s_wait_loadcnt 0x0
	v_cmp_ne_u16_e32 vcc_lo, 0, v11
	s_wait_alu 0xfffd
	v_cndmask_b32_e64 v11, 0, 1, vcc_lo
	s_wait_alu 0xfffe
	s_or_b32 exec_lo, exec_lo, s18
	s_delay_alu instid0(SALU_CYCLE_1)
	s_mov_b32 s18, exec_lo
	v_cmpx_gt_u32_e64 s12, v52
	s_cbranch_execz .LBB900_18
.LBB900_95:                             ;   in Loop: Header=BB900_6 Depth=1
	global_load_u8 v12, v[18:19], off offset:320
	s_wait_loadcnt 0x0
	v_cmp_ne_u16_e32 vcc_lo, 0, v12
	s_wait_alu 0xfffd
	v_cndmask_b32_e64 v12, 0, 1, vcc_lo
	s_wait_alu 0xfffe
	s_or_b32 exec_lo, exec_lo, s18
	s_delay_alu instid0(SALU_CYCLE_1)
	s_mov_b32 s18, exec_lo
	v_cmpx_gt_u32_e64 s12, v53
	s_cbranch_execz .LBB900_19
.LBB900_96:                             ;   in Loop: Header=BB900_6 Depth=1
	global_load_u8 v13, v[18:19], off offset:352
	s_wait_loadcnt 0x0
	v_cmp_ne_u16_e32 vcc_lo, 0, v13
	s_wait_alu 0xfffd
	v_cndmask_b32_e64 v13, 0, 1, vcc_lo
	s_wait_alu 0xfffe
	s_or_b32 exec_lo, exec_lo, s18
	s_delay_alu instid0(SALU_CYCLE_1)
	s_mov_b32 s18, exec_lo
	v_cmpx_gt_u32_e64 s12, v54
	s_cbranch_execz .LBB900_20
.LBB900_97:                             ;   in Loop: Header=BB900_6 Depth=1
	global_load_u8 v14, v[18:19], off offset:384
	s_wait_loadcnt 0x0
	v_cmp_ne_u16_e32 vcc_lo, 0, v14
	s_wait_alu 0xfffd
	v_cndmask_b32_e64 v14, 0, 1, vcc_lo
	s_wait_alu 0xfffe
	s_or_b32 exec_lo, exec_lo, s18
	s_delay_alu instid0(SALU_CYCLE_1)
	s_mov_b32 s18, exec_lo
	v_cmpx_gt_u32_e64 s12, v55
	s_cbranch_execz .LBB900_21
.LBB900_98:                             ;   in Loop: Header=BB900_6 Depth=1
	global_load_u8 v15, v[18:19], off offset:416
	s_wait_loadcnt 0x0
	v_cmp_ne_u16_e32 vcc_lo, 0, v15
	s_wait_alu 0xfffd
	v_cndmask_b32_e64 v15, 0, 1, vcc_lo
	s_wait_alu 0xfffe
	s_or_b32 exec_lo, exec_lo, s18
	s_delay_alu instid0(SALU_CYCLE_1)
	s_mov_b32 s18, exec_lo
	v_cmpx_gt_u32_e64 s12, v56
	s_cbranch_execz .LBB900_22
.LBB900_99:                             ;   in Loop: Header=BB900_6 Depth=1
	global_load_u8 v16, v[18:19], off offset:448
	s_wait_loadcnt 0x0
	v_cmp_ne_u16_e32 vcc_lo, 0, v16
	s_wait_alu 0xfffd
	v_cndmask_b32_e64 v16, 0, 1, vcc_lo
	s_wait_alu 0xfffe
	s_or_b32 exec_lo, exec_lo, s18
	s_delay_alu instid0(SALU_CYCLE_1)
	s_mov_b32 s18, exec_lo
	v_cmpx_gt_u32_e64 s12, v57
	s_cbranch_execnz .LBB900_23
	s_branch .LBB900_24
.LBB900_100:
	s_nop 0
	s_sendmsg sendmsg(MSG_DEALLOC_VGPRS)
	s_endpgm
	.section	.rodata,"a",@progbits
	.p2align	6, 0x0
	.amdhsa_kernel _ZN2at6native12_GLOBAL__N_111flag_kernelILi512ELi16EhEEvPKT1_PlPKllli
		.amdhsa_group_segment_fixed_size 33796
		.amdhsa_private_segment_fixed_size 0
		.amdhsa_kernarg_size 304
		.amdhsa_user_sgpr_count 2
		.amdhsa_user_sgpr_dispatch_ptr 0
		.amdhsa_user_sgpr_queue_ptr 0
		.amdhsa_user_sgpr_kernarg_segment_ptr 1
		.amdhsa_user_sgpr_dispatch_id 0
		.amdhsa_user_sgpr_private_segment_size 0
		.amdhsa_wavefront_size32 1
		.amdhsa_uses_dynamic_stack 0
		.amdhsa_enable_private_segment 0
		.amdhsa_system_sgpr_workgroup_id_x 1
		.amdhsa_system_sgpr_workgroup_id_y 0
		.amdhsa_system_sgpr_workgroup_id_z 0
		.amdhsa_system_sgpr_workgroup_info 0
		.amdhsa_system_vgpr_workitem_id 0
		.amdhsa_next_free_vgpr 100
		.amdhsa_next_free_sgpr 27
		.amdhsa_reserve_vcc 1
		.amdhsa_float_round_mode_32 0
		.amdhsa_float_round_mode_16_64 0
		.amdhsa_float_denorm_mode_32 3
		.amdhsa_float_denorm_mode_16_64 3
		.amdhsa_fp16_overflow 0
		.amdhsa_workgroup_processor_mode 1
		.amdhsa_memory_ordered 1
		.amdhsa_forward_progress 1
		.amdhsa_inst_pref_size 57
		.amdhsa_round_robin_scheduling 0
		.amdhsa_exception_fp_ieee_invalid_op 0
		.amdhsa_exception_fp_denorm_src 0
		.amdhsa_exception_fp_ieee_div_zero 0
		.amdhsa_exception_fp_ieee_overflow 0
		.amdhsa_exception_fp_ieee_underflow 0
		.amdhsa_exception_fp_ieee_inexact 0
		.amdhsa_exception_int_div_zero 0
	.end_amdhsa_kernel
	.section	.text._ZN2at6native12_GLOBAL__N_111flag_kernelILi512ELi16EhEEvPKT1_PlPKllli,"axG",@progbits,_ZN2at6native12_GLOBAL__N_111flag_kernelILi512ELi16EhEEvPKT1_PlPKllli,comdat
.Lfunc_end900:
	.size	_ZN2at6native12_GLOBAL__N_111flag_kernelILi512ELi16EhEEvPKT1_PlPKllli, .Lfunc_end900-_ZN2at6native12_GLOBAL__N_111flag_kernelILi512ELi16EhEEvPKT1_PlPKllli
                                        ; -- End function
	.set _ZN2at6native12_GLOBAL__N_111flag_kernelILi512ELi16EhEEvPKT1_PlPKllli.num_vgpr, 100
	.set _ZN2at6native12_GLOBAL__N_111flag_kernelILi512ELi16EhEEvPKT1_PlPKllli.num_agpr, 0
	.set _ZN2at6native12_GLOBAL__N_111flag_kernelILi512ELi16EhEEvPKT1_PlPKllli.numbered_sgpr, 27
	.set _ZN2at6native12_GLOBAL__N_111flag_kernelILi512ELi16EhEEvPKT1_PlPKllli.num_named_barrier, 0
	.set _ZN2at6native12_GLOBAL__N_111flag_kernelILi512ELi16EhEEvPKT1_PlPKllli.private_seg_size, 0
	.set _ZN2at6native12_GLOBAL__N_111flag_kernelILi512ELi16EhEEvPKT1_PlPKllli.uses_vcc, 1
	.set _ZN2at6native12_GLOBAL__N_111flag_kernelILi512ELi16EhEEvPKT1_PlPKllli.uses_flat_scratch, 0
	.set _ZN2at6native12_GLOBAL__N_111flag_kernelILi512ELi16EhEEvPKT1_PlPKllli.has_dyn_sized_stack, 0
	.set _ZN2at6native12_GLOBAL__N_111flag_kernelILi512ELi16EhEEvPKT1_PlPKllli.has_recursion, 0
	.set _ZN2at6native12_GLOBAL__N_111flag_kernelILi512ELi16EhEEvPKT1_PlPKllli.has_indirect_call, 0
	.section	.AMDGPU.csdata,"",@progbits
; Kernel info:
; codeLenInByte = 7172
; TotalNumSgprs: 29
; NumVgprs: 100
; ScratchSize: 0
; MemoryBound: 0
; FloatMode: 240
; IeeeMode: 1
; LDSByteSize: 33796 bytes/workgroup (compile time only)
; SGPRBlocks: 0
; VGPRBlocks: 12
; NumSGPRsForWavesPerEU: 29
; NumVGPRsForWavesPerEU: 100
; Occupancy: 12
; WaveLimiterHint : 0
; COMPUTE_PGM_RSRC2:SCRATCH_EN: 0
; COMPUTE_PGM_RSRC2:USER_SGPR: 2
; COMPUTE_PGM_RSRC2:TRAP_HANDLER: 0
; COMPUTE_PGM_RSRC2:TGID_X_EN: 1
; COMPUTE_PGM_RSRC2:TGID_Y_EN: 0
; COMPUTE_PGM_RSRC2:TGID_Z_EN: 0
; COMPUTE_PGM_RSRC2:TIDIG_COMP_CNT: 0
	.section	.text._ZN2at4cuda3cub15calc_block_sumsILi512ELi16ELb1EaiEEvPKT2_PT3_li,"axG",@progbits,_ZN2at4cuda3cub15calc_block_sumsILi512ELi16ELb1EaiEEvPKT2_PT3_li,comdat
	.protected	_ZN2at4cuda3cub15calc_block_sumsILi512ELi16ELb1EaiEEvPKT2_PT3_li ; -- Begin function _ZN2at4cuda3cub15calc_block_sumsILi512ELi16ELb1EaiEEvPKT2_PT3_li
	.globl	_ZN2at4cuda3cub15calc_block_sumsILi512ELi16ELb1EaiEEvPKT2_PT3_li
	.p2align	8
	.type	_ZN2at4cuda3cub15calc_block_sumsILi512ELi16ELb1EaiEEvPKT2_PT3_li,@function
_ZN2at4cuda3cub15calc_block_sumsILi512ELi16ELb1EaiEEvPKT2_PT3_li: ; @_ZN2at4cuda3cub15calc_block_sumsILi512ELi16ELb1EaiEEvPKT2_PT3_li
; %bb.0:
	s_load_b96 s[8:10], s[0:1], 0x10
	s_mov_b32 s2, ttmp9
	s_mov_b32 s3, 0
	s_wait_kmcnt 0x0
	s_lshl_b32 s4, s10, 13
	s_delay_alu instid0(SALU_CYCLE_1) | instskip(NEXT) | instid1(SALU_CYCLE_1)
	s_ashr_i32 s5, s4, 31
	s_mul_u64 s[14:15], s[4:5], s[2:3]
	s_delay_alu instid0(SALU_CYCLE_1) | instskip(NEXT) | instid1(SALU_CYCLE_1)
	s_sub_nc_u64 s[8:9], s[8:9], s[14:15]
	v_cmp_lt_i64_e64 s4, s[8:9], 1
	s_and_b32 vcc_lo, exec_lo, s4
	s_cbranch_vccnz .LBB901_58
; %bb.1:
	s_load_b128 s[4:7], s[0:1], 0x0
	s_mov_b32 s0, -1
	s_cmp_gt_i32 s10, 0
	s_mov_b32 s1, -1
	s_cbranch_scc1 .LBB901_3
; %bb.2:
	s_mov_b32 s1, 0
.LBB901_3:
	v_mov_b32_e32 v18, 0
	s_and_not1_b32 vcc_lo, exec_lo, s1
	s_cbranch_vccnz .LBB901_56
; %bb.4:
	v_lshrrev_b32_e32 v2, 3, v0
	v_mov_b32_e32 v1, 0
	v_dual_mov_b32 v18, 0 :: v_dual_add_nc_u32 v19, 0x200, v0
	v_or_b32_e32 v20, 0x400, v0
	v_add_nc_u32_e32 v21, 0x600, v0
	v_or_b32_e32 v22, 0x800, v0
	v_add_nc_u32_e32 v23, 0xa00, v0
	v_or_b32_e32 v24, 0xc00, v0
	v_add_nc_u32_e32 v25, 0xe00, v0
	v_or_b32_e32 v26, 0x1000, v0
	v_add_nc_u32_e32 v27, 0x1200, v0
	v_or_b32_e32 v28, 0x1400, v0
	v_add_nc_u32_e32 v29, 0x1600, v0
	v_or_b32_e32 v30, 0x1800, v0
	v_add_nc_u32_e32 v31, 0x1a00, v0
	v_or_b32_e32 v32, 0x1c00, v0
	v_add_nc_u32_e32 v33, 0x1e00, v0
	v_and_b32_e32 v34, 0x7c, v2
	v_cmp_gt_u32_e64 s0, 32, v0
	v_mbcnt_lo_u32_b32 v35, -1, 0
	s_movk_i32 s12, 0xe000
	s_mov_b32 s13, -1
	s_wait_kmcnt 0x0
	s_add_nc_u64 s[4:5], s[4:5], s[14:15]
	s_branch .LBB901_6
.LBB901_5:                              ;   in Loop: Header=BB901_6 Depth=1
	v_add_nc_u32_e32 v18, v2, v18
	s_wait_alu 0xfffe
	s_and_not1_b32 vcc_lo, exec_lo, s11
	s_wait_alu 0xfffe
	s_cbranch_vccz .LBB901_52
.LBB901_6:                              ; =>This Inner Loop Header: Depth=1
	v_cmp_gt_i64_e64 s1, 0x2000, s[8:9]
                                        ; implicit-def: $vgpr2
	s_and_b32 vcc_lo, exec_lo, s1
	s_mov_b32 s1, -1
	s_wait_alu 0xfffe
	s_cbranch_vccz .LBB901_29
; %bb.7:                                ;   in Loop: Header=BB901_6 Depth=1
	v_mov_b32_e32 v16, v1
	v_dual_mov_b32 v2, v1 :: v_dual_mov_b32 v3, v1
	v_dual_mov_b32 v4, v1 :: v_dual_mov_b32 v5, v1
	;; [unrolled: 1-line block ×7, first 2 shown]
	v_mov_b32_e32 v17, v16
	s_delay_alu instid0(VALU_DEP_2) | instskip(NEXT) | instid1(VALU_DEP_3)
	v_mov_b32_e32 v16, v15
	v_mov_b32_e32 v15, v14
	;; [unrolled: 1-line block ×15, first 2 shown]
	s_mov_b32 s1, exec_lo
	v_cmpx_gt_u32_e64 s8, v0
	s_cbranch_execnz .LBB901_37
; %bb.8:                                ;   in Loop: Header=BB901_6 Depth=1
	s_wait_alu 0xfffe
	s_or_b32 exec_lo, exec_lo, s1
	s_delay_alu instid0(SALU_CYCLE_1)
	s_mov_b32 s1, exec_lo
	v_cmpx_gt_u32_e64 s8, v19
	s_cbranch_execnz .LBB901_38
.LBB901_9:                              ;   in Loop: Header=BB901_6 Depth=1
	s_wait_alu 0xfffe
	s_or_b32 exec_lo, exec_lo, s1
	s_delay_alu instid0(SALU_CYCLE_1)
	s_mov_b32 s1, exec_lo
	v_cmpx_gt_u32_e64 s8, v20
	s_cbranch_execnz .LBB901_39
.LBB901_10:                             ;   in Loop: Header=BB901_6 Depth=1
	s_wait_alu 0xfffe
	s_or_b32 exec_lo, exec_lo, s1
	s_delay_alu instid0(SALU_CYCLE_1)
	s_mov_b32 s1, exec_lo
	v_cmpx_gt_u32_e64 s8, v21
	s_cbranch_execnz .LBB901_40
.LBB901_11:                             ;   in Loop: Header=BB901_6 Depth=1
	s_wait_alu 0xfffe
	s_or_b32 exec_lo, exec_lo, s1
	s_delay_alu instid0(SALU_CYCLE_1)
	s_mov_b32 s1, exec_lo
	v_cmpx_gt_u32_e64 s8, v22
	s_cbranch_execnz .LBB901_41
.LBB901_12:                             ;   in Loop: Header=BB901_6 Depth=1
	s_wait_alu 0xfffe
	s_or_b32 exec_lo, exec_lo, s1
	s_delay_alu instid0(SALU_CYCLE_1)
	s_mov_b32 s1, exec_lo
	v_cmpx_gt_u32_e64 s8, v23
	s_cbranch_execnz .LBB901_42
.LBB901_13:                             ;   in Loop: Header=BB901_6 Depth=1
	s_wait_alu 0xfffe
	s_or_b32 exec_lo, exec_lo, s1
	s_delay_alu instid0(SALU_CYCLE_1)
	s_mov_b32 s1, exec_lo
	v_cmpx_gt_u32_e64 s8, v24
	s_cbranch_execnz .LBB901_43
.LBB901_14:                             ;   in Loop: Header=BB901_6 Depth=1
	s_wait_alu 0xfffe
	s_or_b32 exec_lo, exec_lo, s1
	s_delay_alu instid0(SALU_CYCLE_1)
	s_mov_b32 s1, exec_lo
	v_cmpx_gt_u32_e64 s8, v25
	s_cbranch_execnz .LBB901_44
.LBB901_15:                             ;   in Loop: Header=BB901_6 Depth=1
	s_wait_alu 0xfffe
	s_or_b32 exec_lo, exec_lo, s1
	s_delay_alu instid0(SALU_CYCLE_1)
	s_mov_b32 s1, exec_lo
	v_cmpx_gt_u32_e64 s8, v26
	s_cbranch_execnz .LBB901_45
.LBB901_16:                             ;   in Loop: Header=BB901_6 Depth=1
	s_wait_alu 0xfffe
	s_or_b32 exec_lo, exec_lo, s1
	s_delay_alu instid0(SALU_CYCLE_1)
	s_mov_b32 s1, exec_lo
	v_cmpx_gt_u32_e64 s8, v27
	s_cbranch_execnz .LBB901_46
.LBB901_17:                             ;   in Loop: Header=BB901_6 Depth=1
	s_wait_alu 0xfffe
	s_or_b32 exec_lo, exec_lo, s1
	s_delay_alu instid0(SALU_CYCLE_1)
	s_mov_b32 s1, exec_lo
	v_cmpx_gt_u32_e64 s8, v28
	s_cbranch_execnz .LBB901_47
.LBB901_18:                             ;   in Loop: Header=BB901_6 Depth=1
	s_wait_alu 0xfffe
	s_or_b32 exec_lo, exec_lo, s1
	s_delay_alu instid0(SALU_CYCLE_1)
	s_mov_b32 s1, exec_lo
	v_cmpx_gt_u32_e64 s8, v29
	s_cbranch_execnz .LBB901_48
.LBB901_19:                             ;   in Loop: Header=BB901_6 Depth=1
	s_wait_alu 0xfffe
	s_or_b32 exec_lo, exec_lo, s1
	s_delay_alu instid0(SALU_CYCLE_1)
	s_mov_b32 s1, exec_lo
	v_cmpx_gt_u32_e64 s8, v30
	s_cbranch_execnz .LBB901_49
.LBB901_20:                             ;   in Loop: Header=BB901_6 Depth=1
	s_wait_alu 0xfffe
	s_or_b32 exec_lo, exec_lo, s1
	s_delay_alu instid0(SALU_CYCLE_1)
	s_mov_b32 s1, exec_lo
	v_cmpx_gt_u32_e64 s8, v31
	s_cbranch_execnz .LBB901_50
.LBB901_21:                             ;   in Loop: Header=BB901_6 Depth=1
	s_wait_alu 0xfffe
	s_or_b32 exec_lo, exec_lo, s1
	s_delay_alu instid0(SALU_CYCLE_1)
	s_mov_b32 s1, exec_lo
	v_cmpx_gt_u32_e64 s8, v32
	s_cbranch_execnz .LBB901_51
.LBB901_22:                             ;   in Loop: Header=BB901_6 Depth=1
	s_wait_alu 0xfffe
	s_or_b32 exec_lo, exec_lo, s1
	s_delay_alu instid0(SALU_CYCLE_1)
	s_mov_b32 s1, exec_lo
	v_cmpx_gt_u32_e64 s8, v33
	s_cbranch_execz .LBB901_24
.LBB901_23:                             ;   in Loop: Header=BB901_6 Depth=1
	v_add_co_u32 v36, s11, s4, v0
	s_wait_alu 0xf1ff
	v_add_co_ci_u32_e64 v37, null, s5, 0, s11
	global_load_u8 v17, v[36:37], off offset:7680
	s_wait_loadcnt 0x0
	v_cmp_ne_u16_e32 vcc_lo, 0, v17
	s_wait_alu 0xfffd
	v_cndmask_b32_e64 v17, 0, 1, vcc_lo
.LBB901_24:                             ;   in Loop: Header=BB901_6 Depth=1
	s_wait_alu 0xfffe
	s_or_b32 exec_lo, exec_lo, s1
	v_add_nc_u32_e32 v2, v3, v2
	s_mov_b32 s1, exec_lo
	s_barrier_signal -1
	s_barrier_wait -1
	s_delay_alu instid0(VALU_DEP_1) | instskip(SKIP_2) | instid1(VALU_DEP_1)
	v_add3_u32 v2, v2, v4, v5
	global_inv scope:SCOPE_SE
	v_add3_u32 v2, v2, v6, v7
	v_add3_u32 v2, v2, v8, v9
	s_delay_alu instid0(VALU_DEP_1) | instskip(NEXT) | instid1(VALU_DEP_1)
	v_add3_u32 v2, v2, v10, v11
	v_add3_u32 v2, v2, v12, v13
	s_delay_alu instid0(VALU_DEP_1) | instskip(NEXT) | instid1(VALU_DEP_1)
	;; [unrolled: 3-line block ×3, first 2 shown]
	v_mov_b32_dpp v3, v2 quad_perm:[1,0,3,2] row_mask:0xf bank_mask:0xf
	v_add_nc_u32_e32 v2, v2, v3
	s_delay_alu instid0(VALU_DEP_1) | instskip(NEXT) | instid1(VALU_DEP_1)
	v_mov_b32_dpp v3, v2 quad_perm:[2,3,0,1] row_mask:0xf bank_mask:0xf
	v_add_nc_u32_e32 v2, v2, v3
	s_delay_alu instid0(VALU_DEP_1) | instskip(NEXT) | instid1(VALU_DEP_1)
	v_mov_b32_dpp v3, v2 row_ror:4 row_mask:0xf bank_mask:0xf
	v_add_nc_u32_e32 v2, v2, v3
	s_delay_alu instid0(VALU_DEP_1) | instskip(NEXT) | instid1(VALU_DEP_1)
	v_mov_b32_dpp v3, v2 row_ror:8 row_mask:0xf bank_mask:0xf
	v_add_nc_u32_e32 v2, v2, v3
	ds_swizzle_b32 v3, v2 offset:swizzle(BROADCAST,32,15)
	s_wait_dscnt 0x0
	v_add_nc_u32_e32 v2, v2, v3
	ds_bpermute_b32 v2, v1, v2 offset:124
	v_cmpx_eq_u32_e32 0, v35
	s_cbranch_execz .LBB901_26
; %bb.25:                               ;   in Loop: Header=BB901_6 Depth=1
	s_wait_dscnt 0x0
	ds_store_b32 v34, v2
.LBB901_26:                             ;   in Loop: Header=BB901_6 Depth=1
	s_wait_alu 0xfffe
	s_or_b32 exec_lo, exec_lo, s1
	s_wait_loadcnt_dscnt 0x0
	s_barrier_signal -1
	s_barrier_wait -1
	global_inv scope:SCOPE_SE
	s_and_saveexec_b32 s1, s0
	s_cbranch_execz .LBB901_28
; %bb.27:                               ;   in Loop: Header=BB901_6 Depth=1
	v_and_b32_e32 v2, 15, v35
	s_delay_alu instid0(VALU_DEP_1)
	v_lshlrev_b32_e32 v3, 2, v2
	v_cmp_ne_u32_e32 vcc_lo, 15, v2
	ds_load_b32 v3, v3
	s_wait_alu 0xfffd
	v_add_co_ci_u32_e64 v4, null, 0, v35, vcc_lo
	v_cmp_gt_u32_e32 vcc_lo, 14, v2
	s_delay_alu instid0(VALU_DEP_2) | instskip(SKIP_3) | instid1(VALU_DEP_2)
	v_lshlrev_b32_e32 v4, 2, v4
	s_wait_alu 0xfffd
	v_cndmask_b32_e64 v5, 0, 2, vcc_lo
	v_cmp_gt_u32_e32 vcc_lo, 12, v2
	v_add_lshl_u32 v5, v5, v35, 2
	s_wait_alu 0xfffd
	v_cndmask_b32_e64 v2, 0, 4, vcc_lo
	s_delay_alu instid0(VALU_DEP_1)
	v_add_lshl_u32 v2, v2, v35, 2
	s_wait_dscnt 0x0
	ds_bpermute_b32 v4, v4, v3
	s_wait_dscnt 0x0
	v_add_nc_u32_e32 v3, v4, v3
	ds_bpermute_b32 v4, v5, v3
	s_wait_dscnt 0x0
	v_add_nc_u32_e32 v3, v4, v3
	v_lshlrev_b32_e32 v4, 2, v35
	ds_bpermute_b32 v2, v2, v3
	s_wait_dscnt 0x0
	v_add_nc_u32_e32 v2, v2, v3
	v_or_b32_e32 v3, 32, v4
	ds_bpermute_b32 v3, v3, v2
	s_wait_dscnt 0x0
	v_add_nc_u32_e32 v2, v3, v2
.LBB901_28:                             ;   in Loop: Header=BB901_6 Depth=1
	s_wait_alu 0xfffe
	s_or_b32 exec_lo, exec_lo, s1
	s_mov_b32 s1, 0
.LBB901_29:                             ;   in Loop: Header=BB901_6 Depth=1
	s_wait_alu 0xfffe
	s_and_b32 vcc_lo, exec_lo, s1
	s_wait_alu 0xfffe
	s_cbranch_vccz .LBB901_35
; %bb.30:                               ;   in Loop: Header=BB901_6 Depth=1
	v_add_co_u32 v2, s1, s4, v0
	s_wait_alu 0xf1ff
	v_add_co_ci_u32_e64 v3, null, s5, 0, s1
	s_mov_b32 s1, exec_lo
	s_clause 0xf
	global_load_u8 v4, v[2:3], off
	global_load_u8 v5, v[2:3], off offset:1024
	global_load_u8 v6, v[2:3], off offset:512
	;; [unrolled: 1-line block ×15, first 2 shown]
	s_wait_loadcnt 0x0
	s_barrier_signal -1
	s_barrier_wait -1
	global_inv scope:SCOPE_SE
	v_cmp_ne_u16_e32 vcc_lo, 0, v4
	s_wait_alu 0xfffd
	v_cndmask_b32_e64 v3, 0, 1, vcc_lo
	v_cmp_ne_u16_e32 vcc_lo, 0, v5
	s_wait_alu 0xfffd
	v_cndmask_b32_e64 v4, 0, 1, vcc_lo
	v_cmp_ne_u16_e32 vcc_lo, 0, v6
	s_wait_alu 0xfffd
	v_add_co_ci_u32_e64 v3, null, 0, v3, vcc_lo
	v_cmp_ne_u16_e32 vcc_lo, 0, v7
	s_wait_alu 0xfffd
	v_cndmask_b32_e64 v5, 0, 1, vcc_lo
	v_cmp_ne_u16_e32 vcc_lo, 0, v8
	s_wait_alu 0xfffd
	v_add_co_ci_u32_e64 v3, null, v3, v4, vcc_lo
	;; [unrolled: 6-line block ×7, first 2 shown]
	v_cmp_ne_u16_e32 vcc_lo, 0, v2
	s_wait_alu 0xfffd
	s_delay_alu instid0(VALU_DEP_2) | instskip(NEXT) | instid1(VALU_DEP_1)
	v_add_co_ci_u32_e64 v2, null, v3, v4, vcc_lo
	v_mov_b32_dpp v3, v2 quad_perm:[1,0,3,2] row_mask:0xf bank_mask:0xf
	s_delay_alu instid0(VALU_DEP_1) | instskip(NEXT) | instid1(VALU_DEP_1)
	v_add_nc_u32_e32 v2, v3, v2
	v_mov_b32_dpp v3, v2 quad_perm:[2,3,0,1] row_mask:0xf bank_mask:0xf
	s_delay_alu instid0(VALU_DEP_1) | instskip(NEXT) | instid1(VALU_DEP_1)
	v_add_nc_u32_e32 v2, v2, v3
	v_mov_b32_dpp v3, v2 row_ror:4 row_mask:0xf bank_mask:0xf
	s_delay_alu instid0(VALU_DEP_1) | instskip(NEXT) | instid1(VALU_DEP_1)
	v_add_nc_u32_e32 v2, v2, v3
	v_mov_b32_dpp v3, v2 row_ror:8 row_mask:0xf bank_mask:0xf
	s_delay_alu instid0(VALU_DEP_1)
	v_add_nc_u32_e32 v2, v2, v3
	ds_swizzle_b32 v3, v2 offset:swizzle(BROADCAST,32,15)
	s_wait_dscnt 0x0
	v_add_nc_u32_e32 v2, v2, v3
	ds_bpermute_b32 v2, v1, v2 offset:124
	v_cmpx_eq_u32_e32 0, v35
	s_cbranch_execz .LBB901_32
; %bb.31:                               ;   in Loop: Header=BB901_6 Depth=1
	s_wait_dscnt 0x0
	ds_store_b32 v34, v2
.LBB901_32:                             ;   in Loop: Header=BB901_6 Depth=1
	s_wait_alu 0xfffe
	s_or_b32 exec_lo, exec_lo, s1
	s_wait_loadcnt_dscnt 0x0
	s_barrier_signal -1
	s_barrier_wait -1
	global_inv scope:SCOPE_SE
	s_and_saveexec_b32 s1, s0
	s_cbranch_execz .LBB901_34
; %bb.33:                               ;   in Loop: Header=BB901_6 Depth=1
	v_and_b32_e32 v2, 15, v35
	s_delay_alu instid0(VALU_DEP_1)
	v_lshlrev_b32_e32 v3, 2, v2
	v_cmp_ne_u32_e32 vcc_lo, 15, v2
	ds_load_b32 v3, v3
	s_wait_alu 0xfffd
	v_add_co_ci_u32_e64 v4, null, 0, v35, vcc_lo
	v_cmp_gt_u32_e32 vcc_lo, 14, v2
	s_delay_alu instid0(VALU_DEP_2) | instskip(SKIP_3) | instid1(VALU_DEP_2)
	v_lshlrev_b32_e32 v4, 2, v4
	s_wait_alu 0xfffd
	v_cndmask_b32_e64 v5, 0, 2, vcc_lo
	v_cmp_gt_u32_e32 vcc_lo, 12, v2
	v_add_lshl_u32 v5, v5, v35, 2
	s_wait_alu 0xfffd
	v_cndmask_b32_e64 v2, 0, 4, vcc_lo
	s_delay_alu instid0(VALU_DEP_1)
	v_add_lshl_u32 v2, v2, v35, 2
	s_wait_dscnt 0x0
	ds_bpermute_b32 v4, v4, v3
	s_wait_dscnt 0x0
	v_add_nc_u32_e32 v3, v4, v3
	ds_bpermute_b32 v4, v5, v3
	s_wait_dscnt 0x0
	v_add_nc_u32_e32 v3, v4, v3
	v_lshlrev_b32_e32 v4, 2, v35
	ds_bpermute_b32 v2, v2, v3
	s_wait_dscnt 0x0
	v_add_nc_u32_e32 v2, v2, v3
	v_or_b32_e32 v3, 32, v4
	ds_bpermute_b32 v3, v3, v2
	s_wait_dscnt 0x0
	v_add_nc_u32_e32 v2, v3, v2
.LBB901_34:                             ;   in Loop: Header=BB901_6 Depth=1
	s_wait_alu 0xfffe
	s_or_b32 exec_lo, exec_lo, s1
.LBB901_35:                             ;   in Loop: Header=BB901_6 Depth=1
	v_cmp_lt_i64_e64 s11, 0x2000, s[8:9]
	s_mov_b32 s1, -1
	s_and_b32 vcc_lo, exec_lo, s11
	s_mov_b32 s11, -1
	s_wait_alu 0xfffe
	s_cbranch_vccz .LBB901_5
; %bb.36:                               ;   in Loop: Header=BB901_6 Depth=1
	s_add_co_i32 s10, s10, -1
	s_add_nc_u64 s[4:5], s[4:5], 0x2000
	s_wait_alu 0xfffe
	s_cmp_eq_u32 s10, 0
	s_add_nc_u64 s[8:9], s[8:9], s[12:13]
	s_mov_b32 s1, 0
	s_cselect_b32 s11, -1, 0
	s_wait_loadcnt 0x0
	s_barrier_signal -1
	s_barrier_wait -1
	global_inv scope:SCOPE_SE
	s_branch .LBB901_5
.LBB901_37:                             ;   in Loop: Header=BB901_6 Depth=1
	v_add_co_u32 v2, s11, s4, v0
	s_wait_alu 0xf1ff
	v_add_co_ci_u32_e64 v3, null, s5, 0, s11
	v_dual_mov_b32 v5, v1 :: v_dual_mov_b32 v6, v1
	v_dual_mov_b32 v7, v1 :: v_dual_mov_b32 v8, v1
	global_load_u8 v2, v[2:3], off
	v_dual_mov_b32 v3, v1 :: v_dual_mov_b32 v4, v1
	v_dual_mov_b32 v9, v1 :: v_dual_mov_b32 v10, v1
	;; [unrolled: 1-line block ×5, first 2 shown]
	v_mov_b32_e32 v17, v1
	s_wait_loadcnt 0x0
	v_cmp_ne_u16_e32 vcc_lo, 0, v2
	s_wait_alu 0xfffd
	v_cndmask_b32_e64 v2, 0, 1, vcc_lo
	s_delay_alu instid0(VALU_DEP_1) | instskip(SKIP_2) | instid1(SALU_CYCLE_1)
	v_and_b32_e32 v2, 0xffff, v2
	s_wait_alu 0xfffe
	s_or_b32 exec_lo, exec_lo, s1
	s_mov_b32 s1, exec_lo
	v_cmpx_gt_u32_e64 s8, v19
	s_cbranch_execz .LBB901_9
.LBB901_38:                             ;   in Loop: Header=BB901_6 Depth=1
	v_add_co_u32 v36, s11, s4, v0
	s_wait_alu 0xf1ff
	v_add_co_ci_u32_e64 v37, null, s5, 0, s11
	global_load_u8 v3, v[36:37], off offset:512
	s_wait_loadcnt 0x0
	v_cmp_ne_u16_e32 vcc_lo, 0, v3
	s_wait_alu 0xfffd
	v_cndmask_b32_e64 v3, 0, 1, vcc_lo
	s_wait_alu 0xfffe
	s_or_b32 exec_lo, exec_lo, s1
	s_delay_alu instid0(SALU_CYCLE_1)
	s_mov_b32 s1, exec_lo
	v_cmpx_gt_u32_e64 s8, v20
	s_cbranch_execz .LBB901_10
.LBB901_39:                             ;   in Loop: Header=BB901_6 Depth=1
	v_add_co_u32 v36, s11, s4, v0
	s_wait_alu 0xf1ff
	v_add_co_ci_u32_e64 v37, null, s5, 0, s11
	global_load_u8 v4, v[36:37], off offset:1024
	s_wait_loadcnt 0x0
	v_cmp_ne_u16_e32 vcc_lo, 0, v4
	s_wait_alu 0xfffd
	v_cndmask_b32_e64 v4, 0, 1, vcc_lo
	s_wait_alu 0xfffe
	s_or_b32 exec_lo, exec_lo, s1
	s_delay_alu instid0(SALU_CYCLE_1)
	s_mov_b32 s1, exec_lo
	v_cmpx_gt_u32_e64 s8, v21
	s_cbranch_execz .LBB901_11
.LBB901_40:                             ;   in Loop: Header=BB901_6 Depth=1
	v_add_co_u32 v36, s11, s4, v0
	s_wait_alu 0xf1ff
	v_add_co_ci_u32_e64 v37, null, s5, 0, s11
	global_load_u8 v5, v[36:37], off offset:1536
	s_wait_loadcnt 0x0
	v_cmp_ne_u16_e32 vcc_lo, 0, v5
	s_wait_alu 0xfffd
	v_cndmask_b32_e64 v5, 0, 1, vcc_lo
	s_wait_alu 0xfffe
	s_or_b32 exec_lo, exec_lo, s1
	s_delay_alu instid0(SALU_CYCLE_1)
	s_mov_b32 s1, exec_lo
	v_cmpx_gt_u32_e64 s8, v22
	s_cbranch_execz .LBB901_12
.LBB901_41:                             ;   in Loop: Header=BB901_6 Depth=1
	v_add_co_u32 v36, s11, s4, v0
	s_wait_alu 0xf1ff
	v_add_co_ci_u32_e64 v37, null, s5, 0, s11
	global_load_u8 v6, v[36:37], off offset:2048
	s_wait_loadcnt 0x0
	v_cmp_ne_u16_e32 vcc_lo, 0, v6
	s_wait_alu 0xfffd
	v_cndmask_b32_e64 v6, 0, 1, vcc_lo
	s_wait_alu 0xfffe
	s_or_b32 exec_lo, exec_lo, s1
	s_delay_alu instid0(SALU_CYCLE_1)
	s_mov_b32 s1, exec_lo
	v_cmpx_gt_u32_e64 s8, v23
	s_cbranch_execz .LBB901_13
.LBB901_42:                             ;   in Loop: Header=BB901_6 Depth=1
	v_add_co_u32 v36, s11, s4, v0
	s_wait_alu 0xf1ff
	v_add_co_ci_u32_e64 v37, null, s5, 0, s11
	global_load_u8 v7, v[36:37], off offset:2560
	s_wait_loadcnt 0x0
	v_cmp_ne_u16_e32 vcc_lo, 0, v7
	s_wait_alu 0xfffd
	v_cndmask_b32_e64 v7, 0, 1, vcc_lo
	s_wait_alu 0xfffe
	s_or_b32 exec_lo, exec_lo, s1
	s_delay_alu instid0(SALU_CYCLE_1)
	s_mov_b32 s1, exec_lo
	v_cmpx_gt_u32_e64 s8, v24
	s_cbranch_execz .LBB901_14
.LBB901_43:                             ;   in Loop: Header=BB901_6 Depth=1
	v_add_co_u32 v36, s11, s4, v0
	s_wait_alu 0xf1ff
	v_add_co_ci_u32_e64 v37, null, s5, 0, s11
	global_load_u8 v8, v[36:37], off offset:3072
	s_wait_loadcnt 0x0
	v_cmp_ne_u16_e32 vcc_lo, 0, v8
	s_wait_alu 0xfffd
	v_cndmask_b32_e64 v8, 0, 1, vcc_lo
	s_wait_alu 0xfffe
	s_or_b32 exec_lo, exec_lo, s1
	s_delay_alu instid0(SALU_CYCLE_1)
	s_mov_b32 s1, exec_lo
	v_cmpx_gt_u32_e64 s8, v25
	s_cbranch_execz .LBB901_15
.LBB901_44:                             ;   in Loop: Header=BB901_6 Depth=1
	v_add_co_u32 v36, s11, s4, v0
	s_wait_alu 0xf1ff
	v_add_co_ci_u32_e64 v37, null, s5, 0, s11
	global_load_u8 v9, v[36:37], off offset:3584
	s_wait_loadcnt 0x0
	v_cmp_ne_u16_e32 vcc_lo, 0, v9
	s_wait_alu 0xfffd
	v_cndmask_b32_e64 v9, 0, 1, vcc_lo
	s_wait_alu 0xfffe
	s_or_b32 exec_lo, exec_lo, s1
	s_delay_alu instid0(SALU_CYCLE_1)
	s_mov_b32 s1, exec_lo
	v_cmpx_gt_u32_e64 s8, v26
	s_cbranch_execz .LBB901_16
.LBB901_45:                             ;   in Loop: Header=BB901_6 Depth=1
	v_add_co_u32 v36, s11, s4, v0
	s_wait_alu 0xf1ff
	v_add_co_ci_u32_e64 v37, null, s5, 0, s11
	global_load_u8 v10, v[36:37], off offset:4096
	s_wait_loadcnt 0x0
	v_cmp_ne_u16_e32 vcc_lo, 0, v10
	s_wait_alu 0xfffd
	v_cndmask_b32_e64 v10, 0, 1, vcc_lo
	s_wait_alu 0xfffe
	s_or_b32 exec_lo, exec_lo, s1
	s_delay_alu instid0(SALU_CYCLE_1)
	s_mov_b32 s1, exec_lo
	v_cmpx_gt_u32_e64 s8, v27
	s_cbranch_execz .LBB901_17
.LBB901_46:                             ;   in Loop: Header=BB901_6 Depth=1
	v_add_co_u32 v36, s11, s4, v0
	s_wait_alu 0xf1ff
	v_add_co_ci_u32_e64 v37, null, s5, 0, s11
	global_load_u8 v11, v[36:37], off offset:4608
	s_wait_loadcnt 0x0
	v_cmp_ne_u16_e32 vcc_lo, 0, v11
	s_wait_alu 0xfffd
	v_cndmask_b32_e64 v11, 0, 1, vcc_lo
	s_wait_alu 0xfffe
	s_or_b32 exec_lo, exec_lo, s1
	s_delay_alu instid0(SALU_CYCLE_1)
	s_mov_b32 s1, exec_lo
	v_cmpx_gt_u32_e64 s8, v28
	s_cbranch_execz .LBB901_18
.LBB901_47:                             ;   in Loop: Header=BB901_6 Depth=1
	v_add_co_u32 v36, s11, s4, v0
	s_wait_alu 0xf1ff
	v_add_co_ci_u32_e64 v37, null, s5, 0, s11
	global_load_u8 v12, v[36:37], off offset:5120
	s_wait_loadcnt 0x0
	v_cmp_ne_u16_e32 vcc_lo, 0, v12
	s_wait_alu 0xfffd
	v_cndmask_b32_e64 v12, 0, 1, vcc_lo
	s_wait_alu 0xfffe
	s_or_b32 exec_lo, exec_lo, s1
	s_delay_alu instid0(SALU_CYCLE_1)
	s_mov_b32 s1, exec_lo
	v_cmpx_gt_u32_e64 s8, v29
	s_cbranch_execz .LBB901_19
.LBB901_48:                             ;   in Loop: Header=BB901_6 Depth=1
	v_add_co_u32 v36, s11, s4, v0
	s_wait_alu 0xf1ff
	v_add_co_ci_u32_e64 v37, null, s5, 0, s11
	global_load_u8 v13, v[36:37], off offset:5632
	s_wait_loadcnt 0x0
	v_cmp_ne_u16_e32 vcc_lo, 0, v13
	s_wait_alu 0xfffd
	v_cndmask_b32_e64 v13, 0, 1, vcc_lo
	s_wait_alu 0xfffe
	s_or_b32 exec_lo, exec_lo, s1
	s_delay_alu instid0(SALU_CYCLE_1)
	s_mov_b32 s1, exec_lo
	v_cmpx_gt_u32_e64 s8, v30
	s_cbranch_execz .LBB901_20
.LBB901_49:                             ;   in Loop: Header=BB901_6 Depth=1
	v_add_co_u32 v36, s11, s4, v0
	s_wait_alu 0xf1ff
	v_add_co_ci_u32_e64 v37, null, s5, 0, s11
	global_load_u8 v14, v[36:37], off offset:6144
	s_wait_loadcnt 0x0
	v_cmp_ne_u16_e32 vcc_lo, 0, v14
	s_wait_alu 0xfffd
	v_cndmask_b32_e64 v14, 0, 1, vcc_lo
	s_wait_alu 0xfffe
	s_or_b32 exec_lo, exec_lo, s1
	s_delay_alu instid0(SALU_CYCLE_1)
	s_mov_b32 s1, exec_lo
	v_cmpx_gt_u32_e64 s8, v31
	s_cbranch_execz .LBB901_21
.LBB901_50:                             ;   in Loop: Header=BB901_6 Depth=1
	v_add_co_u32 v36, s11, s4, v0
	s_wait_alu 0xf1ff
	v_add_co_ci_u32_e64 v37, null, s5, 0, s11
	global_load_u8 v15, v[36:37], off offset:6656
	s_wait_loadcnt 0x0
	v_cmp_ne_u16_e32 vcc_lo, 0, v15
	s_wait_alu 0xfffd
	v_cndmask_b32_e64 v15, 0, 1, vcc_lo
	s_wait_alu 0xfffe
	s_or_b32 exec_lo, exec_lo, s1
	s_delay_alu instid0(SALU_CYCLE_1)
	s_mov_b32 s1, exec_lo
	v_cmpx_gt_u32_e64 s8, v32
	s_cbranch_execz .LBB901_22
.LBB901_51:                             ;   in Loop: Header=BB901_6 Depth=1
	v_add_co_u32 v36, s11, s4, v0
	s_wait_alu 0xf1ff
	v_add_co_ci_u32_e64 v37, null, s5, 0, s11
	global_load_u8 v16, v[36:37], off offset:7168
	s_wait_loadcnt 0x0
	v_cmp_ne_u16_e32 vcc_lo, 0, v16
	s_wait_alu 0xfffd
	v_cndmask_b32_e64 v16, 0, 1, vcc_lo
	s_wait_alu 0xfffe
	s_or_b32 exec_lo, exec_lo, s1
	s_delay_alu instid0(SALU_CYCLE_1)
	s_mov_b32 s1, exec_lo
	v_cmpx_gt_u32_e64 s8, v33
	s_cbranch_execnz .LBB901_23
	s_branch .LBB901_24
.LBB901_52:
	s_and_b32 vcc_lo, exec_lo, s1
	s_mov_b32 s0, -1
	s_wait_alu 0xfffe
	s_cbranch_vccz .LBB901_56
; %bb.53:
	s_mov_b32 s0, 0
	s_mov_b32 s1, exec_lo
	v_cmpx_eq_u32_e32 0, v0
	s_cbranch_execz .LBB901_55
; %bb.54:
	v_mov_b32_e32 v0, 0
	s_lshl_b64 s[4:5], s[2:3], 2
	s_wait_alu 0xfffe
	s_add_nc_u64 s[4:5], s[6:7], s[4:5]
	global_store_b32 v0, v18, s[4:5]
.LBB901_55:
	s_wait_alu 0xfffe
	s_or_b32 exec_lo, exec_lo, s1
.LBB901_56:
	v_cmp_eq_u32_e32 vcc_lo, 0, v0
	s_and_b32 s0, vcc_lo, s0
	s_wait_alu 0xfffe
	s_and_saveexec_b32 s1, s0
	s_cbranch_execz .LBB901_58
; %bb.57:
	v_mov_b32_e32 v0, 0
	s_lshl_b64 s[0:1], s[2:3], 2
	s_wait_kmcnt 0x0
	s_wait_alu 0xfffe
	s_add_nc_u64 s[0:1], s[6:7], s[0:1]
	global_store_b32 v0, v18, s[0:1]
.LBB901_58:
	s_endpgm
	.section	.rodata,"a",@progbits
	.p2align	6, 0x0
	.amdhsa_kernel _ZN2at4cuda3cub15calc_block_sumsILi512ELi16ELb1EaiEEvPKT2_PT3_li
		.amdhsa_group_segment_fixed_size 64
		.amdhsa_private_segment_fixed_size 0
		.amdhsa_kernarg_size 28
		.amdhsa_user_sgpr_count 2
		.amdhsa_user_sgpr_dispatch_ptr 0
		.amdhsa_user_sgpr_queue_ptr 0
		.amdhsa_user_sgpr_kernarg_segment_ptr 1
		.amdhsa_user_sgpr_dispatch_id 0
		.amdhsa_user_sgpr_private_segment_size 0
		.amdhsa_wavefront_size32 1
		.amdhsa_uses_dynamic_stack 0
		.amdhsa_enable_private_segment 0
		.amdhsa_system_sgpr_workgroup_id_x 1
		.amdhsa_system_sgpr_workgroup_id_y 0
		.amdhsa_system_sgpr_workgroup_id_z 0
		.amdhsa_system_sgpr_workgroup_info 0
		.amdhsa_system_vgpr_workitem_id 0
		.amdhsa_next_free_vgpr 38
		.amdhsa_next_free_sgpr 16
		.amdhsa_reserve_vcc 1
		.amdhsa_float_round_mode_32 0
		.amdhsa_float_round_mode_16_64 0
		.amdhsa_float_denorm_mode_32 3
		.amdhsa_float_denorm_mode_16_64 3
		.amdhsa_fp16_overflow 0
		.amdhsa_workgroup_processor_mode 1
		.amdhsa_memory_ordered 1
		.amdhsa_forward_progress 1
		.amdhsa_inst_pref_size 29
		.amdhsa_round_robin_scheduling 0
		.amdhsa_exception_fp_ieee_invalid_op 0
		.amdhsa_exception_fp_denorm_src 0
		.amdhsa_exception_fp_ieee_div_zero 0
		.amdhsa_exception_fp_ieee_overflow 0
		.amdhsa_exception_fp_ieee_underflow 0
		.amdhsa_exception_fp_ieee_inexact 0
		.amdhsa_exception_int_div_zero 0
	.end_amdhsa_kernel
	.section	.text._ZN2at4cuda3cub15calc_block_sumsILi512ELi16ELb1EaiEEvPKT2_PT3_li,"axG",@progbits,_ZN2at4cuda3cub15calc_block_sumsILi512ELi16ELb1EaiEEvPKT2_PT3_li,comdat
.Lfunc_end901:
	.size	_ZN2at4cuda3cub15calc_block_sumsILi512ELi16ELb1EaiEEvPKT2_PT3_li, .Lfunc_end901-_ZN2at4cuda3cub15calc_block_sumsILi512ELi16ELb1EaiEEvPKT2_PT3_li
                                        ; -- End function
	.set _ZN2at4cuda3cub15calc_block_sumsILi512ELi16ELb1EaiEEvPKT2_PT3_li.num_vgpr, 38
	.set _ZN2at4cuda3cub15calc_block_sumsILi512ELi16ELb1EaiEEvPKT2_PT3_li.num_agpr, 0
	.set _ZN2at4cuda3cub15calc_block_sumsILi512ELi16ELb1EaiEEvPKT2_PT3_li.numbered_sgpr, 16
	.set _ZN2at4cuda3cub15calc_block_sumsILi512ELi16ELb1EaiEEvPKT2_PT3_li.num_named_barrier, 0
	.set _ZN2at4cuda3cub15calc_block_sumsILi512ELi16ELb1EaiEEvPKT2_PT3_li.private_seg_size, 0
	.set _ZN2at4cuda3cub15calc_block_sumsILi512ELi16ELb1EaiEEvPKT2_PT3_li.uses_vcc, 1
	.set _ZN2at4cuda3cub15calc_block_sumsILi512ELi16ELb1EaiEEvPKT2_PT3_li.uses_flat_scratch, 0
	.set _ZN2at4cuda3cub15calc_block_sumsILi512ELi16ELb1EaiEEvPKT2_PT3_li.has_dyn_sized_stack, 0
	.set _ZN2at4cuda3cub15calc_block_sumsILi512ELi16ELb1EaiEEvPKT2_PT3_li.has_recursion, 0
	.set _ZN2at4cuda3cub15calc_block_sumsILi512ELi16ELb1EaiEEvPKT2_PT3_li.has_indirect_call, 0
	.section	.AMDGPU.csdata,"",@progbits
; Kernel info:
; codeLenInByte = 3712
; TotalNumSgprs: 18
; NumVgprs: 38
; ScratchSize: 0
; MemoryBound: 0
; FloatMode: 240
; IeeeMode: 1
; LDSByteSize: 64 bytes/workgroup (compile time only)
; SGPRBlocks: 0
; VGPRBlocks: 4
; NumSGPRsForWavesPerEU: 18
; NumVGPRsForWavesPerEU: 38
; Occupancy: 16
; WaveLimiterHint : 1
; COMPUTE_PGM_RSRC2:SCRATCH_EN: 0
; COMPUTE_PGM_RSRC2:USER_SGPR: 2
; COMPUTE_PGM_RSRC2:TRAP_HANDLER: 0
; COMPUTE_PGM_RSRC2:TGID_X_EN: 1
; COMPUTE_PGM_RSRC2:TGID_Y_EN: 0
; COMPUTE_PGM_RSRC2:TGID_Z_EN: 0
; COMPUTE_PGM_RSRC2:TIDIG_COMP_CNT: 0
	.section	.text._ZN2at6native12_GLOBAL__N_111flag_kernelILi512ELi16EaEEvPKT1_PlPKllli,"axG",@progbits,_ZN2at6native12_GLOBAL__N_111flag_kernelILi512ELi16EaEEvPKT1_PlPKllli,comdat
	.globl	_ZN2at6native12_GLOBAL__N_111flag_kernelILi512ELi16EaEEvPKT1_PlPKllli ; -- Begin function _ZN2at6native12_GLOBAL__N_111flag_kernelILi512ELi16EaEEvPKT1_PlPKllli
	.p2align	8
	.type	_ZN2at6native12_GLOBAL__N_111flag_kernelILi512ELi16EaEEvPKT1_PlPKllli,@function
_ZN2at6native12_GLOBAL__N_111flag_kernelILi512ELi16EaEEvPKT1_PlPKllli: ; @_ZN2at6native12_GLOBAL__N_111flag_kernelILi512ELi16EaEEvPKT1_PlPKllli
; %bb.0:
	s_clause 0x1
	s_load_b32 s26, s[0:1], 0x28
	s_load_b256 s[12:19], s[0:1], 0x0
	s_mov_b32 s2, ttmp9
	s_mov_b32 s3, 0
	s_wait_kmcnt 0x0
	s_lshl_b32 s4, s26, 13
	s_delay_alu instid0(SALU_CYCLE_1) | instskip(NEXT) | instid1(SALU_CYCLE_1)
	s_ashr_i32 s5, s4, 31
	s_mul_u64 s[20:21], s[4:5], s[2:3]
	s_delay_alu instid0(SALU_CYCLE_1)
	v_cmp_le_i64_e64 s2, s[18:19], s[20:21]
	s_and_b32 vcc_lo, exec_lo, s2
	s_cbranch_vccnz .LBB902_100
; %bb.1:
	s_load_b64 s[2:3], s[0:1], 0x20
	s_cmp_eq_u32 ttmp9, 0
	s_cbranch_scc1 .LBB902_3
; %bb.2:
	s_add_co_i32 s4, ttmp9, -1
	s_mov_b32 s5, 0
	s_delay_alu instid0(SALU_CYCLE_1) | instskip(NEXT) | instid1(SALU_CYCLE_1)
	s_lshl_b64 s[4:5], s[4:5], 3
	s_add_nc_u64 s[4:5], s[16:17], s[4:5]
	s_load_b64 s[4:5], s[4:5], 0x0
	s_cmp_lt_i32 s26, 1
	s_cbranch_scc0 .LBB902_4
	s_branch .LBB902_100
.LBB902_3:
	s_mov_b64 s[4:5], 0
	s_cmp_lt_i32 s26, 1
	s_cbranch_scc1 .LBB902_100
.LBB902_4:
	v_mbcnt_lo_u32_b32 v2, -1, 0
	v_lshlrev_b32_e32 v1, 4, v0
	s_wait_kmcnt 0x0
	s_sub_nc_u64 s[16:17], s[2:3], s[4:5]
	s_lshl_b64 s[24:25], s[4:5], 3
	v_lshrrev_b32_e32 v7, 3, v0
	v_and_b32_e32 v4, 15, v2
	v_and_b32_e32 v6, 0x3e00, v1
	;; [unrolled: 1-line block ×3, first 2 shown]
	v_or_b32_e32 v8, 0x800, v0
	v_and_b32_e32 v21, 0x7c, v7
	v_add_nc_u32_e32 v7, 0x200, v0
	v_add_nc_u32_e32 v9, 0xa00, v0
	v_cmp_eq_u32_e64 s6, 0, v1
	v_mov_b32_e32 v1, 0
	v_cmp_eq_u32_e64 s2, 0, v4
	v_cmp_lt_u32_e64 s3, 1, v4
	v_cmp_lt_u32_e64 s4, 3, v4
	;; [unrolled: 1-line block ×3, first 2 shown]
	v_sub_co_u32 v4, s8, v2, 1
	v_lshlrev_b32_e32 v22, 2, v0
	v_lshrrev_b32_e32 v8, 3, v8
	v_lshrrev_b32_e32 v9, 3, v9
	s_delay_alu instid0(VALU_DEP_4)
	v_cmp_gt_i32_e32 vcc_lo, 0, v4
	v_and_b32_e32 v3, 0x3e0, v0
	v_or_b32_e32 v38, v2, v6
	v_cmp_gt_u32_e64 s9, 16, v0
	v_cmp_lt_u32_e64 s10, 31, v0
	v_cndmask_b32_e32 v4, v4, v2, vcc_lo
	v_min_u32_e32 v5, 0x1e0, v3
	v_or_b32_e32 v43, 32, v38
	v_or_b32_e32 v44, 64, v38
	;; [unrolled: 1-line block ×3, first 2 shown]
	v_lshlrev_b32_e32 v24, 2, v4
	v_or_b32_e32 v5, 31, v5
	v_lshrrev_b32_e32 v4, 3, v7
	v_add_nc_u32_e32 v7, 0x600, v0
	v_or_b32_e32 v46, 0x80, v38
	v_or_b32_e32 v47, 0xa0, v38
	v_cmp_eq_u32_e64 s7, v0, v5
	v_lshlrev_b32_e32 v5, 1, v0
	v_and_b32_e32 v4, 0xfc, v4
	v_lshrrev_b32_e32 v7, 3, v7
	v_or_b32_e32 v48, 0xc0, v38
	v_or_b32_e32 v49, 0xe0, v38
	v_and_b32_e32 v5, 0x7fc, v5
	v_add_nc_u32_e32 v27, v22, v4
	v_or_b32_e32 v50, 0x100, v38
	v_or_b32_e32 v51, 0x120, v38
	;; [unrolled: 1-line block ×3, first 2 shown]
	v_lshl_add_u32 v25, v0, 6, v5
	v_or_b32_e32 v5, 0x400, v0
	v_or_b32_e32 v53, 0x160, v38
	;; [unrolled: 1-line block ×5, first 2 shown]
	v_lshrrev_b32_e32 v5, 3, v5
	v_or_b32_e32 v57, 0x1e0, v38
	v_or_b32_e32 v2, v2, v3
	v_add_co_u32 v75, s12, s12, v38
	s_delay_alu instid0(VALU_DEP_4)
	v_and_b32_e32 v4, 0xfc, v5
	v_and_b32_e32 v5, 0x1fc, v7
	;; [unrolled: 1-line block ×4, first 2 shown]
	v_or_b32_e32 v9, 0xc00, v0
	v_add_nc_u32_e32 v28, v22, v4
	v_add_nc_u32_e32 v29, v22, v5
	;; [unrolled: 1-line block ×4, first 2 shown]
	v_lshrrev_b32_e32 v4, 3, v9
	v_add_nc_u32_e32 v5, 0xe00, v0
	v_or_b32_e32 v7, 0x1000, v0
	v_add_nc_u32_e32 v8, 0x1200, v0
	v_or_b32_e32 v9, 0x1400, v0
	v_and_b32_e32 v4, 0x1fc, v4
	v_lshrrev_b32_e32 v5, 3, v5
	v_lshrrev_b32_e32 v7, 3, v7
	;; [unrolled: 1-line block ×4, first 2 shown]
	v_add_nc_u32_e32 v32, v22, v4
	v_and_b32_e32 v4, 0x3fc, v5
	v_and_b32_e32 v5, 0x27c, v7
	;; [unrolled: 1-line block ×4, first 2 shown]
	v_add_nc_u32_e32 v9, 0x1600, v0
	v_add_nc_u32_e32 v33, v22, v4
	;; [unrolled: 1-line block ×3, first 2 shown]
	v_or_b32_e32 v5, 0x1800, v0
	v_add_nc_u32_e32 v35, v22, v7
	v_lshrrev_b32_e32 v4, 3, v9
	v_add_nc_u32_e32 v7, 0x1a00, v0
	v_add_nc_u32_e32 v36, v22, v8
	v_lshrrev_b32_e32 v5, 3, v5
	v_or_b32_e32 v8, 0x1c00, v0
	v_and_b32_e32 v4, 0x3fc, v4
	v_add_nc_u32_e32 v9, 0x1e00, v0
	v_lshrrev_b32_e32 v7, 3, v7
	v_add_nc_u32_e32 v23, -4, v21
	v_lshrrev_b32_e32 v8, 3, v8
	v_add_nc_u32_e32 v37, v22, v4
	v_and_b32_e32 v4, 0x37c, v5
	v_lshrrev_b32_e32 v9, 3, v9
	v_and_b32_e32 v5, 0x3fc, v7
	v_and_b32_e32 v7, 0x3fc, v8
	v_cmp_eq_u32_e64 s11, 0, v0
	v_add_nc_u32_e32 v39, v22, v4
	v_lshrrev_b32_e32 v4, 3, v43
	v_and_b32_e32 v8, 0x7fc, v9
	v_add_nc_u32_e32 v40, v22, v5
	v_lshrrev_b32_e32 v5, 3, v6
	v_lshlrev_b32_e32 v6, 2, v38
	v_and_b32_e32 v4, 0x7c4, v4
	v_add_nc_u32_e32 v41, v22, v7
	v_add_nc_u32_e32 v42, v22, v8
	v_lshrrev_b32_e32 v7, 3, v46
	v_add_nc_u32_e32 v58, v5, v6
	v_add_nc_u32_e32 v59, v4, v6
	v_lshrrev_b32_e32 v4, 3, v44
	v_lshrrev_b32_e32 v5, 3, v45
	;; [unrolled: 1-line block ×3, first 2 shown]
	v_and_b32_e32 v7, 0x7d0, v7
	v_lshrrev_b32_e32 v9, 3, v48
	v_and_b32_e32 v4, 0x7c8, v4
	v_and_b32_e32 v5, 0x7cc, v5
	;; [unrolled: 1-line block ×3, first 2 shown]
	v_add_nc_u32_e32 v62, v7, v6
	v_lshrrev_b32_e32 v7, 3, v51
	v_add_nc_u32_e32 v60, v4, v6
	v_add_nc_u32_e32 v61, v5, v6
	;; [unrolled: 1-line block ×3, first 2 shown]
	v_lshrrev_b32_e32 v4, 3, v49
	v_lshrrev_b32_e32 v5, 3, v50
	;; [unrolled: 1-line block ×3, first 2 shown]
	v_and_b32_e32 v9, 0x7d8, v9
	v_and_b32_e32 v7, 0x7e4, v7
	;; [unrolled: 1-line block ×5, first 2 shown]
	v_add_nc_u32_e32 v64, v9, v6
	v_lshrrev_b32_e32 v9, 3, v53
	v_add_nc_u32_e32 v65, v4, v6
	v_add_nc_u32_e32 v66, v5, v6
	;; [unrolled: 1-line block ×4, first 2 shown]
	v_lshrrev_b32_e32 v4, 3, v54
	v_lshrrev_b32_e32 v5, 3, v55
	;; [unrolled: 1-line block ×4, first 2 shown]
	v_and_b32_e32 v9, 0x7ec, v9
	v_and_b32_e32 v3, 0x7f0, v4
	;; [unrolled: 1-line block ×5, first 2 shown]
	v_lshlrev_b32_e32 v8, 4, v2
	v_bfe_u32 v2, v2, 1, 27
	v_add_nc_u32_e32 v26, v21, v22
	v_add_nc_u32_e32 v69, v9, v6
	;; [unrolled: 1-line block ×6, first 2 shown]
	v_add_lshl_u32 v74, v2, v8, 2
	s_wait_alu 0xf1ff
	v_add_co_ci_u32_e64 v76, null, s13, 0, s12
	s_movk_i32 s22, 0xe000
	s_mov_b32 s23, -1
	s_sub_nc_u64 s[12:13], s[18:19], s[20:21]
	s_add_nc_u64 s[14:15], s[14:15], s[24:25]
	s_add_nc_u64 s[0:1], s[0:1], 48
	s_branch .LBB902_6
.LBB902_5:                              ;   in Loop: Header=BB902_6 Depth=1
	s_and_not1_b32 vcc_lo, exec_lo, s24
	s_wait_alu 0xfffe
	s_cbranch_vccz .LBB902_100
.LBB902_6:                              ; =>This Inner Loop Header: Depth=1
	s_wait_alu 0xfffe
	v_cmp_gt_i64_e64 s18, 0x2000, s[12:13]
                                        ; implicit-def: $vgpr3
                                        ; implicit-def: $vgpr5
                                        ; implicit-def: $vgpr13
                                        ; implicit-def: $vgpr17
                                        ; implicit-def: $vgpr15
                                        ; implicit-def: $vgpr11
                                        ; implicit-def: $vgpr9
                                        ; implicit-def: $vgpr7
	s_and_b32 vcc_lo, exec_lo, s18
	s_mov_b32 s18, -1
	s_wait_alu 0xfffe
	s_cbranch_vccz .LBB902_25
; %bb.7:                                ;   in Loop: Header=BB902_6 Depth=1
	v_dual_mov_b32 v14, v1 :: v_dual_mov_b32 v15, v1
	v_dual_mov_b32 v2, v1 :: v_dual_mov_b32 v3, v1
	v_dual_mov_b32 v4, v1 :: v_dual_mov_b32 v5, v1
	v_dual_mov_b32 v6, v1 :: v_dual_mov_b32 v7, v1
	v_dual_mov_b32 v8, v1 :: v_dual_mov_b32 v9, v1
	v_dual_mov_b32 v10, v1 :: v_dual_mov_b32 v11, v1
	v_dual_mov_b32 v12, v1 :: v_dual_mov_b32 v13, v1
	v_add_co_u32 v18, vcc_lo, v75, s20
	v_mov_b32_e32 v17, v15
	s_delay_alu instid0(VALU_DEP_3) | instskip(NEXT) | instid1(VALU_DEP_4)
	v_dual_mov_b32 v16, v14 :: v_dual_mov_b32 v15, v13
	v_mov_b32_e32 v14, v12
	v_mov_b32_e32 v13, v11
	;; [unrolled: 1-line block ×13, first 2 shown]
	s_wait_alu 0xfffd
	v_add_co_ci_u32_e64 v19, null, s21, v76, vcc_lo
	v_mov_b32_e32 v2, 0
	s_mov_b32 s18, exec_lo
	v_cmpx_gt_u32_e64 s12, v38
	s_cbranch_execnz .LBB902_85
; %bb.8:                                ;   in Loop: Header=BB902_6 Depth=1
	s_wait_alu 0xfffe
	s_or_b32 exec_lo, exec_lo, s18
	s_delay_alu instid0(SALU_CYCLE_1)
	s_mov_b32 s18, exec_lo
	v_cmpx_gt_u32_e64 s12, v43
	s_cbranch_execnz .LBB902_86
.LBB902_9:                              ;   in Loop: Header=BB902_6 Depth=1
	s_wait_alu 0xfffe
	s_or_b32 exec_lo, exec_lo, s18
	s_delay_alu instid0(SALU_CYCLE_1)
	s_mov_b32 s18, exec_lo
	v_cmpx_gt_u32_e64 s12, v44
	s_cbranch_execnz .LBB902_87
.LBB902_10:                             ;   in Loop: Header=BB902_6 Depth=1
	s_wait_alu 0xfffe
	s_or_b32 exec_lo, exec_lo, s18
	s_delay_alu instid0(SALU_CYCLE_1)
	s_mov_b32 s18, exec_lo
	v_cmpx_gt_u32_e64 s12, v45
	s_cbranch_execnz .LBB902_88
.LBB902_11:                             ;   in Loop: Header=BB902_6 Depth=1
	s_wait_alu 0xfffe
	s_or_b32 exec_lo, exec_lo, s18
	s_delay_alu instid0(SALU_CYCLE_1)
	s_mov_b32 s18, exec_lo
	v_cmpx_gt_u32_e64 s12, v46
	s_cbranch_execnz .LBB902_89
.LBB902_12:                             ;   in Loop: Header=BB902_6 Depth=1
	s_wait_alu 0xfffe
	s_or_b32 exec_lo, exec_lo, s18
	s_delay_alu instid0(SALU_CYCLE_1)
	s_mov_b32 s18, exec_lo
	v_cmpx_gt_u32_e64 s12, v47
	s_cbranch_execnz .LBB902_90
.LBB902_13:                             ;   in Loop: Header=BB902_6 Depth=1
	s_wait_alu 0xfffe
	s_or_b32 exec_lo, exec_lo, s18
	s_delay_alu instid0(SALU_CYCLE_1)
	s_mov_b32 s18, exec_lo
	v_cmpx_gt_u32_e64 s12, v48
	s_cbranch_execnz .LBB902_91
.LBB902_14:                             ;   in Loop: Header=BB902_6 Depth=1
	s_wait_alu 0xfffe
	s_or_b32 exec_lo, exec_lo, s18
	s_delay_alu instid0(SALU_CYCLE_1)
	s_mov_b32 s18, exec_lo
	v_cmpx_gt_u32_e64 s12, v49
	s_cbranch_execnz .LBB902_92
.LBB902_15:                             ;   in Loop: Header=BB902_6 Depth=1
	s_wait_alu 0xfffe
	s_or_b32 exec_lo, exec_lo, s18
	s_delay_alu instid0(SALU_CYCLE_1)
	s_mov_b32 s18, exec_lo
	v_cmpx_gt_u32_e64 s12, v50
	s_cbranch_execnz .LBB902_93
.LBB902_16:                             ;   in Loop: Header=BB902_6 Depth=1
	s_wait_alu 0xfffe
	s_or_b32 exec_lo, exec_lo, s18
	s_delay_alu instid0(SALU_CYCLE_1)
	s_mov_b32 s18, exec_lo
	v_cmpx_gt_u32_e64 s12, v51
	s_cbranch_execnz .LBB902_94
.LBB902_17:                             ;   in Loop: Header=BB902_6 Depth=1
	s_wait_alu 0xfffe
	s_or_b32 exec_lo, exec_lo, s18
	s_delay_alu instid0(SALU_CYCLE_1)
	s_mov_b32 s18, exec_lo
	v_cmpx_gt_u32_e64 s12, v52
	s_cbranch_execnz .LBB902_95
.LBB902_18:                             ;   in Loop: Header=BB902_6 Depth=1
	s_wait_alu 0xfffe
	s_or_b32 exec_lo, exec_lo, s18
	s_delay_alu instid0(SALU_CYCLE_1)
	s_mov_b32 s18, exec_lo
	v_cmpx_gt_u32_e64 s12, v53
	s_cbranch_execnz .LBB902_96
.LBB902_19:                             ;   in Loop: Header=BB902_6 Depth=1
	s_wait_alu 0xfffe
	s_or_b32 exec_lo, exec_lo, s18
	s_delay_alu instid0(SALU_CYCLE_1)
	s_mov_b32 s18, exec_lo
	v_cmpx_gt_u32_e64 s12, v54
	s_cbranch_execnz .LBB902_97
.LBB902_20:                             ;   in Loop: Header=BB902_6 Depth=1
	s_wait_alu 0xfffe
	s_or_b32 exec_lo, exec_lo, s18
	s_delay_alu instid0(SALU_CYCLE_1)
	s_mov_b32 s18, exec_lo
	v_cmpx_gt_u32_e64 s12, v55
	s_cbranch_execnz .LBB902_98
.LBB902_21:                             ;   in Loop: Header=BB902_6 Depth=1
	s_wait_alu 0xfffe
	s_or_b32 exec_lo, exec_lo, s18
	s_delay_alu instid0(SALU_CYCLE_1)
	s_mov_b32 s18, exec_lo
	v_cmpx_gt_u32_e64 s12, v56
	s_cbranch_execnz .LBB902_99
.LBB902_22:                             ;   in Loop: Header=BB902_6 Depth=1
	s_wait_alu 0xfffe
	s_or_b32 exec_lo, exec_lo, s18
	s_delay_alu instid0(SALU_CYCLE_1)
	s_mov_b32 s18, exec_lo
	v_cmpx_gt_u32_e64 s12, v57
	s_cbranch_execz .LBB902_24
.LBB902_23:                             ;   in Loop: Header=BB902_6 Depth=1
	global_load_u8 v17, v[18:19], off offset:480
	s_wait_loadcnt 0x0
	v_cmp_ne_u16_e32 vcc_lo, 0, v17
	s_wait_alu 0xfffd
	v_cndmask_b32_e64 v17, 0, 1, vcc_lo
.LBB902_24:                             ;   in Loop: Header=BB902_6 Depth=1
	s_wait_alu 0xfffe
	s_or_b32 exec_lo, exec_lo, s18
	ds_store_b32 v58, v2
	ds_store_b32 v59, v3 offset:128
	ds_store_b32 v60, v4 offset:256
	;; [unrolled: 1-line block ×15, first 2 shown]
	; wave barrier
	ds_load_2addr_b32 v[6:7], v74 offset1:1
	ds_load_2addr_b32 v[8:9], v74 offset0:2 offset1:3
	ds_load_2addr_b32 v[10:11], v74 offset0:4 offset1:5
	;; [unrolled: 1-line block ×7, first 2 shown]
	s_mov_b32 s18, 0
.LBB902_25:                             ;   in Loop: Header=BB902_6 Depth=1
	s_wait_alu 0xfffe
	s_and_b32 vcc_lo, exec_lo, s18
	s_wait_alu 0xfffe
	s_cbranch_vccz .LBB902_27
; %bb.26:                               ;   in Loop: Header=BB902_6 Depth=1
	s_wait_dscnt 0x0
	v_add_co_u32 v2, vcc_lo, v75, s20
	s_wait_alu 0xfffd
	v_add_co_ci_u32_e64 v3, null, s21, v76, vcc_lo
	s_clause 0xf
	global_load_u8 v4, v[2:3], off
	global_load_u8 v5, v[2:3], off offset:32
	global_load_u8 v6, v[2:3], off offset:64
	;; [unrolled: 1-line block ×15, first 2 shown]
	s_wait_loadcnt 0xf
	v_cmp_ne_u16_e32 vcc_lo, 0, v4
	s_wait_alu 0xfffd
	v_cndmask_b32_e64 v3, 0, 1, vcc_lo
	s_wait_loadcnt 0xe
	v_cmp_ne_u16_e32 vcc_lo, 0, v5
	s_wait_alu 0xfffd
	v_cndmask_b32_e64 v4, 0, 1, vcc_lo
	;; [unrolled: 4-line block ×16, first 2 shown]
	ds_store_b32 v58, v3
	ds_store_b32 v59, v4 offset:128
	ds_store_b32 v60, v5 offset:256
	ds_store_b32 v61, v6 offset:384
	ds_store_b32 v62, v7 offset:512
	ds_store_b32 v63, v8 offset:640
	ds_store_b32 v64, v9 offset:768
	ds_store_b32 v65, v10 offset:896
	ds_store_b32 v66, v11 offset:1024
	ds_store_b32 v67, v12 offset:1152
	ds_store_b32 v68, v13 offset:1280
	ds_store_b32 v69, v14 offset:1408
	ds_store_b32 v70, v15 offset:1536
	ds_store_b32 v71, v16 offset:1664
	ds_store_b32 v72, v17 offset:1792
	ds_store_b32 v73, v2 offset:1920
	; wave barrier
	ds_load_2addr_b32 v[6:7], v74 offset1:1
	ds_load_2addr_b32 v[8:9], v74 offset0:2 offset1:3
	ds_load_2addr_b32 v[10:11], v74 offset0:4 offset1:5
	;; [unrolled: 1-line block ×7, first 2 shown]
.LBB902_27:                             ;   in Loop: Header=BB902_6 Depth=1
	s_wait_dscnt 0x7
	v_add_nc_u32_e32 v18, v7, v6
	s_wait_dscnt 0x0
	s_barrier_signal -1
	s_barrier_wait -1
	global_inv scope:SCOPE_SE
	v_add3_u32 v18, v18, v8, v9
	s_delay_alu instid0(VALU_DEP_1) | instskip(NEXT) | instid1(VALU_DEP_1)
	v_add3_u32 v18, v18, v10, v11
	v_add3_u32 v18, v18, v14, v15
	s_delay_alu instid0(VALU_DEP_1) | instskip(NEXT) | instid1(VALU_DEP_1)
	v_add3_u32 v18, v18, v16, v17
	;; [unrolled: 3-line block ×3, first 2 shown]
	v_add3_u32 v18, v18, v2, v3
	s_delay_alu instid0(VALU_DEP_1) | instskip(NEXT) | instid1(VALU_DEP_1)
	v_mov_b32_dpp v19, v18 row_shr:1 row_mask:0xf bank_mask:0xf
	v_cndmask_b32_e64 v19, v19, 0, s2
	s_delay_alu instid0(VALU_DEP_1) | instskip(NEXT) | instid1(VALU_DEP_1)
	v_add_nc_u32_e32 v18, v18, v19
	v_mov_b32_dpp v19, v18 row_shr:2 row_mask:0xf bank_mask:0xf
	s_delay_alu instid0(VALU_DEP_1) | instskip(NEXT) | instid1(VALU_DEP_1)
	v_cndmask_b32_e64 v19, 0, v19, s3
	v_add_nc_u32_e32 v18, v18, v19
	s_delay_alu instid0(VALU_DEP_1) | instskip(NEXT) | instid1(VALU_DEP_1)
	v_mov_b32_dpp v19, v18 row_shr:4 row_mask:0xf bank_mask:0xf
	v_cndmask_b32_e64 v19, 0, v19, s4
	s_delay_alu instid0(VALU_DEP_1) | instskip(NEXT) | instid1(VALU_DEP_1)
	v_add_nc_u32_e32 v18, v18, v19
	v_mov_b32_dpp v19, v18 row_shr:8 row_mask:0xf bank_mask:0xf
	s_delay_alu instid0(VALU_DEP_1) | instskip(NEXT) | instid1(VALU_DEP_1)
	v_cndmask_b32_e64 v19, 0, v19, s5
	v_add_nc_u32_e32 v18, v18, v19
	ds_swizzle_b32 v19, v18 offset:swizzle(BROADCAST,32,15)
	s_wait_dscnt 0x0
	v_cndmask_b32_e64 v19, v19, 0, s6
	s_delay_alu instid0(VALU_DEP_1)
	v_add_nc_u32_e32 v18, v18, v19
	s_and_saveexec_b32 s18, s7
; %bb.28:                               ;   in Loop: Header=BB902_6 Depth=1
	ds_store_b32 v21, v18
; %bb.29:                               ;   in Loop: Header=BB902_6 Depth=1
	s_wait_alu 0xfffe
	s_or_b32 exec_lo, exec_lo, s18
	s_wait_loadcnt_dscnt 0x0
	s_barrier_signal -1
	s_barrier_wait -1
	global_inv scope:SCOPE_SE
	s_and_saveexec_b32 s18, s9
	s_cbranch_execz .LBB902_31
; %bb.30:                               ;   in Loop: Header=BB902_6 Depth=1
	ds_load_b32 v19, v22
	s_wait_dscnt 0x0
	v_mov_b32_dpp v20, v19 row_shr:1 row_mask:0xf bank_mask:0xf
	s_delay_alu instid0(VALU_DEP_1) | instskip(NEXT) | instid1(VALU_DEP_1)
	v_cndmask_b32_e64 v20, v20, 0, s2
	v_add_nc_u32_e32 v19, v20, v19
	s_delay_alu instid0(VALU_DEP_1) | instskip(NEXT) | instid1(VALU_DEP_1)
	v_mov_b32_dpp v20, v19 row_shr:2 row_mask:0xf bank_mask:0xf
	v_cndmask_b32_e64 v20, 0, v20, s3
	s_delay_alu instid0(VALU_DEP_1) | instskip(NEXT) | instid1(VALU_DEP_1)
	v_add_nc_u32_e32 v19, v19, v20
	v_mov_b32_dpp v20, v19 row_shr:4 row_mask:0xf bank_mask:0xf
	s_delay_alu instid0(VALU_DEP_1) | instskip(NEXT) | instid1(VALU_DEP_1)
	v_cndmask_b32_e64 v20, 0, v20, s4
	v_add_nc_u32_e32 v19, v19, v20
	s_delay_alu instid0(VALU_DEP_1) | instskip(NEXT) | instid1(VALU_DEP_1)
	v_mov_b32_dpp v20, v19 row_shr:8 row_mask:0xf bank_mask:0xf
	v_cndmask_b32_e64 v20, 0, v20, s5
	s_delay_alu instid0(VALU_DEP_1)
	v_add_nc_u32_e32 v19, v19, v20
	ds_store_b32 v22, v19
.LBB902_31:                             ;   in Loop: Header=BB902_6 Depth=1
	s_wait_alu 0xfffe
	s_or_b32 exec_lo, exec_lo, s18
	v_mov_b32_e32 v19, 0
	s_wait_loadcnt_dscnt 0x0
	s_barrier_signal -1
	s_barrier_wait -1
	global_inv scope:SCOPE_SE
	s_and_saveexec_b32 s18, s10
; %bb.32:                               ;   in Loop: Header=BB902_6 Depth=1
	ds_load_b32 v19, v23
; %bb.33:                               ;   in Loop: Header=BB902_6 Depth=1
	s_wait_alu 0xfffe
	s_or_b32 exec_lo, exec_lo, s18
	s_wait_dscnt 0x0
	v_add_nc_u32_e32 v18, v19, v18
	ds_bpermute_b32 v18, v24, v18
	s_and_saveexec_b32 s18, s11
	s_cbranch_execz .LBB902_35
; %bb.34:                               ;   in Loop: Header=BB902_6 Depth=1
	ds_load_b32 v20, v1 offset:60
	s_wait_dscnt 0x0
	ds_store_b32 v1, v20 offset:33792
.LBB902_35:                             ;   in Loop: Header=BB902_6 Depth=1
	s_wait_alu 0xfffe
	s_or_b32 exec_lo, exec_lo, s18
	s_wait_dscnt 0x0
	v_cndmask_b32_e64 v18, v18, v19, s8
	s_wait_loadcnt 0x0
	s_barrier_signal -1
	s_barrier_wait -1
	global_inv scope:SCOPE_SE
	v_cndmask_b32_e64 v18, v18, 0, s11
	ds_store_2addr_b32 v25, v6, v7 offset1:1
	ds_store_2addr_b32 v25, v8, v9 offset0:2 offset1:3
	ds_store_2addr_b32 v25, v10, v11 offset0:4 offset1:5
	;; [unrolled: 1-line block ×7, first 2 shown]
	s_wait_loadcnt_dscnt 0x0
	s_barrier_signal -1
	v_add_nc_u32_e32 v19, v18, v6
	s_barrier_wait -1
	global_inv scope:SCOPE_SE
	ds_load_b32 v99, v26
	ds_load_b32 v91, v27 offset:2048
	ds_load_b32 v90, v28 offset:4096
	;; [unrolled: 1-line block ×15, first 2 shown]
	v_add_nc_u32_e32 v20, v19, v7
	s_wait_loadcnt_dscnt 0x0
	s_barrier_signal -1
	s_barrier_wait -1
	global_inv scope:SCOPE_SE
	v_add_nc_u32_e32 v92, v20, v8
	s_delay_alu instid0(VALU_DEP_1) | instskip(NEXT) | instid1(VALU_DEP_1)
	v_add_nc_u32_e32 v93, v92, v9
	v_add_nc_u32_e32 v94, v93, v10
	s_delay_alu instid0(VALU_DEP_1) | instskip(NEXT) | instid1(VALU_DEP_1)
	v_add_nc_u32_e32 v95, v94, v11
	;; [unrolled: 3-line block ×6, first 2 shown]
	v_add_nc_u32_e32 v2, v5, v2
	ds_store_2addr_b32 v25, v18, v19 offset1:1
	ds_store_2addr_b32 v25, v20, v92 offset0:2 offset1:3
	ds_store_2addr_b32 v25, v93, v94 offset0:4 offset1:5
	;; [unrolled: 1-line block ×7, first 2 shown]
	s_wait_loadcnt_dscnt 0x0
	s_barrier_signal -1
	s_barrier_wait -1
	global_inv scope:SCOPE_SE
	ds_load_b32 v18, v27 offset:2048
	ds_load_b32 v17, v28 offset:4096
	;; [unrolled: 1-line block ×15, first 2 shown]
	v_add_co_u32 v2, s18, v0, s20
	s_wait_alu 0xf1ff
	v_add_co_ci_u32_e64 v3, null, 0, s21, s18
	s_mov_b32 s18, exec_lo
	v_cmpx_ne_u32_e32 0, v99
	s_cbranch_execz .LBB902_38
; %bb.36:                               ;   in Loop: Header=BB902_6 Depth=1
	ds_load_b32 v19, v26
	s_wait_dscnt 0x0
	v_ashrrev_i32_e32 v20, 31, v19
	s_delay_alu instid0(VALU_DEP_1)
	v_cmp_gt_i64_e32 vcc_lo, s[16:17], v[19:20]
	s_and_b32 exec_lo, exec_lo, vcc_lo
	s_cbranch_execz .LBB902_38
; %bb.37:                               ;   in Loop: Header=BB902_6 Depth=1
	v_lshlrev_b64_e32 v[19:20], 3, v[19:20]
	s_delay_alu instid0(VALU_DEP_1) | instskip(SKIP_1) | instid1(VALU_DEP_2)
	v_add_co_u32 v19, vcc_lo, s14, v19
	s_wait_alu 0xfffd
	v_add_co_ci_u32_e64 v20, null, s15, v20, vcc_lo
	global_store_b64 v[19:20], v[2:3], off
.LBB902_38:                             ;   in Loop: Header=BB902_6 Depth=1
	s_wait_alu 0xfffe
	s_or_b32 exec_lo, exec_lo, s18
	s_delay_alu instid0(SALU_CYCLE_1)
	s_mov_b32 s18, exec_lo
	v_cmpx_ne_u32_e32 0, v91
	s_cbranch_execz .LBB902_41
; %bb.39:                               ;   in Loop: Header=BB902_6 Depth=1
	s_wait_dscnt 0xe
	v_ashrrev_i32_e32 v19, 31, v18
	s_delay_alu instid0(VALU_DEP_1)
	v_cmp_gt_i64_e32 vcc_lo, s[16:17], v[18:19]
	s_and_b32 exec_lo, exec_lo, vcc_lo
	s_cbranch_execz .LBB902_41
; %bb.40:                               ;   in Loop: Header=BB902_6 Depth=1
	s_load_b32 s19, s[0:1], 0xc
	v_lshlrev_b64_e32 v[18:19], 3, v[18:19]
	s_wait_kmcnt 0x0
	s_and_b32 s19, s19, 0xffff
	s_wait_alu 0xfffe
	v_add_co_u32 v91, vcc_lo, v2, s19
	s_wait_alu 0xfffd
	v_add_co_ci_u32_e64 v92, null, 0, v3, vcc_lo
	v_add_co_u32 v18, vcc_lo, s14, v18
	s_wait_alu 0xfffd
	v_add_co_ci_u32_e64 v19, null, s15, v19, vcc_lo
	global_store_b64 v[18:19], v[91:92], off
.LBB902_41:                             ;   in Loop: Header=BB902_6 Depth=1
	s_wait_alu 0xfffe
	s_or_b32 exec_lo, exec_lo, s18
	s_delay_alu instid0(SALU_CYCLE_1)
	s_mov_b32 s18, exec_lo
	v_cmpx_ne_u32_e32 0, v90
	s_cbranch_execz .LBB902_44
; %bb.42:                               ;   in Loop: Header=BB902_6 Depth=1
	s_wait_dscnt 0xd
	v_ashrrev_i32_e32 v18, 31, v17
	s_delay_alu instid0(VALU_DEP_1)
	v_cmp_gt_i64_e32 vcc_lo, s[16:17], v[17:18]
	s_and_b32 exec_lo, exec_lo, vcc_lo
	s_cbranch_execz .LBB902_44
; %bb.43:                               ;   in Loop: Header=BB902_6 Depth=1
	s_load_b32 s19, s[0:1], 0xc
	v_lshlrev_b64_e32 v[17:18], 3, v[17:18]
	s_wait_kmcnt 0x0
	s_and_b32 s19, s19, 0xffff
	s_wait_alu 0xfffe
	s_lshl_b32 s19, s19, 1
	s_wait_alu 0xfffe
	v_add_co_u32 v19, vcc_lo, v2, s19
	s_wait_alu 0xfffd
	v_add_co_ci_u32_e64 v20, null, 0, v3, vcc_lo
	v_add_co_u32 v17, vcc_lo, s14, v17
	s_wait_alu 0xfffd
	v_add_co_ci_u32_e64 v18, null, s15, v18, vcc_lo
	global_store_b64 v[17:18], v[19:20], off
.LBB902_44:                             ;   in Loop: Header=BB902_6 Depth=1
	s_wait_alu 0xfffe
	s_or_b32 exec_lo, exec_lo, s18
	s_delay_alu instid0(SALU_CYCLE_1)
	s_mov_b32 s18, exec_lo
	v_cmpx_ne_u32_e32 0, v89
	s_cbranch_execz .LBB902_47
; %bb.45:                               ;   in Loop: Header=BB902_6 Depth=1
	s_wait_dscnt 0xc
	v_ashrrev_i32_e32 v17, 31, v16
	s_delay_alu instid0(VALU_DEP_1)
	v_cmp_gt_i64_e32 vcc_lo, s[16:17], v[16:17]
	s_and_b32 exec_lo, exec_lo, vcc_lo
	s_cbranch_execz .LBB902_47
; %bb.46:                               ;   in Loop: Header=BB902_6 Depth=1
	s_load_b32 s19, s[0:1], 0xc
	v_lshlrev_b64_e32 v[16:17], 3, v[16:17]
	s_wait_kmcnt 0x0
	s_and_b32 s19, s19, 0xffff
	s_wait_alu 0xfffe
	s_mul_i32 s19, s19, 3
	s_wait_alu 0xfffe
	v_add_co_u32 v18, vcc_lo, v2, s19
	s_wait_alu 0xfffd
	v_add_co_ci_u32_e64 v19, null, 0, v3, vcc_lo
	v_add_co_u32 v16, vcc_lo, s14, v16
	s_wait_alu 0xfffd
	v_add_co_ci_u32_e64 v17, null, s15, v17, vcc_lo
	global_store_b64 v[16:17], v[18:19], off
.LBB902_47:                             ;   in Loop: Header=BB902_6 Depth=1
	s_wait_alu 0xfffe
	s_or_b32 exec_lo, exec_lo, s18
	s_delay_alu instid0(SALU_CYCLE_1)
	s_mov_b32 s18, exec_lo
	v_cmpx_ne_u32_e32 0, v88
	s_cbranch_execz .LBB902_50
; %bb.48:                               ;   in Loop: Header=BB902_6 Depth=1
	s_wait_dscnt 0xb
	v_ashrrev_i32_e32 v16, 31, v15
	s_delay_alu instid0(VALU_DEP_1)
	v_cmp_gt_i64_e32 vcc_lo, s[16:17], v[15:16]
	s_and_b32 exec_lo, exec_lo, vcc_lo
	s_cbranch_execz .LBB902_50
; %bb.49:                               ;   in Loop: Header=BB902_6 Depth=1
	s_load_b32 s19, s[0:1], 0xc
	v_lshlrev_b64_e32 v[15:16], 3, v[15:16]
	s_wait_kmcnt 0x0
	s_and_b32 s19, s19, 0xffff
	s_wait_alu 0xfffe
	s_lshl_b32 s19, s19, 2
	s_wait_alu 0xfffe
	v_add_co_u32 v17, vcc_lo, v2, s19
	s_wait_alu 0xfffd
	v_add_co_ci_u32_e64 v18, null, 0, v3, vcc_lo
	v_add_co_u32 v15, vcc_lo, s14, v15
	s_wait_alu 0xfffd
	v_add_co_ci_u32_e64 v16, null, s15, v16, vcc_lo
	global_store_b64 v[15:16], v[17:18], off
.LBB902_50:                             ;   in Loop: Header=BB902_6 Depth=1
	s_wait_alu 0xfffe
	s_or_b32 exec_lo, exec_lo, s18
	s_delay_alu instid0(SALU_CYCLE_1)
	s_mov_b32 s18, exec_lo
	v_cmpx_ne_u32_e32 0, v87
	s_cbranch_execz .LBB902_53
; %bb.51:                               ;   in Loop: Header=BB902_6 Depth=1
	s_wait_dscnt 0xa
	v_ashrrev_i32_e32 v15, 31, v14
	s_delay_alu instid0(VALU_DEP_1)
	v_cmp_gt_i64_e32 vcc_lo, s[16:17], v[14:15]
	s_and_b32 exec_lo, exec_lo, vcc_lo
	s_cbranch_execz .LBB902_53
; %bb.52:                               ;   in Loop: Header=BB902_6 Depth=1
	s_load_b32 s19, s[0:1], 0xc
	v_lshlrev_b64_e32 v[14:15], 3, v[14:15]
	s_wait_kmcnt 0x0
	s_and_b32 s19, s19, 0xffff
	s_wait_alu 0xfffe
	s_mul_i32 s19, s19, 5
	s_wait_alu 0xfffe
	v_add_co_u32 v16, vcc_lo, v2, s19
	s_wait_alu 0xfffd
	v_add_co_ci_u32_e64 v17, null, 0, v3, vcc_lo
	v_add_co_u32 v14, vcc_lo, s14, v14
	s_wait_alu 0xfffd
	v_add_co_ci_u32_e64 v15, null, s15, v15, vcc_lo
	global_store_b64 v[14:15], v[16:17], off
.LBB902_53:                             ;   in Loop: Header=BB902_6 Depth=1
	s_wait_alu 0xfffe
	s_or_b32 exec_lo, exec_lo, s18
	s_delay_alu instid0(SALU_CYCLE_1)
	s_mov_b32 s18, exec_lo
	v_cmpx_ne_u32_e32 0, v86
	s_cbranch_execz .LBB902_56
; %bb.54:                               ;   in Loop: Header=BB902_6 Depth=1
	s_wait_dscnt 0x9
	v_ashrrev_i32_e32 v14, 31, v13
	s_delay_alu instid0(VALU_DEP_1)
	v_cmp_gt_i64_e32 vcc_lo, s[16:17], v[13:14]
	s_and_b32 exec_lo, exec_lo, vcc_lo
	s_cbranch_execz .LBB902_56
; %bb.55:                               ;   in Loop: Header=BB902_6 Depth=1
	s_load_b32 s19, s[0:1], 0xc
	v_lshlrev_b64_e32 v[13:14], 3, v[13:14]
	s_wait_kmcnt 0x0
	s_and_b32 s19, s19, 0xffff
	s_wait_alu 0xfffe
	s_mul_i32 s19, s19, 6
	s_wait_alu 0xfffe
	v_add_co_u32 v15, vcc_lo, v2, s19
	s_wait_alu 0xfffd
	v_add_co_ci_u32_e64 v16, null, 0, v3, vcc_lo
	v_add_co_u32 v13, vcc_lo, s14, v13
	s_wait_alu 0xfffd
	v_add_co_ci_u32_e64 v14, null, s15, v14, vcc_lo
	global_store_b64 v[13:14], v[15:16], off
.LBB902_56:                             ;   in Loop: Header=BB902_6 Depth=1
	;; [unrolled: 29-line block ×3, first 2 shown]
	s_wait_alu 0xfffe
	s_or_b32 exec_lo, exec_lo, s18
	s_delay_alu instid0(SALU_CYCLE_1)
	s_mov_b32 s18, exec_lo
	v_cmpx_ne_u32_e32 0, v84
	s_cbranch_execz .LBB902_62
; %bb.60:                               ;   in Loop: Header=BB902_6 Depth=1
	s_wait_dscnt 0x7
	v_ashrrev_i32_e32 v12, 31, v11
	s_delay_alu instid0(VALU_DEP_1)
	v_cmp_gt_i64_e32 vcc_lo, s[16:17], v[11:12]
	s_and_b32 exec_lo, exec_lo, vcc_lo
	s_cbranch_execz .LBB902_62
; %bb.61:                               ;   in Loop: Header=BB902_6 Depth=1
	s_load_b32 s19, s[0:1], 0xc
	v_lshlrev_b64_e32 v[11:12], 3, v[11:12]
	s_wait_kmcnt 0x0
	s_and_b32 s19, s19, 0xffff
	s_wait_alu 0xfffe
	s_lshl_b32 s19, s19, 3
	s_wait_alu 0xfffe
	v_add_co_u32 v13, vcc_lo, v2, s19
	s_wait_alu 0xfffd
	v_add_co_ci_u32_e64 v14, null, 0, v3, vcc_lo
	v_add_co_u32 v11, vcc_lo, s14, v11
	s_wait_alu 0xfffd
	v_add_co_ci_u32_e64 v12, null, s15, v12, vcc_lo
	global_store_b64 v[11:12], v[13:14], off
.LBB902_62:                             ;   in Loop: Header=BB902_6 Depth=1
	s_wait_alu 0xfffe
	s_or_b32 exec_lo, exec_lo, s18
	s_delay_alu instid0(SALU_CYCLE_1)
	s_mov_b32 s18, exec_lo
	v_cmpx_ne_u32_e32 0, v83
	s_cbranch_execz .LBB902_65
; %bb.63:                               ;   in Loop: Header=BB902_6 Depth=1
	s_wait_dscnt 0x6
	v_ashrrev_i32_e32 v11, 31, v10
	s_delay_alu instid0(VALU_DEP_1)
	v_cmp_gt_i64_e32 vcc_lo, s[16:17], v[10:11]
	s_and_b32 exec_lo, exec_lo, vcc_lo
	s_cbranch_execz .LBB902_65
; %bb.64:                               ;   in Loop: Header=BB902_6 Depth=1
	s_load_b32 s19, s[0:1], 0xc
	v_lshlrev_b64_e32 v[10:11], 3, v[10:11]
	s_wait_kmcnt 0x0
	s_and_b32 s19, s19, 0xffff
	s_wait_alu 0xfffe
	s_mul_i32 s19, s19, 9
	s_wait_alu 0xfffe
	v_add_co_u32 v12, vcc_lo, v2, s19
	s_wait_alu 0xfffd
	v_add_co_ci_u32_e64 v13, null, 0, v3, vcc_lo
	v_add_co_u32 v10, vcc_lo, s14, v10
	s_wait_alu 0xfffd
	v_add_co_ci_u32_e64 v11, null, s15, v11, vcc_lo
	global_store_b64 v[10:11], v[12:13], off
.LBB902_65:                             ;   in Loop: Header=BB902_6 Depth=1
	s_wait_alu 0xfffe
	s_or_b32 exec_lo, exec_lo, s18
	s_delay_alu instid0(SALU_CYCLE_1)
	s_mov_b32 s18, exec_lo
	v_cmpx_ne_u32_e32 0, v82
	s_cbranch_execz .LBB902_68
; %bb.66:                               ;   in Loop: Header=BB902_6 Depth=1
	s_wait_dscnt 0x5
	v_ashrrev_i32_e32 v10, 31, v9
	s_delay_alu instid0(VALU_DEP_1)
	v_cmp_gt_i64_e32 vcc_lo, s[16:17], v[9:10]
	s_and_b32 exec_lo, exec_lo, vcc_lo
	s_cbranch_execz .LBB902_68
; %bb.67:                               ;   in Loop: Header=BB902_6 Depth=1
	s_load_b32 s19, s[0:1], 0xc
	v_lshlrev_b64_e32 v[9:10], 3, v[9:10]
	s_wait_kmcnt 0x0
	s_and_b32 s19, s19, 0xffff
	s_wait_alu 0xfffe
	s_mul_i32 s19, s19, 10
	s_wait_alu 0xfffe
	v_add_co_u32 v11, vcc_lo, v2, s19
	s_wait_alu 0xfffd
	v_add_co_ci_u32_e64 v12, null, 0, v3, vcc_lo
	v_add_co_u32 v9, vcc_lo, s14, v9
	s_wait_alu 0xfffd
	v_add_co_ci_u32_e64 v10, null, s15, v10, vcc_lo
	global_store_b64 v[9:10], v[11:12], off
.LBB902_68:                             ;   in Loop: Header=BB902_6 Depth=1
	;; [unrolled: 29-line block ×7, first 2 shown]
	s_wait_alu 0xfffe
	s_or_b32 exec_lo, exec_lo, s18
	ds_load_b32 v2, v1 offset:33792
	v_cmp_lt_i64_e64 s24, 0x2000, s[12:13]
	s_wait_dscnt 0x0
	v_readfirstlane_b32 s18, v2
	s_ashr_i32 s19, s18, 31
	s_wait_alu 0xfffe
	s_sub_nc_u64 s[16:17], s[16:17], s[18:19]
	s_wait_alu 0xfffe
	v_cmp_gt_i64_e64 s25, s[16:17], 0
	s_and_b32 s24, s24, s25
	s_delay_alu instid0(SALU_CYCLE_1)
	s_and_not1_b32 vcc_lo, exec_lo, s24
	s_mov_b32 s24, -1
	s_wait_alu 0xfffe
	s_cbranch_vccnz .LBB902_5
; %bb.84:                               ;   in Loop: Header=BB902_6 Depth=1
	s_add_co_i32 s26, s26, -1
	s_lshl_b64 s[18:19], s[18:19], 3
	s_cmp_eq_u32 s26, 0
	s_add_nc_u64 s[12:13], s[12:13], s[22:23]
	s_wait_alu 0xfffe
	s_add_nc_u64 s[14:15], s[14:15], s[18:19]
	s_add_nc_u64 s[20:21], s[20:21], 0x2000
	s_cselect_b32 s24, -1, 0
	s_wait_loadcnt 0x0
	s_wait_storecnt 0x0
	s_barrier_signal -1
	s_barrier_wait -1
	global_inv scope:SCOPE_SE
	s_branch .LBB902_5
.LBB902_85:                             ;   in Loop: Header=BB902_6 Depth=1
	global_load_u8 v20, v[18:19], off
	v_dual_mov_b32 v14, v1 :: v_dual_mov_b32 v15, v1
	v_dual_mov_b32 v2, v1 :: v_dual_mov_b32 v3, v1
	;; [unrolled: 1-line block ×7, first 2 shown]
	v_mov_b32_e32 v17, v15
	s_delay_alu instid0(VALU_DEP_2) | instskip(NEXT) | instid1(VALU_DEP_3)
	v_dual_mov_b32 v16, v14 :: v_dual_mov_b32 v15, v13
	v_mov_b32_e32 v14, v12
	v_mov_b32_e32 v13, v11
	;; [unrolled: 1-line block ×13, first 2 shown]
	s_wait_loadcnt 0x0
	v_cmp_ne_u16_e32 vcc_lo, 0, v20
	s_wait_alu 0xfffd
	v_cndmask_b32_e64 v2, 0, 1, vcc_lo
	s_wait_alu 0xfffe
	s_or_b32 exec_lo, exec_lo, s18
	s_delay_alu instid0(SALU_CYCLE_1)
	s_mov_b32 s18, exec_lo
	v_cmpx_gt_u32_e64 s12, v43
	s_cbranch_execz .LBB902_9
.LBB902_86:                             ;   in Loop: Header=BB902_6 Depth=1
	global_load_u8 v3, v[18:19], off offset:32
	s_wait_loadcnt 0x0
	v_cmp_ne_u16_e32 vcc_lo, 0, v3
	s_wait_alu 0xfffd
	v_cndmask_b32_e64 v3, 0, 1, vcc_lo
	s_wait_alu 0xfffe
	s_or_b32 exec_lo, exec_lo, s18
	s_delay_alu instid0(SALU_CYCLE_1)
	s_mov_b32 s18, exec_lo
	v_cmpx_gt_u32_e64 s12, v44
	s_cbranch_execz .LBB902_10
.LBB902_87:                             ;   in Loop: Header=BB902_6 Depth=1
	global_load_u8 v4, v[18:19], off offset:64
	s_wait_loadcnt 0x0
	v_cmp_ne_u16_e32 vcc_lo, 0, v4
	s_wait_alu 0xfffd
	v_cndmask_b32_e64 v4, 0, 1, vcc_lo
	s_wait_alu 0xfffe
	s_or_b32 exec_lo, exec_lo, s18
	s_delay_alu instid0(SALU_CYCLE_1)
	s_mov_b32 s18, exec_lo
	v_cmpx_gt_u32_e64 s12, v45
	s_cbranch_execz .LBB902_11
.LBB902_88:                             ;   in Loop: Header=BB902_6 Depth=1
	global_load_u8 v5, v[18:19], off offset:96
	s_wait_loadcnt 0x0
	v_cmp_ne_u16_e32 vcc_lo, 0, v5
	s_wait_alu 0xfffd
	v_cndmask_b32_e64 v5, 0, 1, vcc_lo
	s_wait_alu 0xfffe
	s_or_b32 exec_lo, exec_lo, s18
	s_delay_alu instid0(SALU_CYCLE_1)
	s_mov_b32 s18, exec_lo
	v_cmpx_gt_u32_e64 s12, v46
	s_cbranch_execz .LBB902_12
.LBB902_89:                             ;   in Loop: Header=BB902_6 Depth=1
	global_load_u8 v6, v[18:19], off offset:128
	s_wait_loadcnt 0x0
	v_cmp_ne_u16_e32 vcc_lo, 0, v6
	s_wait_alu 0xfffd
	v_cndmask_b32_e64 v6, 0, 1, vcc_lo
	s_wait_alu 0xfffe
	s_or_b32 exec_lo, exec_lo, s18
	s_delay_alu instid0(SALU_CYCLE_1)
	s_mov_b32 s18, exec_lo
	v_cmpx_gt_u32_e64 s12, v47
	s_cbranch_execz .LBB902_13
.LBB902_90:                             ;   in Loop: Header=BB902_6 Depth=1
	global_load_u8 v7, v[18:19], off offset:160
	s_wait_loadcnt 0x0
	v_cmp_ne_u16_e32 vcc_lo, 0, v7
	s_wait_alu 0xfffd
	v_cndmask_b32_e64 v7, 0, 1, vcc_lo
	s_wait_alu 0xfffe
	s_or_b32 exec_lo, exec_lo, s18
	s_delay_alu instid0(SALU_CYCLE_1)
	s_mov_b32 s18, exec_lo
	v_cmpx_gt_u32_e64 s12, v48
	s_cbranch_execz .LBB902_14
.LBB902_91:                             ;   in Loop: Header=BB902_6 Depth=1
	global_load_u8 v8, v[18:19], off offset:192
	s_wait_loadcnt 0x0
	v_cmp_ne_u16_e32 vcc_lo, 0, v8
	s_wait_alu 0xfffd
	v_cndmask_b32_e64 v8, 0, 1, vcc_lo
	s_wait_alu 0xfffe
	s_or_b32 exec_lo, exec_lo, s18
	s_delay_alu instid0(SALU_CYCLE_1)
	s_mov_b32 s18, exec_lo
	v_cmpx_gt_u32_e64 s12, v49
	s_cbranch_execz .LBB902_15
.LBB902_92:                             ;   in Loop: Header=BB902_6 Depth=1
	global_load_u8 v9, v[18:19], off offset:224
	s_wait_loadcnt 0x0
	v_cmp_ne_u16_e32 vcc_lo, 0, v9
	s_wait_alu 0xfffd
	v_cndmask_b32_e64 v9, 0, 1, vcc_lo
	s_wait_alu 0xfffe
	s_or_b32 exec_lo, exec_lo, s18
	s_delay_alu instid0(SALU_CYCLE_1)
	s_mov_b32 s18, exec_lo
	v_cmpx_gt_u32_e64 s12, v50
	s_cbranch_execz .LBB902_16
.LBB902_93:                             ;   in Loop: Header=BB902_6 Depth=1
	global_load_u8 v10, v[18:19], off offset:256
	s_wait_loadcnt 0x0
	v_cmp_ne_u16_e32 vcc_lo, 0, v10
	s_wait_alu 0xfffd
	v_cndmask_b32_e64 v10, 0, 1, vcc_lo
	s_wait_alu 0xfffe
	s_or_b32 exec_lo, exec_lo, s18
	s_delay_alu instid0(SALU_CYCLE_1)
	s_mov_b32 s18, exec_lo
	v_cmpx_gt_u32_e64 s12, v51
	s_cbranch_execz .LBB902_17
.LBB902_94:                             ;   in Loop: Header=BB902_6 Depth=1
	global_load_u8 v11, v[18:19], off offset:288
	s_wait_loadcnt 0x0
	v_cmp_ne_u16_e32 vcc_lo, 0, v11
	s_wait_alu 0xfffd
	v_cndmask_b32_e64 v11, 0, 1, vcc_lo
	s_wait_alu 0xfffe
	s_or_b32 exec_lo, exec_lo, s18
	s_delay_alu instid0(SALU_CYCLE_1)
	s_mov_b32 s18, exec_lo
	v_cmpx_gt_u32_e64 s12, v52
	s_cbranch_execz .LBB902_18
.LBB902_95:                             ;   in Loop: Header=BB902_6 Depth=1
	global_load_u8 v12, v[18:19], off offset:320
	s_wait_loadcnt 0x0
	v_cmp_ne_u16_e32 vcc_lo, 0, v12
	s_wait_alu 0xfffd
	v_cndmask_b32_e64 v12, 0, 1, vcc_lo
	s_wait_alu 0xfffe
	s_or_b32 exec_lo, exec_lo, s18
	s_delay_alu instid0(SALU_CYCLE_1)
	s_mov_b32 s18, exec_lo
	v_cmpx_gt_u32_e64 s12, v53
	s_cbranch_execz .LBB902_19
.LBB902_96:                             ;   in Loop: Header=BB902_6 Depth=1
	global_load_u8 v13, v[18:19], off offset:352
	s_wait_loadcnt 0x0
	v_cmp_ne_u16_e32 vcc_lo, 0, v13
	s_wait_alu 0xfffd
	v_cndmask_b32_e64 v13, 0, 1, vcc_lo
	s_wait_alu 0xfffe
	s_or_b32 exec_lo, exec_lo, s18
	s_delay_alu instid0(SALU_CYCLE_1)
	s_mov_b32 s18, exec_lo
	v_cmpx_gt_u32_e64 s12, v54
	s_cbranch_execz .LBB902_20
.LBB902_97:                             ;   in Loop: Header=BB902_6 Depth=1
	global_load_u8 v14, v[18:19], off offset:384
	s_wait_loadcnt 0x0
	v_cmp_ne_u16_e32 vcc_lo, 0, v14
	s_wait_alu 0xfffd
	v_cndmask_b32_e64 v14, 0, 1, vcc_lo
	s_wait_alu 0xfffe
	s_or_b32 exec_lo, exec_lo, s18
	s_delay_alu instid0(SALU_CYCLE_1)
	s_mov_b32 s18, exec_lo
	v_cmpx_gt_u32_e64 s12, v55
	s_cbranch_execz .LBB902_21
.LBB902_98:                             ;   in Loop: Header=BB902_6 Depth=1
	global_load_u8 v15, v[18:19], off offset:416
	s_wait_loadcnt 0x0
	v_cmp_ne_u16_e32 vcc_lo, 0, v15
	s_wait_alu 0xfffd
	v_cndmask_b32_e64 v15, 0, 1, vcc_lo
	s_wait_alu 0xfffe
	s_or_b32 exec_lo, exec_lo, s18
	s_delay_alu instid0(SALU_CYCLE_1)
	s_mov_b32 s18, exec_lo
	v_cmpx_gt_u32_e64 s12, v56
	s_cbranch_execz .LBB902_22
.LBB902_99:                             ;   in Loop: Header=BB902_6 Depth=1
	global_load_u8 v16, v[18:19], off offset:448
	s_wait_loadcnt 0x0
	v_cmp_ne_u16_e32 vcc_lo, 0, v16
	s_wait_alu 0xfffd
	v_cndmask_b32_e64 v16, 0, 1, vcc_lo
	s_wait_alu 0xfffe
	s_or_b32 exec_lo, exec_lo, s18
	s_delay_alu instid0(SALU_CYCLE_1)
	s_mov_b32 s18, exec_lo
	v_cmpx_gt_u32_e64 s12, v57
	s_cbranch_execnz .LBB902_23
	s_branch .LBB902_24
.LBB902_100:
	s_nop 0
	s_sendmsg sendmsg(MSG_DEALLOC_VGPRS)
	s_endpgm
	.section	.rodata,"a",@progbits
	.p2align	6, 0x0
	.amdhsa_kernel _ZN2at6native12_GLOBAL__N_111flag_kernelILi512ELi16EaEEvPKT1_PlPKllli
		.amdhsa_group_segment_fixed_size 33796
		.amdhsa_private_segment_fixed_size 0
		.amdhsa_kernarg_size 304
		.amdhsa_user_sgpr_count 2
		.amdhsa_user_sgpr_dispatch_ptr 0
		.amdhsa_user_sgpr_queue_ptr 0
		.amdhsa_user_sgpr_kernarg_segment_ptr 1
		.amdhsa_user_sgpr_dispatch_id 0
		.amdhsa_user_sgpr_private_segment_size 0
		.amdhsa_wavefront_size32 1
		.amdhsa_uses_dynamic_stack 0
		.amdhsa_enable_private_segment 0
		.amdhsa_system_sgpr_workgroup_id_x 1
		.amdhsa_system_sgpr_workgroup_id_y 0
		.amdhsa_system_sgpr_workgroup_id_z 0
		.amdhsa_system_sgpr_workgroup_info 0
		.amdhsa_system_vgpr_workitem_id 0
		.amdhsa_next_free_vgpr 100
		.amdhsa_next_free_sgpr 27
		.amdhsa_reserve_vcc 1
		.amdhsa_float_round_mode_32 0
		.amdhsa_float_round_mode_16_64 0
		.amdhsa_float_denorm_mode_32 3
		.amdhsa_float_denorm_mode_16_64 3
		.amdhsa_fp16_overflow 0
		.amdhsa_workgroup_processor_mode 1
		.amdhsa_memory_ordered 1
		.amdhsa_forward_progress 1
		.amdhsa_inst_pref_size 57
		.amdhsa_round_robin_scheduling 0
		.amdhsa_exception_fp_ieee_invalid_op 0
		.amdhsa_exception_fp_denorm_src 0
		.amdhsa_exception_fp_ieee_div_zero 0
		.amdhsa_exception_fp_ieee_overflow 0
		.amdhsa_exception_fp_ieee_underflow 0
		.amdhsa_exception_fp_ieee_inexact 0
		.amdhsa_exception_int_div_zero 0
	.end_amdhsa_kernel
	.section	.text._ZN2at6native12_GLOBAL__N_111flag_kernelILi512ELi16EaEEvPKT1_PlPKllli,"axG",@progbits,_ZN2at6native12_GLOBAL__N_111flag_kernelILi512ELi16EaEEvPKT1_PlPKllli,comdat
.Lfunc_end902:
	.size	_ZN2at6native12_GLOBAL__N_111flag_kernelILi512ELi16EaEEvPKT1_PlPKllli, .Lfunc_end902-_ZN2at6native12_GLOBAL__N_111flag_kernelILi512ELi16EaEEvPKT1_PlPKllli
                                        ; -- End function
	.set _ZN2at6native12_GLOBAL__N_111flag_kernelILi512ELi16EaEEvPKT1_PlPKllli.num_vgpr, 100
	.set _ZN2at6native12_GLOBAL__N_111flag_kernelILi512ELi16EaEEvPKT1_PlPKllli.num_agpr, 0
	.set _ZN2at6native12_GLOBAL__N_111flag_kernelILi512ELi16EaEEvPKT1_PlPKllli.numbered_sgpr, 27
	.set _ZN2at6native12_GLOBAL__N_111flag_kernelILi512ELi16EaEEvPKT1_PlPKllli.num_named_barrier, 0
	.set _ZN2at6native12_GLOBAL__N_111flag_kernelILi512ELi16EaEEvPKT1_PlPKllli.private_seg_size, 0
	.set _ZN2at6native12_GLOBAL__N_111flag_kernelILi512ELi16EaEEvPKT1_PlPKllli.uses_vcc, 1
	.set _ZN2at6native12_GLOBAL__N_111flag_kernelILi512ELi16EaEEvPKT1_PlPKllli.uses_flat_scratch, 0
	.set _ZN2at6native12_GLOBAL__N_111flag_kernelILi512ELi16EaEEvPKT1_PlPKllli.has_dyn_sized_stack, 0
	.set _ZN2at6native12_GLOBAL__N_111flag_kernelILi512ELi16EaEEvPKT1_PlPKllli.has_recursion, 0
	.set _ZN2at6native12_GLOBAL__N_111flag_kernelILi512ELi16EaEEvPKT1_PlPKllli.has_indirect_call, 0
	.section	.AMDGPU.csdata,"",@progbits
; Kernel info:
; codeLenInByte = 7172
; TotalNumSgprs: 29
; NumVgprs: 100
; ScratchSize: 0
; MemoryBound: 0
; FloatMode: 240
; IeeeMode: 1
; LDSByteSize: 33796 bytes/workgroup (compile time only)
; SGPRBlocks: 0
; VGPRBlocks: 12
; NumSGPRsForWavesPerEU: 29
; NumVGPRsForWavesPerEU: 100
; Occupancy: 12
; WaveLimiterHint : 0
; COMPUTE_PGM_RSRC2:SCRATCH_EN: 0
; COMPUTE_PGM_RSRC2:USER_SGPR: 2
; COMPUTE_PGM_RSRC2:TRAP_HANDLER: 0
; COMPUTE_PGM_RSRC2:TGID_X_EN: 1
; COMPUTE_PGM_RSRC2:TGID_Y_EN: 0
; COMPUTE_PGM_RSRC2:TGID_Z_EN: 0
; COMPUTE_PGM_RSRC2:TIDIG_COMP_CNT: 0
	.section	.text._ZN2at4cuda3cub15calc_block_sumsILi512ELi16ELb1EiiEEvPKT2_PT3_li,"axG",@progbits,_ZN2at4cuda3cub15calc_block_sumsILi512ELi16ELb1EiiEEvPKT2_PT3_li,comdat
	.protected	_ZN2at4cuda3cub15calc_block_sumsILi512ELi16ELb1EiiEEvPKT2_PT3_li ; -- Begin function _ZN2at4cuda3cub15calc_block_sumsILi512ELi16ELb1EiiEEvPKT2_PT3_li
	.globl	_ZN2at4cuda3cub15calc_block_sumsILi512ELi16ELb1EiiEEvPKT2_PT3_li
	.p2align	8
	.type	_ZN2at4cuda3cub15calc_block_sumsILi512ELi16ELb1EiiEEvPKT2_PT3_li,@function
_ZN2at4cuda3cub15calc_block_sumsILi512ELi16ELb1EiiEEvPKT2_PT3_li: ; @_ZN2at4cuda3cub15calc_block_sumsILi512ELi16ELb1EiiEEvPKT2_PT3_li
; %bb.0:
	s_load_b96 s[8:10], s[0:1], 0x10
	s_mov_b32 s2, ttmp9
	s_mov_b32 s3, 0
	s_wait_kmcnt 0x0
	s_lshl_b32 s4, s10, 13
	s_delay_alu instid0(SALU_CYCLE_1) | instskip(NEXT) | instid1(SALU_CYCLE_1)
	s_ashr_i32 s5, s4, 31
	s_mul_u64 s[12:13], s[4:5], s[2:3]
	s_delay_alu instid0(SALU_CYCLE_1) | instskip(NEXT) | instid1(SALU_CYCLE_1)
	s_sub_nc_u64 s[8:9], s[8:9], s[12:13]
	v_cmp_lt_i64_e64 s4, s[8:9], 1
	s_and_b32 vcc_lo, exec_lo, s4
	s_cbranch_vccnz .LBB903_58
; %bb.1:
	s_load_b128 s[4:7], s[0:1], 0x0
	s_mov_b32 s0, -1
	s_cmp_gt_i32 s10, 0
	s_mov_b32 s1, -1
	s_cbranch_scc1 .LBB903_3
; %bb.2:
	s_mov_b32 s1, 0
.LBB903_3:
	v_mov_b32_e32 v20, 0
	s_and_not1_b32 vcc_lo, exec_lo, s1
	s_cbranch_vccnz .LBB903_56
; %bb.4:
	v_lshrrev_b32_e32 v1, 3, v0
	s_lshl_b64 s[12:13], s[12:13], 2
	v_dual_mov_b32 v20, 0 :: v_dual_add_nc_u32 v21, 0x200, v0
	s_wait_kmcnt 0x0
	s_add_nc_u64 s[4:5], s[4:5], s[12:13]
	v_and_b32_e32 v36, 0x7c, v1
	v_lshlrev_b32_e32 v1, 2, v0
	v_or_b32_e32 v22, 0x400, v0
	v_add_nc_u32_e32 v23, 0x600, v0
	v_or_b32_e32 v24, 0x800, v0
	v_add_nc_u32_e32 v25, 0xa00, v0
	v_add_co_u32 v2, s1, s4, v1
	s_delay_alu instid0(VALU_DEP_1) | instskip(SKIP_1) | instid1(VALU_DEP_3)
	v_add_co_ci_u32_e64 v3, null, s5, 0, s1
	v_or_b32_e32 v26, 0xc00, v0
	v_add_co_u32 v18, vcc_lo, 0x7800, v2
	v_add_nc_u32_e32 v27, 0xe00, v0
	v_or_b32_e32 v28, 0x1000, v0
	v_add_nc_u32_e32 v29, 0x1200, v0
	v_or_b32_e32 v30, 0x1400, v0
	;; [unrolled: 2-line block ×4, first 2 shown]
	v_add_nc_u32_e32 v35, 0x1e00, v0
	v_cmp_gt_u32_e64 s0, 32, v0
	v_mov_b32_e32 v1, 0
	v_add_co_ci_u32_e64 v19, null, 0, v3, vcc_lo
	v_mbcnt_lo_u32_b32 v37, -1, 0
	s_movk_i32 s4, 0xe000
	s_mov_b32 s5, -1
	s_branch .LBB903_6
.LBB903_5:                              ;   in Loop: Header=BB903_6 Depth=1
	v_add_nc_u32_e32 v20, v2, v20
	s_and_not1_b32 vcc_lo, exec_lo, s11
	s_wait_alu 0xfffe
	s_cbranch_vccz .LBB903_52
.LBB903_6:                              ; =>This Inner Loop Header: Depth=1
	v_cmp_gt_i64_e64 s1, 0x2000, s[8:9]
                                        ; implicit-def: $vgpr2
	s_and_b32 vcc_lo, exec_lo, s1
	s_mov_b32 s1, -1
	s_wait_alu 0xfffe
	s_cbranch_vccz .LBB903_29
; %bb.7:                                ;   in Loop: Header=BB903_6 Depth=1
	v_mov_b32_e32 v16, v1
	v_dual_mov_b32 v2, v1 :: v_dual_mov_b32 v3, v1
	v_dual_mov_b32 v4, v1 :: v_dual_mov_b32 v5, v1
	;; [unrolled: 1-line block ×7, first 2 shown]
	v_mov_b32_e32 v17, v16
	s_delay_alu instid0(VALU_DEP_2) | instskip(NEXT) | instid1(VALU_DEP_3)
	v_mov_b32_e32 v16, v15
	v_mov_b32_e32 v15, v14
	;; [unrolled: 1-line block ×15, first 2 shown]
	s_mov_b32 s1, exec_lo
	v_cmpx_gt_u32_e64 s8, v0
	s_cbranch_execnz .LBB903_37
; %bb.8:                                ;   in Loop: Header=BB903_6 Depth=1
	s_wait_alu 0xfffe
	s_or_b32 exec_lo, exec_lo, s1
	s_delay_alu instid0(SALU_CYCLE_1)
	s_mov_b32 s1, exec_lo
	v_cmpx_gt_u32_e64 s8, v21
	s_cbranch_execnz .LBB903_38
.LBB903_9:                              ;   in Loop: Header=BB903_6 Depth=1
	s_wait_alu 0xfffe
	s_or_b32 exec_lo, exec_lo, s1
	s_delay_alu instid0(SALU_CYCLE_1)
	s_mov_b32 s1, exec_lo
	v_cmpx_gt_u32_e64 s8, v22
	s_cbranch_execnz .LBB903_39
.LBB903_10:                             ;   in Loop: Header=BB903_6 Depth=1
	s_wait_alu 0xfffe
	s_or_b32 exec_lo, exec_lo, s1
	s_delay_alu instid0(SALU_CYCLE_1)
	s_mov_b32 s1, exec_lo
	v_cmpx_gt_u32_e64 s8, v23
	s_cbranch_execnz .LBB903_40
.LBB903_11:                             ;   in Loop: Header=BB903_6 Depth=1
	s_wait_alu 0xfffe
	s_or_b32 exec_lo, exec_lo, s1
	s_delay_alu instid0(SALU_CYCLE_1)
	s_mov_b32 s1, exec_lo
	v_cmpx_gt_u32_e64 s8, v24
	s_cbranch_execnz .LBB903_41
.LBB903_12:                             ;   in Loop: Header=BB903_6 Depth=1
	s_wait_alu 0xfffe
	s_or_b32 exec_lo, exec_lo, s1
	s_delay_alu instid0(SALU_CYCLE_1)
	s_mov_b32 s1, exec_lo
	v_cmpx_gt_u32_e64 s8, v25
	s_cbranch_execnz .LBB903_42
.LBB903_13:                             ;   in Loop: Header=BB903_6 Depth=1
	s_wait_alu 0xfffe
	s_or_b32 exec_lo, exec_lo, s1
	s_delay_alu instid0(SALU_CYCLE_1)
	s_mov_b32 s1, exec_lo
	v_cmpx_gt_u32_e64 s8, v26
	s_cbranch_execnz .LBB903_43
.LBB903_14:                             ;   in Loop: Header=BB903_6 Depth=1
	s_wait_alu 0xfffe
	s_or_b32 exec_lo, exec_lo, s1
	s_delay_alu instid0(SALU_CYCLE_1)
	s_mov_b32 s1, exec_lo
	v_cmpx_gt_u32_e64 s8, v27
	s_cbranch_execnz .LBB903_44
.LBB903_15:                             ;   in Loop: Header=BB903_6 Depth=1
	s_wait_alu 0xfffe
	s_or_b32 exec_lo, exec_lo, s1
	s_delay_alu instid0(SALU_CYCLE_1)
	s_mov_b32 s1, exec_lo
	v_cmpx_gt_u32_e64 s8, v28
	s_cbranch_execnz .LBB903_45
.LBB903_16:                             ;   in Loop: Header=BB903_6 Depth=1
	s_wait_alu 0xfffe
	s_or_b32 exec_lo, exec_lo, s1
	s_delay_alu instid0(SALU_CYCLE_1)
	s_mov_b32 s1, exec_lo
	v_cmpx_gt_u32_e64 s8, v29
	s_cbranch_execnz .LBB903_46
.LBB903_17:                             ;   in Loop: Header=BB903_6 Depth=1
	s_wait_alu 0xfffe
	s_or_b32 exec_lo, exec_lo, s1
	s_delay_alu instid0(SALU_CYCLE_1)
	s_mov_b32 s1, exec_lo
	v_cmpx_gt_u32_e64 s8, v30
	s_cbranch_execnz .LBB903_47
.LBB903_18:                             ;   in Loop: Header=BB903_6 Depth=1
	s_wait_alu 0xfffe
	s_or_b32 exec_lo, exec_lo, s1
	s_delay_alu instid0(SALU_CYCLE_1)
	s_mov_b32 s1, exec_lo
	v_cmpx_gt_u32_e64 s8, v31
	s_cbranch_execnz .LBB903_48
.LBB903_19:                             ;   in Loop: Header=BB903_6 Depth=1
	s_wait_alu 0xfffe
	s_or_b32 exec_lo, exec_lo, s1
	s_delay_alu instid0(SALU_CYCLE_1)
	s_mov_b32 s1, exec_lo
	v_cmpx_gt_u32_e64 s8, v32
	s_cbranch_execnz .LBB903_49
.LBB903_20:                             ;   in Loop: Header=BB903_6 Depth=1
	s_wait_alu 0xfffe
	s_or_b32 exec_lo, exec_lo, s1
	s_delay_alu instid0(SALU_CYCLE_1)
	s_mov_b32 s1, exec_lo
	v_cmpx_gt_u32_e64 s8, v33
	s_cbranch_execnz .LBB903_50
.LBB903_21:                             ;   in Loop: Header=BB903_6 Depth=1
	s_wait_alu 0xfffe
	s_or_b32 exec_lo, exec_lo, s1
	s_delay_alu instid0(SALU_CYCLE_1)
	s_mov_b32 s1, exec_lo
	v_cmpx_gt_u32_e64 s8, v34
	s_cbranch_execnz .LBB903_51
.LBB903_22:                             ;   in Loop: Header=BB903_6 Depth=1
	s_wait_alu 0xfffe
	s_or_b32 exec_lo, exec_lo, s1
	s_delay_alu instid0(SALU_CYCLE_1)
	s_mov_b32 s1, exec_lo
	v_cmpx_gt_u32_e64 s8, v35
	s_cbranch_execz .LBB903_24
.LBB903_23:                             ;   in Loop: Header=BB903_6 Depth=1
	global_load_b32 v17, v[18:19], off
	s_wait_loadcnt 0x0
	v_cmp_ne_u32_e32 vcc_lo, 0, v17
	s_wait_alu 0xfffd
	v_cndmask_b32_e64 v17, 0, 1, vcc_lo
.LBB903_24:                             ;   in Loop: Header=BB903_6 Depth=1
	s_wait_alu 0xfffe
	s_or_b32 exec_lo, exec_lo, s1
	v_add_nc_u32_e32 v2, v3, v2
	s_mov_b32 s1, exec_lo
	s_barrier_signal -1
	s_barrier_wait -1
	s_delay_alu instid0(VALU_DEP_1) | instskip(SKIP_2) | instid1(VALU_DEP_1)
	v_add3_u32 v2, v2, v4, v5
	global_inv scope:SCOPE_SE
	v_add3_u32 v2, v2, v6, v7
	v_add3_u32 v2, v2, v8, v9
	s_delay_alu instid0(VALU_DEP_1) | instskip(NEXT) | instid1(VALU_DEP_1)
	v_add3_u32 v2, v2, v10, v11
	v_add3_u32 v2, v2, v12, v13
	s_delay_alu instid0(VALU_DEP_1) | instskip(NEXT) | instid1(VALU_DEP_1)
	;; [unrolled: 3-line block ×3, first 2 shown]
	v_mov_b32_dpp v3, v2 quad_perm:[1,0,3,2] row_mask:0xf bank_mask:0xf
	v_add_nc_u32_e32 v2, v2, v3
	s_delay_alu instid0(VALU_DEP_1) | instskip(NEXT) | instid1(VALU_DEP_1)
	v_mov_b32_dpp v3, v2 quad_perm:[2,3,0,1] row_mask:0xf bank_mask:0xf
	v_add_nc_u32_e32 v2, v2, v3
	s_delay_alu instid0(VALU_DEP_1) | instskip(NEXT) | instid1(VALU_DEP_1)
	v_mov_b32_dpp v3, v2 row_ror:4 row_mask:0xf bank_mask:0xf
	v_add_nc_u32_e32 v2, v2, v3
	s_delay_alu instid0(VALU_DEP_1) | instskip(NEXT) | instid1(VALU_DEP_1)
	v_mov_b32_dpp v3, v2 row_ror:8 row_mask:0xf bank_mask:0xf
	v_add_nc_u32_e32 v2, v2, v3
	ds_swizzle_b32 v3, v2 offset:swizzle(BROADCAST,32,15)
	s_wait_dscnt 0x0
	v_add_nc_u32_e32 v2, v2, v3
	ds_bpermute_b32 v2, v1, v2 offset:124
	v_cmpx_eq_u32_e32 0, v37
	s_cbranch_execz .LBB903_26
; %bb.25:                               ;   in Loop: Header=BB903_6 Depth=1
	s_wait_dscnt 0x0
	ds_store_b32 v36, v2
.LBB903_26:                             ;   in Loop: Header=BB903_6 Depth=1
	s_wait_alu 0xfffe
	s_or_b32 exec_lo, exec_lo, s1
	s_wait_loadcnt_dscnt 0x0
	s_barrier_signal -1
	s_barrier_wait -1
	global_inv scope:SCOPE_SE
	s_and_saveexec_b32 s1, s0
	s_cbranch_execz .LBB903_28
; %bb.27:                               ;   in Loop: Header=BB903_6 Depth=1
	v_and_b32_e32 v2, 15, v37
	s_delay_alu instid0(VALU_DEP_1)
	v_lshlrev_b32_e32 v3, 2, v2
	v_cmp_ne_u32_e32 vcc_lo, 15, v2
	ds_load_b32 v3, v3
	s_wait_alu 0xfffd
	v_add_co_ci_u32_e64 v4, null, 0, v37, vcc_lo
	v_cmp_gt_u32_e32 vcc_lo, 14, v2
	s_delay_alu instid0(VALU_DEP_2) | instskip(SKIP_3) | instid1(VALU_DEP_2)
	v_lshlrev_b32_e32 v4, 2, v4
	s_wait_alu 0xfffd
	v_cndmask_b32_e64 v5, 0, 2, vcc_lo
	v_cmp_gt_u32_e32 vcc_lo, 12, v2
	v_add_lshl_u32 v5, v5, v37, 2
	s_wait_alu 0xfffd
	v_cndmask_b32_e64 v2, 0, 4, vcc_lo
	s_delay_alu instid0(VALU_DEP_1)
	v_add_lshl_u32 v2, v2, v37, 2
	s_wait_dscnt 0x0
	ds_bpermute_b32 v4, v4, v3
	s_wait_dscnt 0x0
	v_add_nc_u32_e32 v3, v4, v3
	ds_bpermute_b32 v4, v5, v3
	s_wait_dscnt 0x0
	v_add_nc_u32_e32 v3, v4, v3
	v_lshlrev_b32_e32 v4, 2, v37
	ds_bpermute_b32 v2, v2, v3
	s_wait_dscnt 0x0
	v_add_nc_u32_e32 v2, v2, v3
	v_or_b32_e32 v3, 32, v4
	ds_bpermute_b32 v3, v3, v2
	s_wait_dscnt 0x0
	v_add_nc_u32_e32 v2, v3, v2
.LBB903_28:                             ;   in Loop: Header=BB903_6 Depth=1
	s_wait_alu 0xfffe
	s_or_b32 exec_lo, exec_lo, s1
	s_mov_b32 s1, 0
.LBB903_29:                             ;   in Loop: Header=BB903_6 Depth=1
	s_wait_alu 0xfffe
	s_and_b32 vcc_lo, exec_lo, s1
	s_wait_alu 0xfffe
	s_cbranch_vccz .LBB903_35
; %bb.30:                               ;   in Loop: Header=BB903_6 Depth=1
	s_clause 0xf
	global_load_b32 v2, v[18:19], off offset:-30720
	global_load_b32 v3, v[18:19], off offset:-26624
	;; [unrolled: 1-line block ×15, first 2 shown]
	global_load_b32 v17, v[18:19], off
	s_mov_b32 s1, exec_lo
	s_wait_loadcnt 0x0
	s_barrier_signal -1
	s_barrier_wait -1
	global_inv scope:SCOPE_SE
	v_cmp_ne_u32_e32 vcc_lo, 0, v2
	s_wait_alu 0xfffd
	v_cndmask_b32_e64 v2, 0, 1, vcc_lo
	v_cmp_ne_u32_e32 vcc_lo, 0, v3
	s_wait_alu 0xfffd
	v_cndmask_b32_e64 v3, 0, 1, vcc_lo
	v_cmp_ne_u32_e32 vcc_lo, 0, v4
	s_wait_alu 0xfffd
	v_add_co_ci_u32_e64 v2, null, 0, v2, vcc_lo
	v_cmp_ne_u32_e32 vcc_lo, 0, v5
	s_wait_alu 0xfffd
	v_cndmask_b32_e64 v4, 0, 1, vcc_lo
	v_cmp_ne_u32_e32 vcc_lo, 0, v6
	s_wait_alu 0xfffd
	v_add_co_ci_u32_e64 v2, null, v2, v3, vcc_lo
	;; [unrolled: 6-line block ×7, first 2 shown]
	v_cmp_ne_u32_e32 vcc_lo, 0, v17
	s_wait_alu 0xfffd
	s_delay_alu instid0(VALU_DEP_2) | instskip(NEXT) | instid1(VALU_DEP_1)
	v_add_co_ci_u32_e64 v2, null, v2, v3, vcc_lo
	v_mov_b32_dpp v3, v2 quad_perm:[1,0,3,2] row_mask:0xf bank_mask:0xf
	s_delay_alu instid0(VALU_DEP_1) | instskip(NEXT) | instid1(VALU_DEP_1)
	v_add_nc_u32_e32 v2, v3, v2
	v_mov_b32_dpp v3, v2 quad_perm:[2,3,0,1] row_mask:0xf bank_mask:0xf
	s_delay_alu instid0(VALU_DEP_1) | instskip(NEXT) | instid1(VALU_DEP_1)
	v_add_nc_u32_e32 v2, v2, v3
	v_mov_b32_dpp v3, v2 row_ror:4 row_mask:0xf bank_mask:0xf
	s_delay_alu instid0(VALU_DEP_1) | instskip(NEXT) | instid1(VALU_DEP_1)
	v_add_nc_u32_e32 v2, v2, v3
	v_mov_b32_dpp v3, v2 row_ror:8 row_mask:0xf bank_mask:0xf
	s_delay_alu instid0(VALU_DEP_1)
	v_add_nc_u32_e32 v2, v2, v3
	ds_swizzle_b32 v3, v2 offset:swizzle(BROADCAST,32,15)
	s_wait_dscnt 0x0
	v_add_nc_u32_e32 v2, v2, v3
	ds_bpermute_b32 v2, v1, v2 offset:124
	v_cmpx_eq_u32_e32 0, v37
	s_cbranch_execz .LBB903_32
; %bb.31:                               ;   in Loop: Header=BB903_6 Depth=1
	s_wait_dscnt 0x0
	ds_store_b32 v36, v2
.LBB903_32:                             ;   in Loop: Header=BB903_6 Depth=1
	s_wait_alu 0xfffe
	s_or_b32 exec_lo, exec_lo, s1
	s_wait_loadcnt_dscnt 0x0
	s_barrier_signal -1
	s_barrier_wait -1
	global_inv scope:SCOPE_SE
	s_and_saveexec_b32 s1, s0
	s_cbranch_execz .LBB903_34
; %bb.33:                               ;   in Loop: Header=BB903_6 Depth=1
	v_and_b32_e32 v2, 15, v37
	s_delay_alu instid0(VALU_DEP_1)
	v_lshlrev_b32_e32 v3, 2, v2
	v_cmp_ne_u32_e32 vcc_lo, 15, v2
	ds_load_b32 v3, v3
	s_wait_alu 0xfffd
	v_add_co_ci_u32_e64 v4, null, 0, v37, vcc_lo
	v_cmp_gt_u32_e32 vcc_lo, 14, v2
	s_delay_alu instid0(VALU_DEP_2) | instskip(SKIP_3) | instid1(VALU_DEP_2)
	v_lshlrev_b32_e32 v4, 2, v4
	s_wait_alu 0xfffd
	v_cndmask_b32_e64 v5, 0, 2, vcc_lo
	v_cmp_gt_u32_e32 vcc_lo, 12, v2
	v_add_lshl_u32 v5, v5, v37, 2
	s_wait_alu 0xfffd
	v_cndmask_b32_e64 v2, 0, 4, vcc_lo
	s_delay_alu instid0(VALU_DEP_1)
	v_add_lshl_u32 v2, v2, v37, 2
	s_wait_dscnt 0x0
	ds_bpermute_b32 v4, v4, v3
	s_wait_dscnt 0x0
	v_add_nc_u32_e32 v3, v4, v3
	ds_bpermute_b32 v4, v5, v3
	s_wait_dscnt 0x0
	v_add_nc_u32_e32 v3, v4, v3
	v_lshlrev_b32_e32 v4, 2, v37
	ds_bpermute_b32 v2, v2, v3
	s_wait_dscnt 0x0
	v_add_nc_u32_e32 v2, v2, v3
	v_or_b32_e32 v3, 32, v4
	ds_bpermute_b32 v3, v3, v2
	s_wait_dscnt 0x0
	v_add_nc_u32_e32 v2, v3, v2
.LBB903_34:                             ;   in Loop: Header=BB903_6 Depth=1
	s_wait_alu 0xfffe
	s_or_b32 exec_lo, exec_lo, s1
.LBB903_35:                             ;   in Loop: Header=BB903_6 Depth=1
	v_cmp_lt_i64_e64 s11, 0x2000, s[8:9]
	s_mov_b32 s1, -1
	s_and_b32 vcc_lo, exec_lo, s11
	s_mov_b32 s11, -1
	s_wait_alu 0xfffe
	s_cbranch_vccz .LBB903_5
; %bb.36:                               ;   in Loop: Header=BB903_6 Depth=1
	v_add_co_u32 v18, vcc_lo, 0x8000, v18
	s_add_co_i32 s10, s10, -1
	s_wait_alu 0xfffd
	v_add_co_ci_u32_e64 v19, null, 0, v19, vcc_lo
	s_cmp_eq_u32 s10, 0
	s_add_nc_u64 s[8:9], s[8:9], s[4:5]
	s_mov_b32 s1, 0
	s_cselect_b32 s11, -1, 0
	s_wait_loadcnt 0x0
	s_barrier_signal -1
	s_barrier_wait -1
	global_inv scope:SCOPE_SE
	s_branch .LBB903_5
.LBB903_37:                             ;   in Loop: Header=BB903_6 Depth=1
	global_load_b32 v2, v[18:19], off offset:-30720
	v_dual_mov_b32 v3, v1 :: v_dual_mov_b32 v4, v1
	v_dual_mov_b32 v5, v1 :: v_dual_mov_b32 v6, v1
	;; [unrolled: 1-line block ×7, first 2 shown]
	v_mov_b32_e32 v17, v1
	s_wait_loadcnt 0x0
	v_cmp_ne_u32_e32 vcc_lo, 0, v2
	s_wait_alu 0xfffd
	v_cndmask_b32_e64 v2, 0, 1, vcc_lo
	s_delay_alu instid0(VALU_DEP_1) | instskip(SKIP_2) | instid1(SALU_CYCLE_1)
	v_and_b32_e32 v2, 0xffff, v2
	s_wait_alu 0xfffe
	s_or_b32 exec_lo, exec_lo, s1
	s_mov_b32 s1, exec_lo
	v_cmpx_gt_u32_e64 s8, v21
	s_cbranch_execz .LBB903_9
.LBB903_38:                             ;   in Loop: Header=BB903_6 Depth=1
	global_load_b32 v3, v[18:19], off offset:-28672
	s_wait_loadcnt 0x0
	v_cmp_ne_u32_e32 vcc_lo, 0, v3
	s_wait_alu 0xfffd
	v_cndmask_b32_e64 v3, 0, 1, vcc_lo
	s_wait_alu 0xfffe
	s_or_b32 exec_lo, exec_lo, s1
	s_delay_alu instid0(SALU_CYCLE_1)
	s_mov_b32 s1, exec_lo
	v_cmpx_gt_u32_e64 s8, v22
	s_cbranch_execz .LBB903_10
.LBB903_39:                             ;   in Loop: Header=BB903_6 Depth=1
	global_load_b32 v4, v[18:19], off offset:-26624
	s_wait_loadcnt 0x0
	v_cmp_ne_u32_e32 vcc_lo, 0, v4
	s_wait_alu 0xfffd
	v_cndmask_b32_e64 v4, 0, 1, vcc_lo
	s_wait_alu 0xfffe
	s_or_b32 exec_lo, exec_lo, s1
	s_delay_alu instid0(SALU_CYCLE_1)
	s_mov_b32 s1, exec_lo
	v_cmpx_gt_u32_e64 s8, v23
	s_cbranch_execz .LBB903_11
.LBB903_40:                             ;   in Loop: Header=BB903_6 Depth=1
	global_load_b32 v5, v[18:19], off offset:-24576
	s_wait_loadcnt 0x0
	v_cmp_ne_u32_e32 vcc_lo, 0, v5
	s_wait_alu 0xfffd
	v_cndmask_b32_e64 v5, 0, 1, vcc_lo
	s_wait_alu 0xfffe
	s_or_b32 exec_lo, exec_lo, s1
	s_delay_alu instid0(SALU_CYCLE_1)
	s_mov_b32 s1, exec_lo
	v_cmpx_gt_u32_e64 s8, v24
	s_cbranch_execz .LBB903_12
.LBB903_41:                             ;   in Loop: Header=BB903_6 Depth=1
	global_load_b32 v6, v[18:19], off offset:-22528
	s_wait_loadcnt 0x0
	v_cmp_ne_u32_e32 vcc_lo, 0, v6
	s_wait_alu 0xfffd
	v_cndmask_b32_e64 v6, 0, 1, vcc_lo
	s_wait_alu 0xfffe
	s_or_b32 exec_lo, exec_lo, s1
	s_delay_alu instid0(SALU_CYCLE_1)
	s_mov_b32 s1, exec_lo
	v_cmpx_gt_u32_e64 s8, v25
	s_cbranch_execz .LBB903_13
.LBB903_42:                             ;   in Loop: Header=BB903_6 Depth=1
	global_load_b32 v7, v[18:19], off offset:-20480
	s_wait_loadcnt 0x0
	v_cmp_ne_u32_e32 vcc_lo, 0, v7
	s_wait_alu 0xfffd
	v_cndmask_b32_e64 v7, 0, 1, vcc_lo
	s_wait_alu 0xfffe
	s_or_b32 exec_lo, exec_lo, s1
	s_delay_alu instid0(SALU_CYCLE_1)
	s_mov_b32 s1, exec_lo
	v_cmpx_gt_u32_e64 s8, v26
	s_cbranch_execz .LBB903_14
.LBB903_43:                             ;   in Loop: Header=BB903_6 Depth=1
	global_load_b32 v8, v[18:19], off offset:-18432
	s_wait_loadcnt 0x0
	v_cmp_ne_u32_e32 vcc_lo, 0, v8
	s_wait_alu 0xfffd
	v_cndmask_b32_e64 v8, 0, 1, vcc_lo
	s_wait_alu 0xfffe
	s_or_b32 exec_lo, exec_lo, s1
	s_delay_alu instid0(SALU_CYCLE_1)
	s_mov_b32 s1, exec_lo
	v_cmpx_gt_u32_e64 s8, v27
	s_cbranch_execz .LBB903_15
.LBB903_44:                             ;   in Loop: Header=BB903_6 Depth=1
	global_load_b32 v9, v[18:19], off offset:-16384
	s_wait_loadcnt 0x0
	v_cmp_ne_u32_e32 vcc_lo, 0, v9
	s_wait_alu 0xfffd
	v_cndmask_b32_e64 v9, 0, 1, vcc_lo
	s_wait_alu 0xfffe
	s_or_b32 exec_lo, exec_lo, s1
	s_delay_alu instid0(SALU_CYCLE_1)
	s_mov_b32 s1, exec_lo
	v_cmpx_gt_u32_e64 s8, v28
	s_cbranch_execz .LBB903_16
.LBB903_45:                             ;   in Loop: Header=BB903_6 Depth=1
	global_load_b32 v10, v[18:19], off offset:-14336
	s_wait_loadcnt 0x0
	v_cmp_ne_u32_e32 vcc_lo, 0, v10
	s_wait_alu 0xfffd
	v_cndmask_b32_e64 v10, 0, 1, vcc_lo
	s_wait_alu 0xfffe
	s_or_b32 exec_lo, exec_lo, s1
	s_delay_alu instid0(SALU_CYCLE_1)
	s_mov_b32 s1, exec_lo
	v_cmpx_gt_u32_e64 s8, v29
	s_cbranch_execz .LBB903_17
.LBB903_46:                             ;   in Loop: Header=BB903_6 Depth=1
	global_load_b32 v11, v[18:19], off offset:-12288
	s_wait_loadcnt 0x0
	v_cmp_ne_u32_e32 vcc_lo, 0, v11
	s_wait_alu 0xfffd
	v_cndmask_b32_e64 v11, 0, 1, vcc_lo
	s_wait_alu 0xfffe
	s_or_b32 exec_lo, exec_lo, s1
	s_delay_alu instid0(SALU_CYCLE_1)
	s_mov_b32 s1, exec_lo
	v_cmpx_gt_u32_e64 s8, v30
	s_cbranch_execz .LBB903_18
.LBB903_47:                             ;   in Loop: Header=BB903_6 Depth=1
	global_load_b32 v12, v[18:19], off offset:-10240
	s_wait_loadcnt 0x0
	v_cmp_ne_u32_e32 vcc_lo, 0, v12
	s_wait_alu 0xfffd
	v_cndmask_b32_e64 v12, 0, 1, vcc_lo
	s_wait_alu 0xfffe
	s_or_b32 exec_lo, exec_lo, s1
	s_delay_alu instid0(SALU_CYCLE_1)
	s_mov_b32 s1, exec_lo
	v_cmpx_gt_u32_e64 s8, v31
	s_cbranch_execz .LBB903_19
.LBB903_48:                             ;   in Loop: Header=BB903_6 Depth=1
	global_load_b32 v13, v[18:19], off offset:-8192
	s_wait_loadcnt 0x0
	v_cmp_ne_u32_e32 vcc_lo, 0, v13
	s_wait_alu 0xfffd
	v_cndmask_b32_e64 v13, 0, 1, vcc_lo
	s_wait_alu 0xfffe
	s_or_b32 exec_lo, exec_lo, s1
	s_delay_alu instid0(SALU_CYCLE_1)
	s_mov_b32 s1, exec_lo
	v_cmpx_gt_u32_e64 s8, v32
	s_cbranch_execz .LBB903_20
.LBB903_49:                             ;   in Loop: Header=BB903_6 Depth=1
	global_load_b32 v14, v[18:19], off offset:-6144
	s_wait_loadcnt 0x0
	v_cmp_ne_u32_e32 vcc_lo, 0, v14
	s_wait_alu 0xfffd
	v_cndmask_b32_e64 v14, 0, 1, vcc_lo
	s_wait_alu 0xfffe
	s_or_b32 exec_lo, exec_lo, s1
	s_delay_alu instid0(SALU_CYCLE_1)
	s_mov_b32 s1, exec_lo
	v_cmpx_gt_u32_e64 s8, v33
	s_cbranch_execz .LBB903_21
.LBB903_50:                             ;   in Loop: Header=BB903_6 Depth=1
	global_load_b32 v15, v[18:19], off offset:-4096
	s_wait_loadcnt 0x0
	v_cmp_ne_u32_e32 vcc_lo, 0, v15
	s_wait_alu 0xfffd
	v_cndmask_b32_e64 v15, 0, 1, vcc_lo
	s_wait_alu 0xfffe
	s_or_b32 exec_lo, exec_lo, s1
	s_delay_alu instid0(SALU_CYCLE_1)
	s_mov_b32 s1, exec_lo
	v_cmpx_gt_u32_e64 s8, v34
	s_cbranch_execz .LBB903_22
.LBB903_51:                             ;   in Loop: Header=BB903_6 Depth=1
	global_load_b32 v16, v[18:19], off offset:-2048
	s_wait_loadcnt 0x0
	v_cmp_ne_u32_e32 vcc_lo, 0, v16
	s_wait_alu 0xfffd
	v_cndmask_b32_e64 v16, 0, 1, vcc_lo
	s_wait_alu 0xfffe
	s_or_b32 exec_lo, exec_lo, s1
	s_delay_alu instid0(SALU_CYCLE_1)
	s_mov_b32 s1, exec_lo
	v_cmpx_gt_u32_e64 s8, v35
	s_cbranch_execnz .LBB903_23
	s_branch .LBB903_24
.LBB903_52:
	s_and_b32 vcc_lo, exec_lo, s1
	s_mov_b32 s0, -1
	s_wait_alu 0xfffe
	s_cbranch_vccz .LBB903_56
; %bb.53:
	s_mov_b32 s0, 0
	s_mov_b32 s1, exec_lo
	v_cmpx_eq_u32_e32 0, v0
	s_cbranch_execz .LBB903_55
; %bb.54:
	v_mov_b32_e32 v0, 0
	s_lshl_b64 s[4:5], s[2:3], 2
	s_wait_alu 0xfffe
	s_add_nc_u64 s[4:5], s[6:7], s[4:5]
	global_store_b32 v0, v20, s[4:5]
.LBB903_55:
	s_wait_alu 0xfffe
	s_or_b32 exec_lo, exec_lo, s1
.LBB903_56:
	v_cmp_eq_u32_e32 vcc_lo, 0, v0
	s_and_b32 s0, vcc_lo, s0
	s_wait_alu 0xfffe
	s_and_saveexec_b32 s1, s0
	s_cbranch_execz .LBB903_58
; %bb.57:
	v_mov_b32_e32 v0, 0
	s_lshl_b64 s[0:1], s[2:3], 2
	s_wait_kmcnt 0x0
	s_wait_alu 0xfffe
	s_add_nc_u64 s[0:1], s[6:7], s[0:1]
	global_store_b32 v0, v20, s[0:1]
.LBB903_58:
	s_endpgm
	.section	.rodata,"a",@progbits
	.p2align	6, 0x0
	.amdhsa_kernel _ZN2at4cuda3cub15calc_block_sumsILi512ELi16ELb1EiiEEvPKT2_PT3_li
		.amdhsa_group_segment_fixed_size 64
		.amdhsa_private_segment_fixed_size 0
		.amdhsa_kernarg_size 28
		.amdhsa_user_sgpr_count 2
		.amdhsa_user_sgpr_dispatch_ptr 0
		.amdhsa_user_sgpr_queue_ptr 0
		.amdhsa_user_sgpr_kernarg_segment_ptr 1
		.amdhsa_user_sgpr_dispatch_id 0
		.amdhsa_user_sgpr_private_segment_size 0
		.amdhsa_wavefront_size32 1
		.amdhsa_uses_dynamic_stack 0
		.amdhsa_enable_private_segment 0
		.amdhsa_system_sgpr_workgroup_id_x 1
		.amdhsa_system_sgpr_workgroup_id_y 0
		.amdhsa_system_sgpr_workgroup_id_z 0
		.amdhsa_system_sgpr_workgroup_info 0
		.amdhsa_system_vgpr_workitem_id 0
		.amdhsa_next_free_vgpr 38
		.amdhsa_next_free_sgpr 14
		.amdhsa_reserve_vcc 1
		.amdhsa_float_round_mode_32 0
		.amdhsa_float_round_mode_16_64 0
		.amdhsa_float_denorm_mode_32 3
		.amdhsa_float_denorm_mode_16_64 3
		.amdhsa_fp16_overflow 0
		.amdhsa_workgroup_processor_mode 1
		.amdhsa_memory_ordered 1
		.amdhsa_forward_progress 1
		.amdhsa_inst_pref_size 27
		.amdhsa_round_robin_scheduling 0
		.amdhsa_exception_fp_ieee_invalid_op 0
		.amdhsa_exception_fp_denorm_src 0
		.amdhsa_exception_fp_ieee_div_zero 0
		.amdhsa_exception_fp_ieee_overflow 0
		.amdhsa_exception_fp_ieee_underflow 0
		.amdhsa_exception_fp_ieee_inexact 0
		.amdhsa_exception_int_div_zero 0
	.end_amdhsa_kernel
	.section	.text._ZN2at4cuda3cub15calc_block_sumsILi512ELi16ELb1EiiEEvPKT2_PT3_li,"axG",@progbits,_ZN2at4cuda3cub15calc_block_sumsILi512ELi16ELb1EiiEEvPKT2_PT3_li,comdat
.Lfunc_end903:
	.size	_ZN2at4cuda3cub15calc_block_sumsILi512ELi16ELb1EiiEEvPKT2_PT3_li, .Lfunc_end903-_ZN2at4cuda3cub15calc_block_sumsILi512ELi16ELb1EiiEEvPKT2_PT3_li
                                        ; -- End function
	.set _ZN2at4cuda3cub15calc_block_sumsILi512ELi16ELb1EiiEEvPKT2_PT3_li.num_vgpr, 38
	.set _ZN2at4cuda3cub15calc_block_sumsILi512ELi16ELb1EiiEEvPKT2_PT3_li.num_agpr, 0
	.set _ZN2at4cuda3cub15calc_block_sumsILi512ELi16ELb1EiiEEvPKT2_PT3_li.numbered_sgpr, 14
	.set _ZN2at4cuda3cub15calc_block_sumsILi512ELi16ELb1EiiEEvPKT2_PT3_li.num_named_barrier, 0
	.set _ZN2at4cuda3cub15calc_block_sumsILi512ELi16ELb1EiiEEvPKT2_PT3_li.private_seg_size, 0
	.set _ZN2at4cuda3cub15calc_block_sumsILi512ELi16ELb1EiiEEvPKT2_PT3_li.uses_vcc, 1
	.set _ZN2at4cuda3cub15calc_block_sumsILi512ELi16ELb1EiiEEvPKT2_PT3_li.uses_flat_scratch, 0
	.set _ZN2at4cuda3cub15calc_block_sumsILi512ELi16ELb1EiiEEvPKT2_PT3_li.has_dyn_sized_stack, 0
	.set _ZN2at4cuda3cub15calc_block_sumsILi512ELi16ELb1EiiEEvPKT2_PT3_li.has_recursion, 0
	.set _ZN2at4cuda3cub15calc_block_sumsILi512ELi16ELb1EiiEEvPKT2_PT3_li.has_indirect_call, 0
	.section	.AMDGPU.csdata,"",@progbits
; Kernel info:
; codeLenInByte = 3428
; TotalNumSgprs: 16
; NumVgprs: 38
; ScratchSize: 0
; MemoryBound: 0
; FloatMode: 240
; IeeeMode: 1
; LDSByteSize: 64 bytes/workgroup (compile time only)
; SGPRBlocks: 0
; VGPRBlocks: 4
; NumSGPRsForWavesPerEU: 16
; NumVGPRsForWavesPerEU: 38
; Occupancy: 16
; WaveLimiterHint : 1
; COMPUTE_PGM_RSRC2:SCRATCH_EN: 0
; COMPUTE_PGM_RSRC2:USER_SGPR: 2
; COMPUTE_PGM_RSRC2:TRAP_HANDLER: 0
; COMPUTE_PGM_RSRC2:TGID_X_EN: 1
; COMPUTE_PGM_RSRC2:TGID_Y_EN: 0
; COMPUTE_PGM_RSRC2:TGID_Z_EN: 0
; COMPUTE_PGM_RSRC2:TIDIG_COMP_CNT: 0
	.section	.text._ZN2at6native12_GLOBAL__N_111flag_kernelILi512ELi16EiEEvPKT1_PlPKllli,"axG",@progbits,_ZN2at6native12_GLOBAL__N_111flag_kernelILi512ELi16EiEEvPKT1_PlPKllli,comdat
	.globl	_ZN2at6native12_GLOBAL__N_111flag_kernelILi512ELi16EiEEvPKT1_PlPKllli ; -- Begin function _ZN2at6native12_GLOBAL__N_111flag_kernelILi512ELi16EiEEvPKT1_PlPKllli
	.p2align	8
	.type	_ZN2at6native12_GLOBAL__N_111flag_kernelILi512ELi16EiEEvPKT1_PlPKllli,@function
_ZN2at6native12_GLOBAL__N_111flag_kernelILi512ELi16EiEEvPKT1_PlPKllli: ; @_ZN2at6native12_GLOBAL__N_111flag_kernelILi512ELi16EiEEvPKT1_PlPKllli
; %bb.0:
	s_clause 0x1
	s_load_b32 s26, s[0:1], 0x28
	s_load_b256 s[12:19], s[0:1], 0x0
	s_mov_b32 s2, ttmp9
	s_mov_b32 s3, 0
	s_wait_kmcnt 0x0
	s_lshl_b32 s4, s26, 13
	s_delay_alu instid0(SALU_CYCLE_1) | instskip(NEXT) | instid1(SALU_CYCLE_1)
	s_ashr_i32 s5, s4, 31
	s_mul_u64 s[22:23], s[4:5], s[2:3]
	s_delay_alu instid0(SALU_CYCLE_1)
	v_cmp_le_i64_e64 s2, s[18:19], s[22:23]
	s_and_b32 vcc_lo, exec_lo, s2
	s_cbranch_vccnz .LBB904_100
; %bb.1:
	s_load_b64 s[2:3], s[0:1], 0x20
	s_cmp_eq_u32 ttmp9, 0
	s_cbranch_scc1 .LBB904_3
; %bb.2:
	s_add_co_i32 s4, ttmp9, -1
	s_mov_b32 s5, 0
	s_delay_alu instid0(SALU_CYCLE_1) | instskip(NEXT) | instid1(SALU_CYCLE_1)
	s_lshl_b64 s[4:5], s[4:5], 3
	s_add_nc_u64 s[4:5], s[16:17], s[4:5]
	s_load_b64 s[4:5], s[4:5], 0x0
	s_cmp_lt_i32 s26, 1
	s_cbranch_scc0 .LBB904_4
	s_branch .LBB904_100
.LBB904_3:
	s_mov_b64 s[4:5], 0
	s_cmp_lt_i32 s26, 1
	s_cbranch_scc1 .LBB904_100
.LBB904_4:
	v_mbcnt_lo_u32_b32 v2, -1, 0
	v_lshlrev_b32_e32 v1, 4, v0
	s_wait_kmcnt 0x0
	s_sub_nc_u64 s[16:17], s[2:3], s[4:5]
	s_lshl_b64 s[24:25], s[4:5], 3
	v_add_nc_u32_e32 v8, 0x200, v0
	v_and_b32_e32 v4, 15, v2
	v_and_b32_e32 v6, 0x3e00, v1
	;; [unrolled: 1-line block ×3, first 2 shown]
	v_or_b32_e32 v9, 0x800, v0
	v_add_nc_u32_e32 v10, 0xa00, v0
	v_lshlrev_b32_e32 v25, 2, v0
	v_or_b32_e32 v41, v2, v6
	v_cmp_eq_u32_e64 s6, 0, v1
	v_mov_b32_e32 v1, 0
	v_cmp_eq_u32_e64 s2, 0, v4
	v_cmp_lt_u32_e64 s3, 1, v4
	v_cmp_lt_u32_e64 s4, 3, v4
	v_cmp_lt_u32_e64 s5, 7, v4
	v_sub_co_u32 v4, s8, v2, 1
	v_lshrrev_b32_e32 v9, 3, v9
	v_lshrrev_b32_e32 v10, 3, v10
	v_or_b32_e32 v46, 32, v41
	s_delay_alu instid0(VALU_DEP_4)
	v_cmp_gt_i32_e32 vcc_lo, 0, v4
	v_and_b32_e32 v3, 0x3e0, v0
	v_or_b32_e32 v47, 64, v41
	v_or_b32_e32 v48, 0x60, v41
	;; [unrolled: 1-line block ×3, first 2 shown]
	v_cndmask_b32_e32 v4, v4, v2, vcc_lo
	v_min_u32_e32 v5, 0x1e0, v3
	v_or_b32_e32 v50, 0xa0, v41
	v_or_b32_e32 v51, 0xc0, v41
	;; [unrolled: 1-line block ×3, first 2 shown]
	v_lshlrev_b32_e32 v27, 2, v4
	v_or_b32_e32 v5, 31, v5
	v_lshrrev_b32_e32 v4, 3, v8
	v_add_nc_u32_e32 v8, 0x600, v0
	v_or_b32_e32 v53, 0x100, v41
	v_or_b32_e32 v54, 0x120, v41
	v_cmp_eq_u32_e64 s7, v0, v5
	v_lshlrev_b32_e32 v5, 1, v0
	v_and_b32_e32 v4, 0xfc, v4
	v_lshrrev_b32_e32 v8, 3, v8
	v_or_b32_e32 v55, 0x140, v41
	v_or_b32_e32 v56, 0x160, v41
	v_and_b32_e32 v5, 0x7fc, v5
	v_add_nc_u32_e32 v30, v25, v4
	v_or_b32_e32 v57, 0x180, v41
	v_or_b32_e32 v58, 0x1a0, v41
	;; [unrolled: 1-line block ×3, first 2 shown]
	v_lshl_add_u32 v28, v0, 6, v5
	v_or_b32_e32 v5, 0x400, v0
	v_or_b32_e32 v60, 0x1e0, v41
	v_lshrrev_b32_e32 v7, 5, v0
	v_or_b32_e32 v3, v2, v3
	s_lshl_b64 s[20:21], s[22:23], 2
	v_lshrrev_b32_e32 v5, 3, v5
	v_lshlrev_b32_e32 v2, 2, v2
	v_cmp_gt_u32_e64 s9, 16, v0
	v_cmp_lt_u32_e64 s10, 31, v0
	v_cmp_eq_u32_e64 s11, 0, v0
	v_and_b32_e32 v4, 0xfc, v5
	v_and_b32_e32 v5, 0x1fc, v8
	;; [unrolled: 1-line block ×4, first 2 shown]
	v_or_b32_e32 v10, 0xc00, v0
	v_add_nc_u32_e32 v31, v25, v4
	v_add_nc_u32_e32 v32, v25, v5
	;; [unrolled: 1-line block ×4, first 2 shown]
	v_lshrrev_b32_e32 v4, 3, v10
	v_add_nc_u32_e32 v5, 0xe00, v0
	v_or_b32_e32 v8, 0x1000, v0
	v_add_nc_u32_e32 v9, 0x1200, v0
	v_or_b32_e32 v10, 0x1400, v0
	v_and_b32_e32 v4, 0x1fc, v4
	v_lshrrev_b32_e32 v5, 3, v5
	v_lshrrev_b32_e32 v8, 3, v8
	;; [unrolled: 1-line block ×4, first 2 shown]
	v_add_nc_u32_e32 v35, v25, v4
	v_and_b32_e32 v4, 0x3fc, v5
	v_and_b32_e32 v5, 0x27c, v8
	v_and_b32_e32 v8, 0x2fc, v9
	v_and_b32_e32 v9, 0x2fc, v10
	v_add_nc_u32_e32 v10, 0x1600, v0
	v_add_nc_u32_e32 v36, v25, v4
	;; [unrolled: 1-line block ×3, first 2 shown]
	v_or_b32_e32 v5, 0x1800, v0
	v_add_nc_u32_e32 v38, v25, v8
	v_lshrrev_b32_e32 v4, 3, v10
	v_add_nc_u32_e32 v39, v25, v9
	v_add_nc_u32_e32 v8, 0x1a00, v0
	v_or_b32_e32 v9, 0x1c00, v0
	v_lshrrev_b32_e32 v5, 3, v5
	v_and_b32_e32 v4, 0x3fc, v4
	v_add_nc_u32_e32 v10, 0x1e00, v0
	v_lshrrev_b32_e32 v8, 3, v8
	v_lshrrev_b32_e32 v9, 3, v9
	v_lshlrev_b32_e32 v24, 2, v7
	v_add_nc_u32_e32 v40, v25, v4
	v_and_b32_e32 v4, 0x37c, v5
	v_lshrrev_b32_e32 v10, 3, v10
	v_and_b32_e32 v5, 0x3fc, v8
	v_and_b32_e32 v8, 0x3fc, v9
	v_add_nc_u32_e32 v26, -4, v24
	v_add_nc_u32_e32 v42, v25, v4
	v_lshrrev_b32_e32 v4, 3, v46
	v_and_b32_e32 v9, 0x7fc, v10
	v_add_nc_u32_e32 v43, v25, v5
	v_add_nc_u32_e32 v44, v25, v8
	v_lshrrev_b32_e32 v5, 3, v6
	v_lshlrev_b32_e32 v6, 2, v41
	v_and_b32_e32 v4, 0x7c4, v4
	v_lshrrev_b32_e32 v8, 3, v47
	v_add_nc_u32_e32 v45, v25, v9
	v_lshrrev_b32_e32 v9, 3, v50
	v_add_nc_u32_e32 v61, v5, v6
	v_add_nc_u32_e32 v62, v4, v6
	v_and_b32_e32 v4, 0x7c8, v8
	v_lshrrev_b32_e32 v5, 3, v48
	v_lshrrev_b32_e32 v8, 3, v49
	;; [unrolled: 1-line block ×3, first 2 shown]
	v_add_nc_u32_e32 v29, v24, v25
	v_add_nc_u32_e32 v63, v4, v6
	v_and_b32_e32 v4, 0x7cc, v5
	v_and_b32_e32 v5, 0x7d0, v8
	;; [unrolled: 1-line block ×4, first 2 shown]
	v_lshrrev_b32_e32 v10, 3, v52
	v_add_nc_u32_e32 v64, v4, v6
	v_add_nc_u32_e32 v65, v5, v6
	;; [unrolled: 1-line block ×4, first 2 shown]
	v_and_b32_e32 v4, 0x7dc, v10
	v_lshrrev_b32_e32 v5, 3, v53
	v_lshrrev_b32_e32 v8, 3, v54
	;; [unrolled: 1-line block ×4, first 2 shown]
	v_add_nc_u32_e32 v68, v4, v6
	v_and_b32_e32 v4, 0x7e0, v5
	v_and_b32_e32 v5, 0x7e4, v8
	;; [unrolled: 1-line block ×4, first 2 shown]
	v_lshrrev_b32_e32 v10, 3, v57
	v_add_nc_u32_e32 v69, v4, v6
	v_add_nc_u32_e32 v70, v5, v6
	v_lshrrev_b32_e32 v5, 3, v58
	v_add_nc_u32_e32 v71, v8, v6
	v_and_b32_e32 v4, 0x7f0, v10
	v_add_nc_u32_e32 v72, v9, v6
	v_lshrrev_b32_e32 v8, 3, v59
	v_lshrrev_b32_e32 v9, 3, v60
	s_add_nc_u64 s[14:15], s[14:15], s[24:25]
	v_add_nc_u32_e32 v73, v4, v6
	v_and_b32_e32 v4, 0x7f4, v5
	v_and_b32_e32 v5, 0x7f8, v8
	;; [unrolled: 1-line block ×3, first 2 shown]
	v_lshlrev_b32_e32 v9, 4, v3
	v_bfe_u32 v3, v3, 1, 27
	v_add_nc_u32_e32 v74, v4, v6
	v_lshlrev_b32_e32 v4, 11, v7
	v_add_nc_u32_e32 v75, v5, v6
	v_add_nc_u32_e32 v76, v8, v6
	v_add_lshl_u32 v77, v3, v9, 2
	s_add_nc_u64 s[0:1], s[0:1], 48
	v_add_co_u32 v3, s20, s20, v4
	s_wait_alu 0xf1ff
	v_add_co_ci_u32_e64 v4, null, s21, 0, s20
	v_add_co_u32 v18, s20, s22, v0
	s_delay_alu instid0(VALU_DEP_3) | instskip(SKIP_1) | instid1(VALU_DEP_3)
	v_add_co_u32 v0, vcc_lo, v3, v2
	s_wait_alu 0xfffd
	v_add_co_ci_u32_e64 v2, null, 0, v4, vcc_lo
	s_wait_alu 0xf1ff
	v_add_co_ci_u32_e64 v19, null, s23, 0, s20
	v_add_co_u32 v20, vcc_lo, s12, v0
	s_wait_alu 0xfffd
	v_add_co_ci_u32_e64 v21, null, s13, v2, vcc_lo
	s_movk_i32 s20, 0xe000
	s_mov_b32 s21, -1
	s_sub_nc_u64 s[12:13], s[18:19], s[22:23]
	s_branch .LBB904_6
.LBB904_5:                              ;   in Loop: Header=BB904_6 Depth=1
	v_add_co_u32 v18, vcc_lo, 0x2000, v18
	s_wait_alu 0xfffd
	v_add_co_ci_u32_e64 v19, null, 0, v19, vcc_lo
	v_add_co_u32 v20, vcc_lo, 0x8000, v20
	s_add_co_i32 s26, s26, -1
	s_lshl_b64 s[18:19], s[18:19], 3
	s_wait_alu 0xfffd
	v_add_co_ci_u32_e64 v21, null, 0, v21, vcc_lo
	s_cmp_eq_u32 s26, 0
	s_add_nc_u64 s[12:13], s[12:13], s[20:21]
	s_wait_alu 0xfffe
	s_add_nc_u64 s[14:15], s[14:15], s[18:19]
	s_cselect_b32 s18, -1, 0
	s_wait_loadcnt 0x0
	s_wait_storecnt 0x0
	s_barrier_signal -1
	s_barrier_wait -1
	global_inv scope:SCOPE_SE
	s_wait_alu 0xfffe
	s_and_not1_b32 vcc_lo, exec_lo, s18
	s_wait_alu 0xfffe
	s_cbranch_vccz .LBB904_100
.LBB904_6:                              ; =>This Inner Loop Header: Depth=1
	s_wait_alu 0xfffe
	v_cmp_gt_i64_e64 s18, 0x2000, s[12:13]
                                        ; implicit-def: $vgpr3
                                        ; implicit-def: $vgpr5
                                        ; implicit-def: $vgpr13
                                        ; implicit-def: $vgpr17
                                        ; implicit-def: $vgpr15
                                        ; implicit-def: $vgpr11
                                        ; implicit-def: $vgpr9
                                        ; implicit-def: $vgpr7
	s_and_b32 vcc_lo, exec_lo, s18
	s_mov_b32 s18, -1
	s_wait_alu 0xfffe
	s_cbranch_vccz .LBB904_25
; %bb.7:                                ;   in Loop: Header=BB904_6 Depth=1
	v_dual_mov_b32 v14, v1 :: v_dual_mov_b32 v15, v1
	v_dual_mov_b32 v2, v1 :: v_dual_mov_b32 v3, v1
	v_dual_mov_b32 v4, v1 :: v_dual_mov_b32 v5, v1
	v_dual_mov_b32 v6, v1 :: v_dual_mov_b32 v7, v1
	v_dual_mov_b32 v8, v1 :: v_dual_mov_b32 v9, v1
	v_dual_mov_b32 v10, v1 :: v_dual_mov_b32 v11, v1
	v_dual_mov_b32 v12, v1 :: v_dual_mov_b32 v13, v1
	v_mov_b32_e32 v17, v15
	s_delay_alu instid0(VALU_DEP_2) | instskip(NEXT) | instid1(VALU_DEP_3)
	v_dual_mov_b32 v16, v14 :: v_dual_mov_b32 v15, v13
	v_mov_b32_e32 v14, v12
	v_mov_b32_e32 v13, v11
	;; [unrolled: 1-line block ×14, first 2 shown]
	s_mov_b32 s18, exec_lo
	v_cmpx_gt_u32_e64 s12, v41
	s_cbranch_execnz .LBB904_85
; %bb.8:                                ;   in Loop: Header=BB904_6 Depth=1
	s_wait_alu 0xfffe
	s_or_b32 exec_lo, exec_lo, s18
	s_delay_alu instid0(SALU_CYCLE_1)
	s_mov_b32 s18, exec_lo
	v_cmpx_gt_u32_e64 s12, v46
	s_cbranch_execnz .LBB904_86
.LBB904_9:                              ;   in Loop: Header=BB904_6 Depth=1
	s_wait_alu 0xfffe
	s_or_b32 exec_lo, exec_lo, s18
	s_delay_alu instid0(SALU_CYCLE_1)
	s_mov_b32 s18, exec_lo
	v_cmpx_gt_u32_e64 s12, v47
	s_cbranch_execnz .LBB904_87
.LBB904_10:                             ;   in Loop: Header=BB904_6 Depth=1
	s_wait_alu 0xfffe
	s_or_b32 exec_lo, exec_lo, s18
	s_delay_alu instid0(SALU_CYCLE_1)
	s_mov_b32 s18, exec_lo
	v_cmpx_gt_u32_e64 s12, v48
	s_cbranch_execnz .LBB904_88
.LBB904_11:                             ;   in Loop: Header=BB904_6 Depth=1
	s_wait_alu 0xfffe
	s_or_b32 exec_lo, exec_lo, s18
	s_delay_alu instid0(SALU_CYCLE_1)
	s_mov_b32 s18, exec_lo
	v_cmpx_gt_u32_e64 s12, v49
	s_cbranch_execnz .LBB904_89
.LBB904_12:                             ;   in Loop: Header=BB904_6 Depth=1
	s_wait_alu 0xfffe
	s_or_b32 exec_lo, exec_lo, s18
	s_delay_alu instid0(SALU_CYCLE_1)
	s_mov_b32 s18, exec_lo
	v_cmpx_gt_u32_e64 s12, v50
	s_cbranch_execnz .LBB904_90
.LBB904_13:                             ;   in Loop: Header=BB904_6 Depth=1
	s_wait_alu 0xfffe
	s_or_b32 exec_lo, exec_lo, s18
	s_delay_alu instid0(SALU_CYCLE_1)
	s_mov_b32 s18, exec_lo
	v_cmpx_gt_u32_e64 s12, v51
	s_cbranch_execnz .LBB904_91
.LBB904_14:                             ;   in Loop: Header=BB904_6 Depth=1
	s_wait_alu 0xfffe
	s_or_b32 exec_lo, exec_lo, s18
	s_delay_alu instid0(SALU_CYCLE_1)
	s_mov_b32 s18, exec_lo
	v_cmpx_gt_u32_e64 s12, v52
	s_cbranch_execnz .LBB904_92
.LBB904_15:                             ;   in Loop: Header=BB904_6 Depth=1
	s_wait_alu 0xfffe
	s_or_b32 exec_lo, exec_lo, s18
	s_delay_alu instid0(SALU_CYCLE_1)
	s_mov_b32 s18, exec_lo
	v_cmpx_gt_u32_e64 s12, v53
	s_cbranch_execnz .LBB904_93
.LBB904_16:                             ;   in Loop: Header=BB904_6 Depth=1
	s_wait_alu 0xfffe
	s_or_b32 exec_lo, exec_lo, s18
	s_delay_alu instid0(SALU_CYCLE_1)
	s_mov_b32 s18, exec_lo
	v_cmpx_gt_u32_e64 s12, v54
	s_cbranch_execnz .LBB904_94
.LBB904_17:                             ;   in Loop: Header=BB904_6 Depth=1
	s_wait_alu 0xfffe
	s_or_b32 exec_lo, exec_lo, s18
	s_delay_alu instid0(SALU_CYCLE_1)
	s_mov_b32 s18, exec_lo
	v_cmpx_gt_u32_e64 s12, v55
	s_cbranch_execnz .LBB904_95
.LBB904_18:                             ;   in Loop: Header=BB904_6 Depth=1
	s_wait_alu 0xfffe
	s_or_b32 exec_lo, exec_lo, s18
	s_delay_alu instid0(SALU_CYCLE_1)
	s_mov_b32 s18, exec_lo
	v_cmpx_gt_u32_e64 s12, v56
	s_cbranch_execnz .LBB904_96
.LBB904_19:                             ;   in Loop: Header=BB904_6 Depth=1
	s_wait_alu 0xfffe
	s_or_b32 exec_lo, exec_lo, s18
	s_delay_alu instid0(SALU_CYCLE_1)
	s_mov_b32 s18, exec_lo
	v_cmpx_gt_u32_e64 s12, v57
	s_cbranch_execnz .LBB904_97
.LBB904_20:                             ;   in Loop: Header=BB904_6 Depth=1
	s_wait_alu 0xfffe
	s_or_b32 exec_lo, exec_lo, s18
	s_delay_alu instid0(SALU_CYCLE_1)
	s_mov_b32 s18, exec_lo
	v_cmpx_gt_u32_e64 s12, v58
	s_cbranch_execnz .LBB904_98
.LBB904_21:                             ;   in Loop: Header=BB904_6 Depth=1
	s_wait_alu 0xfffe
	s_or_b32 exec_lo, exec_lo, s18
	s_delay_alu instid0(SALU_CYCLE_1)
	s_mov_b32 s18, exec_lo
	v_cmpx_gt_u32_e64 s12, v59
	s_cbranch_execnz .LBB904_99
.LBB904_22:                             ;   in Loop: Header=BB904_6 Depth=1
	s_wait_alu 0xfffe
	s_or_b32 exec_lo, exec_lo, s18
	s_delay_alu instid0(SALU_CYCLE_1)
	s_mov_b32 s18, exec_lo
	v_cmpx_gt_u32_e64 s12, v60
	s_cbranch_execz .LBB904_24
.LBB904_23:                             ;   in Loop: Header=BB904_6 Depth=1
	global_load_b32 v2, v[20:21], off offset:1920
	s_wait_loadcnt 0x0
	v_cmp_ne_u32_e32 vcc_lo, 0, v2
	s_wait_alu 0xfffd
	v_cndmask_b32_e64 v17, 0, 1, vcc_lo
.LBB904_24:                             ;   in Loop: Header=BB904_6 Depth=1
	s_wait_alu 0xfffe
	s_or_b32 exec_lo, exec_lo, s18
	ds_store_b32 v61, v0
	ds_store_b32 v62, v3 offset:128
	ds_store_b32 v63, v4 offset:256
	;; [unrolled: 1-line block ×15, first 2 shown]
	; wave barrier
	ds_load_2addr_b32 v[6:7], v77 offset1:1
	ds_load_2addr_b32 v[8:9], v77 offset0:2 offset1:3
	ds_load_2addr_b32 v[10:11], v77 offset0:4 offset1:5
	;; [unrolled: 1-line block ×7, first 2 shown]
	s_mov_b32 s18, 0
.LBB904_25:                             ;   in Loop: Header=BB904_6 Depth=1
	s_wait_alu 0xfffe
	s_and_b32 vcc_lo, exec_lo, s18
	s_wait_alu 0xfffe
	s_cbranch_vccz .LBB904_27
; %bb.26:                               ;   in Loop: Header=BB904_6 Depth=1
	global_load_b32 v0, v[20:21], off
	s_wait_dscnt 0x0
	s_clause 0xe
	global_load_b32 v2, v[20:21], off offset:128
	global_load_b32 v3, v[20:21], off offset:256
	;; [unrolled: 1-line block ×15, first 2 shown]
	s_wait_loadcnt 0xf
	v_cmp_ne_u32_e32 vcc_lo, 0, v0
	s_wait_alu 0xfffd
	v_cndmask_b32_e64 v0, 0, 1, vcc_lo
	s_wait_loadcnt 0xe
	v_cmp_ne_u32_e32 vcc_lo, 0, v2
	s_wait_alu 0xfffd
	v_cndmask_b32_e64 v2, 0, 1, vcc_lo
	;; [unrolled: 4-line block ×16, first 2 shown]
	ds_store_b32 v61, v0
	ds_store_b32 v62, v2 offset:128
	ds_store_b32 v63, v3 offset:256
	;; [unrolled: 1-line block ×15, first 2 shown]
	; wave barrier
	ds_load_2addr_b32 v[6:7], v77 offset1:1
	ds_load_2addr_b32 v[8:9], v77 offset0:2 offset1:3
	ds_load_2addr_b32 v[10:11], v77 offset0:4 offset1:5
	;; [unrolled: 1-line block ×7, first 2 shown]
.LBB904_27:                             ;   in Loop: Header=BB904_6 Depth=1
	s_wait_dscnt 0x7
	v_add_nc_u32_e32 v0, v7, v6
	s_wait_dscnt 0x0
	s_barrier_signal -1
	s_barrier_wait -1
	global_inv scope:SCOPE_SE
	v_add3_u32 v0, v0, v8, v9
	s_delay_alu instid0(VALU_DEP_1) | instskip(NEXT) | instid1(VALU_DEP_1)
	v_add3_u32 v0, v0, v10, v11
	v_add3_u32 v0, v0, v14, v15
	s_delay_alu instid0(VALU_DEP_1) | instskip(NEXT) | instid1(VALU_DEP_1)
	v_add3_u32 v0, v0, v16, v17
	;; [unrolled: 3-line block ×3, first 2 shown]
	v_add3_u32 v0, v0, v2, v3
	s_delay_alu instid0(VALU_DEP_1) | instskip(NEXT) | instid1(VALU_DEP_1)
	v_mov_b32_dpp v22, v0 row_shr:1 row_mask:0xf bank_mask:0xf
	v_cndmask_b32_e64 v22, v22, 0, s2
	s_delay_alu instid0(VALU_DEP_1) | instskip(NEXT) | instid1(VALU_DEP_1)
	v_add_nc_u32_e32 v0, v0, v22
	v_mov_b32_dpp v22, v0 row_shr:2 row_mask:0xf bank_mask:0xf
	s_delay_alu instid0(VALU_DEP_1) | instskip(NEXT) | instid1(VALU_DEP_1)
	v_cndmask_b32_e64 v22, 0, v22, s3
	v_add_nc_u32_e32 v0, v0, v22
	s_delay_alu instid0(VALU_DEP_1) | instskip(NEXT) | instid1(VALU_DEP_1)
	v_mov_b32_dpp v22, v0 row_shr:4 row_mask:0xf bank_mask:0xf
	v_cndmask_b32_e64 v22, 0, v22, s4
	s_delay_alu instid0(VALU_DEP_1) | instskip(NEXT) | instid1(VALU_DEP_1)
	v_add_nc_u32_e32 v0, v0, v22
	v_mov_b32_dpp v22, v0 row_shr:8 row_mask:0xf bank_mask:0xf
	s_delay_alu instid0(VALU_DEP_1) | instskip(NEXT) | instid1(VALU_DEP_1)
	v_cndmask_b32_e64 v22, 0, v22, s5
	v_add_nc_u32_e32 v0, v0, v22
	ds_swizzle_b32 v22, v0 offset:swizzle(BROADCAST,32,15)
	s_wait_dscnt 0x0
	v_cndmask_b32_e64 v22, v22, 0, s6
	s_delay_alu instid0(VALU_DEP_1)
	v_add_nc_u32_e32 v0, v0, v22
	s_and_saveexec_b32 s18, s7
; %bb.28:                               ;   in Loop: Header=BB904_6 Depth=1
	ds_store_b32 v24, v0
; %bb.29:                               ;   in Loop: Header=BB904_6 Depth=1
	s_wait_alu 0xfffe
	s_or_b32 exec_lo, exec_lo, s18
	s_wait_loadcnt_dscnt 0x0
	s_barrier_signal -1
	s_barrier_wait -1
	global_inv scope:SCOPE_SE
	s_and_saveexec_b32 s18, s9
	s_cbranch_execz .LBB904_31
; %bb.30:                               ;   in Loop: Header=BB904_6 Depth=1
	ds_load_b32 v22, v25
	s_wait_dscnt 0x0
	v_mov_b32_dpp v23, v22 row_shr:1 row_mask:0xf bank_mask:0xf
	s_delay_alu instid0(VALU_DEP_1) | instskip(NEXT) | instid1(VALU_DEP_1)
	v_cndmask_b32_e64 v23, v23, 0, s2
	v_add_nc_u32_e32 v22, v23, v22
	s_delay_alu instid0(VALU_DEP_1) | instskip(NEXT) | instid1(VALU_DEP_1)
	v_mov_b32_dpp v23, v22 row_shr:2 row_mask:0xf bank_mask:0xf
	v_cndmask_b32_e64 v23, 0, v23, s3
	s_delay_alu instid0(VALU_DEP_1) | instskip(NEXT) | instid1(VALU_DEP_1)
	v_add_nc_u32_e32 v22, v22, v23
	v_mov_b32_dpp v23, v22 row_shr:4 row_mask:0xf bank_mask:0xf
	s_delay_alu instid0(VALU_DEP_1) | instskip(NEXT) | instid1(VALU_DEP_1)
	v_cndmask_b32_e64 v23, 0, v23, s4
	v_add_nc_u32_e32 v22, v22, v23
	s_delay_alu instid0(VALU_DEP_1) | instskip(NEXT) | instid1(VALU_DEP_1)
	v_mov_b32_dpp v23, v22 row_shr:8 row_mask:0xf bank_mask:0xf
	v_cndmask_b32_e64 v23, 0, v23, s5
	s_delay_alu instid0(VALU_DEP_1)
	v_add_nc_u32_e32 v22, v22, v23
	ds_store_b32 v25, v22
.LBB904_31:                             ;   in Loop: Header=BB904_6 Depth=1
	s_wait_alu 0xfffe
	s_or_b32 exec_lo, exec_lo, s18
	v_mov_b32_e32 v22, 0
	s_wait_loadcnt_dscnt 0x0
	s_barrier_signal -1
	s_barrier_wait -1
	global_inv scope:SCOPE_SE
	s_and_saveexec_b32 s18, s10
; %bb.32:                               ;   in Loop: Header=BB904_6 Depth=1
	ds_load_b32 v22, v26
; %bb.33:                               ;   in Loop: Header=BB904_6 Depth=1
	s_wait_alu 0xfffe
	s_or_b32 exec_lo, exec_lo, s18
	s_wait_dscnt 0x0
	v_add_nc_u32_e32 v0, v22, v0
	ds_bpermute_b32 v0, v27, v0
	s_and_saveexec_b32 s18, s11
	s_cbranch_execz .LBB904_35
; %bb.34:                               ;   in Loop: Header=BB904_6 Depth=1
	ds_load_b32 v23, v1 offset:60
	s_wait_dscnt 0x0
	ds_store_b32 v1, v23 offset:33792
.LBB904_35:                             ;   in Loop: Header=BB904_6 Depth=1
	s_wait_alu 0xfffe
	s_or_b32 exec_lo, exec_lo, s18
	s_wait_dscnt 0x0
	v_cndmask_b32_e64 v0, v0, v22, s8
	s_wait_loadcnt 0x0
	s_barrier_signal -1
	s_barrier_wait -1
	global_inv scope:SCOPE_SE
	v_cndmask_b32_e64 v22, v0, 0, s11
	ds_store_2addr_b32 v28, v6, v7 offset1:1
	ds_store_2addr_b32 v28, v8, v9 offset0:2 offset1:3
	ds_store_2addr_b32 v28, v10, v11 offset0:4 offset1:5
	;; [unrolled: 1-line block ×7, first 2 shown]
	s_wait_loadcnt_dscnt 0x0
	s_barrier_signal -1
	v_add_nc_u32_e32 v23, v22, v6
	s_barrier_wait -1
	global_inv scope:SCOPE_SE
	s_mov_b32 s18, exec_lo
	v_add_nc_u32_e32 v91, v23, v7
	s_delay_alu instid0(VALU_DEP_1) | instskip(NEXT) | instid1(VALU_DEP_1)
	v_add_nc_u32_e32 v92, v91, v8
	v_add_nc_u32_e32 v93, v92, v9
	s_delay_alu instid0(VALU_DEP_1) | instskip(NEXT) | instid1(VALU_DEP_1)
	v_add_nc_u32_e32 v94, v93, v10
	;; [unrolled: 3-line block ×4, first 2 shown]
	v_add_nc_u32_e32 v6, v98, v17
	ds_load_b32 v99, v29
	ds_load_b32 v17, v30 offset:2048
	ds_load_b32 v90, v31 offset:4096
	;; [unrolled: 1-line block ×15, first 2 shown]
	s_wait_loadcnt_dscnt 0x0
	s_barrier_signal -1
	v_add_nc_u32_e32 v3, v6, v12
	s_barrier_wait -1
	global_inv scope:SCOPE_SE
	v_add_nc_u32_e32 v7, v3, v13
	s_delay_alu instid0(VALU_DEP_1) | instskip(NEXT) | instid1(VALU_DEP_1)
	v_add_nc_u32_e32 v4, v7, v4
	v_add_nc_u32_e32 v5, v4, v5
	s_delay_alu instid0(VALU_DEP_1)
	v_add_nc_u32_e32 v2, v5, v2
	ds_store_2addr_b32 v28, v22, v23 offset1:1
	ds_store_2addr_b32 v28, v91, v92 offset0:2 offset1:3
	ds_store_2addr_b32 v28, v93, v94 offset0:4 offset1:5
	;; [unrolled: 1-line block ×7, first 2 shown]
	s_wait_loadcnt_dscnt 0x0
	s_barrier_signal -1
	s_barrier_wait -1
	global_inv scope:SCOPE_SE
	ds_load_b32 v16, v30 offset:2048
	ds_load_b32 v15, v31 offset:4096
	;; [unrolled: 1-line block ×15, first 2 shown]
	v_cmpx_ne_u32_e32 0, v99
	s_cbranch_execz .LBB904_38
; %bb.36:                               ;   in Loop: Header=BB904_6 Depth=1
	ds_load_b32 v22, v29
	s_wait_dscnt 0x0
	v_ashrrev_i32_e32 v23, 31, v22
	s_delay_alu instid0(VALU_DEP_1)
	v_cmp_gt_i64_e32 vcc_lo, s[16:17], v[22:23]
	s_and_b32 exec_lo, exec_lo, vcc_lo
	s_cbranch_execz .LBB904_38
; %bb.37:                               ;   in Loop: Header=BB904_6 Depth=1
	v_lshlrev_b64_e32 v[22:23], 3, v[22:23]
	s_delay_alu instid0(VALU_DEP_1) | instskip(SKIP_1) | instid1(VALU_DEP_2)
	v_add_co_u32 v22, vcc_lo, s14, v22
	s_wait_alu 0xfffd
	v_add_co_ci_u32_e64 v23, null, s15, v23, vcc_lo
	global_store_b64 v[22:23], v[18:19], off
.LBB904_38:                             ;   in Loop: Header=BB904_6 Depth=1
	s_wait_alu 0xfffe
	s_or_b32 exec_lo, exec_lo, s18
	s_delay_alu instid0(SALU_CYCLE_1)
	s_mov_b32 s18, exec_lo
	v_cmpx_ne_u32_e32 0, v17
	s_cbranch_execz .LBB904_41
; %bb.39:                               ;   in Loop: Header=BB904_6 Depth=1
	s_wait_dscnt 0xe
	v_ashrrev_i32_e32 v17, 31, v16
	s_delay_alu instid0(VALU_DEP_1)
	v_cmp_gt_i64_e32 vcc_lo, s[16:17], v[16:17]
	s_and_b32 exec_lo, exec_lo, vcc_lo
	s_cbranch_execz .LBB904_41
; %bb.40:                               ;   in Loop: Header=BB904_6 Depth=1
	s_load_b32 s19, s[0:1], 0xc
	v_lshlrev_b64_e32 v[16:17], 3, v[16:17]
	s_wait_kmcnt 0x0
	s_and_b32 s19, s19, 0xffff
	s_wait_alu 0xfffe
	v_add_co_u32 v22, vcc_lo, v18, s19
	s_wait_alu 0xfffd
	v_add_co_ci_u32_e64 v23, null, 0, v19, vcc_lo
	v_add_co_u32 v16, vcc_lo, s14, v16
	s_wait_alu 0xfffd
	v_add_co_ci_u32_e64 v17, null, s15, v17, vcc_lo
	global_store_b64 v[16:17], v[22:23], off
.LBB904_41:                             ;   in Loop: Header=BB904_6 Depth=1
	s_wait_alu 0xfffe
	s_or_b32 exec_lo, exec_lo, s18
	s_delay_alu instid0(SALU_CYCLE_1)
	s_mov_b32 s18, exec_lo
	v_cmpx_ne_u32_e32 0, v90
	s_cbranch_execz .LBB904_44
; %bb.42:                               ;   in Loop: Header=BB904_6 Depth=1
	s_wait_dscnt 0xd
	v_ashrrev_i32_e32 v16, 31, v15
	s_delay_alu instid0(VALU_DEP_1)
	v_cmp_gt_i64_e32 vcc_lo, s[16:17], v[15:16]
	s_and_b32 exec_lo, exec_lo, vcc_lo
	s_cbranch_execz .LBB904_44
; %bb.43:                               ;   in Loop: Header=BB904_6 Depth=1
	s_load_b32 s19, s[0:1], 0xc
	v_lshlrev_b64_e32 v[15:16], 3, v[15:16]
	s_wait_kmcnt 0x0
	s_and_b32 s19, s19, 0xffff
	s_wait_alu 0xfffe
	s_lshl_b32 s19, s19, 1
	s_wait_alu 0xfffe
	v_add_co_u32 v22, vcc_lo, v18, s19
	s_wait_alu 0xfffd
	v_add_co_ci_u32_e64 v23, null, 0, v19, vcc_lo
	v_add_co_u32 v15, vcc_lo, s14, v15
	s_wait_alu 0xfffd
	v_add_co_ci_u32_e64 v16, null, s15, v16, vcc_lo
	global_store_b64 v[15:16], v[22:23], off
.LBB904_44:                             ;   in Loop: Header=BB904_6 Depth=1
	s_wait_alu 0xfffe
	s_or_b32 exec_lo, exec_lo, s18
	s_delay_alu instid0(SALU_CYCLE_1)
	s_mov_b32 s18, exec_lo
	v_cmpx_ne_u32_e32 0, v89
	s_cbranch_execz .LBB904_47
; %bb.45:                               ;   in Loop: Header=BB904_6 Depth=1
	s_wait_dscnt 0xc
	v_ashrrev_i32_e32 v15, 31, v14
	s_delay_alu instid0(VALU_DEP_1)
	v_cmp_gt_i64_e32 vcc_lo, s[16:17], v[14:15]
	s_and_b32 exec_lo, exec_lo, vcc_lo
	s_cbranch_execz .LBB904_47
; %bb.46:                               ;   in Loop: Header=BB904_6 Depth=1
	s_load_b32 s19, s[0:1], 0xc
	v_lshlrev_b64_e32 v[14:15], 3, v[14:15]
	s_wait_kmcnt 0x0
	s_and_b32 s19, s19, 0xffff
	s_wait_alu 0xfffe
	s_mul_i32 s19, s19, 3
	s_wait_alu 0xfffe
	v_add_co_u32 v16, vcc_lo, v18, s19
	s_wait_alu 0xfffd
	v_add_co_ci_u32_e64 v17, null, 0, v19, vcc_lo
	v_add_co_u32 v14, vcc_lo, s14, v14
	s_wait_alu 0xfffd
	v_add_co_ci_u32_e64 v15, null, s15, v15, vcc_lo
	global_store_b64 v[14:15], v[16:17], off
.LBB904_47:                             ;   in Loop: Header=BB904_6 Depth=1
	s_wait_alu 0xfffe
	s_or_b32 exec_lo, exec_lo, s18
	s_delay_alu instid0(SALU_CYCLE_1)
	s_mov_b32 s18, exec_lo
	v_cmpx_ne_u32_e32 0, v88
	s_cbranch_execz .LBB904_50
; %bb.48:                               ;   in Loop: Header=BB904_6 Depth=1
	s_wait_dscnt 0xb
	v_ashrrev_i32_e32 v14, 31, v13
	s_delay_alu instid0(VALU_DEP_1)
	v_cmp_gt_i64_e32 vcc_lo, s[16:17], v[13:14]
	s_and_b32 exec_lo, exec_lo, vcc_lo
	s_cbranch_execz .LBB904_50
; %bb.49:                               ;   in Loop: Header=BB904_6 Depth=1
	s_load_b32 s19, s[0:1], 0xc
	v_lshlrev_b64_e32 v[13:14], 3, v[13:14]
	s_wait_kmcnt 0x0
	s_and_b32 s19, s19, 0xffff
	s_wait_alu 0xfffe
	s_lshl_b32 s19, s19, 2
	s_wait_alu 0xfffe
	v_add_co_u32 v15, vcc_lo, v18, s19
	s_wait_alu 0xfffd
	v_add_co_ci_u32_e64 v16, null, 0, v19, vcc_lo
	v_add_co_u32 v13, vcc_lo, s14, v13
	s_wait_alu 0xfffd
	v_add_co_ci_u32_e64 v14, null, s15, v14, vcc_lo
	global_store_b64 v[13:14], v[15:16], off
.LBB904_50:                             ;   in Loop: Header=BB904_6 Depth=1
	s_wait_alu 0xfffe
	s_or_b32 exec_lo, exec_lo, s18
	s_delay_alu instid0(SALU_CYCLE_1)
	s_mov_b32 s18, exec_lo
	v_cmpx_ne_u32_e32 0, v87
	s_cbranch_execz .LBB904_53
; %bb.51:                               ;   in Loop: Header=BB904_6 Depth=1
	s_wait_dscnt 0xa
	v_ashrrev_i32_e32 v13, 31, v12
	s_delay_alu instid0(VALU_DEP_1)
	v_cmp_gt_i64_e32 vcc_lo, s[16:17], v[12:13]
	s_and_b32 exec_lo, exec_lo, vcc_lo
	s_cbranch_execz .LBB904_53
; %bb.52:                               ;   in Loop: Header=BB904_6 Depth=1
	s_load_b32 s19, s[0:1], 0xc
	v_lshlrev_b64_e32 v[12:13], 3, v[12:13]
	s_wait_kmcnt 0x0
	s_and_b32 s19, s19, 0xffff
	s_wait_alu 0xfffe
	s_mul_i32 s19, s19, 5
	s_wait_alu 0xfffe
	v_add_co_u32 v14, vcc_lo, v18, s19
	s_wait_alu 0xfffd
	v_add_co_ci_u32_e64 v15, null, 0, v19, vcc_lo
	v_add_co_u32 v12, vcc_lo, s14, v12
	s_wait_alu 0xfffd
	v_add_co_ci_u32_e64 v13, null, s15, v13, vcc_lo
	global_store_b64 v[12:13], v[14:15], off
.LBB904_53:                             ;   in Loop: Header=BB904_6 Depth=1
	s_wait_alu 0xfffe
	s_or_b32 exec_lo, exec_lo, s18
	s_delay_alu instid0(SALU_CYCLE_1)
	s_mov_b32 s18, exec_lo
	v_cmpx_ne_u32_e32 0, v86
	s_cbranch_execz .LBB904_56
; %bb.54:                               ;   in Loop: Header=BB904_6 Depth=1
	s_wait_dscnt 0x9
	v_ashrrev_i32_e32 v12, 31, v11
	s_delay_alu instid0(VALU_DEP_1)
	v_cmp_gt_i64_e32 vcc_lo, s[16:17], v[11:12]
	s_and_b32 exec_lo, exec_lo, vcc_lo
	s_cbranch_execz .LBB904_56
; %bb.55:                               ;   in Loop: Header=BB904_6 Depth=1
	s_load_b32 s19, s[0:1], 0xc
	v_lshlrev_b64_e32 v[11:12], 3, v[11:12]
	s_wait_kmcnt 0x0
	s_and_b32 s19, s19, 0xffff
	s_wait_alu 0xfffe
	s_mul_i32 s19, s19, 6
	s_wait_alu 0xfffe
	v_add_co_u32 v13, vcc_lo, v18, s19
	s_wait_alu 0xfffd
	v_add_co_ci_u32_e64 v14, null, 0, v19, vcc_lo
	v_add_co_u32 v11, vcc_lo, s14, v11
	s_wait_alu 0xfffd
	v_add_co_ci_u32_e64 v12, null, s15, v12, vcc_lo
	global_store_b64 v[11:12], v[13:14], off
.LBB904_56:                             ;   in Loop: Header=BB904_6 Depth=1
	;; [unrolled: 29-line block ×3, first 2 shown]
	s_wait_alu 0xfffe
	s_or_b32 exec_lo, exec_lo, s18
	s_delay_alu instid0(SALU_CYCLE_1)
	s_mov_b32 s18, exec_lo
	v_cmpx_ne_u32_e32 0, v84
	s_cbranch_execz .LBB904_62
; %bb.60:                               ;   in Loop: Header=BB904_6 Depth=1
	s_wait_dscnt 0x7
	v_ashrrev_i32_e32 v10, 31, v9
	s_delay_alu instid0(VALU_DEP_1)
	v_cmp_gt_i64_e32 vcc_lo, s[16:17], v[9:10]
	s_and_b32 exec_lo, exec_lo, vcc_lo
	s_cbranch_execz .LBB904_62
; %bb.61:                               ;   in Loop: Header=BB904_6 Depth=1
	s_load_b32 s19, s[0:1], 0xc
	v_lshlrev_b64_e32 v[9:10], 3, v[9:10]
	s_wait_kmcnt 0x0
	s_and_b32 s19, s19, 0xffff
	s_wait_alu 0xfffe
	s_lshl_b32 s19, s19, 3
	s_wait_alu 0xfffe
	v_add_co_u32 v11, vcc_lo, v18, s19
	s_wait_alu 0xfffd
	v_add_co_ci_u32_e64 v12, null, 0, v19, vcc_lo
	v_add_co_u32 v9, vcc_lo, s14, v9
	s_wait_alu 0xfffd
	v_add_co_ci_u32_e64 v10, null, s15, v10, vcc_lo
	global_store_b64 v[9:10], v[11:12], off
.LBB904_62:                             ;   in Loop: Header=BB904_6 Depth=1
	s_wait_alu 0xfffe
	s_or_b32 exec_lo, exec_lo, s18
	s_delay_alu instid0(SALU_CYCLE_1)
	s_mov_b32 s18, exec_lo
	v_cmpx_ne_u32_e32 0, v83
	s_cbranch_execz .LBB904_65
; %bb.63:                               ;   in Loop: Header=BB904_6 Depth=1
	s_wait_dscnt 0x6
	v_ashrrev_i32_e32 v9, 31, v8
	s_delay_alu instid0(VALU_DEP_1)
	v_cmp_gt_i64_e32 vcc_lo, s[16:17], v[8:9]
	s_and_b32 exec_lo, exec_lo, vcc_lo
	s_cbranch_execz .LBB904_65
; %bb.64:                               ;   in Loop: Header=BB904_6 Depth=1
	s_load_b32 s19, s[0:1], 0xc
	v_lshlrev_b64_e32 v[8:9], 3, v[8:9]
	s_wait_kmcnt 0x0
	s_and_b32 s19, s19, 0xffff
	s_wait_alu 0xfffe
	s_mul_i32 s19, s19, 9
	s_wait_alu 0xfffe
	v_add_co_u32 v10, vcc_lo, v18, s19
	s_wait_alu 0xfffd
	v_add_co_ci_u32_e64 v11, null, 0, v19, vcc_lo
	v_add_co_u32 v8, vcc_lo, s14, v8
	s_wait_alu 0xfffd
	v_add_co_ci_u32_e64 v9, null, s15, v9, vcc_lo
	global_store_b64 v[8:9], v[10:11], off
.LBB904_65:                             ;   in Loop: Header=BB904_6 Depth=1
	s_wait_alu 0xfffe
	s_or_b32 exec_lo, exec_lo, s18
	s_delay_alu instid0(SALU_CYCLE_1)
	s_mov_b32 s18, exec_lo
	v_cmpx_ne_u32_e32 0, v82
	s_cbranch_execz .LBB904_68
; %bb.66:                               ;   in Loop: Header=BB904_6 Depth=1
	s_wait_dscnt 0x5
	v_ashrrev_i32_e32 v8, 31, v7
	s_delay_alu instid0(VALU_DEP_1)
	v_cmp_gt_i64_e32 vcc_lo, s[16:17], v[7:8]
	s_and_b32 exec_lo, exec_lo, vcc_lo
	s_cbranch_execz .LBB904_68
; %bb.67:                               ;   in Loop: Header=BB904_6 Depth=1
	s_load_b32 s19, s[0:1], 0xc
	v_lshlrev_b64_e32 v[7:8], 3, v[7:8]
	s_wait_kmcnt 0x0
	s_and_b32 s19, s19, 0xffff
	s_wait_alu 0xfffe
	s_mul_i32 s19, s19, 10
	s_wait_alu 0xfffe
	v_add_co_u32 v9, vcc_lo, v18, s19
	s_wait_alu 0xfffd
	v_add_co_ci_u32_e64 v10, null, 0, v19, vcc_lo
	v_add_co_u32 v7, vcc_lo, s14, v7
	s_wait_alu 0xfffd
	v_add_co_ci_u32_e64 v8, null, s15, v8, vcc_lo
	global_store_b64 v[7:8], v[9:10], off
.LBB904_68:                             ;   in Loop: Header=BB904_6 Depth=1
	;; [unrolled: 29-line block ×7, first 2 shown]
	s_wait_alu 0xfffe
	s_or_b32 exec_lo, exec_lo, s18
	ds_load_b32 v0, v1 offset:33792
	v_cmp_lt_i64_e64 s22, 0x2000, s[12:13]
	s_wait_dscnt 0x0
	v_readfirstlane_b32 s18, v0
	s_ashr_i32 s19, s18, 31
	s_wait_alu 0xfffe
	s_sub_nc_u64 s[16:17], s[16:17], s[18:19]
	s_wait_alu 0xfffe
	v_cmp_gt_i64_e64 s23, s[16:17], 0
	s_and_b32 s22, s22, s23
	s_wait_alu 0xfffe
	s_and_not1_b32 vcc_lo, exec_lo, s22
	s_wait_alu 0xfffe
	s_cbranch_vccz .LBB904_5
; %bb.84:
                                        ; implicit-def: $sgpr12_sgpr13
                                        ; implicit-def: $sgpr14_sgpr15
                                        ; implicit-def: $vgpr18_vgpr19
                                        ; implicit-def: $sgpr26
                                        ; implicit-def: $vgpr20_vgpr21
	s_branch .LBB904_100
.LBB904_85:                             ;   in Loop: Header=BB904_6 Depth=1
	global_load_b32 v0, v[20:21], off
	v_dual_mov_b32 v14, v1 :: v_dual_mov_b32 v15, v1
	v_dual_mov_b32 v2, v1 :: v_dual_mov_b32 v3, v1
	;; [unrolled: 1-line block ×7, first 2 shown]
	s_wait_loadcnt 0x0
	v_mov_b32_e32 v17, v15
	s_delay_alu instid0(VALU_DEP_2) | instskip(NEXT) | instid1(VALU_DEP_3)
	v_dual_mov_b32 v16, v14 :: v_dual_mov_b32 v15, v13
	v_mov_b32_e32 v14, v12
	v_mov_b32_e32 v13, v11
	;; [unrolled: 1-line block ×12, first 2 shown]
	v_cmp_ne_u32_e32 vcc_lo, 0, v0
	v_mov_b32_e32 v2, v0
	s_wait_alu 0xfffd
	v_cndmask_b32_e64 v0, 0, 1, vcc_lo
	s_wait_alu 0xfffe
	s_or_b32 exec_lo, exec_lo, s18
	s_delay_alu instid0(SALU_CYCLE_1)
	s_mov_b32 s18, exec_lo
	v_cmpx_gt_u32_e64 s12, v46
	s_cbranch_execz .LBB904_9
.LBB904_86:                             ;   in Loop: Header=BB904_6 Depth=1
	global_load_b32 v2, v[20:21], off offset:128
	s_wait_loadcnt 0x0
	v_cmp_ne_u32_e32 vcc_lo, 0, v2
	s_wait_alu 0xfffd
	v_cndmask_b32_e64 v3, 0, 1, vcc_lo
	s_wait_alu 0xfffe
	s_or_b32 exec_lo, exec_lo, s18
	s_delay_alu instid0(SALU_CYCLE_1)
	s_mov_b32 s18, exec_lo
	v_cmpx_gt_u32_e64 s12, v47
	s_cbranch_execz .LBB904_10
.LBB904_87:                             ;   in Loop: Header=BB904_6 Depth=1
	global_load_b32 v2, v[20:21], off offset:256
	s_wait_loadcnt 0x0
	v_cmp_ne_u32_e32 vcc_lo, 0, v2
	s_wait_alu 0xfffd
	v_cndmask_b32_e64 v4, 0, 1, vcc_lo
	s_wait_alu 0xfffe
	s_or_b32 exec_lo, exec_lo, s18
	s_delay_alu instid0(SALU_CYCLE_1)
	s_mov_b32 s18, exec_lo
	v_cmpx_gt_u32_e64 s12, v48
	s_cbranch_execz .LBB904_11
.LBB904_88:                             ;   in Loop: Header=BB904_6 Depth=1
	global_load_b32 v2, v[20:21], off offset:384
	s_wait_loadcnt 0x0
	v_cmp_ne_u32_e32 vcc_lo, 0, v2
	s_wait_alu 0xfffd
	v_cndmask_b32_e64 v5, 0, 1, vcc_lo
	s_wait_alu 0xfffe
	s_or_b32 exec_lo, exec_lo, s18
	s_delay_alu instid0(SALU_CYCLE_1)
	s_mov_b32 s18, exec_lo
	v_cmpx_gt_u32_e64 s12, v49
	s_cbranch_execz .LBB904_12
.LBB904_89:                             ;   in Loop: Header=BB904_6 Depth=1
	global_load_b32 v2, v[20:21], off offset:512
	s_wait_loadcnt 0x0
	v_cmp_ne_u32_e32 vcc_lo, 0, v2
	s_wait_alu 0xfffd
	v_cndmask_b32_e64 v6, 0, 1, vcc_lo
	s_wait_alu 0xfffe
	s_or_b32 exec_lo, exec_lo, s18
	s_delay_alu instid0(SALU_CYCLE_1)
	s_mov_b32 s18, exec_lo
	v_cmpx_gt_u32_e64 s12, v50
	s_cbranch_execz .LBB904_13
.LBB904_90:                             ;   in Loop: Header=BB904_6 Depth=1
	global_load_b32 v2, v[20:21], off offset:640
	s_wait_loadcnt 0x0
	v_cmp_ne_u32_e32 vcc_lo, 0, v2
	s_wait_alu 0xfffd
	v_cndmask_b32_e64 v7, 0, 1, vcc_lo
	s_wait_alu 0xfffe
	s_or_b32 exec_lo, exec_lo, s18
	s_delay_alu instid0(SALU_CYCLE_1)
	s_mov_b32 s18, exec_lo
	v_cmpx_gt_u32_e64 s12, v51
	s_cbranch_execz .LBB904_14
.LBB904_91:                             ;   in Loop: Header=BB904_6 Depth=1
	global_load_b32 v2, v[20:21], off offset:768
	s_wait_loadcnt 0x0
	v_cmp_ne_u32_e32 vcc_lo, 0, v2
	s_wait_alu 0xfffd
	v_cndmask_b32_e64 v8, 0, 1, vcc_lo
	s_wait_alu 0xfffe
	s_or_b32 exec_lo, exec_lo, s18
	s_delay_alu instid0(SALU_CYCLE_1)
	s_mov_b32 s18, exec_lo
	v_cmpx_gt_u32_e64 s12, v52
	s_cbranch_execz .LBB904_15
.LBB904_92:                             ;   in Loop: Header=BB904_6 Depth=1
	global_load_b32 v2, v[20:21], off offset:896
	s_wait_loadcnt 0x0
	v_cmp_ne_u32_e32 vcc_lo, 0, v2
	s_wait_alu 0xfffd
	v_cndmask_b32_e64 v9, 0, 1, vcc_lo
	s_wait_alu 0xfffe
	s_or_b32 exec_lo, exec_lo, s18
	s_delay_alu instid0(SALU_CYCLE_1)
	s_mov_b32 s18, exec_lo
	v_cmpx_gt_u32_e64 s12, v53
	s_cbranch_execz .LBB904_16
.LBB904_93:                             ;   in Loop: Header=BB904_6 Depth=1
	global_load_b32 v2, v[20:21], off offset:1024
	s_wait_loadcnt 0x0
	v_cmp_ne_u32_e32 vcc_lo, 0, v2
	s_wait_alu 0xfffd
	v_cndmask_b32_e64 v10, 0, 1, vcc_lo
	s_wait_alu 0xfffe
	s_or_b32 exec_lo, exec_lo, s18
	s_delay_alu instid0(SALU_CYCLE_1)
	s_mov_b32 s18, exec_lo
	v_cmpx_gt_u32_e64 s12, v54
	s_cbranch_execz .LBB904_17
.LBB904_94:                             ;   in Loop: Header=BB904_6 Depth=1
	global_load_b32 v2, v[20:21], off offset:1152
	s_wait_loadcnt 0x0
	v_cmp_ne_u32_e32 vcc_lo, 0, v2
	s_wait_alu 0xfffd
	v_cndmask_b32_e64 v11, 0, 1, vcc_lo
	s_wait_alu 0xfffe
	s_or_b32 exec_lo, exec_lo, s18
	s_delay_alu instid0(SALU_CYCLE_1)
	s_mov_b32 s18, exec_lo
	v_cmpx_gt_u32_e64 s12, v55
	s_cbranch_execz .LBB904_18
.LBB904_95:                             ;   in Loop: Header=BB904_6 Depth=1
	global_load_b32 v2, v[20:21], off offset:1280
	s_wait_loadcnt 0x0
	v_cmp_ne_u32_e32 vcc_lo, 0, v2
	s_wait_alu 0xfffd
	v_cndmask_b32_e64 v12, 0, 1, vcc_lo
	s_wait_alu 0xfffe
	s_or_b32 exec_lo, exec_lo, s18
	s_delay_alu instid0(SALU_CYCLE_1)
	s_mov_b32 s18, exec_lo
	v_cmpx_gt_u32_e64 s12, v56
	s_cbranch_execz .LBB904_19
.LBB904_96:                             ;   in Loop: Header=BB904_6 Depth=1
	global_load_b32 v2, v[20:21], off offset:1408
	s_wait_loadcnt 0x0
	v_cmp_ne_u32_e32 vcc_lo, 0, v2
	s_wait_alu 0xfffd
	v_cndmask_b32_e64 v13, 0, 1, vcc_lo
	s_wait_alu 0xfffe
	s_or_b32 exec_lo, exec_lo, s18
	s_delay_alu instid0(SALU_CYCLE_1)
	s_mov_b32 s18, exec_lo
	v_cmpx_gt_u32_e64 s12, v57
	s_cbranch_execz .LBB904_20
.LBB904_97:                             ;   in Loop: Header=BB904_6 Depth=1
	global_load_b32 v2, v[20:21], off offset:1536
	s_wait_loadcnt 0x0
	v_cmp_ne_u32_e32 vcc_lo, 0, v2
	s_wait_alu 0xfffd
	v_cndmask_b32_e64 v14, 0, 1, vcc_lo
	s_wait_alu 0xfffe
	s_or_b32 exec_lo, exec_lo, s18
	s_delay_alu instid0(SALU_CYCLE_1)
	s_mov_b32 s18, exec_lo
	v_cmpx_gt_u32_e64 s12, v58
	s_cbranch_execz .LBB904_21
.LBB904_98:                             ;   in Loop: Header=BB904_6 Depth=1
	global_load_b32 v2, v[20:21], off offset:1664
	s_wait_loadcnt 0x0
	v_cmp_ne_u32_e32 vcc_lo, 0, v2
	s_wait_alu 0xfffd
	v_cndmask_b32_e64 v15, 0, 1, vcc_lo
	s_wait_alu 0xfffe
	s_or_b32 exec_lo, exec_lo, s18
	s_delay_alu instid0(SALU_CYCLE_1)
	s_mov_b32 s18, exec_lo
	v_cmpx_gt_u32_e64 s12, v59
	s_cbranch_execz .LBB904_22
.LBB904_99:                             ;   in Loop: Header=BB904_6 Depth=1
	global_load_b32 v2, v[20:21], off offset:1792
	s_wait_loadcnt 0x0
	v_cmp_ne_u32_e32 vcc_lo, 0, v2
	s_wait_alu 0xfffd
	v_cndmask_b32_e64 v16, 0, 1, vcc_lo
	s_wait_alu 0xfffe
	s_or_b32 exec_lo, exec_lo, s18
	s_delay_alu instid0(SALU_CYCLE_1)
	s_mov_b32 s18, exec_lo
	v_cmpx_gt_u32_e64 s12, v60
	s_cbranch_execnz .LBB904_23
	s_branch .LBB904_24
.LBB904_100:
	s_nop 0
	s_sendmsg sendmsg(MSG_DEALLOC_VGPRS)
	s_endpgm
	.section	.rodata,"a",@progbits
	.p2align	6, 0x0
	.amdhsa_kernel _ZN2at6native12_GLOBAL__N_111flag_kernelILi512ELi16EiEEvPKT1_PlPKllli
		.amdhsa_group_segment_fixed_size 33796
		.amdhsa_private_segment_fixed_size 0
		.amdhsa_kernarg_size 304
		.amdhsa_user_sgpr_count 2
		.amdhsa_user_sgpr_dispatch_ptr 0
		.amdhsa_user_sgpr_queue_ptr 0
		.amdhsa_user_sgpr_kernarg_segment_ptr 1
		.amdhsa_user_sgpr_dispatch_id 0
		.amdhsa_user_sgpr_private_segment_size 0
		.amdhsa_wavefront_size32 1
		.amdhsa_uses_dynamic_stack 0
		.amdhsa_enable_private_segment 0
		.amdhsa_system_sgpr_workgroup_id_x 1
		.amdhsa_system_sgpr_workgroup_id_y 0
		.amdhsa_system_sgpr_workgroup_id_z 0
		.amdhsa_system_sgpr_workgroup_info 0
		.amdhsa_system_vgpr_workitem_id 0
		.amdhsa_next_free_vgpr 100
		.amdhsa_next_free_sgpr 27
		.amdhsa_reserve_vcc 1
		.amdhsa_float_round_mode_32 0
		.amdhsa_float_round_mode_16_64 0
		.amdhsa_float_denorm_mode_32 3
		.amdhsa_float_denorm_mode_16_64 3
		.amdhsa_fp16_overflow 0
		.amdhsa_workgroup_processor_mode 1
		.amdhsa_memory_ordered 1
		.amdhsa_forward_progress 1
		.amdhsa_inst_pref_size 57
		.amdhsa_round_robin_scheduling 0
		.amdhsa_exception_fp_ieee_invalid_op 0
		.amdhsa_exception_fp_denorm_src 0
		.amdhsa_exception_fp_ieee_div_zero 0
		.amdhsa_exception_fp_ieee_overflow 0
		.amdhsa_exception_fp_ieee_underflow 0
		.amdhsa_exception_fp_ieee_inexact 0
		.amdhsa_exception_int_div_zero 0
	.end_amdhsa_kernel
	.section	.text._ZN2at6native12_GLOBAL__N_111flag_kernelILi512ELi16EiEEvPKT1_PlPKllli,"axG",@progbits,_ZN2at6native12_GLOBAL__N_111flag_kernelILi512ELi16EiEEvPKT1_PlPKllli,comdat
.Lfunc_end904:
	.size	_ZN2at6native12_GLOBAL__N_111flag_kernelILi512ELi16EiEEvPKT1_PlPKllli, .Lfunc_end904-_ZN2at6native12_GLOBAL__N_111flag_kernelILi512ELi16EiEEvPKT1_PlPKllli
                                        ; -- End function
	.set _ZN2at6native12_GLOBAL__N_111flag_kernelILi512ELi16EiEEvPKT1_PlPKllli.num_vgpr, 100
	.set _ZN2at6native12_GLOBAL__N_111flag_kernelILi512ELi16EiEEvPKT1_PlPKllli.num_agpr, 0
	.set _ZN2at6native12_GLOBAL__N_111flag_kernelILi512ELi16EiEEvPKT1_PlPKllli.numbered_sgpr, 27
	.set _ZN2at6native12_GLOBAL__N_111flag_kernelILi512ELi16EiEEvPKT1_PlPKllli.num_named_barrier, 0
	.set _ZN2at6native12_GLOBAL__N_111flag_kernelILi512ELi16EiEEvPKT1_PlPKllli.private_seg_size, 0
	.set _ZN2at6native12_GLOBAL__N_111flag_kernelILi512ELi16EiEEvPKT1_PlPKllli.uses_vcc, 1
	.set _ZN2at6native12_GLOBAL__N_111flag_kernelILi512ELi16EiEEvPKT1_PlPKllli.uses_flat_scratch, 0
	.set _ZN2at6native12_GLOBAL__N_111flag_kernelILi512ELi16EiEEvPKT1_PlPKllli.has_dyn_sized_stack, 0
	.set _ZN2at6native12_GLOBAL__N_111flag_kernelILi512ELi16EiEEvPKT1_PlPKllli.has_recursion, 0
	.set _ZN2at6native12_GLOBAL__N_111flag_kernelILi512ELi16EiEEvPKT1_PlPKllli.has_indirect_call, 0
	.section	.AMDGPU.csdata,"",@progbits
; Kernel info:
; codeLenInByte = 7220
; TotalNumSgprs: 29
; NumVgprs: 100
; ScratchSize: 0
; MemoryBound: 0
; FloatMode: 240
; IeeeMode: 1
; LDSByteSize: 33796 bytes/workgroup (compile time only)
; SGPRBlocks: 0
; VGPRBlocks: 12
; NumSGPRsForWavesPerEU: 29
; NumVGPRsForWavesPerEU: 100
; Occupancy: 12
; WaveLimiterHint : 1
; COMPUTE_PGM_RSRC2:SCRATCH_EN: 0
; COMPUTE_PGM_RSRC2:USER_SGPR: 2
; COMPUTE_PGM_RSRC2:TRAP_HANDLER: 0
; COMPUTE_PGM_RSRC2:TGID_X_EN: 1
; COMPUTE_PGM_RSRC2:TGID_Y_EN: 0
; COMPUTE_PGM_RSRC2:TGID_Z_EN: 0
; COMPUTE_PGM_RSRC2:TIDIG_COMP_CNT: 0
	.section	.text._ZN2at4cuda3cub15calc_block_sumsILi512ELi16ELb1EliEEvPKT2_PT3_li,"axG",@progbits,_ZN2at4cuda3cub15calc_block_sumsILi512ELi16ELb1EliEEvPKT2_PT3_li,comdat
	.protected	_ZN2at4cuda3cub15calc_block_sumsILi512ELi16ELb1EliEEvPKT2_PT3_li ; -- Begin function _ZN2at4cuda3cub15calc_block_sumsILi512ELi16ELb1EliEEvPKT2_PT3_li
	.globl	_ZN2at4cuda3cub15calc_block_sumsILi512ELi16ELb1EliEEvPKT2_PT3_li
	.p2align	8
	.type	_ZN2at4cuda3cub15calc_block_sumsILi512ELi16ELb1EliEEvPKT2_PT3_li,@function
_ZN2at4cuda3cub15calc_block_sumsILi512ELi16ELb1EliEEvPKT2_PT3_li: ; @_ZN2at4cuda3cub15calc_block_sumsILi512ELi16ELb1EliEEvPKT2_PT3_li
; %bb.0:
	s_load_b96 s[8:10], s[0:1], 0x10
	s_mov_b32 s2, ttmp9
	s_mov_b32 s3, 0
	s_wait_kmcnt 0x0
	s_lshl_b32 s4, s10, 13
	s_delay_alu instid0(SALU_CYCLE_1) | instskip(NEXT) | instid1(SALU_CYCLE_1)
	s_ashr_i32 s5, s4, 31
	s_mul_u64 s[12:13], s[4:5], s[2:3]
	s_delay_alu instid0(SALU_CYCLE_1) | instskip(NEXT) | instid1(SALU_CYCLE_1)
	s_sub_nc_u64 s[8:9], s[8:9], s[12:13]
	v_cmp_lt_i64_e64 s4, s[8:9], 1
	s_and_b32 vcc_lo, exec_lo, s4
	s_cbranch_vccnz .LBB905_58
; %bb.1:
	s_load_b128 s[4:7], s[0:1], 0x0
	s_mov_b32 s0, -1
	s_cmp_gt_i32 s10, 0
	s_mov_b32 s1, -1
	s_cbranch_scc1 .LBB905_3
; %bb.2:
	s_mov_b32 s1, 0
.LBB905_3:
	v_mov_b32_e32 v20, 0
	s_and_not1_b32 vcc_lo, exec_lo, s1
	s_cbranch_vccnz .LBB905_56
; %bb.4:
	v_lshrrev_b32_e32 v1, 3, v0
	s_lshl_b64 s[12:13], s[12:13], 3
	v_dual_mov_b32 v20, 0 :: v_dual_add_nc_u32 v21, 0x200, v0
	s_wait_kmcnt 0x0
	s_add_nc_u64 s[4:5], s[4:5], s[12:13]
	v_and_b32_e32 v36, 0x7c, v1
	v_lshlrev_b32_e32 v1, 3, v0
	v_or_b32_e32 v22, 0x400, v0
	v_add_nc_u32_e32 v23, 0x600, v0
	v_or_b32_e32 v24, 0x800, v0
	v_add_nc_u32_e32 v25, 0xa00, v0
	v_add_co_u32 v2, s1, s4, v1
	s_delay_alu instid0(VALU_DEP_1) | instskip(SKIP_1) | instid1(VALU_DEP_3)
	v_add_co_ci_u32_e64 v3, null, s5, 0, s1
	v_or_b32_e32 v26, 0xc00, v0
	v_add_co_u32 v18, vcc_lo, 0xf000, v2
	v_add_nc_u32_e32 v27, 0xe00, v0
	v_or_b32_e32 v28, 0x1000, v0
	v_add_nc_u32_e32 v29, 0x1200, v0
	v_or_b32_e32 v30, 0x1400, v0
	;; [unrolled: 2-line block ×4, first 2 shown]
	v_add_nc_u32_e32 v35, 0x1e00, v0
	v_cmp_gt_u32_e64 s0, 32, v0
	v_mov_b32_e32 v1, 0
	v_add_co_ci_u32_e64 v19, null, 0, v3, vcc_lo
	v_mbcnt_lo_u32_b32 v37, -1, 0
	s_movk_i32 s4, 0xe000
	s_mov_b32 s5, -1
	s_branch .LBB905_6
.LBB905_5:                              ;   in Loop: Header=BB905_6 Depth=1
	v_add_nc_u32_e32 v20, v2, v20
	s_and_not1_b32 vcc_lo, exec_lo, s11
	s_wait_alu 0xfffe
	s_cbranch_vccz .LBB905_52
.LBB905_6:                              ; =>This Inner Loop Header: Depth=1
	v_cmp_gt_i64_e64 s1, 0x2000, s[8:9]
                                        ; implicit-def: $vgpr2
	s_and_b32 vcc_lo, exec_lo, s1
	s_mov_b32 s1, -1
	s_wait_alu 0xfffe
	s_cbranch_vccz .LBB905_29
; %bb.7:                                ;   in Loop: Header=BB905_6 Depth=1
	v_mov_b32_e32 v16, v1
	v_dual_mov_b32 v2, v1 :: v_dual_mov_b32 v3, v1
	v_dual_mov_b32 v4, v1 :: v_dual_mov_b32 v5, v1
	;; [unrolled: 1-line block ×7, first 2 shown]
	v_mov_b32_e32 v17, v16
	s_delay_alu instid0(VALU_DEP_2) | instskip(NEXT) | instid1(VALU_DEP_3)
	v_mov_b32_e32 v16, v15
	v_mov_b32_e32 v15, v14
	;; [unrolled: 1-line block ×15, first 2 shown]
	s_mov_b32 s1, exec_lo
	v_cmpx_gt_u32_e64 s8, v0
	s_cbranch_execnz .LBB905_37
; %bb.8:                                ;   in Loop: Header=BB905_6 Depth=1
	s_wait_alu 0xfffe
	s_or_b32 exec_lo, exec_lo, s1
	s_delay_alu instid0(SALU_CYCLE_1)
	s_mov_b32 s1, exec_lo
	v_cmpx_gt_u32_e64 s8, v21
	s_cbranch_execnz .LBB905_38
.LBB905_9:                              ;   in Loop: Header=BB905_6 Depth=1
	s_wait_alu 0xfffe
	s_or_b32 exec_lo, exec_lo, s1
	s_delay_alu instid0(SALU_CYCLE_1)
	s_mov_b32 s1, exec_lo
	v_cmpx_gt_u32_e64 s8, v22
	s_cbranch_execnz .LBB905_39
.LBB905_10:                             ;   in Loop: Header=BB905_6 Depth=1
	s_wait_alu 0xfffe
	s_or_b32 exec_lo, exec_lo, s1
	s_delay_alu instid0(SALU_CYCLE_1)
	s_mov_b32 s1, exec_lo
	v_cmpx_gt_u32_e64 s8, v23
	s_cbranch_execnz .LBB905_40
.LBB905_11:                             ;   in Loop: Header=BB905_6 Depth=1
	s_wait_alu 0xfffe
	s_or_b32 exec_lo, exec_lo, s1
	s_delay_alu instid0(SALU_CYCLE_1)
	s_mov_b32 s1, exec_lo
	v_cmpx_gt_u32_e64 s8, v24
	s_cbranch_execnz .LBB905_41
.LBB905_12:                             ;   in Loop: Header=BB905_6 Depth=1
	s_wait_alu 0xfffe
	s_or_b32 exec_lo, exec_lo, s1
	s_delay_alu instid0(SALU_CYCLE_1)
	s_mov_b32 s1, exec_lo
	v_cmpx_gt_u32_e64 s8, v25
	s_cbranch_execnz .LBB905_42
.LBB905_13:                             ;   in Loop: Header=BB905_6 Depth=1
	s_wait_alu 0xfffe
	s_or_b32 exec_lo, exec_lo, s1
	s_delay_alu instid0(SALU_CYCLE_1)
	s_mov_b32 s1, exec_lo
	v_cmpx_gt_u32_e64 s8, v26
	s_cbranch_execnz .LBB905_43
.LBB905_14:                             ;   in Loop: Header=BB905_6 Depth=1
	s_wait_alu 0xfffe
	s_or_b32 exec_lo, exec_lo, s1
	s_delay_alu instid0(SALU_CYCLE_1)
	s_mov_b32 s1, exec_lo
	v_cmpx_gt_u32_e64 s8, v27
	s_cbranch_execnz .LBB905_44
.LBB905_15:                             ;   in Loop: Header=BB905_6 Depth=1
	s_wait_alu 0xfffe
	s_or_b32 exec_lo, exec_lo, s1
	s_delay_alu instid0(SALU_CYCLE_1)
	s_mov_b32 s1, exec_lo
	v_cmpx_gt_u32_e64 s8, v28
	s_cbranch_execnz .LBB905_45
.LBB905_16:                             ;   in Loop: Header=BB905_6 Depth=1
	s_wait_alu 0xfffe
	s_or_b32 exec_lo, exec_lo, s1
	s_delay_alu instid0(SALU_CYCLE_1)
	s_mov_b32 s1, exec_lo
	v_cmpx_gt_u32_e64 s8, v29
	s_cbranch_execnz .LBB905_46
.LBB905_17:                             ;   in Loop: Header=BB905_6 Depth=1
	s_wait_alu 0xfffe
	s_or_b32 exec_lo, exec_lo, s1
	s_delay_alu instid0(SALU_CYCLE_1)
	s_mov_b32 s1, exec_lo
	v_cmpx_gt_u32_e64 s8, v30
	s_cbranch_execnz .LBB905_47
.LBB905_18:                             ;   in Loop: Header=BB905_6 Depth=1
	s_wait_alu 0xfffe
	s_or_b32 exec_lo, exec_lo, s1
	s_delay_alu instid0(SALU_CYCLE_1)
	s_mov_b32 s1, exec_lo
	v_cmpx_gt_u32_e64 s8, v31
	s_cbranch_execnz .LBB905_48
.LBB905_19:                             ;   in Loop: Header=BB905_6 Depth=1
	s_wait_alu 0xfffe
	s_or_b32 exec_lo, exec_lo, s1
	s_delay_alu instid0(SALU_CYCLE_1)
	s_mov_b32 s1, exec_lo
	v_cmpx_gt_u32_e64 s8, v32
	s_cbranch_execnz .LBB905_49
.LBB905_20:                             ;   in Loop: Header=BB905_6 Depth=1
	s_wait_alu 0xfffe
	s_or_b32 exec_lo, exec_lo, s1
	s_delay_alu instid0(SALU_CYCLE_1)
	s_mov_b32 s1, exec_lo
	v_cmpx_gt_u32_e64 s8, v33
	s_cbranch_execnz .LBB905_50
.LBB905_21:                             ;   in Loop: Header=BB905_6 Depth=1
	s_wait_alu 0xfffe
	s_or_b32 exec_lo, exec_lo, s1
	s_delay_alu instid0(SALU_CYCLE_1)
	s_mov_b32 s1, exec_lo
	v_cmpx_gt_u32_e64 s8, v34
	s_cbranch_execnz .LBB905_51
.LBB905_22:                             ;   in Loop: Header=BB905_6 Depth=1
	s_wait_alu 0xfffe
	s_or_b32 exec_lo, exec_lo, s1
	s_delay_alu instid0(SALU_CYCLE_1)
	s_mov_b32 s1, exec_lo
	v_cmpx_gt_u32_e64 s8, v35
	s_cbranch_execz .LBB905_24
.LBB905_23:                             ;   in Loop: Header=BB905_6 Depth=1
	global_load_b64 v[38:39], v[18:19], off
	s_wait_loadcnt 0x0
	v_cmp_ne_u64_e32 vcc_lo, 0, v[38:39]
	s_wait_alu 0xfffd
	v_cndmask_b32_e64 v17, 0, 1, vcc_lo
.LBB905_24:                             ;   in Loop: Header=BB905_6 Depth=1
	s_wait_alu 0xfffe
	s_or_b32 exec_lo, exec_lo, s1
	v_add_nc_u32_e32 v2, v3, v2
	s_mov_b32 s1, exec_lo
	s_barrier_signal -1
	s_barrier_wait -1
	s_delay_alu instid0(VALU_DEP_1) | instskip(SKIP_2) | instid1(VALU_DEP_1)
	v_add3_u32 v2, v2, v4, v5
	global_inv scope:SCOPE_SE
	v_add3_u32 v2, v2, v6, v7
	v_add3_u32 v2, v2, v8, v9
	s_delay_alu instid0(VALU_DEP_1) | instskip(NEXT) | instid1(VALU_DEP_1)
	v_add3_u32 v2, v2, v10, v11
	v_add3_u32 v2, v2, v12, v13
	s_delay_alu instid0(VALU_DEP_1) | instskip(NEXT) | instid1(VALU_DEP_1)
	;; [unrolled: 3-line block ×3, first 2 shown]
	v_mov_b32_dpp v3, v2 quad_perm:[1,0,3,2] row_mask:0xf bank_mask:0xf
	v_add_nc_u32_e32 v2, v2, v3
	s_delay_alu instid0(VALU_DEP_1) | instskip(NEXT) | instid1(VALU_DEP_1)
	v_mov_b32_dpp v3, v2 quad_perm:[2,3,0,1] row_mask:0xf bank_mask:0xf
	v_add_nc_u32_e32 v2, v2, v3
	s_delay_alu instid0(VALU_DEP_1) | instskip(NEXT) | instid1(VALU_DEP_1)
	v_mov_b32_dpp v3, v2 row_ror:4 row_mask:0xf bank_mask:0xf
	v_add_nc_u32_e32 v2, v2, v3
	s_delay_alu instid0(VALU_DEP_1) | instskip(NEXT) | instid1(VALU_DEP_1)
	v_mov_b32_dpp v3, v2 row_ror:8 row_mask:0xf bank_mask:0xf
	v_add_nc_u32_e32 v2, v2, v3
	ds_swizzle_b32 v3, v2 offset:swizzle(BROADCAST,32,15)
	s_wait_dscnt 0x0
	v_add_nc_u32_e32 v2, v2, v3
	ds_bpermute_b32 v2, v1, v2 offset:124
	v_cmpx_eq_u32_e32 0, v37
	s_cbranch_execz .LBB905_26
; %bb.25:                               ;   in Loop: Header=BB905_6 Depth=1
	s_wait_dscnt 0x0
	ds_store_b32 v36, v2
.LBB905_26:                             ;   in Loop: Header=BB905_6 Depth=1
	s_wait_alu 0xfffe
	s_or_b32 exec_lo, exec_lo, s1
	s_wait_loadcnt_dscnt 0x0
	s_barrier_signal -1
	s_barrier_wait -1
	global_inv scope:SCOPE_SE
	s_and_saveexec_b32 s1, s0
	s_cbranch_execz .LBB905_28
; %bb.27:                               ;   in Loop: Header=BB905_6 Depth=1
	v_and_b32_e32 v2, 15, v37
	s_delay_alu instid0(VALU_DEP_1)
	v_lshlrev_b32_e32 v3, 2, v2
	v_cmp_ne_u32_e32 vcc_lo, 15, v2
	ds_load_b32 v3, v3
	s_wait_alu 0xfffd
	v_add_co_ci_u32_e64 v4, null, 0, v37, vcc_lo
	v_cmp_gt_u32_e32 vcc_lo, 14, v2
	s_delay_alu instid0(VALU_DEP_2) | instskip(SKIP_3) | instid1(VALU_DEP_2)
	v_lshlrev_b32_e32 v4, 2, v4
	s_wait_alu 0xfffd
	v_cndmask_b32_e64 v5, 0, 2, vcc_lo
	v_cmp_gt_u32_e32 vcc_lo, 12, v2
	v_add_lshl_u32 v5, v5, v37, 2
	s_wait_alu 0xfffd
	v_cndmask_b32_e64 v2, 0, 4, vcc_lo
	s_delay_alu instid0(VALU_DEP_1)
	v_add_lshl_u32 v2, v2, v37, 2
	s_wait_dscnt 0x0
	ds_bpermute_b32 v4, v4, v3
	s_wait_dscnt 0x0
	v_add_nc_u32_e32 v3, v4, v3
	ds_bpermute_b32 v4, v5, v3
	s_wait_dscnt 0x0
	v_add_nc_u32_e32 v3, v4, v3
	v_lshlrev_b32_e32 v4, 2, v37
	ds_bpermute_b32 v2, v2, v3
	s_wait_dscnt 0x0
	v_add_nc_u32_e32 v2, v2, v3
	v_or_b32_e32 v3, 32, v4
	ds_bpermute_b32 v3, v3, v2
	s_wait_dscnt 0x0
	v_add_nc_u32_e32 v2, v3, v2
.LBB905_28:                             ;   in Loop: Header=BB905_6 Depth=1
	s_wait_alu 0xfffe
	s_or_b32 exec_lo, exec_lo, s1
	s_mov_b32 s1, 0
.LBB905_29:                             ;   in Loop: Header=BB905_6 Depth=1
	s_wait_alu 0xfffe
	s_and_b32 vcc_lo, exec_lo, s1
	s_wait_alu 0xfffe
	s_cbranch_vccz .LBB905_35
; %bb.30:                               ;   in Loop: Header=BB905_6 Depth=1
	s_clause 0xf
	global_load_b64 v[2:3], v[18:19], off offset:-61440
	global_load_b64 v[4:5], v[18:19], off offset:-53248
	;; [unrolled: 1-line block ×15, first 2 shown]
	global_load_b64 v[52:53], v[18:19], off
	s_mov_b32 s1, exec_lo
	s_wait_loadcnt 0x0
	s_barrier_signal -1
	s_barrier_wait -1
	global_inv scope:SCOPE_SE
	v_cmp_ne_u64_e32 vcc_lo, 0, v[2:3]
	s_wait_alu 0xfffd
	v_cndmask_b32_e64 v2, 0, 1, vcc_lo
	v_cmp_ne_u64_e32 vcc_lo, 0, v[4:5]
	s_wait_alu 0xfffd
	v_cndmask_b32_e64 v3, 0, 1, vcc_lo
	v_cmp_ne_u64_e32 vcc_lo, 0, v[6:7]
	s_wait_alu 0xfffd
	v_add_co_ci_u32_e64 v2, null, 0, v2, vcc_lo
	v_cmp_ne_u64_e32 vcc_lo, 0, v[8:9]
	s_wait_alu 0xfffd
	v_cndmask_b32_e64 v4, 0, 1, vcc_lo
	v_cmp_ne_u64_e32 vcc_lo, 0, v[10:11]
	s_wait_alu 0xfffd
	v_add_co_ci_u32_e64 v2, null, v2, v3, vcc_lo
	;; [unrolled: 6-line block ×7, first 2 shown]
	v_cmp_ne_u64_e32 vcc_lo, 0, v[52:53]
	s_wait_alu 0xfffd
	s_delay_alu instid0(VALU_DEP_2) | instskip(NEXT) | instid1(VALU_DEP_1)
	v_add_co_ci_u32_e64 v2, null, v2, v3, vcc_lo
	v_mov_b32_dpp v3, v2 quad_perm:[1,0,3,2] row_mask:0xf bank_mask:0xf
	s_delay_alu instid0(VALU_DEP_1) | instskip(NEXT) | instid1(VALU_DEP_1)
	v_add_nc_u32_e32 v2, v3, v2
	v_mov_b32_dpp v3, v2 quad_perm:[2,3,0,1] row_mask:0xf bank_mask:0xf
	s_delay_alu instid0(VALU_DEP_1) | instskip(NEXT) | instid1(VALU_DEP_1)
	v_add_nc_u32_e32 v2, v2, v3
	v_mov_b32_dpp v3, v2 row_ror:4 row_mask:0xf bank_mask:0xf
	s_delay_alu instid0(VALU_DEP_1) | instskip(NEXT) | instid1(VALU_DEP_1)
	v_add_nc_u32_e32 v2, v2, v3
	v_mov_b32_dpp v3, v2 row_ror:8 row_mask:0xf bank_mask:0xf
	s_delay_alu instid0(VALU_DEP_1)
	v_add_nc_u32_e32 v2, v2, v3
	ds_swizzle_b32 v3, v2 offset:swizzle(BROADCAST,32,15)
	s_wait_dscnt 0x0
	v_add_nc_u32_e32 v2, v2, v3
	ds_bpermute_b32 v2, v1, v2 offset:124
	v_cmpx_eq_u32_e32 0, v37
	s_cbranch_execz .LBB905_32
; %bb.31:                               ;   in Loop: Header=BB905_6 Depth=1
	s_wait_dscnt 0x0
	ds_store_b32 v36, v2
.LBB905_32:                             ;   in Loop: Header=BB905_6 Depth=1
	s_wait_alu 0xfffe
	s_or_b32 exec_lo, exec_lo, s1
	s_wait_loadcnt_dscnt 0x0
	s_barrier_signal -1
	s_barrier_wait -1
	global_inv scope:SCOPE_SE
	s_and_saveexec_b32 s1, s0
	s_cbranch_execz .LBB905_34
; %bb.33:                               ;   in Loop: Header=BB905_6 Depth=1
	v_and_b32_e32 v2, 15, v37
	s_delay_alu instid0(VALU_DEP_1)
	v_lshlrev_b32_e32 v3, 2, v2
	v_cmp_ne_u32_e32 vcc_lo, 15, v2
	ds_load_b32 v3, v3
	s_wait_alu 0xfffd
	v_add_co_ci_u32_e64 v4, null, 0, v37, vcc_lo
	v_cmp_gt_u32_e32 vcc_lo, 14, v2
	s_delay_alu instid0(VALU_DEP_2) | instskip(SKIP_3) | instid1(VALU_DEP_2)
	v_lshlrev_b32_e32 v4, 2, v4
	s_wait_alu 0xfffd
	v_cndmask_b32_e64 v5, 0, 2, vcc_lo
	v_cmp_gt_u32_e32 vcc_lo, 12, v2
	v_add_lshl_u32 v5, v5, v37, 2
	s_wait_alu 0xfffd
	v_cndmask_b32_e64 v2, 0, 4, vcc_lo
	s_delay_alu instid0(VALU_DEP_1)
	v_add_lshl_u32 v2, v2, v37, 2
	s_wait_dscnt 0x0
	ds_bpermute_b32 v4, v4, v3
	s_wait_dscnt 0x0
	v_add_nc_u32_e32 v3, v4, v3
	ds_bpermute_b32 v4, v5, v3
	s_wait_dscnt 0x0
	v_add_nc_u32_e32 v3, v4, v3
	v_lshlrev_b32_e32 v4, 2, v37
	ds_bpermute_b32 v2, v2, v3
	s_wait_dscnt 0x0
	v_add_nc_u32_e32 v2, v2, v3
	v_or_b32_e32 v3, 32, v4
	ds_bpermute_b32 v3, v3, v2
	s_wait_dscnt 0x0
	v_add_nc_u32_e32 v2, v3, v2
.LBB905_34:                             ;   in Loop: Header=BB905_6 Depth=1
	s_wait_alu 0xfffe
	s_or_b32 exec_lo, exec_lo, s1
.LBB905_35:                             ;   in Loop: Header=BB905_6 Depth=1
	v_cmp_lt_i64_e64 s11, 0x2000, s[8:9]
	s_mov_b32 s1, -1
	s_and_b32 vcc_lo, exec_lo, s11
	s_mov_b32 s11, -1
	s_wait_alu 0xfffe
	s_cbranch_vccz .LBB905_5
; %bb.36:                               ;   in Loop: Header=BB905_6 Depth=1
	v_add_co_u32 v18, vcc_lo, 0x10000, v18
	s_add_co_i32 s10, s10, -1
	s_wait_alu 0xfffd
	v_add_co_ci_u32_e64 v19, null, 0, v19, vcc_lo
	s_cmp_eq_u32 s10, 0
	s_add_nc_u64 s[8:9], s[8:9], s[4:5]
	s_mov_b32 s1, 0
	s_cselect_b32 s11, -1, 0
	s_wait_loadcnt 0x0
	s_barrier_signal -1
	s_barrier_wait -1
	global_inv scope:SCOPE_SE
	s_branch .LBB905_5
.LBB905_37:                             ;   in Loop: Header=BB905_6 Depth=1
	global_load_b64 v[13:14], v[18:19], off offset:-61440
	v_dual_mov_b32 v3, v1 :: v_dual_mov_b32 v4, v1
	v_dual_mov_b32 v5, v1 :: v_dual_mov_b32 v6, v1
	;; [unrolled: 1-line block ×6, first 2 shown]
	v_mov_b32_e32 v17, v1
	s_wait_loadcnt 0x0
	v_cmp_ne_u64_e32 vcc_lo, 0, v[13:14]
	v_dual_mov_b32 v13, v1 :: v_dual_mov_b32 v14, v1
	s_wait_alu 0xfffd
	v_cndmask_b32_e64 v2, 0, 1, vcc_lo
	s_delay_alu instid0(VALU_DEP_1) | instskip(SKIP_2) | instid1(SALU_CYCLE_1)
	v_and_b32_e32 v2, 0xffff, v2
	s_wait_alu 0xfffe
	s_or_b32 exec_lo, exec_lo, s1
	s_mov_b32 s1, exec_lo
	v_cmpx_gt_u32_e64 s8, v21
	s_cbranch_execz .LBB905_9
.LBB905_38:                             ;   in Loop: Header=BB905_6 Depth=1
	global_load_b64 v[38:39], v[18:19], off offset:-57344
	s_wait_loadcnt 0x0
	v_cmp_ne_u64_e32 vcc_lo, 0, v[38:39]
	s_wait_alu 0xfffd
	v_cndmask_b32_e64 v3, 0, 1, vcc_lo
	s_wait_alu 0xfffe
	s_or_b32 exec_lo, exec_lo, s1
	s_delay_alu instid0(SALU_CYCLE_1)
	s_mov_b32 s1, exec_lo
	v_cmpx_gt_u32_e64 s8, v22
	s_cbranch_execz .LBB905_10
.LBB905_39:                             ;   in Loop: Header=BB905_6 Depth=1
	global_load_b64 v[38:39], v[18:19], off offset:-53248
	s_wait_loadcnt 0x0
	v_cmp_ne_u64_e32 vcc_lo, 0, v[38:39]
	s_wait_alu 0xfffd
	v_cndmask_b32_e64 v4, 0, 1, vcc_lo
	s_wait_alu 0xfffe
	s_or_b32 exec_lo, exec_lo, s1
	s_delay_alu instid0(SALU_CYCLE_1)
	s_mov_b32 s1, exec_lo
	v_cmpx_gt_u32_e64 s8, v23
	s_cbranch_execz .LBB905_11
.LBB905_40:                             ;   in Loop: Header=BB905_6 Depth=1
	global_load_b64 v[38:39], v[18:19], off offset:-49152
	s_wait_loadcnt 0x0
	v_cmp_ne_u64_e32 vcc_lo, 0, v[38:39]
	s_wait_alu 0xfffd
	v_cndmask_b32_e64 v5, 0, 1, vcc_lo
	s_wait_alu 0xfffe
	s_or_b32 exec_lo, exec_lo, s1
	s_delay_alu instid0(SALU_CYCLE_1)
	s_mov_b32 s1, exec_lo
	v_cmpx_gt_u32_e64 s8, v24
	s_cbranch_execz .LBB905_12
.LBB905_41:                             ;   in Loop: Header=BB905_6 Depth=1
	global_load_b64 v[38:39], v[18:19], off offset:-45056
	s_wait_loadcnt 0x0
	v_cmp_ne_u64_e32 vcc_lo, 0, v[38:39]
	s_wait_alu 0xfffd
	v_cndmask_b32_e64 v6, 0, 1, vcc_lo
	s_wait_alu 0xfffe
	s_or_b32 exec_lo, exec_lo, s1
	s_delay_alu instid0(SALU_CYCLE_1)
	s_mov_b32 s1, exec_lo
	v_cmpx_gt_u32_e64 s8, v25
	s_cbranch_execz .LBB905_13
.LBB905_42:                             ;   in Loop: Header=BB905_6 Depth=1
	global_load_b64 v[38:39], v[18:19], off offset:-40960
	s_wait_loadcnt 0x0
	v_cmp_ne_u64_e32 vcc_lo, 0, v[38:39]
	s_wait_alu 0xfffd
	v_cndmask_b32_e64 v7, 0, 1, vcc_lo
	s_wait_alu 0xfffe
	s_or_b32 exec_lo, exec_lo, s1
	s_delay_alu instid0(SALU_CYCLE_1)
	s_mov_b32 s1, exec_lo
	v_cmpx_gt_u32_e64 s8, v26
	s_cbranch_execz .LBB905_14
.LBB905_43:                             ;   in Loop: Header=BB905_6 Depth=1
	global_load_b64 v[38:39], v[18:19], off offset:-36864
	s_wait_loadcnt 0x0
	v_cmp_ne_u64_e32 vcc_lo, 0, v[38:39]
	s_wait_alu 0xfffd
	v_cndmask_b32_e64 v8, 0, 1, vcc_lo
	s_wait_alu 0xfffe
	s_or_b32 exec_lo, exec_lo, s1
	s_delay_alu instid0(SALU_CYCLE_1)
	s_mov_b32 s1, exec_lo
	v_cmpx_gt_u32_e64 s8, v27
	s_cbranch_execz .LBB905_15
.LBB905_44:                             ;   in Loop: Header=BB905_6 Depth=1
	global_load_b64 v[38:39], v[18:19], off offset:-32768
	s_wait_loadcnt 0x0
	v_cmp_ne_u64_e32 vcc_lo, 0, v[38:39]
	s_wait_alu 0xfffd
	v_cndmask_b32_e64 v9, 0, 1, vcc_lo
	s_wait_alu 0xfffe
	s_or_b32 exec_lo, exec_lo, s1
	s_delay_alu instid0(SALU_CYCLE_1)
	s_mov_b32 s1, exec_lo
	v_cmpx_gt_u32_e64 s8, v28
	s_cbranch_execz .LBB905_16
.LBB905_45:                             ;   in Loop: Header=BB905_6 Depth=1
	global_load_b64 v[38:39], v[18:19], off offset:-28672
	s_wait_loadcnt 0x0
	v_cmp_ne_u64_e32 vcc_lo, 0, v[38:39]
	s_wait_alu 0xfffd
	v_cndmask_b32_e64 v10, 0, 1, vcc_lo
	s_wait_alu 0xfffe
	s_or_b32 exec_lo, exec_lo, s1
	s_delay_alu instid0(SALU_CYCLE_1)
	s_mov_b32 s1, exec_lo
	v_cmpx_gt_u32_e64 s8, v29
	s_cbranch_execz .LBB905_17
.LBB905_46:                             ;   in Loop: Header=BB905_6 Depth=1
	global_load_b64 v[38:39], v[18:19], off offset:-24576
	s_wait_loadcnt 0x0
	v_cmp_ne_u64_e32 vcc_lo, 0, v[38:39]
	s_wait_alu 0xfffd
	v_cndmask_b32_e64 v11, 0, 1, vcc_lo
	s_wait_alu 0xfffe
	s_or_b32 exec_lo, exec_lo, s1
	s_delay_alu instid0(SALU_CYCLE_1)
	s_mov_b32 s1, exec_lo
	v_cmpx_gt_u32_e64 s8, v30
	s_cbranch_execz .LBB905_18
.LBB905_47:                             ;   in Loop: Header=BB905_6 Depth=1
	global_load_b64 v[38:39], v[18:19], off offset:-20480
	s_wait_loadcnt 0x0
	v_cmp_ne_u64_e32 vcc_lo, 0, v[38:39]
	s_wait_alu 0xfffd
	v_cndmask_b32_e64 v12, 0, 1, vcc_lo
	s_wait_alu 0xfffe
	s_or_b32 exec_lo, exec_lo, s1
	s_delay_alu instid0(SALU_CYCLE_1)
	s_mov_b32 s1, exec_lo
	v_cmpx_gt_u32_e64 s8, v31
	s_cbranch_execz .LBB905_19
.LBB905_48:                             ;   in Loop: Header=BB905_6 Depth=1
	global_load_b64 v[38:39], v[18:19], off offset:-16384
	s_wait_loadcnt 0x0
	v_cmp_ne_u64_e32 vcc_lo, 0, v[38:39]
	s_wait_alu 0xfffd
	v_cndmask_b32_e64 v13, 0, 1, vcc_lo
	s_wait_alu 0xfffe
	s_or_b32 exec_lo, exec_lo, s1
	s_delay_alu instid0(SALU_CYCLE_1)
	s_mov_b32 s1, exec_lo
	v_cmpx_gt_u32_e64 s8, v32
	s_cbranch_execz .LBB905_20
.LBB905_49:                             ;   in Loop: Header=BB905_6 Depth=1
	global_load_b64 v[38:39], v[18:19], off offset:-12288
	s_wait_loadcnt 0x0
	v_cmp_ne_u64_e32 vcc_lo, 0, v[38:39]
	s_wait_alu 0xfffd
	v_cndmask_b32_e64 v14, 0, 1, vcc_lo
	s_wait_alu 0xfffe
	s_or_b32 exec_lo, exec_lo, s1
	s_delay_alu instid0(SALU_CYCLE_1)
	s_mov_b32 s1, exec_lo
	v_cmpx_gt_u32_e64 s8, v33
	s_cbranch_execz .LBB905_21
.LBB905_50:                             ;   in Loop: Header=BB905_6 Depth=1
	global_load_b64 v[38:39], v[18:19], off offset:-8192
	s_wait_loadcnt 0x0
	v_cmp_ne_u64_e32 vcc_lo, 0, v[38:39]
	s_wait_alu 0xfffd
	v_cndmask_b32_e64 v15, 0, 1, vcc_lo
	s_wait_alu 0xfffe
	s_or_b32 exec_lo, exec_lo, s1
	s_delay_alu instid0(SALU_CYCLE_1)
	s_mov_b32 s1, exec_lo
	v_cmpx_gt_u32_e64 s8, v34
	s_cbranch_execz .LBB905_22
.LBB905_51:                             ;   in Loop: Header=BB905_6 Depth=1
	global_load_b64 v[38:39], v[18:19], off offset:-4096
	s_wait_loadcnt 0x0
	v_cmp_ne_u64_e32 vcc_lo, 0, v[38:39]
	s_wait_alu 0xfffd
	v_cndmask_b32_e64 v16, 0, 1, vcc_lo
	s_wait_alu 0xfffe
	s_or_b32 exec_lo, exec_lo, s1
	s_delay_alu instid0(SALU_CYCLE_1)
	s_mov_b32 s1, exec_lo
	v_cmpx_gt_u32_e64 s8, v35
	s_cbranch_execnz .LBB905_23
	s_branch .LBB905_24
.LBB905_52:
	s_and_b32 vcc_lo, exec_lo, s1
	s_mov_b32 s0, -1
	s_wait_alu 0xfffe
	s_cbranch_vccz .LBB905_56
; %bb.53:
	s_mov_b32 s0, 0
	s_mov_b32 s1, exec_lo
	v_cmpx_eq_u32_e32 0, v0
	s_cbranch_execz .LBB905_55
; %bb.54:
	v_mov_b32_e32 v0, 0
	s_lshl_b64 s[4:5], s[2:3], 2
	s_wait_alu 0xfffe
	s_add_nc_u64 s[4:5], s[6:7], s[4:5]
	global_store_b32 v0, v20, s[4:5]
.LBB905_55:
	s_wait_alu 0xfffe
	s_or_b32 exec_lo, exec_lo, s1
.LBB905_56:
	v_cmp_eq_u32_e32 vcc_lo, 0, v0
	s_and_b32 s0, vcc_lo, s0
	s_wait_alu 0xfffe
	s_and_saveexec_b32 s1, s0
	s_cbranch_execz .LBB905_58
; %bb.57:
	v_mov_b32_e32 v0, 0
	s_lshl_b64 s[0:1], s[2:3], 2
	s_wait_kmcnt 0x0
	s_wait_alu 0xfffe
	s_add_nc_u64 s[0:1], s[6:7], s[0:1]
	global_store_b32 v0, v20, s[0:1]
.LBB905_58:
	s_endpgm
	.section	.rodata,"a",@progbits
	.p2align	6, 0x0
	.amdhsa_kernel _ZN2at4cuda3cub15calc_block_sumsILi512ELi16ELb1EliEEvPKT2_PT3_li
		.amdhsa_group_segment_fixed_size 64
		.amdhsa_private_segment_fixed_size 0
		.amdhsa_kernarg_size 28
		.amdhsa_user_sgpr_count 2
		.amdhsa_user_sgpr_dispatch_ptr 0
		.amdhsa_user_sgpr_queue_ptr 0
		.amdhsa_user_sgpr_kernarg_segment_ptr 1
		.amdhsa_user_sgpr_dispatch_id 0
		.amdhsa_user_sgpr_private_segment_size 0
		.amdhsa_wavefront_size32 1
		.amdhsa_uses_dynamic_stack 0
		.amdhsa_enable_private_segment 0
		.amdhsa_system_sgpr_workgroup_id_x 1
		.amdhsa_system_sgpr_workgroup_id_y 0
		.amdhsa_system_sgpr_workgroup_id_z 0
		.amdhsa_system_sgpr_workgroup_info 0
		.amdhsa_system_vgpr_workitem_id 0
		.amdhsa_next_free_vgpr 54
		.amdhsa_next_free_sgpr 14
		.amdhsa_reserve_vcc 1
		.amdhsa_float_round_mode_32 0
		.amdhsa_float_round_mode_16_64 0
		.amdhsa_float_denorm_mode_32 3
		.amdhsa_float_denorm_mode_16_64 3
		.amdhsa_fp16_overflow 0
		.amdhsa_workgroup_processor_mode 1
		.amdhsa_memory_ordered 1
		.amdhsa_forward_progress 1
		.amdhsa_inst_pref_size 27
		.amdhsa_round_robin_scheduling 0
		.amdhsa_exception_fp_ieee_invalid_op 0
		.amdhsa_exception_fp_denorm_src 0
		.amdhsa_exception_fp_ieee_div_zero 0
		.amdhsa_exception_fp_ieee_overflow 0
		.amdhsa_exception_fp_ieee_underflow 0
		.amdhsa_exception_fp_ieee_inexact 0
		.amdhsa_exception_int_div_zero 0
	.end_amdhsa_kernel
	.section	.text._ZN2at4cuda3cub15calc_block_sumsILi512ELi16ELb1EliEEvPKT2_PT3_li,"axG",@progbits,_ZN2at4cuda3cub15calc_block_sumsILi512ELi16ELb1EliEEvPKT2_PT3_li,comdat
.Lfunc_end905:
	.size	_ZN2at4cuda3cub15calc_block_sumsILi512ELi16ELb1EliEEvPKT2_PT3_li, .Lfunc_end905-_ZN2at4cuda3cub15calc_block_sumsILi512ELi16ELb1EliEEvPKT2_PT3_li
                                        ; -- End function
	.set _ZN2at4cuda3cub15calc_block_sumsILi512ELi16ELb1EliEEvPKT2_PT3_li.num_vgpr, 54
	.set _ZN2at4cuda3cub15calc_block_sumsILi512ELi16ELb1EliEEvPKT2_PT3_li.num_agpr, 0
	.set _ZN2at4cuda3cub15calc_block_sumsILi512ELi16ELb1EliEEvPKT2_PT3_li.numbered_sgpr, 14
	.set _ZN2at4cuda3cub15calc_block_sumsILi512ELi16ELb1EliEEvPKT2_PT3_li.num_named_barrier, 0
	.set _ZN2at4cuda3cub15calc_block_sumsILi512ELi16ELb1EliEEvPKT2_PT3_li.private_seg_size, 0
	.set _ZN2at4cuda3cub15calc_block_sumsILi512ELi16ELb1EliEEvPKT2_PT3_li.uses_vcc, 1
	.set _ZN2at4cuda3cub15calc_block_sumsILi512ELi16ELb1EliEEvPKT2_PT3_li.uses_flat_scratch, 0
	.set _ZN2at4cuda3cub15calc_block_sumsILi512ELi16ELb1EliEEvPKT2_PT3_li.has_dyn_sized_stack, 0
	.set _ZN2at4cuda3cub15calc_block_sumsILi512ELi16ELb1EliEEvPKT2_PT3_li.has_recursion, 0
	.set _ZN2at4cuda3cub15calc_block_sumsILi512ELi16ELb1EliEEvPKT2_PT3_li.has_indirect_call, 0
	.section	.AMDGPU.csdata,"",@progbits
; Kernel info:
; codeLenInByte = 3428
; TotalNumSgprs: 16
; NumVgprs: 54
; ScratchSize: 0
; MemoryBound: 0
; FloatMode: 240
; IeeeMode: 1
; LDSByteSize: 64 bytes/workgroup (compile time only)
; SGPRBlocks: 0
; VGPRBlocks: 6
; NumSGPRsForWavesPerEU: 16
; NumVGPRsForWavesPerEU: 54
; Occupancy: 16
; WaveLimiterHint : 1
; COMPUTE_PGM_RSRC2:SCRATCH_EN: 0
; COMPUTE_PGM_RSRC2:USER_SGPR: 2
; COMPUTE_PGM_RSRC2:TRAP_HANDLER: 0
; COMPUTE_PGM_RSRC2:TGID_X_EN: 1
; COMPUTE_PGM_RSRC2:TGID_Y_EN: 0
; COMPUTE_PGM_RSRC2:TGID_Z_EN: 0
; COMPUTE_PGM_RSRC2:TIDIG_COMP_CNT: 0
	.section	.text._ZN2at6native12_GLOBAL__N_111flag_kernelILi512ELi16ElEEvPKT1_PlPKllli,"axG",@progbits,_ZN2at6native12_GLOBAL__N_111flag_kernelILi512ELi16ElEEvPKT1_PlPKllli,comdat
	.globl	_ZN2at6native12_GLOBAL__N_111flag_kernelILi512ELi16ElEEvPKT1_PlPKllli ; -- Begin function _ZN2at6native12_GLOBAL__N_111flag_kernelILi512ELi16ElEEvPKT1_PlPKllli
	.p2align	8
	.type	_ZN2at6native12_GLOBAL__N_111flag_kernelILi512ELi16ElEEvPKT1_PlPKllli,@function
_ZN2at6native12_GLOBAL__N_111flag_kernelILi512ELi16ElEEvPKT1_PlPKllli: ; @_ZN2at6native12_GLOBAL__N_111flag_kernelILi512ELi16ElEEvPKT1_PlPKllli
; %bb.0:
	s_clause 0x1
	s_load_b32 s26, s[0:1], 0x28
	s_load_b256 s[12:19], s[0:1], 0x0
	s_mov_b32 s2, ttmp9
	s_mov_b32 s3, 0
	s_wait_kmcnt 0x0
	s_lshl_b32 s4, s26, 13
	s_delay_alu instid0(SALU_CYCLE_1) | instskip(NEXT) | instid1(SALU_CYCLE_1)
	s_ashr_i32 s5, s4, 31
	s_mul_u64 s[22:23], s[4:5], s[2:3]
	s_delay_alu instid0(SALU_CYCLE_1)
	v_cmp_le_i64_e64 s2, s[18:19], s[22:23]
	s_and_b32 vcc_lo, exec_lo, s2
	s_cbranch_vccnz .LBB906_100
; %bb.1:
	s_load_b64 s[2:3], s[0:1], 0x20
	s_cmp_eq_u32 ttmp9, 0
	s_cbranch_scc1 .LBB906_3
; %bb.2:
	s_add_co_i32 s4, ttmp9, -1
	s_mov_b32 s5, 0
	s_delay_alu instid0(SALU_CYCLE_1) | instskip(NEXT) | instid1(SALU_CYCLE_1)
	s_lshl_b64 s[4:5], s[4:5], 3
	s_add_nc_u64 s[4:5], s[16:17], s[4:5]
	s_load_b64 s[4:5], s[4:5], 0x0
	s_cmp_lt_i32 s26, 1
	s_cbranch_scc0 .LBB906_4
	s_branch .LBB906_100
.LBB906_3:
	s_mov_b64 s[4:5], 0
	s_cmp_lt_i32 s26, 1
	s_cbranch_scc1 .LBB906_100
.LBB906_4:
	v_mbcnt_lo_u32_b32 v2, -1, 0
	v_lshlrev_b32_e32 v1, 4, v0
	s_wait_kmcnt 0x0
	s_sub_nc_u64 s[16:17], s[2:3], s[4:5]
	s_lshl_b64 s[24:25], s[4:5], 3
	v_add_nc_u32_e32 v8, 0x200, v0
	v_and_b32_e32 v4, 15, v2
	v_and_b32_e32 v6, 0x3e00, v1
	;; [unrolled: 1-line block ×3, first 2 shown]
	v_or_b32_e32 v9, 0x800, v0
	v_add_nc_u32_e32 v10, 0xa00, v0
	v_lshlrev_b32_e32 v25, 2, v0
	v_or_b32_e32 v41, v2, v6
	v_cmp_eq_u32_e64 s6, 0, v1
	v_mov_b32_e32 v1, 0
	v_cmp_eq_u32_e64 s2, 0, v4
	v_cmp_lt_u32_e64 s3, 1, v4
	v_cmp_lt_u32_e64 s4, 3, v4
	;; [unrolled: 1-line block ×3, first 2 shown]
	v_sub_co_u32 v4, s8, v2, 1
	v_lshrrev_b32_e32 v9, 3, v9
	v_lshrrev_b32_e32 v10, 3, v10
	v_or_b32_e32 v46, 32, v41
	s_delay_alu instid0(VALU_DEP_4)
	v_cmp_gt_i32_e32 vcc_lo, 0, v4
	v_and_b32_e32 v3, 0x3e0, v0
	v_or_b32_e32 v47, 64, v41
	v_or_b32_e32 v48, 0x60, v41
	;; [unrolled: 1-line block ×3, first 2 shown]
	v_cndmask_b32_e32 v4, v4, v2, vcc_lo
	v_min_u32_e32 v5, 0x1e0, v3
	v_or_b32_e32 v50, 0xa0, v41
	v_or_b32_e32 v51, 0xc0, v41
	v_or_b32_e32 v52, 0xe0, v41
	v_lshlrev_b32_e32 v27, 2, v4
	v_or_b32_e32 v5, 31, v5
	v_lshrrev_b32_e32 v4, 3, v8
	v_add_nc_u32_e32 v8, 0x600, v0
	v_or_b32_e32 v53, 0x100, v41
	v_or_b32_e32 v54, 0x120, v41
	v_cmp_eq_u32_e64 s7, v0, v5
	v_lshlrev_b32_e32 v5, 1, v0
	v_and_b32_e32 v4, 0xfc, v4
	v_lshrrev_b32_e32 v8, 3, v8
	v_or_b32_e32 v55, 0x140, v41
	v_or_b32_e32 v56, 0x160, v41
	v_and_b32_e32 v5, 0x7fc, v5
	v_add_nc_u32_e32 v30, v25, v4
	v_or_b32_e32 v57, 0x180, v41
	v_or_b32_e32 v58, 0x1a0, v41
	;; [unrolled: 1-line block ×3, first 2 shown]
	v_lshl_add_u32 v28, v0, 6, v5
	v_or_b32_e32 v5, 0x400, v0
	v_or_b32_e32 v60, 0x1e0, v41
	v_lshrrev_b32_e32 v7, 5, v0
	v_or_b32_e32 v3, v2, v3
	s_lshl_b64 s[20:21], s[22:23], 3
	v_lshrrev_b32_e32 v5, 3, v5
	v_lshlrev_b32_e32 v2, 3, v2
	v_cmp_gt_u32_e64 s9, 16, v0
	v_cmp_lt_u32_e64 s10, 31, v0
	v_cmp_eq_u32_e64 s11, 0, v0
	v_and_b32_e32 v4, 0xfc, v5
	v_and_b32_e32 v5, 0x1fc, v8
	;; [unrolled: 1-line block ×4, first 2 shown]
	v_or_b32_e32 v10, 0xc00, v0
	v_add_nc_u32_e32 v31, v25, v4
	v_add_nc_u32_e32 v32, v25, v5
	;; [unrolled: 1-line block ×4, first 2 shown]
	v_lshrrev_b32_e32 v4, 3, v10
	v_add_nc_u32_e32 v5, 0xe00, v0
	v_or_b32_e32 v8, 0x1000, v0
	v_add_nc_u32_e32 v9, 0x1200, v0
	v_or_b32_e32 v10, 0x1400, v0
	v_and_b32_e32 v4, 0x1fc, v4
	v_lshrrev_b32_e32 v5, 3, v5
	v_lshrrev_b32_e32 v8, 3, v8
	;; [unrolled: 1-line block ×4, first 2 shown]
	v_add_nc_u32_e32 v35, v25, v4
	v_and_b32_e32 v4, 0x3fc, v5
	v_and_b32_e32 v5, 0x27c, v8
	;; [unrolled: 1-line block ×4, first 2 shown]
	v_add_nc_u32_e32 v10, 0x1600, v0
	v_add_nc_u32_e32 v36, v25, v4
	;; [unrolled: 1-line block ×3, first 2 shown]
	v_or_b32_e32 v5, 0x1800, v0
	v_add_nc_u32_e32 v38, v25, v8
	v_lshrrev_b32_e32 v4, 3, v10
	v_add_nc_u32_e32 v39, v25, v9
	v_add_nc_u32_e32 v8, 0x1a00, v0
	v_or_b32_e32 v9, 0x1c00, v0
	v_lshrrev_b32_e32 v5, 3, v5
	v_and_b32_e32 v4, 0x3fc, v4
	v_add_nc_u32_e32 v10, 0x1e00, v0
	v_lshrrev_b32_e32 v8, 3, v8
	v_lshrrev_b32_e32 v9, 3, v9
	v_lshlrev_b32_e32 v24, 2, v7
	v_add_nc_u32_e32 v40, v25, v4
	v_and_b32_e32 v4, 0x37c, v5
	v_lshrrev_b32_e32 v10, 3, v10
	v_and_b32_e32 v5, 0x3fc, v8
	v_and_b32_e32 v8, 0x3fc, v9
	v_add_nc_u32_e32 v26, -4, v24
	v_add_nc_u32_e32 v42, v25, v4
	v_lshrrev_b32_e32 v4, 3, v46
	v_and_b32_e32 v9, 0x7fc, v10
	v_add_nc_u32_e32 v43, v25, v5
	v_add_nc_u32_e32 v44, v25, v8
	v_lshrrev_b32_e32 v5, 3, v6
	v_lshlrev_b32_e32 v6, 2, v41
	v_and_b32_e32 v4, 0x7c4, v4
	v_lshrrev_b32_e32 v8, 3, v47
	v_add_nc_u32_e32 v45, v25, v9
	v_lshrrev_b32_e32 v9, 3, v50
	v_add_nc_u32_e32 v61, v5, v6
	v_add_nc_u32_e32 v62, v4, v6
	v_and_b32_e32 v4, 0x7c8, v8
	v_lshrrev_b32_e32 v5, 3, v48
	v_lshrrev_b32_e32 v8, 3, v49
	;; [unrolled: 1-line block ×3, first 2 shown]
	v_add_nc_u32_e32 v29, v24, v25
	v_add_nc_u32_e32 v63, v4, v6
	v_and_b32_e32 v4, 0x7cc, v5
	v_and_b32_e32 v5, 0x7d0, v8
	;; [unrolled: 1-line block ×4, first 2 shown]
	v_lshrrev_b32_e32 v10, 3, v52
	v_add_nc_u32_e32 v64, v4, v6
	v_add_nc_u32_e32 v65, v5, v6
	;; [unrolled: 1-line block ×4, first 2 shown]
	v_and_b32_e32 v4, 0x7dc, v10
	v_lshrrev_b32_e32 v5, 3, v53
	v_lshrrev_b32_e32 v8, 3, v54
	v_lshrrev_b32_e32 v9, 3, v55
	v_lshrrev_b32_e32 v10, 3, v56
	v_add_nc_u32_e32 v68, v4, v6
	v_and_b32_e32 v4, 0x7e0, v5
	v_and_b32_e32 v5, 0x7e4, v8
	;; [unrolled: 1-line block ×4, first 2 shown]
	v_lshrrev_b32_e32 v10, 3, v57
	v_add_nc_u32_e32 v69, v4, v6
	v_add_nc_u32_e32 v70, v5, v6
	v_lshrrev_b32_e32 v5, 3, v58
	v_add_nc_u32_e32 v71, v8, v6
	v_and_b32_e32 v4, 0x7f0, v10
	v_add_nc_u32_e32 v72, v9, v6
	v_lshrrev_b32_e32 v8, 3, v59
	v_lshrrev_b32_e32 v9, 3, v60
	s_add_nc_u64 s[14:15], s[14:15], s[24:25]
	v_add_nc_u32_e32 v73, v4, v6
	v_and_b32_e32 v4, 0x7f4, v5
	v_and_b32_e32 v5, 0x7f8, v8
	;; [unrolled: 1-line block ×3, first 2 shown]
	v_lshlrev_b32_e32 v9, 4, v3
	v_bfe_u32 v3, v3, 1, 27
	v_add_nc_u32_e32 v74, v4, v6
	v_lshlrev_b32_e32 v4, 12, v7
	v_add_nc_u32_e32 v75, v5, v6
	v_add_nc_u32_e32 v76, v8, v6
	v_add_lshl_u32 v77, v3, v9, 2
	s_add_nc_u64 s[0:1], s[0:1], 48
	v_add_co_u32 v3, s20, s20, v4
	s_wait_alu 0xf1ff
	v_add_co_ci_u32_e64 v4, null, s21, 0, s20
	v_add_co_u32 v18, s20, s22, v0
	s_delay_alu instid0(VALU_DEP_3) | instskip(SKIP_1) | instid1(VALU_DEP_3)
	v_add_co_u32 v0, vcc_lo, v3, v2
	s_wait_alu 0xfffd
	v_add_co_ci_u32_e64 v2, null, 0, v4, vcc_lo
	s_wait_alu 0xf1ff
	v_add_co_ci_u32_e64 v19, null, s23, 0, s20
	v_add_co_u32 v20, vcc_lo, s12, v0
	s_wait_alu 0xfffd
	v_add_co_ci_u32_e64 v21, null, s13, v2, vcc_lo
	s_movk_i32 s20, 0xe000
	s_mov_b32 s21, -1
	s_sub_nc_u64 s[12:13], s[18:19], s[22:23]
	s_branch .LBB906_6
.LBB906_5:                              ;   in Loop: Header=BB906_6 Depth=1
	v_add_co_u32 v18, vcc_lo, 0x2000, v18
	s_wait_alu 0xfffd
	v_add_co_ci_u32_e64 v19, null, 0, v19, vcc_lo
	v_add_co_u32 v20, vcc_lo, 0x10000, v20
	s_add_co_i32 s26, s26, -1
	s_lshl_b64 s[18:19], s[18:19], 3
	s_wait_alu 0xfffd
	v_add_co_ci_u32_e64 v21, null, 0, v21, vcc_lo
	s_cmp_eq_u32 s26, 0
	s_add_nc_u64 s[12:13], s[12:13], s[20:21]
	s_wait_alu 0xfffe
	s_add_nc_u64 s[14:15], s[14:15], s[18:19]
	s_cselect_b32 s18, -1, 0
	s_wait_loadcnt 0x0
	s_wait_storecnt 0x0
	s_barrier_signal -1
	s_barrier_wait -1
	global_inv scope:SCOPE_SE
	s_wait_alu 0xfffe
	s_and_not1_b32 vcc_lo, exec_lo, s18
	s_wait_alu 0xfffe
	s_cbranch_vccz .LBB906_100
.LBB906_6:                              ; =>This Inner Loop Header: Depth=1
	s_wait_alu 0xfffe
	v_cmp_gt_i64_e64 s18, 0x2000, s[12:13]
                                        ; implicit-def: $vgpr3
                                        ; implicit-def: $vgpr5
                                        ; implicit-def: $vgpr13
                                        ; implicit-def: $vgpr17
                                        ; implicit-def: $vgpr15
                                        ; implicit-def: $vgpr11
                                        ; implicit-def: $vgpr9
                                        ; implicit-def: $vgpr7
	s_and_b32 vcc_lo, exec_lo, s18
	s_mov_b32 s18, -1
	s_wait_alu 0xfffe
	s_cbranch_vccz .LBB906_25
; %bb.7:                                ;   in Loop: Header=BB906_6 Depth=1
	v_dual_mov_b32 v14, v1 :: v_dual_mov_b32 v15, v1
	v_dual_mov_b32 v2, v1 :: v_dual_mov_b32 v3, v1
	;; [unrolled: 1-line block ×7, first 2 shown]
	v_mov_b32_e32 v17, v15
	s_delay_alu instid0(VALU_DEP_2) | instskip(NEXT) | instid1(VALU_DEP_3)
	v_dual_mov_b32 v16, v14 :: v_dual_mov_b32 v15, v13
	v_mov_b32_e32 v14, v12
	v_mov_b32_e32 v13, v11
	;; [unrolled: 1-line block ×14, first 2 shown]
	s_mov_b32 s18, exec_lo
	v_cmpx_gt_u32_e64 s12, v41
	s_cbranch_execnz .LBB906_85
; %bb.8:                                ;   in Loop: Header=BB906_6 Depth=1
	s_wait_alu 0xfffe
	s_or_b32 exec_lo, exec_lo, s18
	s_delay_alu instid0(SALU_CYCLE_1)
	s_mov_b32 s18, exec_lo
	v_cmpx_gt_u32_e64 s12, v46
	s_cbranch_execnz .LBB906_86
.LBB906_9:                              ;   in Loop: Header=BB906_6 Depth=1
	s_wait_alu 0xfffe
	s_or_b32 exec_lo, exec_lo, s18
	s_delay_alu instid0(SALU_CYCLE_1)
	s_mov_b32 s18, exec_lo
	v_cmpx_gt_u32_e64 s12, v47
	s_cbranch_execnz .LBB906_87
.LBB906_10:                             ;   in Loop: Header=BB906_6 Depth=1
	s_wait_alu 0xfffe
	s_or_b32 exec_lo, exec_lo, s18
	s_delay_alu instid0(SALU_CYCLE_1)
	s_mov_b32 s18, exec_lo
	v_cmpx_gt_u32_e64 s12, v48
	s_cbranch_execnz .LBB906_88
.LBB906_11:                             ;   in Loop: Header=BB906_6 Depth=1
	s_wait_alu 0xfffe
	s_or_b32 exec_lo, exec_lo, s18
	s_delay_alu instid0(SALU_CYCLE_1)
	s_mov_b32 s18, exec_lo
	v_cmpx_gt_u32_e64 s12, v49
	s_cbranch_execnz .LBB906_89
.LBB906_12:                             ;   in Loop: Header=BB906_6 Depth=1
	s_wait_alu 0xfffe
	s_or_b32 exec_lo, exec_lo, s18
	s_delay_alu instid0(SALU_CYCLE_1)
	s_mov_b32 s18, exec_lo
	v_cmpx_gt_u32_e64 s12, v50
	s_cbranch_execnz .LBB906_90
.LBB906_13:                             ;   in Loop: Header=BB906_6 Depth=1
	s_wait_alu 0xfffe
	s_or_b32 exec_lo, exec_lo, s18
	s_delay_alu instid0(SALU_CYCLE_1)
	s_mov_b32 s18, exec_lo
	v_cmpx_gt_u32_e64 s12, v51
	s_cbranch_execnz .LBB906_91
.LBB906_14:                             ;   in Loop: Header=BB906_6 Depth=1
	s_wait_alu 0xfffe
	s_or_b32 exec_lo, exec_lo, s18
	s_delay_alu instid0(SALU_CYCLE_1)
	s_mov_b32 s18, exec_lo
	v_cmpx_gt_u32_e64 s12, v52
	s_cbranch_execnz .LBB906_92
.LBB906_15:                             ;   in Loop: Header=BB906_6 Depth=1
	s_wait_alu 0xfffe
	s_or_b32 exec_lo, exec_lo, s18
	s_delay_alu instid0(SALU_CYCLE_1)
	s_mov_b32 s18, exec_lo
	v_cmpx_gt_u32_e64 s12, v53
	s_cbranch_execnz .LBB906_93
.LBB906_16:                             ;   in Loop: Header=BB906_6 Depth=1
	s_wait_alu 0xfffe
	s_or_b32 exec_lo, exec_lo, s18
	s_delay_alu instid0(SALU_CYCLE_1)
	s_mov_b32 s18, exec_lo
	v_cmpx_gt_u32_e64 s12, v54
	s_cbranch_execnz .LBB906_94
.LBB906_17:                             ;   in Loop: Header=BB906_6 Depth=1
	s_wait_alu 0xfffe
	s_or_b32 exec_lo, exec_lo, s18
	s_delay_alu instid0(SALU_CYCLE_1)
	s_mov_b32 s18, exec_lo
	v_cmpx_gt_u32_e64 s12, v55
	s_cbranch_execnz .LBB906_95
.LBB906_18:                             ;   in Loop: Header=BB906_6 Depth=1
	s_wait_alu 0xfffe
	s_or_b32 exec_lo, exec_lo, s18
	s_delay_alu instid0(SALU_CYCLE_1)
	s_mov_b32 s18, exec_lo
	v_cmpx_gt_u32_e64 s12, v56
	s_cbranch_execnz .LBB906_96
.LBB906_19:                             ;   in Loop: Header=BB906_6 Depth=1
	s_wait_alu 0xfffe
	s_or_b32 exec_lo, exec_lo, s18
	s_delay_alu instid0(SALU_CYCLE_1)
	s_mov_b32 s18, exec_lo
	v_cmpx_gt_u32_e64 s12, v57
	s_cbranch_execnz .LBB906_97
.LBB906_20:                             ;   in Loop: Header=BB906_6 Depth=1
	s_wait_alu 0xfffe
	s_or_b32 exec_lo, exec_lo, s18
	s_delay_alu instid0(SALU_CYCLE_1)
	s_mov_b32 s18, exec_lo
	v_cmpx_gt_u32_e64 s12, v58
	s_cbranch_execnz .LBB906_98
.LBB906_21:                             ;   in Loop: Header=BB906_6 Depth=1
	s_wait_alu 0xfffe
	s_or_b32 exec_lo, exec_lo, s18
	s_delay_alu instid0(SALU_CYCLE_1)
	s_mov_b32 s18, exec_lo
	v_cmpx_gt_u32_e64 s12, v59
	s_cbranch_execnz .LBB906_99
.LBB906_22:                             ;   in Loop: Header=BB906_6 Depth=1
	s_wait_alu 0xfffe
	s_or_b32 exec_lo, exec_lo, s18
	s_delay_alu instid0(SALU_CYCLE_1)
	s_mov_b32 s18, exec_lo
	v_cmpx_gt_u32_e64 s12, v60
	s_cbranch_execz .LBB906_24
.LBB906_23:                             ;   in Loop: Header=BB906_6 Depth=1
	global_load_b64 v[22:23], v[20:21], off offset:3840
	s_wait_loadcnt 0x0
	v_cmp_ne_u64_e32 vcc_lo, 0, v[22:23]
	s_wait_alu 0xfffd
	v_cndmask_b32_e64 v17, 0, 1, vcc_lo
.LBB906_24:                             ;   in Loop: Header=BB906_6 Depth=1
	s_wait_alu 0xfffe
	s_or_b32 exec_lo, exec_lo, s18
	ds_store_b32 v61, v0
	ds_store_b32 v62, v3 offset:128
	ds_store_b32 v63, v4 offset:256
	;; [unrolled: 1-line block ×15, first 2 shown]
	; wave barrier
	ds_load_2addr_b32 v[6:7], v77 offset1:1
	ds_load_2addr_b32 v[8:9], v77 offset0:2 offset1:3
	ds_load_2addr_b32 v[10:11], v77 offset0:4 offset1:5
	;; [unrolled: 1-line block ×7, first 2 shown]
	s_mov_b32 s18, 0
.LBB906_25:                             ;   in Loop: Header=BB906_6 Depth=1
	s_wait_alu 0xfffe
	s_and_b32 vcc_lo, exec_lo, s18
	s_wait_alu 0xfffe
	s_cbranch_vccz .LBB906_27
; %bb.26:                               ;   in Loop: Header=BB906_6 Depth=1
	s_wait_dscnt 0x0
	s_clause 0xf
	global_load_b64 v[2:3], v[20:21], off
	global_load_b64 v[4:5], v[20:21], off offset:256
	global_load_b64 v[6:7], v[20:21], off offset:512
	;; [unrolled: 1-line block ×15, first 2 shown]
	s_wait_loadcnt 0xf
	v_cmp_ne_u64_e32 vcc_lo, 0, v[2:3]
	s_wait_alu 0xfffd
	v_cndmask_b32_e64 v0, 0, 1, vcc_lo
	s_wait_loadcnt 0xe
	v_cmp_ne_u64_e32 vcc_lo, 0, v[4:5]
	s_wait_alu 0xfffd
	v_cndmask_b32_e64 v2, 0, 1, vcc_lo
	;; [unrolled: 4-line block ×16, first 2 shown]
	ds_store_b32 v61, v0
	ds_store_b32 v62, v2 offset:128
	ds_store_b32 v63, v3 offset:256
	;; [unrolled: 1-line block ×15, first 2 shown]
	; wave barrier
	ds_load_2addr_b32 v[6:7], v77 offset1:1
	ds_load_2addr_b32 v[8:9], v77 offset0:2 offset1:3
	ds_load_2addr_b32 v[10:11], v77 offset0:4 offset1:5
	;; [unrolled: 1-line block ×7, first 2 shown]
.LBB906_27:                             ;   in Loop: Header=BB906_6 Depth=1
	s_wait_dscnt 0x7
	v_add_nc_u32_e32 v0, v7, v6
	s_wait_dscnt 0x0
	s_barrier_signal -1
	s_barrier_wait -1
	global_inv scope:SCOPE_SE
	v_add3_u32 v0, v0, v8, v9
	s_delay_alu instid0(VALU_DEP_1) | instskip(NEXT) | instid1(VALU_DEP_1)
	v_add3_u32 v0, v0, v10, v11
	v_add3_u32 v0, v0, v14, v15
	s_delay_alu instid0(VALU_DEP_1) | instskip(NEXT) | instid1(VALU_DEP_1)
	v_add3_u32 v0, v0, v16, v17
	;; [unrolled: 3-line block ×3, first 2 shown]
	v_add3_u32 v0, v0, v2, v3
	s_delay_alu instid0(VALU_DEP_1) | instskip(NEXT) | instid1(VALU_DEP_1)
	v_mov_b32_dpp v22, v0 row_shr:1 row_mask:0xf bank_mask:0xf
	v_cndmask_b32_e64 v22, v22, 0, s2
	s_delay_alu instid0(VALU_DEP_1) | instskip(NEXT) | instid1(VALU_DEP_1)
	v_add_nc_u32_e32 v0, v0, v22
	v_mov_b32_dpp v22, v0 row_shr:2 row_mask:0xf bank_mask:0xf
	s_delay_alu instid0(VALU_DEP_1) | instskip(NEXT) | instid1(VALU_DEP_1)
	v_cndmask_b32_e64 v22, 0, v22, s3
	v_add_nc_u32_e32 v0, v0, v22
	s_delay_alu instid0(VALU_DEP_1) | instskip(NEXT) | instid1(VALU_DEP_1)
	v_mov_b32_dpp v22, v0 row_shr:4 row_mask:0xf bank_mask:0xf
	v_cndmask_b32_e64 v22, 0, v22, s4
	s_delay_alu instid0(VALU_DEP_1) | instskip(NEXT) | instid1(VALU_DEP_1)
	v_add_nc_u32_e32 v0, v0, v22
	v_mov_b32_dpp v22, v0 row_shr:8 row_mask:0xf bank_mask:0xf
	s_delay_alu instid0(VALU_DEP_1) | instskip(NEXT) | instid1(VALU_DEP_1)
	v_cndmask_b32_e64 v22, 0, v22, s5
	v_add_nc_u32_e32 v0, v0, v22
	ds_swizzle_b32 v22, v0 offset:swizzle(BROADCAST,32,15)
	s_wait_dscnt 0x0
	v_cndmask_b32_e64 v22, v22, 0, s6
	s_delay_alu instid0(VALU_DEP_1)
	v_add_nc_u32_e32 v0, v0, v22
	s_and_saveexec_b32 s18, s7
; %bb.28:                               ;   in Loop: Header=BB906_6 Depth=1
	ds_store_b32 v24, v0
; %bb.29:                               ;   in Loop: Header=BB906_6 Depth=1
	s_wait_alu 0xfffe
	s_or_b32 exec_lo, exec_lo, s18
	s_wait_loadcnt_dscnt 0x0
	s_barrier_signal -1
	s_barrier_wait -1
	global_inv scope:SCOPE_SE
	s_and_saveexec_b32 s18, s9
	s_cbranch_execz .LBB906_31
; %bb.30:                               ;   in Loop: Header=BB906_6 Depth=1
	ds_load_b32 v22, v25
	s_wait_dscnt 0x0
	v_mov_b32_dpp v23, v22 row_shr:1 row_mask:0xf bank_mask:0xf
	s_delay_alu instid0(VALU_DEP_1) | instskip(NEXT) | instid1(VALU_DEP_1)
	v_cndmask_b32_e64 v23, v23, 0, s2
	v_add_nc_u32_e32 v22, v23, v22
	s_delay_alu instid0(VALU_DEP_1) | instskip(NEXT) | instid1(VALU_DEP_1)
	v_mov_b32_dpp v23, v22 row_shr:2 row_mask:0xf bank_mask:0xf
	v_cndmask_b32_e64 v23, 0, v23, s3
	s_delay_alu instid0(VALU_DEP_1) | instskip(NEXT) | instid1(VALU_DEP_1)
	v_add_nc_u32_e32 v22, v22, v23
	v_mov_b32_dpp v23, v22 row_shr:4 row_mask:0xf bank_mask:0xf
	s_delay_alu instid0(VALU_DEP_1) | instskip(NEXT) | instid1(VALU_DEP_1)
	v_cndmask_b32_e64 v23, 0, v23, s4
	v_add_nc_u32_e32 v22, v22, v23
	s_delay_alu instid0(VALU_DEP_1) | instskip(NEXT) | instid1(VALU_DEP_1)
	v_mov_b32_dpp v23, v22 row_shr:8 row_mask:0xf bank_mask:0xf
	v_cndmask_b32_e64 v23, 0, v23, s5
	s_delay_alu instid0(VALU_DEP_1)
	v_add_nc_u32_e32 v22, v22, v23
	ds_store_b32 v25, v22
.LBB906_31:                             ;   in Loop: Header=BB906_6 Depth=1
	s_wait_alu 0xfffe
	s_or_b32 exec_lo, exec_lo, s18
	v_mov_b32_e32 v22, 0
	s_wait_loadcnt_dscnt 0x0
	s_barrier_signal -1
	s_barrier_wait -1
	global_inv scope:SCOPE_SE
	s_and_saveexec_b32 s18, s10
; %bb.32:                               ;   in Loop: Header=BB906_6 Depth=1
	ds_load_b32 v22, v26
; %bb.33:                               ;   in Loop: Header=BB906_6 Depth=1
	s_wait_alu 0xfffe
	s_or_b32 exec_lo, exec_lo, s18
	s_wait_dscnt 0x0
	v_add_nc_u32_e32 v0, v22, v0
	ds_bpermute_b32 v0, v27, v0
	s_and_saveexec_b32 s18, s11
	s_cbranch_execz .LBB906_35
; %bb.34:                               ;   in Loop: Header=BB906_6 Depth=1
	ds_load_b32 v23, v1 offset:60
	s_wait_dscnt 0x0
	ds_store_b32 v1, v23 offset:33792
.LBB906_35:                             ;   in Loop: Header=BB906_6 Depth=1
	s_wait_alu 0xfffe
	s_or_b32 exec_lo, exec_lo, s18
	s_wait_dscnt 0x0
	v_cndmask_b32_e64 v0, v0, v22, s8
	s_wait_loadcnt 0x0
	s_barrier_signal -1
	s_barrier_wait -1
	global_inv scope:SCOPE_SE
	v_cndmask_b32_e64 v22, v0, 0, s11
	ds_store_2addr_b32 v28, v6, v7 offset1:1
	ds_store_2addr_b32 v28, v8, v9 offset0:2 offset1:3
	ds_store_2addr_b32 v28, v10, v11 offset0:4 offset1:5
	ds_store_2addr_b32 v28, v14, v15 offset0:6 offset1:7
	ds_store_2addr_b32 v28, v16, v17 offset0:8 offset1:9
	ds_store_2addr_b32 v28, v12, v13 offset0:10 offset1:11
	ds_store_2addr_b32 v28, v4, v5 offset0:12 offset1:13
	ds_store_2addr_b32 v28, v2, v3 offset0:14 offset1:15
	s_wait_loadcnt_dscnt 0x0
	s_barrier_signal -1
	v_add_nc_u32_e32 v23, v22, v6
	s_barrier_wait -1
	global_inv scope:SCOPE_SE
	s_mov_b32 s18, exec_lo
	v_add_nc_u32_e32 v91, v23, v7
	s_delay_alu instid0(VALU_DEP_1) | instskip(NEXT) | instid1(VALU_DEP_1)
	v_add_nc_u32_e32 v92, v91, v8
	v_add_nc_u32_e32 v93, v92, v9
	s_delay_alu instid0(VALU_DEP_1) | instskip(NEXT) | instid1(VALU_DEP_1)
	v_add_nc_u32_e32 v94, v93, v10
	;; [unrolled: 3-line block ×4, first 2 shown]
	v_add_nc_u32_e32 v6, v98, v17
	ds_load_b32 v99, v29
	ds_load_b32 v17, v30 offset:2048
	ds_load_b32 v90, v31 offset:4096
	;; [unrolled: 1-line block ×15, first 2 shown]
	s_wait_loadcnt_dscnt 0x0
	s_barrier_signal -1
	v_add_nc_u32_e32 v3, v6, v12
	s_barrier_wait -1
	global_inv scope:SCOPE_SE
	v_add_nc_u32_e32 v7, v3, v13
	s_delay_alu instid0(VALU_DEP_1) | instskip(NEXT) | instid1(VALU_DEP_1)
	v_add_nc_u32_e32 v4, v7, v4
	v_add_nc_u32_e32 v5, v4, v5
	s_delay_alu instid0(VALU_DEP_1)
	v_add_nc_u32_e32 v2, v5, v2
	ds_store_2addr_b32 v28, v22, v23 offset1:1
	ds_store_2addr_b32 v28, v91, v92 offset0:2 offset1:3
	ds_store_2addr_b32 v28, v93, v94 offset0:4 offset1:5
	;; [unrolled: 1-line block ×7, first 2 shown]
	s_wait_loadcnt_dscnt 0x0
	s_barrier_signal -1
	s_barrier_wait -1
	global_inv scope:SCOPE_SE
	ds_load_b32 v16, v30 offset:2048
	ds_load_b32 v15, v31 offset:4096
	;; [unrolled: 1-line block ×15, first 2 shown]
	v_cmpx_ne_u32_e32 0, v99
	s_cbranch_execz .LBB906_38
; %bb.36:                               ;   in Loop: Header=BB906_6 Depth=1
	ds_load_b32 v22, v29
	s_wait_dscnt 0x0
	v_ashrrev_i32_e32 v23, 31, v22
	s_delay_alu instid0(VALU_DEP_1)
	v_cmp_gt_i64_e32 vcc_lo, s[16:17], v[22:23]
	s_and_b32 exec_lo, exec_lo, vcc_lo
	s_cbranch_execz .LBB906_38
; %bb.37:                               ;   in Loop: Header=BB906_6 Depth=1
	v_lshlrev_b64_e32 v[22:23], 3, v[22:23]
	s_delay_alu instid0(VALU_DEP_1) | instskip(SKIP_1) | instid1(VALU_DEP_2)
	v_add_co_u32 v22, vcc_lo, s14, v22
	s_wait_alu 0xfffd
	v_add_co_ci_u32_e64 v23, null, s15, v23, vcc_lo
	global_store_b64 v[22:23], v[18:19], off
.LBB906_38:                             ;   in Loop: Header=BB906_6 Depth=1
	s_wait_alu 0xfffe
	s_or_b32 exec_lo, exec_lo, s18
	s_delay_alu instid0(SALU_CYCLE_1)
	s_mov_b32 s18, exec_lo
	v_cmpx_ne_u32_e32 0, v17
	s_cbranch_execz .LBB906_41
; %bb.39:                               ;   in Loop: Header=BB906_6 Depth=1
	s_wait_dscnt 0xe
	v_ashrrev_i32_e32 v17, 31, v16
	s_delay_alu instid0(VALU_DEP_1)
	v_cmp_gt_i64_e32 vcc_lo, s[16:17], v[16:17]
	s_and_b32 exec_lo, exec_lo, vcc_lo
	s_cbranch_execz .LBB906_41
; %bb.40:                               ;   in Loop: Header=BB906_6 Depth=1
	s_load_b32 s19, s[0:1], 0xc
	v_lshlrev_b64_e32 v[16:17], 3, v[16:17]
	s_wait_kmcnt 0x0
	s_and_b32 s19, s19, 0xffff
	s_wait_alu 0xfffe
	v_add_co_u32 v22, vcc_lo, v18, s19
	s_wait_alu 0xfffd
	v_add_co_ci_u32_e64 v23, null, 0, v19, vcc_lo
	v_add_co_u32 v16, vcc_lo, s14, v16
	s_wait_alu 0xfffd
	v_add_co_ci_u32_e64 v17, null, s15, v17, vcc_lo
	global_store_b64 v[16:17], v[22:23], off
.LBB906_41:                             ;   in Loop: Header=BB906_6 Depth=1
	s_wait_alu 0xfffe
	s_or_b32 exec_lo, exec_lo, s18
	s_delay_alu instid0(SALU_CYCLE_1)
	s_mov_b32 s18, exec_lo
	v_cmpx_ne_u32_e32 0, v90
	s_cbranch_execz .LBB906_44
; %bb.42:                               ;   in Loop: Header=BB906_6 Depth=1
	s_wait_dscnt 0xd
	v_ashrrev_i32_e32 v16, 31, v15
	s_delay_alu instid0(VALU_DEP_1)
	v_cmp_gt_i64_e32 vcc_lo, s[16:17], v[15:16]
	s_and_b32 exec_lo, exec_lo, vcc_lo
	s_cbranch_execz .LBB906_44
; %bb.43:                               ;   in Loop: Header=BB906_6 Depth=1
	s_load_b32 s19, s[0:1], 0xc
	v_lshlrev_b64_e32 v[15:16], 3, v[15:16]
	s_wait_kmcnt 0x0
	s_and_b32 s19, s19, 0xffff
	s_wait_alu 0xfffe
	s_lshl_b32 s19, s19, 1
	s_wait_alu 0xfffe
	v_add_co_u32 v22, vcc_lo, v18, s19
	s_wait_alu 0xfffd
	v_add_co_ci_u32_e64 v23, null, 0, v19, vcc_lo
	v_add_co_u32 v15, vcc_lo, s14, v15
	s_wait_alu 0xfffd
	v_add_co_ci_u32_e64 v16, null, s15, v16, vcc_lo
	global_store_b64 v[15:16], v[22:23], off
.LBB906_44:                             ;   in Loop: Header=BB906_6 Depth=1
	s_wait_alu 0xfffe
	s_or_b32 exec_lo, exec_lo, s18
	s_delay_alu instid0(SALU_CYCLE_1)
	s_mov_b32 s18, exec_lo
	v_cmpx_ne_u32_e32 0, v89
	s_cbranch_execz .LBB906_47
; %bb.45:                               ;   in Loop: Header=BB906_6 Depth=1
	s_wait_dscnt 0xc
	v_ashrrev_i32_e32 v15, 31, v14
	s_delay_alu instid0(VALU_DEP_1)
	v_cmp_gt_i64_e32 vcc_lo, s[16:17], v[14:15]
	s_and_b32 exec_lo, exec_lo, vcc_lo
	s_cbranch_execz .LBB906_47
; %bb.46:                               ;   in Loop: Header=BB906_6 Depth=1
	s_load_b32 s19, s[0:1], 0xc
	v_lshlrev_b64_e32 v[14:15], 3, v[14:15]
	s_wait_kmcnt 0x0
	s_and_b32 s19, s19, 0xffff
	s_wait_alu 0xfffe
	s_mul_i32 s19, s19, 3
	s_wait_alu 0xfffe
	v_add_co_u32 v16, vcc_lo, v18, s19
	s_wait_alu 0xfffd
	v_add_co_ci_u32_e64 v17, null, 0, v19, vcc_lo
	v_add_co_u32 v14, vcc_lo, s14, v14
	s_wait_alu 0xfffd
	v_add_co_ci_u32_e64 v15, null, s15, v15, vcc_lo
	global_store_b64 v[14:15], v[16:17], off
.LBB906_47:                             ;   in Loop: Header=BB906_6 Depth=1
	s_wait_alu 0xfffe
	s_or_b32 exec_lo, exec_lo, s18
	s_delay_alu instid0(SALU_CYCLE_1)
	s_mov_b32 s18, exec_lo
	v_cmpx_ne_u32_e32 0, v88
	s_cbranch_execz .LBB906_50
; %bb.48:                               ;   in Loop: Header=BB906_6 Depth=1
	s_wait_dscnt 0xb
	v_ashrrev_i32_e32 v14, 31, v13
	s_delay_alu instid0(VALU_DEP_1)
	v_cmp_gt_i64_e32 vcc_lo, s[16:17], v[13:14]
	s_and_b32 exec_lo, exec_lo, vcc_lo
	s_cbranch_execz .LBB906_50
; %bb.49:                               ;   in Loop: Header=BB906_6 Depth=1
	s_load_b32 s19, s[0:1], 0xc
	v_lshlrev_b64_e32 v[13:14], 3, v[13:14]
	s_wait_kmcnt 0x0
	s_and_b32 s19, s19, 0xffff
	s_wait_alu 0xfffe
	s_lshl_b32 s19, s19, 2
	s_wait_alu 0xfffe
	v_add_co_u32 v15, vcc_lo, v18, s19
	s_wait_alu 0xfffd
	v_add_co_ci_u32_e64 v16, null, 0, v19, vcc_lo
	v_add_co_u32 v13, vcc_lo, s14, v13
	s_wait_alu 0xfffd
	v_add_co_ci_u32_e64 v14, null, s15, v14, vcc_lo
	global_store_b64 v[13:14], v[15:16], off
.LBB906_50:                             ;   in Loop: Header=BB906_6 Depth=1
	s_wait_alu 0xfffe
	s_or_b32 exec_lo, exec_lo, s18
	s_delay_alu instid0(SALU_CYCLE_1)
	s_mov_b32 s18, exec_lo
	v_cmpx_ne_u32_e32 0, v87
	s_cbranch_execz .LBB906_53
; %bb.51:                               ;   in Loop: Header=BB906_6 Depth=1
	s_wait_dscnt 0xa
	v_ashrrev_i32_e32 v13, 31, v12
	s_delay_alu instid0(VALU_DEP_1)
	v_cmp_gt_i64_e32 vcc_lo, s[16:17], v[12:13]
	s_and_b32 exec_lo, exec_lo, vcc_lo
	s_cbranch_execz .LBB906_53
; %bb.52:                               ;   in Loop: Header=BB906_6 Depth=1
	s_load_b32 s19, s[0:1], 0xc
	v_lshlrev_b64_e32 v[12:13], 3, v[12:13]
	s_wait_kmcnt 0x0
	s_and_b32 s19, s19, 0xffff
	s_wait_alu 0xfffe
	s_mul_i32 s19, s19, 5
	s_wait_alu 0xfffe
	v_add_co_u32 v14, vcc_lo, v18, s19
	s_wait_alu 0xfffd
	v_add_co_ci_u32_e64 v15, null, 0, v19, vcc_lo
	v_add_co_u32 v12, vcc_lo, s14, v12
	s_wait_alu 0xfffd
	v_add_co_ci_u32_e64 v13, null, s15, v13, vcc_lo
	global_store_b64 v[12:13], v[14:15], off
.LBB906_53:                             ;   in Loop: Header=BB906_6 Depth=1
	s_wait_alu 0xfffe
	s_or_b32 exec_lo, exec_lo, s18
	s_delay_alu instid0(SALU_CYCLE_1)
	s_mov_b32 s18, exec_lo
	v_cmpx_ne_u32_e32 0, v86
	s_cbranch_execz .LBB906_56
; %bb.54:                               ;   in Loop: Header=BB906_6 Depth=1
	s_wait_dscnt 0x9
	v_ashrrev_i32_e32 v12, 31, v11
	s_delay_alu instid0(VALU_DEP_1)
	v_cmp_gt_i64_e32 vcc_lo, s[16:17], v[11:12]
	s_and_b32 exec_lo, exec_lo, vcc_lo
	s_cbranch_execz .LBB906_56
; %bb.55:                               ;   in Loop: Header=BB906_6 Depth=1
	s_load_b32 s19, s[0:1], 0xc
	v_lshlrev_b64_e32 v[11:12], 3, v[11:12]
	s_wait_kmcnt 0x0
	s_and_b32 s19, s19, 0xffff
	s_wait_alu 0xfffe
	s_mul_i32 s19, s19, 6
	s_wait_alu 0xfffe
	v_add_co_u32 v13, vcc_lo, v18, s19
	s_wait_alu 0xfffd
	v_add_co_ci_u32_e64 v14, null, 0, v19, vcc_lo
	v_add_co_u32 v11, vcc_lo, s14, v11
	s_wait_alu 0xfffd
	v_add_co_ci_u32_e64 v12, null, s15, v12, vcc_lo
	global_store_b64 v[11:12], v[13:14], off
.LBB906_56:                             ;   in Loop: Header=BB906_6 Depth=1
	;; [unrolled: 29-line block ×3, first 2 shown]
	s_wait_alu 0xfffe
	s_or_b32 exec_lo, exec_lo, s18
	s_delay_alu instid0(SALU_CYCLE_1)
	s_mov_b32 s18, exec_lo
	v_cmpx_ne_u32_e32 0, v84
	s_cbranch_execz .LBB906_62
; %bb.60:                               ;   in Loop: Header=BB906_6 Depth=1
	s_wait_dscnt 0x7
	v_ashrrev_i32_e32 v10, 31, v9
	s_delay_alu instid0(VALU_DEP_1)
	v_cmp_gt_i64_e32 vcc_lo, s[16:17], v[9:10]
	s_and_b32 exec_lo, exec_lo, vcc_lo
	s_cbranch_execz .LBB906_62
; %bb.61:                               ;   in Loop: Header=BB906_6 Depth=1
	s_load_b32 s19, s[0:1], 0xc
	v_lshlrev_b64_e32 v[9:10], 3, v[9:10]
	s_wait_kmcnt 0x0
	s_and_b32 s19, s19, 0xffff
	s_wait_alu 0xfffe
	s_lshl_b32 s19, s19, 3
	s_wait_alu 0xfffe
	v_add_co_u32 v11, vcc_lo, v18, s19
	s_wait_alu 0xfffd
	v_add_co_ci_u32_e64 v12, null, 0, v19, vcc_lo
	v_add_co_u32 v9, vcc_lo, s14, v9
	s_wait_alu 0xfffd
	v_add_co_ci_u32_e64 v10, null, s15, v10, vcc_lo
	global_store_b64 v[9:10], v[11:12], off
.LBB906_62:                             ;   in Loop: Header=BB906_6 Depth=1
	s_wait_alu 0xfffe
	s_or_b32 exec_lo, exec_lo, s18
	s_delay_alu instid0(SALU_CYCLE_1)
	s_mov_b32 s18, exec_lo
	v_cmpx_ne_u32_e32 0, v83
	s_cbranch_execz .LBB906_65
; %bb.63:                               ;   in Loop: Header=BB906_6 Depth=1
	s_wait_dscnt 0x6
	v_ashrrev_i32_e32 v9, 31, v8
	s_delay_alu instid0(VALU_DEP_1)
	v_cmp_gt_i64_e32 vcc_lo, s[16:17], v[8:9]
	s_and_b32 exec_lo, exec_lo, vcc_lo
	s_cbranch_execz .LBB906_65
; %bb.64:                               ;   in Loop: Header=BB906_6 Depth=1
	s_load_b32 s19, s[0:1], 0xc
	v_lshlrev_b64_e32 v[8:9], 3, v[8:9]
	s_wait_kmcnt 0x0
	s_and_b32 s19, s19, 0xffff
	s_wait_alu 0xfffe
	s_mul_i32 s19, s19, 9
	s_wait_alu 0xfffe
	v_add_co_u32 v10, vcc_lo, v18, s19
	s_wait_alu 0xfffd
	v_add_co_ci_u32_e64 v11, null, 0, v19, vcc_lo
	v_add_co_u32 v8, vcc_lo, s14, v8
	s_wait_alu 0xfffd
	v_add_co_ci_u32_e64 v9, null, s15, v9, vcc_lo
	global_store_b64 v[8:9], v[10:11], off
.LBB906_65:                             ;   in Loop: Header=BB906_6 Depth=1
	s_wait_alu 0xfffe
	s_or_b32 exec_lo, exec_lo, s18
	s_delay_alu instid0(SALU_CYCLE_1)
	s_mov_b32 s18, exec_lo
	v_cmpx_ne_u32_e32 0, v82
	s_cbranch_execz .LBB906_68
; %bb.66:                               ;   in Loop: Header=BB906_6 Depth=1
	s_wait_dscnt 0x5
	v_ashrrev_i32_e32 v8, 31, v7
	s_delay_alu instid0(VALU_DEP_1)
	v_cmp_gt_i64_e32 vcc_lo, s[16:17], v[7:8]
	s_and_b32 exec_lo, exec_lo, vcc_lo
	s_cbranch_execz .LBB906_68
; %bb.67:                               ;   in Loop: Header=BB906_6 Depth=1
	s_load_b32 s19, s[0:1], 0xc
	v_lshlrev_b64_e32 v[7:8], 3, v[7:8]
	s_wait_kmcnt 0x0
	s_and_b32 s19, s19, 0xffff
	s_wait_alu 0xfffe
	s_mul_i32 s19, s19, 10
	s_wait_alu 0xfffe
	v_add_co_u32 v9, vcc_lo, v18, s19
	s_wait_alu 0xfffd
	v_add_co_ci_u32_e64 v10, null, 0, v19, vcc_lo
	v_add_co_u32 v7, vcc_lo, s14, v7
	s_wait_alu 0xfffd
	v_add_co_ci_u32_e64 v8, null, s15, v8, vcc_lo
	global_store_b64 v[7:8], v[9:10], off
.LBB906_68:                             ;   in Loop: Header=BB906_6 Depth=1
	s_wait_alu 0xfffe
	s_or_b32 exec_lo, exec_lo, s18
	s_delay_alu instid0(SALU_CYCLE_1)
	s_mov_b32 s18, exec_lo
	v_cmpx_ne_u32_e32 0, v81
	s_cbranch_execz .LBB906_71
; %bb.69:                               ;   in Loop: Header=BB906_6 Depth=1
	s_wait_dscnt 0x4
	v_ashrrev_i32_e32 v7, 31, v6
	s_delay_alu instid0(VALU_DEP_1)
	v_cmp_gt_i64_e32 vcc_lo, s[16:17], v[6:7]
	s_and_b32 exec_lo, exec_lo, vcc_lo
	s_cbranch_execz .LBB906_71
; %bb.70:                               ;   in Loop: Header=BB906_6 Depth=1
	s_load_b32 s19, s[0:1], 0xc
	v_lshlrev_b64_e32 v[6:7], 3, v[6:7]
	s_wait_kmcnt 0x0
	s_and_b32 s19, s19, 0xffff
	s_wait_alu 0xfffe
	s_mul_i32 s19, s19, 11
	s_wait_alu 0xfffe
	v_add_co_u32 v8, vcc_lo, v18, s19
	s_wait_alu 0xfffd
	v_add_co_ci_u32_e64 v9, null, 0, v19, vcc_lo
	v_add_co_u32 v6, vcc_lo, s14, v6
	s_wait_alu 0xfffd
	v_add_co_ci_u32_e64 v7, null, s15, v7, vcc_lo
	global_store_b64 v[6:7], v[8:9], off
.LBB906_71:                             ;   in Loop: Header=BB906_6 Depth=1
	s_wait_alu 0xfffe
	s_or_b32 exec_lo, exec_lo, s18
	s_delay_alu instid0(SALU_CYCLE_1)
	s_mov_b32 s18, exec_lo
	v_cmpx_ne_u32_e32 0, v80
	s_cbranch_execz .LBB906_74
; %bb.72:                               ;   in Loop: Header=BB906_6 Depth=1
	s_wait_dscnt 0x3
	v_ashrrev_i32_e32 v6, 31, v5
	s_delay_alu instid0(VALU_DEP_1)
	v_cmp_gt_i64_e32 vcc_lo, s[16:17], v[5:6]
	s_and_b32 exec_lo, exec_lo, vcc_lo
	s_cbranch_execz .LBB906_74
; %bb.73:                               ;   in Loop: Header=BB906_6 Depth=1
	s_load_b32 s19, s[0:1], 0xc
	v_lshlrev_b64_e32 v[5:6], 3, v[5:6]
	s_wait_kmcnt 0x0
	s_and_b32 s19, s19, 0xffff
	s_wait_alu 0xfffe
	s_mul_i32 s19, s19, 12
	s_wait_alu 0xfffe
	v_add_co_u32 v7, vcc_lo, v18, s19
	s_wait_alu 0xfffd
	v_add_co_ci_u32_e64 v8, null, 0, v19, vcc_lo
	v_add_co_u32 v5, vcc_lo, s14, v5
	s_wait_alu 0xfffd
	v_add_co_ci_u32_e64 v6, null, s15, v6, vcc_lo
	global_store_b64 v[5:6], v[7:8], off
.LBB906_74:                             ;   in Loop: Header=BB906_6 Depth=1
	s_wait_alu 0xfffe
	s_or_b32 exec_lo, exec_lo, s18
	s_delay_alu instid0(SALU_CYCLE_1)
	s_mov_b32 s18, exec_lo
	v_cmpx_ne_u32_e32 0, v79
	s_cbranch_execz .LBB906_77
; %bb.75:                               ;   in Loop: Header=BB906_6 Depth=1
	s_wait_dscnt 0x2
	v_ashrrev_i32_e32 v5, 31, v4
	s_delay_alu instid0(VALU_DEP_1)
	v_cmp_gt_i64_e32 vcc_lo, s[16:17], v[4:5]
	s_and_b32 exec_lo, exec_lo, vcc_lo
	s_cbranch_execz .LBB906_77
; %bb.76:                               ;   in Loop: Header=BB906_6 Depth=1
	s_load_b32 s19, s[0:1], 0xc
	v_lshlrev_b64_e32 v[4:5], 3, v[4:5]
	s_wait_kmcnt 0x0
	s_and_b32 s19, s19, 0xffff
	s_wait_alu 0xfffe
	s_mul_i32 s19, s19, 13
	s_wait_alu 0xfffe
	v_add_co_u32 v6, vcc_lo, v18, s19
	s_wait_alu 0xfffd
	v_add_co_ci_u32_e64 v7, null, 0, v19, vcc_lo
	v_add_co_u32 v4, vcc_lo, s14, v4
	s_wait_alu 0xfffd
	v_add_co_ci_u32_e64 v5, null, s15, v5, vcc_lo
	global_store_b64 v[4:5], v[6:7], off
.LBB906_77:                             ;   in Loop: Header=BB906_6 Depth=1
	s_wait_alu 0xfffe
	s_or_b32 exec_lo, exec_lo, s18
	s_delay_alu instid0(SALU_CYCLE_1)
	s_mov_b32 s18, exec_lo
	v_cmpx_ne_u32_e32 0, v78
	s_cbranch_execz .LBB906_80
; %bb.78:                               ;   in Loop: Header=BB906_6 Depth=1
	s_wait_dscnt 0x1
	v_ashrrev_i32_e32 v4, 31, v3
	s_delay_alu instid0(VALU_DEP_1)
	v_cmp_gt_i64_e32 vcc_lo, s[16:17], v[3:4]
	s_and_b32 exec_lo, exec_lo, vcc_lo
	s_cbranch_execz .LBB906_80
; %bb.79:                               ;   in Loop: Header=BB906_6 Depth=1
	s_load_b32 s19, s[0:1], 0xc
	v_lshlrev_b64_e32 v[3:4], 3, v[3:4]
	s_wait_kmcnt 0x0
	s_and_b32 s19, s19, 0xffff
	s_wait_alu 0xfffe
	s_mul_i32 s19, s19, 14
	s_wait_alu 0xfffe
	v_add_co_u32 v5, vcc_lo, v18, s19
	s_wait_alu 0xfffd
	v_add_co_ci_u32_e64 v6, null, 0, v19, vcc_lo
	v_add_co_u32 v3, vcc_lo, s14, v3
	s_wait_alu 0xfffd
	v_add_co_ci_u32_e64 v4, null, s15, v4, vcc_lo
	global_store_b64 v[3:4], v[5:6], off
.LBB906_80:                             ;   in Loop: Header=BB906_6 Depth=1
	s_wait_alu 0xfffe
	s_or_b32 exec_lo, exec_lo, s18
	s_delay_alu instid0(SALU_CYCLE_1)
	s_mov_b32 s18, exec_lo
	v_cmpx_ne_u32_e32 0, v0
	s_cbranch_execz .LBB906_83
; %bb.81:                               ;   in Loop: Header=BB906_6 Depth=1
	s_wait_dscnt 0x0
	v_ashrrev_i32_e32 v3, 31, v2
	s_delay_alu instid0(VALU_DEP_1)
	v_cmp_gt_i64_e32 vcc_lo, s[16:17], v[2:3]
	s_and_b32 exec_lo, exec_lo, vcc_lo
	s_cbranch_execz .LBB906_83
; %bb.82:                               ;   in Loop: Header=BB906_6 Depth=1
	s_load_b32 s19, s[0:1], 0xc
	v_lshlrev_b64_e32 v[2:3], 3, v[2:3]
	s_wait_kmcnt 0x0
	s_and_b32 s19, s19, 0xffff
	s_wait_alu 0xfffe
	s_mul_i32 s19, s19, 15
	s_wait_alu 0xfffe
	v_add_co_u32 v4, vcc_lo, v18, s19
	s_wait_alu 0xfffd
	v_add_co_ci_u32_e64 v5, null, 0, v19, vcc_lo
	v_add_co_u32 v2, vcc_lo, s14, v2
	s_wait_alu 0xfffd
	v_add_co_ci_u32_e64 v3, null, s15, v3, vcc_lo
	global_store_b64 v[2:3], v[4:5], off
.LBB906_83:                             ;   in Loop: Header=BB906_6 Depth=1
	s_wait_alu 0xfffe
	s_or_b32 exec_lo, exec_lo, s18
	ds_load_b32 v0, v1 offset:33792
	v_cmp_lt_i64_e64 s22, 0x2000, s[12:13]
	s_wait_dscnt 0x0
	v_readfirstlane_b32 s18, v0
	s_ashr_i32 s19, s18, 31
	s_wait_alu 0xfffe
	s_sub_nc_u64 s[16:17], s[16:17], s[18:19]
	s_wait_alu 0xfffe
	v_cmp_gt_i64_e64 s23, s[16:17], 0
	s_and_b32 s22, s22, s23
	s_wait_alu 0xfffe
	s_and_not1_b32 vcc_lo, exec_lo, s22
	s_wait_alu 0xfffe
	s_cbranch_vccz .LBB906_5
; %bb.84:
                                        ; implicit-def: $sgpr12_sgpr13
                                        ; implicit-def: $sgpr14_sgpr15
                                        ; implicit-def: $vgpr18_vgpr19
                                        ; implicit-def: $sgpr26
                                        ; implicit-def: $vgpr20_vgpr21
	s_branch .LBB906_100
.LBB906_85:                             ;   in Loop: Header=BB906_6 Depth=1
	global_load_b64 v[22:23], v[20:21], off
	v_dual_mov_b32 v14, v1 :: v_dual_mov_b32 v15, v1
	v_dual_mov_b32 v2, v1 :: v_dual_mov_b32 v3, v1
	;; [unrolled: 1-line block ×7, first 2 shown]
	v_mov_b32_e32 v17, v15
	s_delay_alu instid0(VALU_DEP_2) | instskip(NEXT) | instid1(VALU_DEP_3)
	v_dual_mov_b32 v16, v14 :: v_dual_mov_b32 v15, v13
	v_mov_b32_e32 v14, v12
	v_mov_b32_e32 v13, v11
	;; [unrolled: 1-line block ×13, first 2 shown]
	s_wait_loadcnt 0x0
	v_cmp_ne_u64_e32 vcc_lo, 0, v[22:23]
	s_wait_alu 0xfffd
	v_cndmask_b32_e64 v0, 0, 1, vcc_lo
	s_wait_alu 0xfffe
	s_or_b32 exec_lo, exec_lo, s18
	s_delay_alu instid0(SALU_CYCLE_1)
	s_mov_b32 s18, exec_lo
	v_cmpx_gt_u32_e64 s12, v46
	s_cbranch_execz .LBB906_9
.LBB906_86:                             ;   in Loop: Header=BB906_6 Depth=1
	global_load_b64 v[2:3], v[20:21], off offset:256
	s_wait_loadcnt 0x0
	v_cmp_ne_u64_e32 vcc_lo, 0, v[2:3]
	s_wait_alu 0xfffd
	v_cndmask_b32_e64 v3, 0, 1, vcc_lo
	s_wait_alu 0xfffe
	s_or_b32 exec_lo, exec_lo, s18
	s_delay_alu instid0(SALU_CYCLE_1)
	s_mov_b32 s18, exec_lo
	v_cmpx_gt_u32_e64 s12, v47
	s_cbranch_execz .LBB906_10
.LBB906_87:                             ;   in Loop: Header=BB906_6 Depth=1
	global_load_b64 v[22:23], v[20:21], off offset:512
	s_wait_loadcnt 0x0
	v_cmp_ne_u64_e32 vcc_lo, 0, v[22:23]
	s_wait_alu 0xfffd
	v_cndmask_b32_e64 v4, 0, 1, vcc_lo
	s_wait_alu 0xfffe
	s_or_b32 exec_lo, exec_lo, s18
	s_delay_alu instid0(SALU_CYCLE_1)
	s_mov_b32 s18, exec_lo
	v_cmpx_gt_u32_e64 s12, v48
	s_cbranch_execz .LBB906_11
.LBB906_88:                             ;   in Loop: Header=BB906_6 Depth=1
	global_load_b64 v[22:23], v[20:21], off offset:768
	s_wait_loadcnt 0x0
	v_cmp_ne_u64_e32 vcc_lo, 0, v[22:23]
	s_wait_alu 0xfffd
	v_cndmask_b32_e64 v5, 0, 1, vcc_lo
	s_wait_alu 0xfffe
	s_or_b32 exec_lo, exec_lo, s18
	s_delay_alu instid0(SALU_CYCLE_1)
	s_mov_b32 s18, exec_lo
	v_cmpx_gt_u32_e64 s12, v49
	s_cbranch_execz .LBB906_12
.LBB906_89:                             ;   in Loop: Header=BB906_6 Depth=1
	global_load_b64 v[22:23], v[20:21], off offset:1024
	s_wait_loadcnt 0x0
	v_cmp_ne_u64_e32 vcc_lo, 0, v[22:23]
	s_wait_alu 0xfffd
	v_cndmask_b32_e64 v6, 0, 1, vcc_lo
	s_wait_alu 0xfffe
	s_or_b32 exec_lo, exec_lo, s18
	s_delay_alu instid0(SALU_CYCLE_1)
	s_mov_b32 s18, exec_lo
	v_cmpx_gt_u32_e64 s12, v50
	s_cbranch_execz .LBB906_13
.LBB906_90:                             ;   in Loop: Header=BB906_6 Depth=1
	global_load_b64 v[22:23], v[20:21], off offset:1280
	s_wait_loadcnt 0x0
	v_cmp_ne_u64_e32 vcc_lo, 0, v[22:23]
	s_wait_alu 0xfffd
	v_cndmask_b32_e64 v7, 0, 1, vcc_lo
	s_wait_alu 0xfffe
	s_or_b32 exec_lo, exec_lo, s18
	s_delay_alu instid0(SALU_CYCLE_1)
	s_mov_b32 s18, exec_lo
	v_cmpx_gt_u32_e64 s12, v51
	s_cbranch_execz .LBB906_14
.LBB906_91:                             ;   in Loop: Header=BB906_6 Depth=1
	global_load_b64 v[22:23], v[20:21], off offset:1536
	s_wait_loadcnt 0x0
	v_cmp_ne_u64_e32 vcc_lo, 0, v[22:23]
	s_wait_alu 0xfffd
	v_cndmask_b32_e64 v8, 0, 1, vcc_lo
	s_wait_alu 0xfffe
	s_or_b32 exec_lo, exec_lo, s18
	s_delay_alu instid0(SALU_CYCLE_1)
	s_mov_b32 s18, exec_lo
	v_cmpx_gt_u32_e64 s12, v52
	s_cbranch_execz .LBB906_15
.LBB906_92:                             ;   in Loop: Header=BB906_6 Depth=1
	global_load_b64 v[22:23], v[20:21], off offset:1792
	s_wait_loadcnt 0x0
	v_cmp_ne_u64_e32 vcc_lo, 0, v[22:23]
	s_wait_alu 0xfffd
	v_cndmask_b32_e64 v9, 0, 1, vcc_lo
	s_wait_alu 0xfffe
	s_or_b32 exec_lo, exec_lo, s18
	s_delay_alu instid0(SALU_CYCLE_1)
	s_mov_b32 s18, exec_lo
	v_cmpx_gt_u32_e64 s12, v53
	s_cbranch_execz .LBB906_16
.LBB906_93:                             ;   in Loop: Header=BB906_6 Depth=1
	global_load_b64 v[22:23], v[20:21], off offset:2048
	s_wait_loadcnt 0x0
	v_cmp_ne_u64_e32 vcc_lo, 0, v[22:23]
	s_wait_alu 0xfffd
	v_cndmask_b32_e64 v10, 0, 1, vcc_lo
	s_wait_alu 0xfffe
	s_or_b32 exec_lo, exec_lo, s18
	s_delay_alu instid0(SALU_CYCLE_1)
	s_mov_b32 s18, exec_lo
	v_cmpx_gt_u32_e64 s12, v54
	s_cbranch_execz .LBB906_17
.LBB906_94:                             ;   in Loop: Header=BB906_6 Depth=1
	global_load_b64 v[22:23], v[20:21], off offset:2304
	s_wait_loadcnt 0x0
	v_cmp_ne_u64_e32 vcc_lo, 0, v[22:23]
	s_wait_alu 0xfffd
	v_cndmask_b32_e64 v11, 0, 1, vcc_lo
	s_wait_alu 0xfffe
	s_or_b32 exec_lo, exec_lo, s18
	s_delay_alu instid0(SALU_CYCLE_1)
	s_mov_b32 s18, exec_lo
	v_cmpx_gt_u32_e64 s12, v55
	s_cbranch_execz .LBB906_18
.LBB906_95:                             ;   in Loop: Header=BB906_6 Depth=1
	global_load_b64 v[22:23], v[20:21], off offset:2560
	s_wait_loadcnt 0x0
	v_cmp_ne_u64_e32 vcc_lo, 0, v[22:23]
	s_wait_alu 0xfffd
	v_cndmask_b32_e64 v12, 0, 1, vcc_lo
	s_wait_alu 0xfffe
	s_or_b32 exec_lo, exec_lo, s18
	s_delay_alu instid0(SALU_CYCLE_1)
	s_mov_b32 s18, exec_lo
	v_cmpx_gt_u32_e64 s12, v56
	s_cbranch_execz .LBB906_19
.LBB906_96:                             ;   in Loop: Header=BB906_6 Depth=1
	global_load_b64 v[22:23], v[20:21], off offset:2816
	s_wait_loadcnt 0x0
	v_cmp_ne_u64_e32 vcc_lo, 0, v[22:23]
	s_wait_alu 0xfffd
	v_cndmask_b32_e64 v13, 0, 1, vcc_lo
	s_wait_alu 0xfffe
	s_or_b32 exec_lo, exec_lo, s18
	s_delay_alu instid0(SALU_CYCLE_1)
	s_mov_b32 s18, exec_lo
	v_cmpx_gt_u32_e64 s12, v57
	s_cbranch_execz .LBB906_20
.LBB906_97:                             ;   in Loop: Header=BB906_6 Depth=1
	global_load_b64 v[22:23], v[20:21], off offset:3072
	s_wait_loadcnt 0x0
	v_cmp_ne_u64_e32 vcc_lo, 0, v[22:23]
	s_wait_alu 0xfffd
	v_cndmask_b32_e64 v14, 0, 1, vcc_lo
	s_wait_alu 0xfffe
	s_or_b32 exec_lo, exec_lo, s18
	s_delay_alu instid0(SALU_CYCLE_1)
	s_mov_b32 s18, exec_lo
	v_cmpx_gt_u32_e64 s12, v58
	s_cbranch_execz .LBB906_21
.LBB906_98:                             ;   in Loop: Header=BB906_6 Depth=1
	global_load_b64 v[22:23], v[20:21], off offset:3328
	s_wait_loadcnt 0x0
	v_cmp_ne_u64_e32 vcc_lo, 0, v[22:23]
	s_wait_alu 0xfffd
	v_cndmask_b32_e64 v15, 0, 1, vcc_lo
	s_wait_alu 0xfffe
	s_or_b32 exec_lo, exec_lo, s18
	s_delay_alu instid0(SALU_CYCLE_1)
	s_mov_b32 s18, exec_lo
	v_cmpx_gt_u32_e64 s12, v59
	s_cbranch_execz .LBB906_22
.LBB906_99:                             ;   in Loop: Header=BB906_6 Depth=1
	global_load_b64 v[22:23], v[20:21], off offset:3584
	s_wait_loadcnt 0x0
	v_cmp_ne_u64_e32 vcc_lo, 0, v[22:23]
	s_wait_alu 0xfffd
	v_cndmask_b32_e64 v16, 0, 1, vcc_lo
	s_wait_alu 0xfffe
	s_or_b32 exec_lo, exec_lo, s18
	s_delay_alu instid0(SALU_CYCLE_1)
	s_mov_b32 s18, exec_lo
	v_cmpx_gt_u32_e64 s12, v60
	s_cbranch_execnz .LBB906_23
	s_branch .LBB906_24
.LBB906_100:
	s_nop 0
	s_sendmsg sendmsg(MSG_DEALLOC_VGPRS)
	s_endpgm
	.section	.rodata,"a",@progbits
	.p2align	6, 0x0
	.amdhsa_kernel _ZN2at6native12_GLOBAL__N_111flag_kernelILi512ELi16ElEEvPKT1_PlPKllli
		.amdhsa_group_segment_fixed_size 33796
		.amdhsa_private_segment_fixed_size 0
		.amdhsa_kernarg_size 304
		.amdhsa_user_sgpr_count 2
		.amdhsa_user_sgpr_dispatch_ptr 0
		.amdhsa_user_sgpr_queue_ptr 0
		.amdhsa_user_sgpr_kernarg_segment_ptr 1
		.amdhsa_user_sgpr_dispatch_id 0
		.amdhsa_user_sgpr_private_segment_size 0
		.amdhsa_wavefront_size32 1
		.amdhsa_uses_dynamic_stack 0
		.amdhsa_enable_private_segment 0
		.amdhsa_system_sgpr_workgroup_id_x 1
		.amdhsa_system_sgpr_workgroup_id_y 0
		.amdhsa_system_sgpr_workgroup_id_z 0
		.amdhsa_system_sgpr_workgroup_info 0
		.amdhsa_system_vgpr_workitem_id 0
		.amdhsa_next_free_vgpr 100
		.amdhsa_next_free_sgpr 27
		.amdhsa_reserve_vcc 1
		.amdhsa_float_round_mode_32 0
		.amdhsa_float_round_mode_16_64 0
		.amdhsa_float_denorm_mode_32 3
		.amdhsa_float_denorm_mode_16_64 3
		.amdhsa_fp16_overflow 0
		.amdhsa_workgroup_processor_mode 1
		.amdhsa_memory_ordered 1
		.amdhsa_forward_progress 1
		.amdhsa_inst_pref_size 57
		.amdhsa_round_robin_scheduling 0
		.amdhsa_exception_fp_ieee_invalid_op 0
		.amdhsa_exception_fp_denorm_src 0
		.amdhsa_exception_fp_ieee_div_zero 0
		.amdhsa_exception_fp_ieee_overflow 0
		.amdhsa_exception_fp_ieee_underflow 0
		.amdhsa_exception_fp_ieee_inexact 0
		.amdhsa_exception_int_div_zero 0
	.end_amdhsa_kernel
	.section	.text._ZN2at6native12_GLOBAL__N_111flag_kernelILi512ELi16ElEEvPKT1_PlPKllli,"axG",@progbits,_ZN2at6native12_GLOBAL__N_111flag_kernelILi512ELi16ElEEvPKT1_PlPKllli,comdat
.Lfunc_end906:
	.size	_ZN2at6native12_GLOBAL__N_111flag_kernelILi512ELi16ElEEvPKT1_PlPKllli, .Lfunc_end906-_ZN2at6native12_GLOBAL__N_111flag_kernelILi512ELi16ElEEvPKT1_PlPKllli
                                        ; -- End function
	.set _ZN2at6native12_GLOBAL__N_111flag_kernelILi512ELi16ElEEvPKT1_PlPKllli.num_vgpr, 100
	.set _ZN2at6native12_GLOBAL__N_111flag_kernelILi512ELi16ElEEvPKT1_PlPKllli.num_agpr, 0
	.set _ZN2at6native12_GLOBAL__N_111flag_kernelILi512ELi16ElEEvPKT1_PlPKllli.numbered_sgpr, 27
	.set _ZN2at6native12_GLOBAL__N_111flag_kernelILi512ELi16ElEEvPKT1_PlPKllli.num_named_barrier, 0
	.set _ZN2at6native12_GLOBAL__N_111flag_kernelILi512ELi16ElEEvPKT1_PlPKllli.private_seg_size, 0
	.set _ZN2at6native12_GLOBAL__N_111flag_kernelILi512ELi16ElEEvPKT1_PlPKllli.uses_vcc, 1
	.set _ZN2at6native12_GLOBAL__N_111flag_kernelILi512ELi16ElEEvPKT1_PlPKllli.uses_flat_scratch, 0
	.set _ZN2at6native12_GLOBAL__N_111flag_kernelILi512ELi16ElEEvPKT1_PlPKllli.has_dyn_sized_stack, 0
	.set _ZN2at6native12_GLOBAL__N_111flag_kernelILi512ELi16ElEEvPKT1_PlPKllli.has_recursion, 0
	.set _ZN2at6native12_GLOBAL__N_111flag_kernelILi512ELi16ElEEvPKT1_PlPKllli.has_indirect_call, 0
	.section	.AMDGPU.csdata,"",@progbits
; Kernel info:
; codeLenInByte = 7220
; TotalNumSgprs: 29
; NumVgprs: 100
; ScratchSize: 0
; MemoryBound: 0
; FloatMode: 240
; IeeeMode: 1
; LDSByteSize: 33796 bytes/workgroup (compile time only)
; SGPRBlocks: 0
; VGPRBlocks: 12
; NumSGPRsForWavesPerEU: 29
; NumVGPRsForWavesPerEU: 100
; Occupancy: 12
; WaveLimiterHint : 1
; COMPUTE_PGM_RSRC2:SCRATCH_EN: 0
; COMPUTE_PGM_RSRC2:USER_SGPR: 2
; COMPUTE_PGM_RSRC2:TRAP_HANDLER: 0
; COMPUTE_PGM_RSRC2:TGID_X_EN: 1
; COMPUTE_PGM_RSRC2:TGID_Y_EN: 0
; COMPUTE_PGM_RSRC2:TGID_Z_EN: 0
; COMPUTE_PGM_RSRC2:TIDIG_COMP_CNT: 0
	.section	.text._ZN2at4cuda3cub15calc_block_sumsILi512ELi16ELb1EsiEEvPKT2_PT3_li,"axG",@progbits,_ZN2at4cuda3cub15calc_block_sumsILi512ELi16ELb1EsiEEvPKT2_PT3_li,comdat
	.protected	_ZN2at4cuda3cub15calc_block_sumsILi512ELi16ELb1EsiEEvPKT2_PT3_li ; -- Begin function _ZN2at4cuda3cub15calc_block_sumsILi512ELi16ELb1EsiEEvPKT2_PT3_li
	.globl	_ZN2at4cuda3cub15calc_block_sumsILi512ELi16ELb1EsiEEvPKT2_PT3_li
	.p2align	8
	.type	_ZN2at4cuda3cub15calc_block_sumsILi512ELi16ELb1EsiEEvPKT2_PT3_li,@function
_ZN2at4cuda3cub15calc_block_sumsILi512ELi16ELb1EsiEEvPKT2_PT3_li: ; @_ZN2at4cuda3cub15calc_block_sumsILi512ELi16ELb1EsiEEvPKT2_PT3_li
; %bb.0:
	s_load_b96 s[8:10], s[0:1], 0x10
	s_mov_b32 s2, ttmp9
	s_mov_b32 s3, 0
	s_wait_kmcnt 0x0
	s_lshl_b32 s4, s10, 13
	s_delay_alu instid0(SALU_CYCLE_1) | instskip(NEXT) | instid1(SALU_CYCLE_1)
	s_ashr_i32 s5, s4, 31
	s_mul_u64 s[12:13], s[4:5], s[2:3]
	s_delay_alu instid0(SALU_CYCLE_1) | instskip(NEXT) | instid1(SALU_CYCLE_1)
	s_sub_nc_u64 s[8:9], s[8:9], s[12:13]
	v_cmp_lt_i64_e64 s4, s[8:9], 1
	s_and_b32 vcc_lo, exec_lo, s4
	s_cbranch_vccnz .LBB907_58
; %bb.1:
	s_load_b128 s[4:7], s[0:1], 0x0
	s_mov_b32 s0, -1
	s_cmp_gt_i32 s10, 0
	s_mov_b32 s1, -1
	s_cbranch_scc1 .LBB907_3
; %bb.2:
	s_mov_b32 s1, 0
.LBB907_3:
	v_mov_b32_e32 v20, 0
	s_and_not1_b32 vcc_lo, exec_lo, s1
	s_cbranch_vccnz .LBB907_56
; %bb.4:
	v_lshrrev_b32_e32 v1, 3, v0
	s_lshl_b64 s[12:13], s[12:13], 1
	v_dual_mov_b32 v20, 0 :: v_dual_add_nc_u32 v21, 0x200, v0
	s_wait_kmcnt 0x0
	s_add_nc_u64 s[4:5], s[4:5], s[12:13]
	v_and_b32_e32 v36, 0x7c, v1
	v_lshlrev_b32_e32 v1, 1, v0
	v_or_b32_e32 v22, 0x400, v0
	v_add_nc_u32_e32 v23, 0x600, v0
	v_or_b32_e32 v24, 0x800, v0
	v_add_nc_u32_e32 v25, 0xa00, v0
	v_add_co_u32 v2, s1, s4, v1
	s_delay_alu instid0(VALU_DEP_1) | instskip(SKIP_1) | instid1(VALU_DEP_3)
	v_add_co_ci_u32_e64 v3, null, s5, 0, s1
	v_or_b32_e32 v26, 0xc00, v0
	v_add_co_u32 v18, vcc_lo, 0x3c00, v2
	v_add_nc_u32_e32 v27, 0xe00, v0
	v_or_b32_e32 v28, 0x1000, v0
	v_add_nc_u32_e32 v29, 0x1200, v0
	v_or_b32_e32 v30, 0x1400, v0
	;; [unrolled: 2-line block ×4, first 2 shown]
	v_add_nc_u32_e32 v35, 0x1e00, v0
	v_cmp_gt_u32_e64 s0, 32, v0
	v_mov_b32_e32 v1, 0
	v_add_co_ci_u32_e64 v19, null, 0, v3, vcc_lo
	v_mbcnt_lo_u32_b32 v37, -1, 0
	s_movk_i32 s4, 0xe000
	s_mov_b32 s5, -1
	s_branch .LBB907_6
.LBB907_5:                              ;   in Loop: Header=BB907_6 Depth=1
	v_add_nc_u32_e32 v20, v2, v20
	s_and_not1_b32 vcc_lo, exec_lo, s11
	s_wait_alu 0xfffe
	s_cbranch_vccz .LBB907_52
.LBB907_6:                              ; =>This Inner Loop Header: Depth=1
	v_cmp_gt_i64_e64 s1, 0x2000, s[8:9]
                                        ; implicit-def: $vgpr2
	s_and_b32 vcc_lo, exec_lo, s1
	s_mov_b32 s1, -1
	s_wait_alu 0xfffe
	s_cbranch_vccz .LBB907_29
; %bb.7:                                ;   in Loop: Header=BB907_6 Depth=1
	v_mov_b32_e32 v16, v1
	v_dual_mov_b32 v2, v1 :: v_dual_mov_b32 v3, v1
	v_dual_mov_b32 v4, v1 :: v_dual_mov_b32 v5, v1
	;; [unrolled: 1-line block ×7, first 2 shown]
	v_mov_b32_e32 v17, v16
	s_delay_alu instid0(VALU_DEP_2) | instskip(NEXT) | instid1(VALU_DEP_3)
	v_mov_b32_e32 v16, v15
	v_mov_b32_e32 v15, v14
	;; [unrolled: 1-line block ×15, first 2 shown]
	s_mov_b32 s1, exec_lo
	v_cmpx_gt_u32_e64 s8, v0
	s_cbranch_execnz .LBB907_37
; %bb.8:                                ;   in Loop: Header=BB907_6 Depth=1
	s_wait_alu 0xfffe
	s_or_b32 exec_lo, exec_lo, s1
	s_delay_alu instid0(SALU_CYCLE_1)
	s_mov_b32 s1, exec_lo
	v_cmpx_gt_u32_e64 s8, v21
	s_cbranch_execnz .LBB907_38
.LBB907_9:                              ;   in Loop: Header=BB907_6 Depth=1
	s_wait_alu 0xfffe
	s_or_b32 exec_lo, exec_lo, s1
	s_delay_alu instid0(SALU_CYCLE_1)
	s_mov_b32 s1, exec_lo
	v_cmpx_gt_u32_e64 s8, v22
	s_cbranch_execnz .LBB907_39
.LBB907_10:                             ;   in Loop: Header=BB907_6 Depth=1
	s_wait_alu 0xfffe
	s_or_b32 exec_lo, exec_lo, s1
	s_delay_alu instid0(SALU_CYCLE_1)
	s_mov_b32 s1, exec_lo
	v_cmpx_gt_u32_e64 s8, v23
	s_cbranch_execnz .LBB907_40
.LBB907_11:                             ;   in Loop: Header=BB907_6 Depth=1
	s_wait_alu 0xfffe
	s_or_b32 exec_lo, exec_lo, s1
	s_delay_alu instid0(SALU_CYCLE_1)
	s_mov_b32 s1, exec_lo
	v_cmpx_gt_u32_e64 s8, v24
	s_cbranch_execnz .LBB907_41
.LBB907_12:                             ;   in Loop: Header=BB907_6 Depth=1
	s_wait_alu 0xfffe
	s_or_b32 exec_lo, exec_lo, s1
	s_delay_alu instid0(SALU_CYCLE_1)
	s_mov_b32 s1, exec_lo
	v_cmpx_gt_u32_e64 s8, v25
	s_cbranch_execnz .LBB907_42
.LBB907_13:                             ;   in Loop: Header=BB907_6 Depth=1
	s_wait_alu 0xfffe
	s_or_b32 exec_lo, exec_lo, s1
	s_delay_alu instid0(SALU_CYCLE_1)
	s_mov_b32 s1, exec_lo
	v_cmpx_gt_u32_e64 s8, v26
	s_cbranch_execnz .LBB907_43
.LBB907_14:                             ;   in Loop: Header=BB907_6 Depth=1
	s_wait_alu 0xfffe
	s_or_b32 exec_lo, exec_lo, s1
	s_delay_alu instid0(SALU_CYCLE_1)
	s_mov_b32 s1, exec_lo
	v_cmpx_gt_u32_e64 s8, v27
	s_cbranch_execnz .LBB907_44
.LBB907_15:                             ;   in Loop: Header=BB907_6 Depth=1
	s_wait_alu 0xfffe
	s_or_b32 exec_lo, exec_lo, s1
	s_delay_alu instid0(SALU_CYCLE_1)
	s_mov_b32 s1, exec_lo
	v_cmpx_gt_u32_e64 s8, v28
	s_cbranch_execnz .LBB907_45
.LBB907_16:                             ;   in Loop: Header=BB907_6 Depth=1
	s_wait_alu 0xfffe
	s_or_b32 exec_lo, exec_lo, s1
	s_delay_alu instid0(SALU_CYCLE_1)
	s_mov_b32 s1, exec_lo
	v_cmpx_gt_u32_e64 s8, v29
	s_cbranch_execnz .LBB907_46
.LBB907_17:                             ;   in Loop: Header=BB907_6 Depth=1
	s_wait_alu 0xfffe
	s_or_b32 exec_lo, exec_lo, s1
	s_delay_alu instid0(SALU_CYCLE_1)
	s_mov_b32 s1, exec_lo
	v_cmpx_gt_u32_e64 s8, v30
	s_cbranch_execnz .LBB907_47
.LBB907_18:                             ;   in Loop: Header=BB907_6 Depth=1
	s_wait_alu 0xfffe
	s_or_b32 exec_lo, exec_lo, s1
	s_delay_alu instid0(SALU_CYCLE_1)
	s_mov_b32 s1, exec_lo
	v_cmpx_gt_u32_e64 s8, v31
	s_cbranch_execnz .LBB907_48
.LBB907_19:                             ;   in Loop: Header=BB907_6 Depth=1
	s_wait_alu 0xfffe
	s_or_b32 exec_lo, exec_lo, s1
	s_delay_alu instid0(SALU_CYCLE_1)
	s_mov_b32 s1, exec_lo
	v_cmpx_gt_u32_e64 s8, v32
	s_cbranch_execnz .LBB907_49
.LBB907_20:                             ;   in Loop: Header=BB907_6 Depth=1
	s_wait_alu 0xfffe
	s_or_b32 exec_lo, exec_lo, s1
	s_delay_alu instid0(SALU_CYCLE_1)
	s_mov_b32 s1, exec_lo
	v_cmpx_gt_u32_e64 s8, v33
	s_cbranch_execnz .LBB907_50
.LBB907_21:                             ;   in Loop: Header=BB907_6 Depth=1
	s_wait_alu 0xfffe
	s_or_b32 exec_lo, exec_lo, s1
	s_delay_alu instid0(SALU_CYCLE_1)
	s_mov_b32 s1, exec_lo
	v_cmpx_gt_u32_e64 s8, v34
	s_cbranch_execnz .LBB907_51
.LBB907_22:                             ;   in Loop: Header=BB907_6 Depth=1
	s_wait_alu 0xfffe
	s_or_b32 exec_lo, exec_lo, s1
	s_delay_alu instid0(SALU_CYCLE_1)
	s_mov_b32 s1, exec_lo
	v_cmpx_gt_u32_e64 s8, v35
	s_cbranch_execz .LBB907_24
.LBB907_23:                             ;   in Loop: Header=BB907_6 Depth=1
	global_load_u16 v17, v[18:19], off
	s_wait_loadcnt 0x0
	v_cmp_ne_u16_e32 vcc_lo, 0, v17
	s_wait_alu 0xfffd
	v_cndmask_b32_e64 v17, 0, 1, vcc_lo
.LBB907_24:                             ;   in Loop: Header=BB907_6 Depth=1
	s_wait_alu 0xfffe
	s_or_b32 exec_lo, exec_lo, s1
	v_add_nc_u32_e32 v2, v3, v2
	s_mov_b32 s1, exec_lo
	s_barrier_signal -1
	s_barrier_wait -1
	s_delay_alu instid0(VALU_DEP_1) | instskip(SKIP_2) | instid1(VALU_DEP_1)
	v_add3_u32 v2, v2, v4, v5
	global_inv scope:SCOPE_SE
	v_add3_u32 v2, v2, v6, v7
	v_add3_u32 v2, v2, v8, v9
	s_delay_alu instid0(VALU_DEP_1) | instskip(NEXT) | instid1(VALU_DEP_1)
	v_add3_u32 v2, v2, v10, v11
	v_add3_u32 v2, v2, v12, v13
	s_delay_alu instid0(VALU_DEP_1) | instskip(NEXT) | instid1(VALU_DEP_1)
	;; [unrolled: 3-line block ×3, first 2 shown]
	v_mov_b32_dpp v3, v2 quad_perm:[1,0,3,2] row_mask:0xf bank_mask:0xf
	v_add_nc_u32_e32 v2, v2, v3
	s_delay_alu instid0(VALU_DEP_1) | instskip(NEXT) | instid1(VALU_DEP_1)
	v_mov_b32_dpp v3, v2 quad_perm:[2,3,0,1] row_mask:0xf bank_mask:0xf
	v_add_nc_u32_e32 v2, v2, v3
	s_delay_alu instid0(VALU_DEP_1) | instskip(NEXT) | instid1(VALU_DEP_1)
	v_mov_b32_dpp v3, v2 row_ror:4 row_mask:0xf bank_mask:0xf
	v_add_nc_u32_e32 v2, v2, v3
	s_delay_alu instid0(VALU_DEP_1) | instskip(NEXT) | instid1(VALU_DEP_1)
	v_mov_b32_dpp v3, v2 row_ror:8 row_mask:0xf bank_mask:0xf
	v_add_nc_u32_e32 v2, v2, v3
	ds_swizzle_b32 v3, v2 offset:swizzle(BROADCAST,32,15)
	s_wait_dscnt 0x0
	v_add_nc_u32_e32 v2, v2, v3
	ds_bpermute_b32 v2, v1, v2 offset:124
	v_cmpx_eq_u32_e32 0, v37
	s_cbranch_execz .LBB907_26
; %bb.25:                               ;   in Loop: Header=BB907_6 Depth=1
	s_wait_dscnt 0x0
	ds_store_b32 v36, v2
.LBB907_26:                             ;   in Loop: Header=BB907_6 Depth=1
	s_wait_alu 0xfffe
	s_or_b32 exec_lo, exec_lo, s1
	s_wait_loadcnt_dscnt 0x0
	s_barrier_signal -1
	s_barrier_wait -1
	global_inv scope:SCOPE_SE
	s_and_saveexec_b32 s1, s0
	s_cbranch_execz .LBB907_28
; %bb.27:                               ;   in Loop: Header=BB907_6 Depth=1
	v_and_b32_e32 v2, 15, v37
	s_delay_alu instid0(VALU_DEP_1)
	v_lshlrev_b32_e32 v3, 2, v2
	v_cmp_ne_u32_e32 vcc_lo, 15, v2
	ds_load_b32 v3, v3
	s_wait_alu 0xfffd
	v_add_co_ci_u32_e64 v4, null, 0, v37, vcc_lo
	v_cmp_gt_u32_e32 vcc_lo, 14, v2
	s_delay_alu instid0(VALU_DEP_2) | instskip(SKIP_3) | instid1(VALU_DEP_2)
	v_lshlrev_b32_e32 v4, 2, v4
	s_wait_alu 0xfffd
	v_cndmask_b32_e64 v5, 0, 2, vcc_lo
	v_cmp_gt_u32_e32 vcc_lo, 12, v2
	v_add_lshl_u32 v5, v5, v37, 2
	s_wait_alu 0xfffd
	v_cndmask_b32_e64 v2, 0, 4, vcc_lo
	s_delay_alu instid0(VALU_DEP_1)
	v_add_lshl_u32 v2, v2, v37, 2
	s_wait_dscnt 0x0
	ds_bpermute_b32 v4, v4, v3
	s_wait_dscnt 0x0
	v_add_nc_u32_e32 v3, v4, v3
	ds_bpermute_b32 v4, v5, v3
	s_wait_dscnt 0x0
	v_add_nc_u32_e32 v3, v4, v3
	v_lshlrev_b32_e32 v4, 2, v37
	ds_bpermute_b32 v2, v2, v3
	s_wait_dscnt 0x0
	v_add_nc_u32_e32 v2, v2, v3
	v_or_b32_e32 v3, 32, v4
	ds_bpermute_b32 v3, v3, v2
	s_wait_dscnt 0x0
	v_add_nc_u32_e32 v2, v3, v2
.LBB907_28:                             ;   in Loop: Header=BB907_6 Depth=1
	s_wait_alu 0xfffe
	s_or_b32 exec_lo, exec_lo, s1
	s_mov_b32 s1, 0
.LBB907_29:                             ;   in Loop: Header=BB907_6 Depth=1
	s_wait_alu 0xfffe
	s_and_b32 vcc_lo, exec_lo, s1
	s_wait_alu 0xfffe
	s_cbranch_vccz .LBB907_35
; %bb.30:                               ;   in Loop: Header=BB907_6 Depth=1
	s_clause 0xf
	global_load_u16 v2, v[18:19], off offset:-15360
	global_load_u16 v3, v[18:19], off offset:-13312
	;; [unrolled: 1-line block ×15, first 2 shown]
	global_load_u16 v17, v[18:19], off
	s_mov_b32 s1, exec_lo
	s_wait_loadcnt 0x0
	s_barrier_signal -1
	s_barrier_wait -1
	global_inv scope:SCOPE_SE
	v_cmp_ne_u16_e32 vcc_lo, 0, v2
	s_wait_alu 0xfffd
	v_cndmask_b32_e64 v2, 0, 1, vcc_lo
	v_cmp_ne_u16_e32 vcc_lo, 0, v3
	s_wait_alu 0xfffd
	v_cndmask_b32_e64 v3, 0, 1, vcc_lo
	v_cmp_ne_u16_e32 vcc_lo, 0, v4
	s_wait_alu 0xfffd
	v_add_co_ci_u32_e64 v2, null, 0, v2, vcc_lo
	v_cmp_ne_u16_e32 vcc_lo, 0, v5
	s_wait_alu 0xfffd
	v_cndmask_b32_e64 v4, 0, 1, vcc_lo
	v_cmp_ne_u16_e32 vcc_lo, 0, v6
	s_wait_alu 0xfffd
	v_add_co_ci_u32_e64 v2, null, v2, v3, vcc_lo
	;; [unrolled: 6-line block ×7, first 2 shown]
	v_cmp_ne_u16_e32 vcc_lo, 0, v17
	s_wait_alu 0xfffd
	s_delay_alu instid0(VALU_DEP_2) | instskip(NEXT) | instid1(VALU_DEP_1)
	v_add_co_ci_u32_e64 v2, null, v2, v3, vcc_lo
	v_mov_b32_dpp v3, v2 quad_perm:[1,0,3,2] row_mask:0xf bank_mask:0xf
	s_delay_alu instid0(VALU_DEP_1) | instskip(NEXT) | instid1(VALU_DEP_1)
	v_add_nc_u32_e32 v2, v3, v2
	v_mov_b32_dpp v3, v2 quad_perm:[2,3,0,1] row_mask:0xf bank_mask:0xf
	s_delay_alu instid0(VALU_DEP_1) | instskip(NEXT) | instid1(VALU_DEP_1)
	v_add_nc_u32_e32 v2, v2, v3
	v_mov_b32_dpp v3, v2 row_ror:4 row_mask:0xf bank_mask:0xf
	s_delay_alu instid0(VALU_DEP_1) | instskip(NEXT) | instid1(VALU_DEP_1)
	v_add_nc_u32_e32 v2, v2, v3
	v_mov_b32_dpp v3, v2 row_ror:8 row_mask:0xf bank_mask:0xf
	s_delay_alu instid0(VALU_DEP_1)
	v_add_nc_u32_e32 v2, v2, v3
	ds_swizzle_b32 v3, v2 offset:swizzle(BROADCAST,32,15)
	s_wait_dscnt 0x0
	v_add_nc_u32_e32 v2, v2, v3
	ds_bpermute_b32 v2, v1, v2 offset:124
	v_cmpx_eq_u32_e32 0, v37
	s_cbranch_execz .LBB907_32
; %bb.31:                               ;   in Loop: Header=BB907_6 Depth=1
	s_wait_dscnt 0x0
	ds_store_b32 v36, v2
.LBB907_32:                             ;   in Loop: Header=BB907_6 Depth=1
	s_wait_alu 0xfffe
	s_or_b32 exec_lo, exec_lo, s1
	s_wait_loadcnt_dscnt 0x0
	s_barrier_signal -1
	s_barrier_wait -1
	global_inv scope:SCOPE_SE
	s_and_saveexec_b32 s1, s0
	s_cbranch_execz .LBB907_34
; %bb.33:                               ;   in Loop: Header=BB907_6 Depth=1
	v_and_b32_e32 v2, 15, v37
	s_delay_alu instid0(VALU_DEP_1)
	v_lshlrev_b32_e32 v3, 2, v2
	v_cmp_ne_u32_e32 vcc_lo, 15, v2
	ds_load_b32 v3, v3
	s_wait_alu 0xfffd
	v_add_co_ci_u32_e64 v4, null, 0, v37, vcc_lo
	v_cmp_gt_u32_e32 vcc_lo, 14, v2
	s_delay_alu instid0(VALU_DEP_2) | instskip(SKIP_3) | instid1(VALU_DEP_2)
	v_lshlrev_b32_e32 v4, 2, v4
	s_wait_alu 0xfffd
	v_cndmask_b32_e64 v5, 0, 2, vcc_lo
	v_cmp_gt_u32_e32 vcc_lo, 12, v2
	v_add_lshl_u32 v5, v5, v37, 2
	s_wait_alu 0xfffd
	v_cndmask_b32_e64 v2, 0, 4, vcc_lo
	s_delay_alu instid0(VALU_DEP_1)
	v_add_lshl_u32 v2, v2, v37, 2
	s_wait_dscnt 0x0
	ds_bpermute_b32 v4, v4, v3
	s_wait_dscnt 0x0
	v_add_nc_u32_e32 v3, v4, v3
	ds_bpermute_b32 v4, v5, v3
	s_wait_dscnt 0x0
	v_add_nc_u32_e32 v3, v4, v3
	v_lshlrev_b32_e32 v4, 2, v37
	ds_bpermute_b32 v2, v2, v3
	s_wait_dscnt 0x0
	v_add_nc_u32_e32 v2, v2, v3
	v_or_b32_e32 v3, 32, v4
	ds_bpermute_b32 v3, v3, v2
	s_wait_dscnt 0x0
	v_add_nc_u32_e32 v2, v3, v2
.LBB907_34:                             ;   in Loop: Header=BB907_6 Depth=1
	s_wait_alu 0xfffe
	s_or_b32 exec_lo, exec_lo, s1
.LBB907_35:                             ;   in Loop: Header=BB907_6 Depth=1
	v_cmp_lt_i64_e64 s11, 0x2000, s[8:9]
	s_mov_b32 s1, -1
	s_and_b32 vcc_lo, exec_lo, s11
	s_mov_b32 s11, -1
	s_wait_alu 0xfffe
	s_cbranch_vccz .LBB907_5
; %bb.36:                               ;   in Loop: Header=BB907_6 Depth=1
	v_add_co_u32 v18, vcc_lo, 0x4000, v18
	s_add_co_i32 s10, s10, -1
	s_wait_alu 0xfffd
	v_add_co_ci_u32_e64 v19, null, 0, v19, vcc_lo
	s_cmp_eq_u32 s10, 0
	s_add_nc_u64 s[8:9], s[8:9], s[4:5]
	s_mov_b32 s1, 0
	s_cselect_b32 s11, -1, 0
	s_wait_loadcnt 0x0
	s_barrier_signal -1
	s_barrier_wait -1
	global_inv scope:SCOPE_SE
	s_branch .LBB907_5
.LBB907_37:                             ;   in Loop: Header=BB907_6 Depth=1
	global_load_u16 v2, v[18:19], off offset:-15360
	v_dual_mov_b32 v3, v1 :: v_dual_mov_b32 v4, v1
	v_dual_mov_b32 v5, v1 :: v_dual_mov_b32 v6, v1
	v_dual_mov_b32 v7, v1 :: v_dual_mov_b32 v8, v1
	v_dual_mov_b32 v9, v1 :: v_dual_mov_b32 v10, v1
	v_dual_mov_b32 v11, v1 :: v_dual_mov_b32 v12, v1
	v_dual_mov_b32 v13, v1 :: v_dual_mov_b32 v14, v1
	v_dual_mov_b32 v15, v1 :: v_dual_mov_b32 v16, v1
	v_mov_b32_e32 v17, v1
	s_wait_loadcnt 0x0
	v_cmp_ne_u16_e32 vcc_lo, 0, v2
	s_wait_alu 0xfffd
	v_cndmask_b32_e64 v2, 0, 1, vcc_lo
	s_delay_alu instid0(VALU_DEP_1) | instskip(SKIP_2) | instid1(SALU_CYCLE_1)
	v_and_b32_e32 v2, 0xffff, v2
	s_wait_alu 0xfffe
	s_or_b32 exec_lo, exec_lo, s1
	s_mov_b32 s1, exec_lo
	v_cmpx_gt_u32_e64 s8, v21
	s_cbranch_execz .LBB907_9
.LBB907_38:                             ;   in Loop: Header=BB907_6 Depth=1
	global_load_u16 v3, v[18:19], off offset:-14336
	s_wait_loadcnt 0x0
	v_cmp_ne_u16_e32 vcc_lo, 0, v3
	s_wait_alu 0xfffd
	v_cndmask_b32_e64 v3, 0, 1, vcc_lo
	s_wait_alu 0xfffe
	s_or_b32 exec_lo, exec_lo, s1
	s_delay_alu instid0(SALU_CYCLE_1)
	s_mov_b32 s1, exec_lo
	v_cmpx_gt_u32_e64 s8, v22
	s_cbranch_execz .LBB907_10
.LBB907_39:                             ;   in Loop: Header=BB907_6 Depth=1
	global_load_u16 v4, v[18:19], off offset:-13312
	s_wait_loadcnt 0x0
	v_cmp_ne_u16_e32 vcc_lo, 0, v4
	s_wait_alu 0xfffd
	v_cndmask_b32_e64 v4, 0, 1, vcc_lo
	s_wait_alu 0xfffe
	s_or_b32 exec_lo, exec_lo, s1
	s_delay_alu instid0(SALU_CYCLE_1)
	s_mov_b32 s1, exec_lo
	v_cmpx_gt_u32_e64 s8, v23
	s_cbranch_execz .LBB907_11
.LBB907_40:                             ;   in Loop: Header=BB907_6 Depth=1
	global_load_u16 v5, v[18:19], off offset:-12288
	s_wait_loadcnt 0x0
	v_cmp_ne_u16_e32 vcc_lo, 0, v5
	s_wait_alu 0xfffd
	v_cndmask_b32_e64 v5, 0, 1, vcc_lo
	s_wait_alu 0xfffe
	s_or_b32 exec_lo, exec_lo, s1
	s_delay_alu instid0(SALU_CYCLE_1)
	s_mov_b32 s1, exec_lo
	v_cmpx_gt_u32_e64 s8, v24
	s_cbranch_execz .LBB907_12
.LBB907_41:                             ;   in Loop: Header=BB907_6 Depth=1
	global_load_u16 v6, v[18:19], off offset:-11264
	s_wait_loadcnt 0x0
	v_cmp_ne_u16_e32 vcc_lo, 0, v6
	s_wait_alu 0xfffd
	v_cndmask_b32_e64 v6, 0, 1, vcc_lo
	s_wait_alu 0xfffe
	s_or_b32 exec_lo, exec_lo, s1
	s_delay_alu instid0(SALU_CYCLE_1)
	s_mov_b32 s1, exec_lo
	v_cmpx_gt_u32_e64 s8, v25
	s_cbranch_execz .LBB907_13
.LBB907_42:                             ;   in Loop: Header=BB907_6 Depth=1
	global_load_u16 v7, v[18:19], off offset:-10240
	s_wait_loadcnt 0x0
	v_cmp_ne_u16_e32 vcc_lo, 0, v7
	s_wait_alu 0xfffd
	v_cndmask_b32_e64 v7, 0, 1, vcc_lo
	s_wait_alu 0xfffe
	s_or_b32 exec_lo, exec_lo, s1
	s_delay_alu instid0(SALU_CYCLE_1)
	s_mov_b32 s1, exec_lo
	v_cmpx_gt_u32_e64 s8, v26
	s_cbranch_execz .LBB907_14
.LBB907_43:                             ;   in Loop: Header=BB907_6 Depth=1
	global_load_u16 v8, v[18:19], off offset:-9216
	s_wait_loadcnt 0x0
	v_cmp_ne_u16_e32 vcc_lo, 0, v8
	s_wait_alu 0xfffd
	v_cndmask_b32_e64 v8, 0, 1, vcc_lo
	s_wait_alu 0xfffe
	s_or_b32 exec_lo, exec_lo, s1
	s_delay_alu instid0(SALU_CYCLE_1)
	s_mov_b32 s1, exec_lo
	v_cmpx_gt_u32_e64 s8, v27
	s_cbranch_execz .LBB907_15
.LBB907_44:                             ;   in Loop: Header=BB907_6 Depth=1
	global_load_u16 v9, v[18:19], off offset:-8192
	s_wait_loadcnt 0x0
	v_cmp_ne_u16_e32 vcc_lo, 0, v9
	s_wait_alu 0xfffd
	v_cndmask_b32_e64 v9, 0, 1, vcc_lo
	s_wait_alu 0xfffe
	s_or_b32 exec_lo, exec_lo, s1
	s_delay_alu instid0(SALU_CYCLE_1)
	s_mov_b32 s1, exec_lo
	v_cmpx_gt_u32_e64 s8, v28
	s_cbranch_execz .LBB907_16
.LBB907_45:                             ;   in Loop: Header=BB907_6 Depth=1
	global_load_u16 v10, v[18:19], off offset:-7168
	s_wait_loadcnt 0x0
	v_cmp_ne_u16_e32 vcc_lo, 0, v10
	s_wait_alu 0xfffd
	v_cndmask_b32_e64 v10, 0, 1, vcc_lo
	s_wait_alu 0xfffe
	s_or_b32 exec_lo, exec_lo, s1
	s_delay_alu instid0(SALU_CYCLE_1)
	s_mov_b32 s1, exec_lo
	v_cmpx_gt_u32_e64 s8, v29
	s_cbranch_execz .LBB907_17
.LBB907_46:                             ;   in Loop: Header=BB907_6 Depth=1
	global_load_u16 v11, v[18:19], off offset:-6144
	s_wait_loadcnt 0x0
	v_cmp_ne_u16_e32 vcc_lo, 0, v11
	s_wait_alu 0xfffd
	v_cndmask_b32_e64 v11, 0, 1, vcc_lo
	s_wait_alu 0xfffe
	s_or_b32 exec_lo, exec_lo, s1
	s_delay_alu instid0(SALU_CYCLE_1)
	s_mov_b32 s1, exec_lo
	v_cmpx_gt_u32_e64 s8, v30
	s_cbranch_execz .LBB907_18
.LBB907_47:                             ;   in Loop: Header=BB907_6 Depth=1
	global_load_u16 v12, v[18:19], off offset:-5120
	s_wait_loadcnt 0x0
	v_cmp_ne_u16_e32 vcc_lo, 0, v12
	s_wait_alu 0xfffd
	v_cndmask_b32_e64 v12, 0, 1, vcc_lo
	s_wait_alu 0xfffe
	s_or_b32 exec_lo, exec_lo, s1
	s_delay_alu instid0(SALU_CYCLE_1)
	s_mov_b32 s1, exec_lo
	v_cmpx_gt_u32_e64 s8, v31
	s_cbranch_execz .LBB907_19
.LBB907_48:                             ;   in Loop: Header=BB907_6 Depth=1
	global_load_u16 v13, v[18:19], off offset:-4096
	s_wait_loadcnt 0x0
	v_cmp_ne_u16_e32 vcc_lo, 0, v13
	s_wait_alu 0xfffd
	v_cndmask_b32_e64 v13, 0, 1, vcc_lo
	s_wait_alu 0xfffe
	s_or_b32 exec_lo, exec_lo, s1
	s_delay_alu instid0(SALU_CYCLE_1)
	s_mov_b32 s1, exec_lo
	v_cmpx_gt_u32_e64 s8, v32
	s_cbranch_execz .LBB907_20
.LBB907_49:                             ;   in Loop: Header=BB907_6 Depth=1
	global_load_u16 v14, v[18:19], off offset:-3072
	s_wait_loadcnt 0x0
	v_cmp_ne_u16_e32 vcc_lo, 0, v14
	s_wait_alu 0xfffd
	v_cndmask_b32_e64 v14, 0, 1, vcc_lo
	s_wait_alu 0xfffe
	s_or_b32 exec_lo, exec_lo, s1
	s_delay_alu instid0(SALU_CYCLE_1)
	s_mov_b32 s1, exec_lo
	v_cmpx_gt_u32_e64 s8, v33
	s_cbranch_execz .LBB907_21
.LBB907_50:                             ;   in Loop: Header=BB907_6 Depth=1
	global_load_u16 v15, v[18:19], off offset:-2048
	s_wait_loadcnt 0x0
	v_cmp_ne_u16_e32 vcc_lo, 0, v15
	s_wait_alu 0xfffd
	v_cndmask_b32_e64 v15, 0, 1, vcc_lo
	s_wait_alu 0xfffe
	s_or_b32 exec_lo, exec_lo, s1
	s_delay_alu instid0(SALU_CYCLE_1)
	s_mov_b32 s1, exec_lo
	v_cmpx_gt_u32_e64 s8, v34
	s_cbranch_execz .LBB907_22
.LBB907_51:                             ;   in Loop: Header=BB907_6 Depth=1
	global_load_u16 v16, v[18:19], off offset:-1024
	s_wait_loadcnt 0x0
	v_cmp_ne_u16_e32 vcc_lo, 0, v16
	s_wait_alu 0xfffd
	v_cndmask_b32_e64 v16, 0, 1, vcc_lo
	s_wait_alu 0xfffe
	s_or_b32 exec_lo, exec_lo, s1
	s_delay_alu instid0(SALU_CYCLE_1)
	s_mov_b32 s1, exec_lo
	v_cmpx_gt_u32_e64 s8, v35
	s_cbranch_execnz .LBB907_23
	s_branch .LBB907_24
.LBB907_52:
	s_and_b32 vcc_lo, exec_lo, s1
	s_mov_b32 s0, -1
	s_wait_alu 0xfffe
	s_cbranch_vccz .LBB907_56
; %bb.53:
	s_mov_b32 s0, 0
	s_mov_b32 s1, exec_lo
	v_cmpx_eq_u32_e32 0, v0
	s_cbranch_execz .LBB907_55
; %bb.54:
	v_mov_b32_e32 v0, 0
	s_lshl_b64 s[4:5], s[2:3], 2
	s_wait_alu 0xfffe
	s_add_nc_u64 s[4:5], s[6:7], s[4:5]
	global_store_b32 v0, v20, s[4:5]
.LBB907_55:
	s_wait_alu 0xfffe
	s_or_b32 exec_lo, exec_lo, s1
.LBB907_56:
	v_cmp_eq_u32_e32 vcc_lo, 0, v0
	s_and_b32 s0, vcc_lo, s0
	s_wait_alu 0xfffe
	s_and_saveexec_b32 s1, s0
	s_cbranch_execz .LBB907_58
; %bb.57:
	v_mov_b32_e32 v0, 0
	s_lshl_b64 s[0:1], s[2:3], 2
	s_wait_kmcnt 0x0
	s_wait_alu 0xfffe
	s_add_nc_u64 s[0:1], s[6:7], s[0:1]
	global_store_b32 v0, v20, s[0:1]
.LBB907_58:
	s_endpgm
	.section	.rodata,"a",@progbits
	.p2align	6, 0x0
	.amdhsa_kernel _ZN2at4cuda3cub15calc_block_sumsILi512ELi16ELb1EsiEEvPKT2_PT3_li
		.amdhsa_group_segment_fixed_size 64
		.amdhsa_private_segment_fixed_size 0
		.amdhsa_kernarg_size 28
		.amdhsa_user_sgpr_count 2
		.amdhsa_user_sgpr_dispatch_ptr 0
		.amdhsa_user_sgpr_queue_ptr 0
		.amdhsa_user_sgpr_kernarg_segment_ptr 1
		.amdhsa_user_sgpr_dispatch_id 0
		.amdhsa_user_sgpr_private_segment_size 0
		.amdhsa_wavefront_size32 1
		.amdhsa_uses_dynamic_stack 0
		.amdhsa_enable_private_segment 0
		.amdhsa_system_sgpr_workgroup_id_x 1
		.amdhsa_system_sgpr_workgroup_id_y 0
		.amdhsa_system_sgpr_workgroup_id_z 0
		.amdhsa_system_sgpr_workgroup_info 0
		.amdhsa_system_vgpr_workitem_id 0
		.amdhsa_next_free_vgpr 38
		.amdhsa_next_free_sgpr 14
		.amdhsa_reserve_vcc 1
		.amdhsa_float_round_mode_32 0
		.amdhsa_float_round_mode_16_64 0
		.amdhsa_float_denorm_mode_32 3
		.amdhsa_float_denorm_mode_16_64 3
		.amdhsa_fp16_overflow 0
		.amdhsa_workgroup_processor_mode 1
		.amdhsa_memory_ordered 1
		.amdhsa_forward_progress 1
		.amdhsa_inst_pref_size 27
		.amdhsa_round_robin_scheduling 0
		.amdhsa_exception_fp_ieee_invalid_op 0
		.amdhsa_exception_fp_denorm_src 0
		.amdhsa_exception_fp_ieee_div_zero 0
		.amdhsa_exception_fp_ieee_overflow 0
		.amdhsa_exception_fp_ieee_underflow 0
		.amdhsa_exception_fp_ieee_inexact 0
		.amdhsa_exception_int_div_zero 0
	.end_amdhsa_kernel
	.section	.text._ZN2at4cuda3cub15calc_block_sumsILi512ELi16ELb1EsiEEvPKT2_PT3_li,"axG",@progbits,_ZN2at4cuda3cub15calc_block_sumsILi512ELi16ELb1EsiEEvPKT2_PT3_li,comdat
.Lfunc_end907:
	.size	_ZN2at4cuda3cub15calc_block_sumsILi512ELi16ELb1EsiEEvPKT2_PT3_li, .Lfunc_end907-_ZN2at4cuda3cub15calc_block_sumsILi512ELi16ELb1EsiEEvPKT2_PT3_li
                                        ; -- End function
	.set _ZN2at4cuda3cub15calc_block_sumsILi512ELi16ELb1EsiEEvPKT2_PT3_li.num_vgpr, 38
	.set _ZN2at4cuda3cub15calc_block_sumsILi512ELi16ELb1EsiEEvPKT2_PT3_li.num_agpr, 0
	.set _ZN2at4cuda3cub15calc_block_sumsILi512ELi16ELb1EsiEEvPKT2_PT3_li.numbered_sgpr, 14
	.set _ZN2at4cuda3cub15calc_block_sumsILi512ELi16ELb1EsiEEvPKT2_PT3_li.num_named_barrier, 0
	.set _ZN2at4cuda3cub15calc_block_sumsILi512ELi16ELb1EsiEEvPKT2_PT3_li.private_seg_size, 0
	.set _ZN2at4cuda3cub15calc_block_sumsILi512ELi16ELb1EsiEEvPKT2_PT3_li.uses_vcc, 1
	.set _ZN2at4cuda3cub15calc_block_sumsILi512ELi16ELb1EsiEEvPKT2_PT3_li.uses_flat_scratch, 0
	.set _ZN2at4cuda3cub15calc_block_sumsILi512ELi16ELb1EsiEEvPKT2_PT3_li.has_dyn_sized_stack, 0
	.set _ZN2at4cuda3cub15calc_block_sumsILi512ELi16ELb1EsiEEvPKT2_PT3_li.has_recursion, 0
	.set _ZN2at4cuda3cub15calc_block_sumsILi512ELi16ELb1EsiEEvPKT2_PT3_li.has_indirect_call, 0
	.section	.AMDGPU.csdata,"",@progbits
; Kernel info:
; codeLenInByte = 3428
; TotalNumSgprs: 16
; NumVgprs: 38
; ScratchSize: 0
; MemoryBound: 0
; FloatMode: 240
; IeeeMode: 1
; LDSByteSize: 64 bytes/workgroup (compile time only)
; SGPRBlocks: 0
; VGPRBlocks: 4
; NumSGPRsForWavesPerEU: 16
; NumVGPRsForWavesPerEU: 38
; Occupancy: 16
; WaveLimiterHint : 1
; COMPUTE_PGM_RSRC2:SCRATCH_EN: 0
; COMPUTE_PGM_RSRC2:USER_SGPR: 2
; COMPUTE_PGM_RSRC2:TRAP_HANDLER: 0
; COMPUTE_PGM_RSRC2:TGID_X_EN: 1
; COMPUTE_PGM_RSRC2:TGID_Y_EN: 0
; COMPUTE_PGM_RSRC2:TGID_Z_EN: 0
; COMPUTE_PGM_RSRC2:TIDIG_COMP_CNT: 0
	.section	.text._ZN2at6native12_GLOBAL__N_111flag_kernelILi512ELi16EsEEvPKT1_PlPKllli,"axG",@progbits,_ZN2at6native12_GLOBAL__N_111flag_kernelILi512ELi16EsEEvPKT1_PlPKllli,comdat
	.globl	_ZN2at6native12_GLOBAL__N_111flag_kernelILi512ELi16EsEEvPKT1_PlPKllli ; -- Begin function _ZN2at6native12_GLOBAL__N_111flag_kernelILi512ELi16EsEEvPKT1_PlPKllli
	.p2align	8
	.type	_ZN2at6native12_GLOBAL__N_111flag_kernelILi512ELi16EsEEvPKT1_PlPKllli,@function
_ZN2at6native12_GLOBAL__N_111flag_kernelILi512ELi16EsEEvPKT1_PlPKllli: ; @_ZN2at6native12_GLOBAL__N_111flag_kernelILi512ELi16EsEEvPKT1_PlPKllli
; %bb.0:
	s_clause 0x1
	s_load_b32 s26, s[0:1], 0x28
	s_load_b256 s[12:19], s[0:1], 0x0
	s_mov_b32 s2, ttmp9
	s_mov_b32 s3, 0
	s_wait_kmcnt 0x0
	s_lshl_b32 s4, s26, 13
	s_delay_alu instid0(SALU_CYCLE_1) | instskip(NEXT) | instid1(SALU_CYCLE_1)
	s_ashr_i32 s5, s4, 31
	s_mul_u64 s[22:23], s[4:5], s[2:3]
	s_delay_alu instid0(SALU_CYCLE_1)
	v_cmp_le_i64_e64 s2, s[18:19], s[22:23]
	s_and_b32 vcc_lo, exec_lo, s2
	s_cbranch_vccnz .LBB908_100
; %bb.1:
	s_load_b64 s[2:3], s[0:1], 0x20
	s_cmp_eq_u32 ttmp9, 0
	s_cbranch_scc1 .LBB908_3
; %bb.2:
	s_add_co_i32 s4, ttmp9, -1
	s_mov_b32 s5, 0
	s_delay_alu instid0(SALU_CYCLE_1) | instskip(NEXT) | instid1(SALU_CYCLE_1)
	s_lshl_b64 s[4:5], s[4:5], 3
	s_add_nc_u64 s[4:5], s[16:17], s[4:5]
	s_load_b64 s[4:5], s[4:5], 0x0
	s_cmp_lt_i32 s26, 1
	s_cbranch_scc0 .LBB908_4
	s_branch .LBB908_100
.LBB908_3:
	s_mov_b64 s[4:5], 0
	s_cmp_lt_i32 s26, 1
	s_cbranch_scc1 .LBB908_100
.LBB908_4:
	v_mbcnt_lo_u32_b32 v2, -1, 0
	v_lshlrev_b32_e32 v1, 4, v0
	s_wait_kmcnt 0x0
	s_sub_nc_u64 s[16:17], s[2:3], s[4:5]
	s_lshl_b64 s[24:25], s[4:5], 3
	v_add_nc_u32_e32 v8, 0x200, v0
	v_and_b32_e32 v4, 15, v2
	v_and_b32_e32 v6, 0x3e00, v1
	;; [unrolled: 1-line block ×3, first 2 shown]
	v_or_b32_e32 v9, 0x800, v0
	v_add_nc_u32_e32 v10, 0xa00, v0
	v_lshlrev_b32_e32 v25, 2, v0
	v_or_b32_e32 v41, v2, v6
	v_cmp_eq_u32_e64 s6, 0, v1
	v_mov_b32_e32 v1, 0
	v_cmp_eq_u32_e64 s2, 0, v4
	v_cmp_lt_u32_e64 s3, 1, v4
	v_cmp_lt_u32_e64 s4, 3, v4
	;; [unrolled: 1-line block ×3, first 2 shown]
	v_sub_co_u32 v4, s8, v2, 1
	v_lshrrev_b32_e32 v9, 3, v9
	v_lshrrev_b32_e32 v10, 3, v10
	v_or_b32_e32 v46, 32, v41
	s_delay_alu instid0(VALU_DEP_4)
	v_cmp_gt_i32_e32 vcc_lo, 0, v4
	v_and_b32_e32 v3, 0x3e0, v0
	v_or_b32_e32 v47, 64, v41
	v_or_b32_e32 v48, 0x60, v41
	v_or_b32_e32 v49, 0x80, v41
	v_cndmask_b32_e32 v4, v4, v2, vcc_lo
	v_min_u32_e32 v5, 0x1e0, v3
	v_or_b32_e32 v50, 0xa0, v41
	v_or_b32_e32 v51, 0xc0, v41
	;; [unrolled: 1-line block ×3, first 2 shown]
	v_lshlrev_b32_e32 v27, 2, v4
	v_or_b32_e32 v5, 31, v5
	v_lshrrev_b32_e32 v4, 3, v8
	v_add_nc_u32_e32 v8, 0x600, v0
	v_or_b32_e32 v53, 0x100, v41
	v_or_b32_e32 v54, 0x120, v41
	v_cmp_eq_u32_e64 s7, v0, v5
	v_lshlrev_b32_e32 v5, 1, v0
	v_and_b32_e32 v4, 0xfc, v4
	v_lshrrev_b32_e32 v8, 3, v8
	v_or_b32_e32 v55, 0x140, v41
	v_or_b32_e32 v56, 0x160, v41
	v_and_b32_e32 v5, 0x7fc, v5
	v_add_nc_u32_e32 v30, v25, v4
	v_or_b32_e32 v57, 0x180, v41
	v_or_b32_e32 v58, 0x1a0, v41
	;; [unrolled: 1-line block ×3, first 2 shown]
	v_lshl_add_u32 v28, v0, 6, v5
	v_or_b32_e32 v5, 0x400, v0
	v_or_b32_e32 v60, 0x1e0, v41
	v_lshrrev_b32_e32 v7, 5, v0
	v_or_b32_e32 v3, v2, v3
	s_lshl_b64 s[20:21], s[22:23], 1
	v_lshrrev_b32_e32 v5, 3, v5
	v_lshlrev_b32_e32 v2, 1, v2
	v_cmp_gt_u32_e64 s9, 16, v0
	v_cmp_lt_u32_e64 s10, 31, v0
	v_cmp_eq_u32_e64 s11, 0, v0
	v_and_b32_e32 v4, 0xfc, v5
	v_and_b32_e32 v5, 0x1fc, v8
	;; [unrolled: 1-line block ×4, first 2 shown]
	v_or_b32_e32 v10, 0xc00, v0
	v_add_nc_u32_e32 v31, v25, v4
	v_add_nc_u32_e32 v32, v25, v5
	;; [unrolled: 1-line block ×4, first 2 shown]
	v_lshrrev_b32_e32 v4, 3, v10
	v_add_nc_u32_e32 v5, 0xe00, v0
	v_or_b32_e32 v8, 0x1000, v0
	v_add_nc_u32_e32 v9, 0x1200, v0
	v_or_b32_e32 v10, 0x1400, v0
	v_and_b32_e32 v4, 0x1fc, v4
	v_lshrrev_b32_e32 v5, 3, v5
	v_lshrrev_b32_e32 v8, 3, v8
	;; [unrolled: 1-line block ×4, first 2 shown]
	v_add_nc_u32_e32 v35, v25, v4
	v_and_b32_e32 v4, 0x3fc, v5
	v_and_b32_e32 v5, 0x27c, v8
	;; [unrolled: 1-line block ×4, first 2 shown]
	v_add_nc_u32_e32 v10, 0x1600, v0
	v_add_nc_u32_e32 v36, v25, v4
	;; [unrolled: 1-line block ×3, first 2 shown]
	v_or_b32_e32 v5, 0x1800, v0
	v_add_nc_u32_e32 v38, v25, v8
	v_lshrrev_b32_e32 v4, 3, v10
	v_add_nc_u32_e32 v39, v25, v9
	v_add_nc_u32_e32 v8, 0x1a00, v0
	v_or_b32_e32 v9, 0x1c00, v0
	v_lshrrev_b32_e32 v5, 3, v5
	v_and_b32_e32 v4, 0x3fc, v4
	v_add_nc_u32_e32 v10, 0x1e00, v0
	v_lshrrev_b32_e32 v8, 3, v8
	v_lshrrev_b32_e32 v9, 3, v9
	v_lshlrev_b32_e32 v24, 2, v7
	v_add_nc_u32_e32 v40, v25, v4
	v_and_b32_e32 v4, 0x37c, v5
	v_lshrrev_b32_e32 v10, 3, v10
	v_and_b32_e32 v5, 0x3fc, v8
	v_and_b32_e32 v8, 0x3fc, v9
	v_add_nc_u32_e32 v26, -4, v24
	v_add_nc_u32_e32 v42, v25, v4
	v_lshrrev_b32_e32 v4, 3, v46
	v_and_b32_e32 v9, 0x7fc, v10
	v_add_nc_u32_e32 v43, v25, v5
	v_add_nc_u32_e32 v44, v25, v8
	v_lshrrev_b32_e32 v5, 3, v6
	v_lshlrev_b32_e32 v6, 2, v41
	v_and_b32_e32 v4, 0x7c4, v4
	v_lshrrev_b32_e32 v8, 3, v47
	v_add_nc_u32_e32 v45, v25, v9
	v_lshrrev_b32_e32 v9, 3, v50
	v_add_nc_u32_e32 v61, v5, v6
	v_add_nc_u32_e32 v62, v4, v6
	v_and_b32_e32 v4, 0x7c8, v8
	v_lshrrev_b32_e32 v5, 3, v48
	v_lshrrev_b32_e32 v8, 3, v49
	;; [unrolled: 1-line block ×3, first 2 shown]
	v_add_nc_u32_e32 v29, v24, v25
	v_add_nc_u32_e32 v63, v4, v6
	v_and_b32_e32 v4, 0x7cc, v5
	v_and_b32_e32 v5, 0x7d0, v8
	;; [unrolled: 1-line block ×4, first 2 shown]
	v_lshrrev_b32_e32 v10, 3, v52
	v_add_nc_u32_e32 v64, v4, v6
	v_add_nc_u32_e32 v65, v5, v6
	;; [unrolled: 1-line block ×4, first 2 shown]
	v_and_b32_e32 v4, 0x7dc, v10
	v_lshrrev_b32_e32 v5, 3, v53
	v_lshrrev_b32_e32 v8, 3, v54
	;; [unrolled: 1-line block ×4, first 2 shown]
	v_add_nc_u32_e32 v68, v4, v6
	v_and_b32_e32 v4, 0x7e0, v5
	v_and_b32_e32 v5, 0x7e4, v8
	;; [unrolled: 1-line block ×4, first 2 shown]
	v_lshrrev_b32_e32 v10, 3, v57
	v_add_nc_u32_e32 v69, v4, v6
	v_add_nc_u32_e32 v70, v5, v6
	v_lshrrev_b32_e32 v5, 3, v58
	v_add_nc_u32_e32 v71, v8, v6
	v_and_b32_e32 v4, 0x7f0, v10
	v_add_nc_u32_e32 v72, v9, v6
	v_lshrrev_b32_e32 v8, 3, v59
	v_lshrrev_b32_e32 v9, 3, v60
	s_add_nc_u64 s[14:15], s[14:15], s[24:25]
	v_add_nc_u32_e32 v73, v4, v6
	v_and_b32_e32 v4, 0x7f4, v5
	v_and_b32_e32 v5, 0x7f8, v8
	;; [unrolled: 1-line block ×3, first 2 shown]
	v_lshlrev_b32_e32 v9, 4, v3
	v_bfe_u32 v3, v3, 1, 27
	v_add_nc_u32_e32 v74, v4, v6
	v_lshlrev_b32_e32 v4, 10, v7
	v_add_nc_u32_e32 v75, v5, v6
	v_add_nc_u32_e32 v76, v8, v6
	v_add_lshl_u32 v77, v3, v9, 2
	s_add_nc_u64 s[0:1], s[0:1], 48
	v_add_co_u32 v3, s20, s20, v4
	s_wait_alu 0xf1ff
	v_add_co_ci_u32_e64 v4, null, s21, 0, s20
	v_add_co_u32 v18, s20, s22, v0
	s_delay_alu instid0(VALU_DEP_3) | instskip(SKIP_1) | instid1(VALU_DEP_3)
	v_add_co_u32 v0, vcc_lo, v3, v2
	s_wait_alu 0xfffd
	v_add_co_ci_u32_e64 v2, null, 0, v4, vcc_lo
	s_wait_alu 0xf1ff
	v_add_co_ci_u32_e64 v19, null, s23, 0, s20
	v_add_co_u32 v20, vcc_lo, s12, v0
	s_wait_alu 0xfffd
	v_add_co_ci_u32_e64 v21, null, s13, v2, vcc_lo
	s_movk_i32 s20, 0xe000
	s_mov_b32 s21, -1
	s_sub_nc_u64 s[12:13], s[18:19], s[22:23]
	s_branch .LBB908_6
.LBB908_5:                              ;   in Loop: Header=BB908_6 Depth=1
	v_add_co_u32 v18, vcc_lo, 0x2000, v18
	s_wait_alu 0xfffd
	v_add_co_ci_u32_e64 v19, null, 0, v19, vcc_lo
	v_add_co_u32 v20, vcc_lo, 0x4000, v20
	s_add_co_i32 s26, s26, -1
	s_lshl_b64 s[18:19], s[18:19], 3
	s_wait_alu 0xfffd
	v_add_co_ci_u32_e64 v21, null, 0, v21, vcc_lo
	s_cmp_eq_u32 s26, 0
	s_add_nc_u64 s[12:13], s[12:13], s[20:21]
	s_wait_alu 0xfffe
	s_add_nc_u64 s[14:15], s[14:15], s[18:19]
	s_cselect_b32 s18, -1, 0
	s_wait_loadcnt 0x0
	s_wait_storecnt 0x0
	s_barrier_signal -1
	s_barrier_wait -1
	global_inv scope:SCOPE_SE
	s_wait_alu 0xfffe
	s_and_not1_b32 vcc_lo, exec_lo, s18
	s_wait_alu 0xfffe
	s_cbranch_vccz .LBB908_100
.LBB908_6:                              ; =>This Inner Loop Header: Depth=1
	s_wait_alu 0xfffe
	v_cmp_gt_i64_e64 s18, 0x2000, s[12:13]
                                        ; implicit-def: $vgpr3
                                        ; implicit-def: $vgpr5
                                        ; implicit-def: $vgpr13
                                        ; implicit-def: $vgpr17
                                        ; implicit-def: $vgpr15
                                        ; implicit-def: $vgpr11
                                        ; implicit-def: $vgpr9
                                        ; implicit-def: $vgpr7
	s_and_b32 vcc_lo, exec_lo, s18
	s_mov_b32 s18, -1
	s_wait_alu 0xfffe
	s_cbranch_vccz .LBB908_25
; %bb.7:                                ;   in Loop: Header=BB908_6 Depth=1
	v_dual_mov_b32 v14, v1 :: v_dual_mov_b32 v15, v1
	v_dual_mov_b32 v2, v1 :: v_dual_mov_b32 v3, v1
	;; [unrolled: 1-line block ×7, first 2 shown]
	v_mov_b32_e32 v17, v15
	s_delay_alu instid0(VALU_DEP_2) | instskip(NEXT) | instid1(VALU_DEP_3)
	v_dual_mov_b32 v16, v14 :: v_dual_mov_b32 v15, v13
	v_mov_b32_e32 v14, v12
	v_mov_b32_e32 v13, v11
	;; [unrolled: 1-line block ×14, first 2 shown]
	s_mov_b32 s18, exec_lo
	v_cmpx_gt_u32_e64 s12, v41
	s_cbranch_execnz .LBB908_85
; %bb.8:                                ;   in Loop: Header=BB908_6 Depth=1
	s_wait_alu 0xfffe
	s_or_b32 exec_lo, exec_lo, s18
	s_delay_alu instid0(SALU_CYCLE_1)
	s_mov_b32 s18, exec_lo
	v_cmpx_gt_u32_e64 s12, v46
	s_cbranch_execnz .LBB908_86
.LBB908_9:                              ;   in Loop: Header=BB908_6 Depth=1
	s_wait_alu 0xfffe
	s_or_b32 exec_lo, exec_lo, s18
	s_delay_alu instid0(SALU_CYCLE_1)
	s_mov_b32 s18, exec_lo
	v_cmpx_gt_u32_e64 s12, v47
	s_cbranch_execnz .LBB908_87
.LBB908_10:                             ;   in Loop: Header=BB908_6 Depth=1
	s_wait_alu 0xfffe
	s_or_b32 exec_lo, exec_lo, s18
	s_delay_alu instid0(SALU_CYCLE_1)
	s_mov_b32 s18, exec_lo
	v_cmpx_gt_u32_e64 s12, v48
	s_cbranch_execnz .LBB908_88
.LBB908_11:                             ;   in Loop: Header=BB908_6 Depth=1
	s_wait_alu 0xfffe
	s_or_b32 exec_lo, exec_lo, s18
	s_delay_alu instid0(SALU_CYCLE_1)
	s_mov_b32 s18, exec_lo
	v_cmpx_gt_u32_e64 s12, v49
	s_cbranch_execnz .LBB908_89
.LBB908_12:                             ;   in Loop: Header=BB908_6 Depth=1
	s_wait_alu 0xfffe
	s_or_b32 exec_lo, exec_lo, s18
	s_delay_alu instid0(SALU_CYCLE_1)
	s_mov_b32 s18, exec_lo
	v_cmpx_gt_u32_e64 s12, v50
	s_cbranch_execnz .LBB908_90
.LBB908_13:                             ;   in Loop: Header=BB908_6 Depth=1
	s_wait_alu 0xfffe
	s_or_b32 exec_lo, exec_lo, s18
	s_delay_alu instid0(SALU_CYCLE_1)
	s_mov_b32 s18, exec_lo
	v_cmpx_gt_u32_e64 s12, v51
	s_cbranch_execnz .LBB908_91
.LBB908_14:                             ;   in Loop: Header=BB908_6 Depth=1
	s_wait_alu 0xfffe
	s_or_b32 exec_lo, exec_lo, s18
	s_delay_alu instid0(SALU_CYCLE_1)
	s_mov_b32 s18, exec_lo
	v_cmpx_gt_u32_e64 s12, v52
	s_cbranch_execnz .LBB908_92
.LBB908_15:                             ;   in Loop: Header=BB908_6 Depth=1
	s_wait_alu 0xfffe
	s_or_b32 exec_lo, exec_lo, s18
	s_delay_alu instid0(SALU_CYCLE_1)
	s_mov_b32 s18, exec_lo
	v_cmpx_gt_u32_e64 s12, v53
	s_cbranch_execnz .LBB908_93
.LBB908_16:                             ;   in Loop: Header=BB908_6 Depth=1
	s_wait_alu 0xfffe
	s_or_b32 exec_lo, exec_lo, s18
	s_delay_alu instid0(SALU_CYCLE_1)
	s_mov_b32 s18, exec_lo
	v_cmpx_gt_u32_e64 s12, v54
	s_cbranch_execnz .LBB908_94
.LBB908_17:                             ;   in Loop: Header=BB908_6 Depth=1
	s_wait_alu 0xfffe
	s_or_b32 exec_lo, exec_lo, s18
	s_delay_alu instid0(SALU_CYCLE_1)
	s_mov_b32 s18, exec_lo
	v_cmpx_gt_u32_e64 s12, v55
	s_cbranch_execnz .LBB908_95
.LBB908_18:                             ;   in Loop: Header=BB908_6 Depth=1
	s_wait_alu 0xfffe
	s_or_b32 exec_lo, exec_lo, s18
	s_delay_alu instid0(SALU_CYCLE_1)
	s_mov_b32 s18, exec_lo
	v_cmpx_gt_u32_e64 s12, v56
	s_cbranch_execnz .LBB908_96
.LBB908_19:                             ;   in Loop: Header=BB908_6 Depth=1
	s_wait_alu 0xfffe
	s_or_b32 exec_lo, exec_lo, s18
	s_delay_alu instid0(SALU_CYCLE_1)
	s_mov_b32 s18, exec_lo
	v_cmpx_gt_u32_e64 s12, v57
	s_cbranch_execnz .LBB908_97
.LBB908_20:                             ;   in Loop: Header=BB908_6 Depth=1
	s_wait_alu 0xfffe
	s_or_b32 exec_lo, exec_lo, s18
	s_delay_alu instid0(SALU_CYCLE_1)
	s_mov_b32 s18, exec_lo
	v_cmpx_gt_u32_e64 s12, v58
	s_cbranch_execnz .LBB908_98
.LBB908_21:                             ;   in Loop: Header=BB908_6 Depth=1
	s_wait_alu 0xfffe
	s_or_b32 exec_lo, exec_lo, s18
	s_delay_alu instid0(SALU_CYCLE_1)
	s_mov_b32 s18, exec_lo
	v_cmpx_gt_u32_e64 s12, v59
	s_cbranch_execnz .LBB908_99
.LBB908_22:                             ;   in Loop: Header=BB908_6 Depth=1
	s_wait_alu 0xfffe
	s_or_b32 exec_lo, exec_lo, s18
	s_delay_alu instid0(SALU_CYCLE_1)
	s_mov_b32 s18, exec_lo
	v_cmpx_gt_u32_e64 s12, v60
	s_cbranch_execz .LBB908_24
.LBB908_23:                             ;   in Loop: Header=BB908_6 Depth=1
	global_load_u16 v2, v[20:21], off offset:960
	s_wait_loadcnt 0x0
	v_cmp_ne_u16_e32 vcc_lo, 0, v2
	s_wait_alu 0xfffd
	v_cndmask_b32_e64 v17, 0, 1, vcc_lo
.LBB908_24:                             ;   in Loop: Header=BB908_6 Depth=1
	s_wait_alu 0xfffe
	s_or_b32 exec_lo, exec_lo, s18
	ds_store_b32 v61, v0
	ds_store_b32 v62, v3 offset:128
	ds_store_b32 v63, v4 offset:256
	;; [unrolled: 1-line block ×15, first 2 shown]
	; wave barrier
	ds_load_2addr_b32 v[6:7], v77 offset1:1
	ds_load_2addr_b32 v[8:9], v77 offset0:2 offset1:3
	ds_load_2addr_b32 v[10:11], v77 offset0:4 offset1:5
	;; [unrolled: 1-line block ×7, first 2 shown]
	s_mov_b32 s18, 0
.LBB908_25:                             ;   in Loop: Header=BB908_6 Depth=1
	s_wait_alu 0xfffe
	s_and_b32 vcc_lo, exec_lo, s18
	s_wait_alu 0xfffe
	s_cbranch_vccz .LBB908_27
; %bb.26:                               ;   in Loop: Header=BB908_6 Depth=1
	global_load_u16 v0, v[20:21], off
	s_wait_dscnt 0x0
	s_clause 0xe
	global_load_u16 v2, v[20:21], off offset:64
	global_load_u16 v3, v[20:21], off offset:128
	;; [unrolled: 1-line block ×15, first 2 shown]
	s_wait_loadcnt 0xf
	v_cmp_ne_u16_e32 vcc_lo, 0, v0
	s_wait_alu 0xfffd
	v_cndmask_b32_e64 v0, 0, 1, vcc_lo
	s_wait_loadcnt 0xe
	v_cmp_ne_u16_e32 vcc_lo, 0, v2
	s_wait_alu 0xfffd
	v_cndmask_b32_e64 v2, 0, 1, vcc_lo
	;; [unrolled: 4-line block ×16, first 2 shown]
	ds_store_b32 v61, v0
	ds_store_b32 v62, v2 offset:128
	ds_store_b32 v63, v3 offset:256
	;; [unrolled: 1-line block ×15, first 2 shown]
	; wave barrier
	ds_load_2addr_b32 v[6:7], v77 offset1:1
	ds_load_2addr_b32 v[8:9], v77 offset0:2 offset1:3
	ds_load_2addr_b32 v[10:11], v77 offset0:4 offset1:5
	;; [unrolled: 1-line block ×7, first 2 shown]
.LBB908_27:                             ;   in Loop: Header=BB908_6 Depth=1
	s_wait_dscnt 0x7
	v_add_nc_u32_e32 v0, v7, v6
	s_wait_dscnt 0x0
	s_barrier_signal -1
	s_barrier_wait -1
	global_inv scope:SCOPE_SE
	v_add3_u32 v0, v0, v8, v9
	s_delay_alu instid0(VALU_DEP_1) | instskip(NEXT) | instid1(VALU_DEP_1)
	v_add3_u32 v0, v0, v10, v11
	v_add3_u32 v0, v0, v14, v15
	s_delay_alu instid0(VALU_DEP_1) | instskip(NEXT) | instid1(VALU_DEP_1)
	v_add3_u32 v0, v0, v16, v17
	;; [unrolled: 3-line block ×3, first 2 shown]
	v_add3_u32 v0, v0, v2, v3
	s_delay_alu instid0(VALU_DEP_1) | instskip(NEXT) | instid1(VALU_DEP_1)
	v_mov_b32_dpp v22, v0 row_shr:1 row_mask:0xf bank_mask:0xf
	v_cndmask_b32_e64 v22, v22, 0, s2
	s_delay_alu instid0(VALU_DEP_1) | instskip(NEXT) | instid1(VALU_DEP_1)
	v_add_nc_u32_e32 v0, v0, v22
	v_mov_b32_dpp v22, v0 row_shr:2 row_mask:0xf bank_mask:0xf
	s_delay_alu instid0(VALU_DEP_1) | instskip(NEXT) | instid1(VALU_DEP_1)
	v_cndmask_b32_e64 v22, 0, v22, s3
	v_add_nc_u32_e32 v0, v0, v22
	s_delay_alu instid0(VALU_DEP_1) | instskip(NEXT) | instid1(VALU_DEP_1)
	v_mov_b32_dpp v22, v0 row_shr:4 row_mask:0xf bank_mask:0xf
	v_cndmask_b32_e64 v22, 0, v22, s4
	s_delay_alu instid0(VALU_DEP_1) | instskip(NEXT) | instid1(VALU_DEP_1)
	v_add_nc_u32_e32 v0, v0, v22
	v_mov_b32_dpp v22, v0 row_shr:8 row_mask:0xf bank_mask:0xf
	s_delay_alu instid0(VALU_DEP_1) | instskip(NEXT) | instid1(VALU_DEP_1)
	v_cndmask_b32_e64 v22, 0, v22, s5
	v_add_nc_u32_e32 v0, v0, v22
	ds_swizzle_b32 v22, v0 offset:swizzle(BROADCAST,32,15)
	s_wait_dscnt 0x0
	v_cndmask_b32_e64 v22, v22, 0, s6
	s_delay_alu instid0(VALU_DEP_1)
	v_add_nc_u32_e32 v0, v0, v22
	s_and_saveexec_b32 s18, s7
; %bb.28:                               ;   in Loop: Header=BB908_6 Depth=1
	ds_store_b32 v24, v0
; %bb.29:                               ;   in Loop: Header=BB908_6 Depth=1
	s_wait_alu 0xfffe
	s_or_b32 exec_lo, exec_lo, s18
	s_wait_loadcnt_dscnt 0x0
	s_barrier_signal -1
	s_barrier_wait -1
	global_inv scope:SCOPE_SE
	s_and_saveexec_b32 s18, s9
	s_cbranch_execz .LBB908_31
; %bb.30:                               ;   in Loop: Header=BB908_6 Depth=1
	ds_load_b32 v22, v25
	s_wait_dscnt 0x0
	v_mov_b32_dpp v23, v22 row_shr:1 row_mask:0xf bank_mask:0xf
	s_delay_alu instid0(VALU_DEP_1) | instskip(NEXT) | instid1(VALU_DEP_1)
	v_cndmask_b32_e64 v23, v23, 0, s2
	v_add_nc_u32_e32 v22, v23, v22
	s_delay_alu instid0(VALU_DEP_1) | instskip(NEXT) | instid1(VALU_DEP_1)
	v_mov_b32_dpp v23, v22 row_shr:2 row_mask:0xf bank_mask:0xf
	v_cndmask_b32_e64 v23, 0, v23, s3
	s_delay_alu instid0(VALU_DEP_1) | instskip(NEXT) | instid1(VALU_DEP_1)
	v_add_nc_u32_e32 v22, v22, v23
	v_mov_b32_dpp v23, v22 row_shr:4 row_mask:0xf bank_mask:0xf
	s_delay_alu instid0(VALU_DEP_1) | instskip(NEXT) | instid1(VALU_DEP_1)
	v_cndmask_b32_e64 v23, 0, v23, s4
	v_add_nc_u32_e32 v22, v22, v23
	s_delay_alu instid0(VALU_DEP_1) | instskip(NEXT) | instid1(VALU_DEP_1)
	v_mov_b32_dpp v23, v22 row_shr:8 row_mask:0xf bank_mask:0xf
	v_cndmask_b32_e64 v23, 0, v23, s5
	s_delay_alu instid0(VALU_DEP_1)
	v_add_nc_u32_e32 v22, v22, v23
	ds_store_b32 v25, v22
.LBB908_31:                             ;   in Loop: Header=BB908_6 Depth=1
	s_wait_alu 0xfffe
	s_or_b32 exec_lo, exec_lo, s18
	v_mov_b32_e32 v22, 0
	s_wait_loadcnt_dscnt 0x0
	s_barrier_signal -1
	s_barrier_wait -1
	global_inv scope:SCOPE_SE
	s_and_saveexec_b32 s18, s10
; %bb.32:                               ;   in Loop: Header=BB908_6 Depth=1
	ds_load_b32 v22, v26
; %bb.33:                               ;   in Loop: Header=BB908_6 Depth=1
	s_wait_alu 0xfffe
	s_or_b32 exec_lo, exec_lo, s18
	s_wait_dscnt 0x0
	v_add_nc_u32_e32 v0, v22, v0
	ds_bpermute_b32 v0, v27, v0
	s_and_saveexec_b32 s18, s11
	s_cbranch_execz .LBB908_35
; %bb.34:                               ;   in Loop: Header=BB908_6 Depth=1
	ds_load_b32 v23, v1 offset:60
	s_wait_dscnt 0x0
	ds_store_b32 v1, v23 offset:33792
.LBB908_35:                             ;   in Loop: Header=BB908_6 Depth=1
	s_wait_alu 0xfffe
	s_or_b32 exec_lo, exec_lo, s18
	s_wait_dscnt 0x0
	v_cndmask_b32_e64 v0, v0, v22, s8
	s_wait_loadcnt 0x0
	s_barrier_signal -1
	s_barrier_wait -1
	global_inv scope:SCOPE_SE
	v_cndmask_b32_e64 v22, v0, 0, s11
	ds_store_2addr_b32 v28, v6, v7 offset1:1
	ds_store_2addr_b32 v28, v8, v9 offset0:2 offset1:3
	ds_store_2addr_b32 v28, v10, v11 offset0:4 offset1:5
	;; [unrolled: 1-line block ×7, first 2 shown]
	s_wait_loadcnt_dscnt 0x0
	s_barrier_signal -1
	v_add_nc_u32_e32 v23, v22, v6
	s_barrier_wait -1
	global_inv scope:SCOPE_SE
	s_mov_b32 s18, exec_lo
	v_add_nc_u32_e32 v91, v23, v7
	s_delay_alu instid0(VALU_DEP_1) | instskip(NEXT) | instid1(VALU_DEP_1)
	v_add_nc_u32_e32 v92, v91, v8
	v_add_nc_u32_e32 v93, v92, v9
	s_delay_alu instid0(VALU_DEP_1) | instskip(NEXT) | instid1(VALU_DEP_1)
	v_add_nc_u32_e32 v94, v93, v10
	;; [unrolled: 3-line block ×4, first 2 shown]
	v_add_nc_u32_e32 v6, v98, v17
	ds_load_b32 v99, v29
	ds_load_b32 v17, v30 offset:2048
	ds_load_b32 v90, v31 offset:4096
	;; [unrolled: 1-line block ×15, first 2 shown]
	s_wait_loadcnt_dscnt 0x0
	s_barrier_signal -1
	v_add_nc_u32_e32 v3, v6, v12
	s_barrier_wait -1
	global_inv scope:SCOPE_SE
	v_add_nc_u32_e32 v7, v3, v13
	s_delay_alu instid0(VALU_DEP_1) | instskip(NEXT) | instid1(VALU_DEP_1)
	v_add_nc_u32_e32 v4, v7, v4
	v_add_nc_u32_e32 v5, v4, v5
	s_delay_alu instid0(VALU_DEP_1)
	v_add_nc_u32_e32 v2, v5, v2
	ds_store_2addr_b32 v28, v22, v23 offset1:1
	ds_store_2addr_b32 v28, v91, v92 offset0:2 offset1:3
	ds_store_2addr_b32 v28, v93, v94 offset0:4 offset1:5
	;; [unrolled: 1-line block ×7, first 2 shown]
	s_wait_loadcnt_dscnt 0x0
	s_barrier_signal -1
	s_barrier_wait -1
	global_inv scope:SCOPE_SE
	ds_load_b32 v16, v30 offset:2048
	ds_load_b32 v15, v31 offset:4096
	;; [unrolled: 1-line block ×15, first 2 shown]
	v_cmpx_ne_u32_e32 0, v99
	s_cbranch_execz .LBB908_38
; %bb.36:                               ;   in Loop: Header=BB908_6 Depth=1
	ds_load_b32 v22, v29
	s_wait_dscnt 0x0
	v_ashrrev_i32_e32 v23, 31, v22
	s_delay_alu instid0(VALU_DEP_1)
	v_cmp_gt_i64_e32 vcc_lo, s[16:17], v[22:23]
	s_and_b32 exec_lo, exec_lo, vcc_lo
	s_cbranch_execz .LBB908_38
; %bb.37:                               ;   in Loop: Header=BB908_6 Depth=1
	v_lshlrev_b64_e32 v[22:23], 3, v[22:23]
	s_delay_alu instid0(VALU_DEP_1) | instskip(SKIP_1) | instid1(VALU_DEP_2)
	v_add_co_u32 v22, vcc_lo, s14, v22
	s_wait_alu 0xfffd
	v_add_co_ci_u32_e64 v23, null, s15, v23, vcc_lo
	global_store_b64 v[22:23], v[18:19], off
.LBB908_38:                             ;   in Loop: Header=BB908_6 Depth=1
	s_wait_alu 0xfffe
	s_or_b32 exec_lo, exec_lo, s18
	s_delay_alu instid0(SALU_CYCLE_1)
	s_mov_b32 s18, exec_lo
	v_cmpx_ne_u32_e32 0, v17
	s_cbranch_execz .LBB908_41
; %bb.39:                               ;   in Loop: Header=BB908_6 Depth=1
	s_wait_dscnt 0xe
	v_ashrrev_i32_e32 v17, 31, v16
	s_delay_alu instid0(VALU_DEP_1)
	v_cmp_gt_i64_e32 vcc_lo, s[16:17], v[16:17]
	s_and_b32 exec_lo, exec_lo, vcc_lo
	s_cbranch_execz .LBB908_41
; %bb.40:                               ;   in Loop: Header=BB908_6 Depth=1
	s_load_b32 s19, s[0:1], 0xc
	v_lshlrev_b64_e32 v[16:17], 3, v[16:17]
	s_wait_kmcnt 0x0
	s_and_b32 s19, s19, 0xffff
	s_wait_alu 0xfffe
	v_add_co_u32 v22, vcc_lo, v18, s19
	s_wait_alu 0xfffd
	v_add_co_ci_u32_e64 v23, null, 0, v19, vcc_lo
	v_add_co_u32 v16, vcc_lo, s14, v16
	s_wait_alu 0xfffd
	v_add_co_ci_u32_e64 v17, null, s15, v17, vcc_lo
	global_store_b64 v[16:17], v[22:23], off
.LBB908_41:                             ;   in Loop: Header=BB908_6 Depth=1
	s_wait_alu 0xfffe
	s_or_b32 exec_lo, exec_lo, s18
	s_delay_alu instid0(SALU_CYCLE_1)
	s_mov_b32 s18, exec_lo
	v_cmpx_ne_u32_e32 0, v90
	s_cbranch_execz .LBB908_44
; %bb.42:                               ;   in Loop: Header=BB908_6 Depth=1
	s_wait_dscnt 0xd
	v_ashrrev_i32_e32 v16, 31, v15
	s_delay_alu instid0(VALU_DEP_1)
	v_cmp_gt_i64_e32 vcc_lo, s[16:17], v[15:16]
	s_and_b32 exec_lo, exec_lo, vcc_lo
	s_cbranch_execz .LBB908_44
; %bb.43:                               ;   in Loop: Header=BB908_6 Depth=1
	s_load_b32 s19, s[0:1], 0xc
	v_lshlrev_b64_e32 v[15:16], 3, v[15:16]
	s_wait_kmcnt 0x0
	s_and_b32 s19, s19, 0xffff
	s_wait_alu 0xfffe
	s_lshl_b32 s19, s19, 1
	s_wait_alu 0xfffe
	v_add_co_u32 v22, vcc_lo, v18, s19
	s_wait_alu 0xfffd
	v_add_co_ci_u32_e64 v23, null, 0, v19, vcc_lo
	v_add_co_u32 v15, vcc_lo, s14, v15
	s_wait_alu 0xfffd
	v_add_co_ci_u32_e64 v16, null, s15, v16, vcc_lo
	global_store_b64 v[15:16], v[22:23], off
.LBB908_44:                             ;   in Loop: Header=BB908_6 Depth=1
	s_wait_alu 0xfffe
	s_or_b32 exec_lo, exec_lo, s18
	s_delay_alu instid0(SALU_CYCLE_1)
	s_mov_b32 s18, exec_lo
	v_cmpx_ne_u32_e32 0, v89
	s_cbranch_execz .LBB908_47
; %bb.45:                               ;   in Loop: Header=BB908_6 Depth=1
	s_wait_dscnt 0xc
	v_ashrrev_i32_e32 v15, 31, v14
	s_delay_alu instid0(VALU_DEP_1)
	v_cmp_gt_i64_e32 vcc_lo, s[16:17], v[14:15]
	s_and_b32 exec_lo, exec_lo, vcc_lo
	s_cbranch_execz .LBB908_47
; %bb.46:                               ;   in Loop: Header=BB908_6 Depth=1
	s_load_b32 s19, s[0:1], 0xc
	v_lshlrev_b64_e32 v[14:15], 3, v[14:15]
	s_wait_kmcnt 0x0
	s_and_b32 s19, s19, 0xffff
	s_wait_alu 0xfffe
	s_mul_i32 s19, s19, 3
	s_wait_alu 0xfffe
	v_add_co_u32 v16, vcc_lo, v18, s19
	s_wait_alu 0xfffd
	v_add_co_ci_u32_e64 v17, null, 0, v19, vcc_lo
	v_add_co_u32 v14, vcc_lo, s14, v14
	s_wait_alu 0xfffd
	v_add_co_ci_u32_e64 v15, null, s15, v15, vcc_lo
	global_store_b64 v[14:15], v[16:17], off
.LBB908_47:                             ;   in Loop: Header=BB908_6 Depth=1
	s_wait_alu 0xfffe
	s_or_b32 exec_lo, exec_lo, s18
	s_delay_alu instid0(SALU_CYCLE_1)
	s_mov_b32 s18, exec_lo
	v_cmpx_ne_u32_e32 0, v88
	s_cbranch_execz .LBB908_50
; %bb.48:                               ;   in Loop: Header=BB908_6 Depth=1
	s_wait_dscnt 0xb
	v_ashrrev_i32_e32 v14, 31, v13
	s_delay_alu instid0(VALU_DEP_1)
	v_cmp_gt_i64_e32 vcc_lo, s[16:17], v[13:14]
	s_and_b32 exec_lo, exec_lo, vcc_lo
	s_cbranch_execz .LBB908_50
; %bb.49:                               ;   in Loop: Header=BB908_6 Depth=1
	s_load_b32 s19, s[0:1], 0xc
	v_lshlrev_b64_e32 v[13:14], 3, v[13:14]
	s_wait_kmcnt 0x0
	s_and_b32 s19, s19, 0xffff
	s_wait_alu 0xfffe
	s_lshl_b32 s19, s19, 2
	s_wait_alu 0xfffe
	v_add_co_u32 v15, vcc_lo, v18, s19
	s_wait_alu 0xfffd
	v_add_co_ci_u32_e64 v16, null, 0, v19, vcc_lo
	v_add_co_u32 v13, vcc_lo, s14, v13
	s_wait_alu 0xfffd
	v_add_co_ci_u32_e64 v14, null, s15, v14, vcc_lo
	global_store_b64 v[13:14], v[15:16], off
.LBB908_50:                             ;   in Loop: Header=BB908_6 Depth=1
	s_wait_alu 0xfffe
	s_or_b32 exec_lo, exec_lo, s18
	s_delay_alu instid0(SALU_CYCLE_1)
	s_mov_b32 s18, exec_lo
	v_cmpx_ne_u32_e32 0, v87
	s_cbranch_execz .LBB908_53
; %bb.51:                               ;   in Loop: Header=BB908_6 Depth=1
	s_wait_dscnt 0xa
	v_ashrrev_i32_e32 v13, 31, v12
	s_delay_alu instid0(VALU_DEP_1)
	v_cmp_gt_i64_e32 vcc_lo, s[16:17], v[12:13]
	s_and_b32 exec_lo, exec_lo, vcc_lo
	s_cbranch_execz .LBB908_53
; %bb.52:                               ;   in Loop: Header=BB908_6 Depth=1
	s_load_b32 s19, s[0:1], 0xc
	v_lshlrev_b64_e32 v[12:13], 3, v[12:13]
	s_wait_kmcnt 0x0
	s_and_b32 s19, s19, 0xffff
	s_wait_alu 0xfffe
	s_mul_i32 s19, s19, 5
	s_wait_alu 0xfffe
	v_add_co_u32 v14, vcc_lo, v18, s19
	s_wait_alu 0xfffd
	v_add_co_ci_u32_e64 v15, null, 0, v19, vcc_lo
	v_add_co_u32 v12, vcc_lo, s14, v12
	s_wait_alu 0xfffd
	v_add_co_ci_u32_e64 v13, null, s15, v13, vcc_lo
	global_store_b64 v[12:13], v[14:15], off
.LBB908_53:                             ;   in Loop: Header=BB908_6 Depth=1
	s_wait_alu 0xfffe
	s_or_b32 exec_lo, exec_lo, s18
	s_delay_alu instid0(SALU_CYCLE_1)
	s_mov_b32 s18, exec_lo
	v_cmpx_ne_u32_e32 0, v86
	s_cbranch_execz .LBB908_56
; %bb.54:                               ;   in Loop: Header=BB908_6 Depth=1
	s_wait_dscnt 0x9
	v_ashrrev_i32_e32 v12, 31, v11
	s_delay_alu instid0(VALU_DEP_1)
	v_cmp_gt_i64_e32 vcc_lo, s[16:17], v[11:12]
	s_and_b32 exec_lo, exec_lo, vcc_lo
	s_cbranch_execz .LBB908_56
; %bb.55:                               ;   in Loop: Header=BB908_6 Depth=1
	s_load_b32 s19, s[0:1], 0xc
	v_lshlrev_b64_e32 v[11:12], 3, v[11:12]
	s_wait_kmcnt 0x0
	s_and_b32 s19, s19, 0xffff
	s_wait_alu 0xfffe
	s_mul_i32 s19, s19, 6
	s_wait_alu 0xfffe
	v_add_co_u32 v13, vcc_lo, v18, s19
	s_wait_alu 0xfffd
	v_add_co_ci_u32_e64 v14, null, 0, v19, vcc_lo
	v_add_co_u32 v11, vcc_lo, s14, v11
	s_wait_alu 0xfffd
	v_add_co_ci_u32_e64 v12, null, s15, v12, vcc_lo
	global_store_b64 v[11:12], v[13:14], off
.LBB908_56:                             ;   in Loop: Header=BB908_6 Depth=1
	;; [unrolled: 29-line block ×3, first 2 shown]
	s_wait_alu 0xfffe
	s_or_b32 exec_lo, exec_lo, s18
	s_delay_alu instid0(SALU_CYCLE_1)
	s_mov_b32 s18, exec_lo
	v_cmpx_ne_u32_e32 0, v84
	s_cbranch_execz .LBB908_62
; %bb.60:                               ;   in Loop: Header=BB908_6 Depth=1
	s_wait_dscnt 0x7
	v_ashrrev_i32_e32 v10, 31, v9
	s_delay_alu instid0(VALU_DEP_1)
	v_cmp_gt_i64_e32 vcc_lo, s[16:17], v[9:10]
	s_and_b32 exec_lo, exec_lo, vcc_lo
	s_cbranch_execz .LBB908_62
; %bb.61:                               ;   in Loop: Header=BB908_6 Depth=1
	s_load_b32 s19, s[0:1], 0xc
	v_lshlrev_b64_e32 v[9:10], 3, v[9:10]
	s_wait_kmcnt 0x0
	s_and_b32 s19, s19, 0xffff
	s_wait_alu 0xfffe
	s_lshl_b32 s19, s19, 3
	s_wait_alu 0xfffe
	v_add_co_u32 v11, vcc_lo, v18, s19
	s_wait_alu 0xfffd
	v_add_co_ci_u32_e64 v12, null, 0, v19, vcc_lo
	v_add_co_u32 v9, vcc_lo, s14, v9
	s_wait_alu 0xfffd
	v_add_co_ci_u32_e64 v10, null, s15, v10, vcc_lo
	global_store_b64 v[9:10], v[11:12], off
.LBB908_62:                             ;   in Loop: Header=BB908_6 Depth=1
	s_wait_alu 0xfffe
	s_or_b32 exec_lo, exec_lo, s18
	s_delay_alu instid0(SALU_CYCLE_1)
	s_mov_b32 s18, exec_lo
	v_cmpx_ne_u32_e32 0, v83
	s_cbranch_execz .LBB908_65
; %bb.63:                               ;   in Loop: Header=BB908_6 Depth=1
	s_wait_dscnt 0x6
	v_ashrrev_i32_e32 v9, 31, v8
	s_delay_alu instid0(VALU_DEP_1)
	v_cmp_gt_i64_e32 vcc_lo, s[16:17], v[8:9]
	s_and_b32 exec_lo, exec_lo, vcc_lo
	s_cbranch_execz .LBB908_65
; %bb.64:                               ;   in Loop: Header=BB908_6 Depth=1
	s_load_b32 s19, s[0:1], 0xc
	v_lshlrev_b64_e32 v[8:9], 3, v[8:9]
	s_wait_kmcnt 0x0
	s_and_b32 s19, s19, 0xffff
	s_wait_alu 0xfffe
	s_mul_i32 s19, s19, 9
	s_wait_alu 0xfffe
	v_add_co_u32 v10, vcc_lo, v18, s19
	s_wait_alu 0xfffd
	v_add_co_ci_u32_e64 v11, null, 0, v19, vcc_lo
	v_add_co_u32 v8, vcc_lo, s14, v8
	s_wait_alu 0xfffd
	v_add_co_ci_u32_e64 v9, null, s15, v9, vcc_lo
	global_store_b64 v[8:9], v[10:11], off
.LBB908_65:                             ;   in Loop: Header=BB908_6 Depth=1
	s_wait_alu 0xfffe
	s_or_b32 exec_lo, exec_lo, s18
	s_delay_alu instid0(SALU_CYCLE_1)
	s_mov_b32 s18, exec_lo
	v_cmpx_ne_u32_e32 0, v82
	s_cbranch_execz .LBB908_68
; %bb.66:                               ;   in Loop: Header=BB908_6 Depth=1
	s_wait_dscnt 0x5
	v_ashrrev_i32_e32 v8, 31, v7
	s_delay_alu instid0(VALU_DEP_1)
	v_cmp_gt_i64_e32 vcc_lo, s[16:17], v[7:8]
	s_and_b32 exec_lo, exec_lo, vcc_lo
	s_cbranch_execz .LBB908_68
; %bb.67:                               ;   in Loop: Header=BB908_6 Depth=1
	s_load_b32 s19, s[0:1], 0xc
	v_lshlrev_b64_e32 v[7:8], 3, v[7:8]
	s_wait_kmcnt 0x0
	s_and_b32 s19, s19, 0xffff
	s_wait_alu 0xfffe
	s_mul_i32 s19, s19, 10
	s_wait_alu 0xfffe
	v_add_co_u32 v9, vcc_lo, v18, s19
	s_wait_alu 0xfffd
	v_add_co_ci_u32_e64 v10, null, 0, v19, vcc_lo
	v_add_co_u32 v7, vcc_lo, s14, v7
	s_wait_alu 0xfffd
	v_add_co_ci_u32_e64 v8, null, s15, v8, vcc_lo
	global_store_b64 v[7:8], v[9:10], off
.LBB908_68:                             ;   in Loop: Header=BB908_6 Depth=1
	;; [unrolled: 29-line block ×7, first 2 shown]
	s_wait_alu 0xfffe
	s_or_b32 exec_lo, exec_lo, s18
	ds_load_b32 v0, v1 offset:33792
	v_cmp_lt_i64_e64 s22, 0x2000, s[12:13]
	s_wait_dscnt 0x0
	v_readfirstlane_b32 s18, v0
	s_ashr_i32 s19, s18, 31
	s_wait_alu 0xfffe
	s_sub_nc_u64 s[16:17], s[16:17], s[18:19]
	s_wait_alu 0xfffe
	v_cmp_gt_i64_e64 s23, s[16:17], 0
	s_and_b32 s22, s22, s23
	s_wait_alu 0xfffe
	s_and_not1_b32 vcc_lo, exec_lo, s22
	s_wait_alu 0xfffe
	s_cbranch_vccz .LBB908_5
; %bb.84:
                                        ; implicit-def: $sgpr12_sgpr13
                                        ; implicit-def: $sgpr14_sgpr15
                                        ; implicit-def: $vgpr18_vgpr19
                                        ; implicit-def: $sgpr26
                                        ; implicit-def: $vgpr20_vgpr21
	s_branch .LBB908_100
.LBB908_85:                             ;   in Loop: Header=BB908_6 Depth=1
	global_load_u16 v0, v[20:21], off
	v_dual_mov_b32 v14, v1 :: v_dual_mov_b32 v15, v1
	v_dual_mov_b32 v2, v1 :: v_dual_mov_b32 v3, v1
	;; [unrolled: 1-line block ×7, first 2 shown]
	s_wait_loadcnt 0x0
	v_mov_b32_e32 v17, v15
	s_delay_alu instid0(VALU_DEP_2) | instskip(NEXT) | instid1(VALU_DEP_3)
	v_dual_mov_b32 v16, v14 :: v_dual_mov_b32 v15, v13
	v_mov_b32_e32 v14, v12
	v_mov_b32_e32 v13, v11
	v_mov_b32_e32 v12, v10
	v_mov_b32_e32 v11, v9
	v_mov_b32_e32 v10, v8
	v_mov_b32_e32 v9, v7
	v_mov_b32_e32 v8, v6
	v_mov_b32_e32 v7, v5
	v_mov_b32_e32 v6, v4
	v_mov_b32_e32 v5, v3
	v_mov_b32_e32 v4, v2
	v_mov_b32_e32 v3, v1
	v_cmp_ne_u16_e32 vcc_lo, 0, v0
	v_mov_b32_e32 v2, v0
	s_wait_alu 0xfffd
	v_cndmask_b32_e64 v0, 0, 1, vcc_lo
	s_wait_alu 0xfffe
	s_or_b32 exec_lo, exec_lo, s18
	s_delay_alu instid0(SALU_CYCLE_1)
	s_mov_b32 s18, exec_lo
	v_cmpx_gt_u32_e64 s12, v46
	s_cbranch_execz .LBB908_9
.LBB908_86:                             ;   in Loop: Header=BB908_6 Depth=1
	global_load_u16 v2, v[20:21], off offset:64
	s_wait_loadcnt 0x0
	v_cmp_ne_u16_e32 vcc_lo, 0, v2
	s_wait_alu 0xfffd
	v_cndmask_b32_e64 v3, 0, 1, vcc_lo
	s_wait_alu 0xfffe
	s_or_b32 exec_lo, exec_lo, s18
	s_delay_alu instid0(SALU_CYCLE_1)
	s_mov_b32 s18, exec_lo
	v_cmpx_gt_u32_e64 s12, v47
	s_cbranch_execz .LBB908_10
.LBB908_87:                             ;   in Loop: Header=BB908_6 Depth=1
	global_load_u16 v2, v[20:21], off offset:128
	s_wait_loadcnt 0x0
	v_cmp_ne_u16_e32 vcc_lo, 0, v2
	s_wait_alu 0xfffd
	v_cndmask_b32_e64 v4, 0, 1, vcc_lo
	s_wait_alu 0xfffe
	s_or_b32 exec_lo, exec_lo, s18
	s_delay_alu instid0(SALU_CYCLE_1)
	s_mov_b32 s18, exec_lo
	v_cmpx_gt_u32_e64 s12, v48
	s_cbranch_execz .LBB908_11
.LBB908_88:                             ;   in Loop: Header=BB908_6 Depth=1
	global_load_u16 v2, v[20:21], off offset:192
	s_wait_loadcnt 0x0
	v_cmp_ne_u16_e32 vcc_lo, 0, v2
	s_wait_alu 0xfffd
	v_cndmask_b32_e64 v5, 0, 1, vcc_lo
	s_wait_alu 0xfffe
	s_or_b32 exec_lo, exec_lo, s18
	s_delay_alu instid0(SALU_CYCLE_1)
	s_mov_b32 s18, exec_lo
	v_cmpx_gt_u32_e64 s12, v49
	s_cbranch_execz .LBB908_12
.LBB908_89:                             ;   in Loop: Header=BB908_6 Depth=1
	global_load_u16 v2, v[20:21], off offset:256
	s_wait_loadcnt 0x0
	v_cmp_ne_u16_e32 vcc_lo, 0, v2
	s_wait_alu 0xfffd
	v_cndmask_b32_e64 v6, 0, 1, vcc_lo
	s_wait_alu 0xfffe
	s_or_b32 exec_lo, exec_lo, s18
	s_delay_alu instid0(SALU_CYCLE_1)
	s_mov_b32 s18, exec_lo
	v_cmpx_gt_u32_e64 s12, v50
	s_cbranch_execz .LBB908_13
.LBB908_90:                             ;   in Loop: Header=BB908_6 Depth=1
	global_load_u16 v2, v[20:21], off offset:320
	s_wait_loadcnt 0x0
	v_cmp_ne_u16_e32 vcc_lo, 0, v2
	s_wait_alu 0xfffd
	v_cndmask_b32_e64 v7, 0, 1, vcc_lo
	s_wait_alu 0xfffe
	s_or_b32 exec_lo, exec_lo, s18
	s_delay_alu instid0(SALU_CYCLE_1)
	s_mov_b32 s18, exec_lo
	v_cmpx_gt_u32_e64 s12, v51
	s_cbranch_execz .LBB908_14
.LBB908_91:                             ;   in Loop: Header=BB908_6 Depth=1
	global_load_u16 v2, v[20:21], off offset:384
	s_wait_loadcnt 0x0
	v_cmp_ne_u16_e32 vcc_lo, 0, v2
	s_wait_alu 0xfffd
	v_cndmask_b32_e64 v8, 0, 1, vcc_lo
	s_wait_alu 0xfffe
	s_or_b32 exec_lo, exec_lo, s18
	s_delay_alu instid0(SALU_CYCLE_1)
	s_mov_b32 s18, exec_lo
	v_cmpx_gt_u32_e64 s12, v52
	s_cbranch_execz .LBB908_15
.LBB908_92:                             ;   in Loop: Header=BB908_6 Depth=1
	global_load_u16 v2, v[20:21], off offset:448
	s_wait_loadcnt 0x0
	v_cmp_ne_u16_e32 vcc_lo, 0, v2
	s_wait_alu 0xfffd
	v_cndmask_b32_e64 v9, 0, 1, vcc_lo
	s_wait_alu 0xfffe
	s_or_b32 exec_lo, exec_lo, s18
	s_delay_alu instid0(SALU_CYCLE_1)
	s_mov_b32 s18, exec_lo
	v_cmpx_gt_u32_e64 s12, v53
	s_cbranch_execz .LBB908_16
.LBB908_93:                             ;   in Loop: Header=BB908_6 Depth=1
	global_load_u16 v2, v[20:21], off offset:512
	s_wait_loadcnt 0x0
	v_cmp_ne_u16_e32 vcc_lo, 0, v2
	s_wait_alu 0xfffd
	v_cndmask_b32_e64 v10, 0, 1, vcc_lo
	s_wait_alu 0xfffe
	s_or_b32 exec_lo, exec_lo, s18
	s_delay_alu instid0(SALU_CYCLE_1)
	s_mov_b32 s18, exec_lo
	v_cmpx_gt_u32_e64 s12, v54
	s_cbranch_execz .LBB908_17
.LBB908_94:                             ;   in Loop: Header=BB908_6 Depth=1
	global_load_u16 v2, v[20:21], off offset:576
	s_wait_loadcnt 0x0
	v_cmp_ne_u16_e32 vcc_lo, 0, v2
	s_wait_alu 0xfffd
	v_cndmask_b32_e64 v11, 0, 1, vcc_lo
	s_wait_alu 0xfffe
	s_or_b32 exec_lo, exec_lo, s18
	s_delay_alu instid0(SALU_CYCLE_1)
	s_mov_b32 s18, exec_lo
	v_cmpx_gt_u32_e64 s12, v55
	s_cbranch_execz .LBB908_18
.LBB908_95:                             ;   in Loop: Header=BB908_6 Depth=1
	global_load_u16 v2, v[20:21], off offset:640
	s_wait_loadcnt 0x0
	v_cmp_ne_u16_e32 vcc_lo, 0, v2
	s_wait_alu 0xfffd
	v_cndmask_b32_e64 v12, 0, 1, vcc_lo
	s_wait_alu 0xfffe
	s_or_b32 exec_lo, exec_lo, s18
	s_delay_alu instid0(SALU_CYCLE_1)
	s_mov_b32 s18, exec_lo
	v_cmpx_gt_u32_e64 s12, v56
	s_cbranch_execz .LBB908_19
.LBB908_96:                             ;   in Loop: Header=BB908_6 Depth=1
	global_load_u16 v2, v[20:21], off offset:704
	s_wait_loadcnt 0x0
	v_cmp_ne_u16_e32 vcc_lo, 0, v2
	s_wait_alu 0xfffd
	v_cndmask_b32_e64 v13, 0, 1, vcc_lo
	s_wait_alu 0xfffe
	s_or_b32 exec_lo, exec_lo, s18
	s_delay_alu instid0(SALU_CYCLE_1)
	s_mov_b32 s18, exec_lo
	v_cmpx_gt_u32_e64 s12, v57
	s_cbranch_execz .LBB908_20
.LBB908_97:                             ;   in Loop: Header=BB908_6 Depth=1
	global_load_u16 v2, v[20:21], off offset:768
	s_wait_loadcnt 0x0
	v_cmp_ne_u16_e32 vcc_lo, 0, v2
	s_wait_alu 0xfffd
	v_cndmask_b32_e64 v14, 0, 1, vcc_lo
	s_wait_alu 0xfffe
	s_or_b32 exec_lo, exec_lo, s18
	s_delay_alu instid0(SALU_CYCLE_1)
	s_mov_b32 s18, exec_lo
	v_cmpx_gt_u32_e64 s12, v58
	s_cbranch_execz .LBB908_21
.LBB908_98:                             ;   in Loop: Header=BB908_6 Depth=1
	global_load_u16 v2, v[20:21], off offset:832
	s_wait_loadcnt 0x0
	v_cmp_ne_u16_e32 vcc_lo, 0, v2
	s_wait_alu 0xfffd
	v_cndmask_b32_e64 v15, 0, 1, vcc_lo
	s_wait_alu 0xfffe
	s_or_b32 exec_lo, exec_lo, s18
	s_delay_alu instid0(SALU_CYCLE_1)
	s_mov_b32 s18, exec_lo
	v_cmpx_gt_u32_e64 s12, v59
	s_cbranch_execz .LBB908_22
.LBB908_99:                             ;   in Loop: Header=BB908_6 Depth=1
	global_load_u16 v2, v[20:21], off offset:896
	s_wait_loadcnt 0x0
	v_cmp_ne_u16_e32 vcc_lo, 0, v2
	s_wait_alu 0xfffd
	v_cndmask_b32_e64 v16, 0, 1, vcc_lo
	s_wait_alu 0xfffe
	s_or_b32 exec_lo, exec_lo, s18
	s_delay_alu instid0(SALU_CYCLE_1)
	s_mov_b32 s18, exec_lo
	v_cmpx_gt_u32_e64 s12, v60
	s_cbranch_execnz .LBB908_23
	s_branch .LBB908_24
.LBB908_100:
	s_nop 0
	s_sendmsg sendmsg(MSG_DEALLOC_VGPRS)
	s_endpgm
	.section	.rodata,"a",@progbits
	.p2align	6, 0x0
	.amdhsa_kernel _ZN2at6native12_GLOBAL__N_111flag_kernelILi512ELi16EsEEvPKT1_PlPKllli
		.amdhsa_group_segment_fixed_size 33796
		.amdhsa_private_segment_fixed_size 0
		.amdhsa_kernarg_size 304
		.amdhsa_user_sgpr_count 2
		.amdhsa_user_sgpr_dispatch_ptr 0
		.amdhsa_user_sgpr_queue_ptr 0
		.amdhsa_user_sgpr_kernarg_segment_ptr 1
		.amdhsa_user_sgpr_dispatch_id 0
		.amdhsa_user_sgpr_private_segment_size 0
		.amdhsa_wavefront_size32 1
		.amdhsa_uses_dynamic_stack 0
		.amdhsa_enable_private_segment 0
		.amdhsa_system_sgpr_workgroup_id_x 1
		.amdhsa_system_sgpr_workgroup_id_y 0
		.amdhsa_system_sgpr_workgroup_id_z 0
		.amdhsa_system_sgpr_workgroup_info 0
		.amdhsa_system_vgpr_workitem_id 0
		.amdhsa_next_free_vgpr 100
		.amdhsa_next_free_sgpr 27
		.amdhsa_reserve_vcc 1
		.amdhsa_float_round_mode_32 0
		.amdhsa_float_round_mode_16_64 0
		.amdhsa_float_denorm_mode_32 3
		.amdhsa_float_denorm_mode_16_64 3
		.amdhsa_fp16_overflow 0
		.amdhsa_workgroup_processor_mode 1
		.amdhsa_memory_ordered 1
		.amdhsa_forward_progress 1
		.amdhsa_inst_pref_size 57
		.amdhsa_round_robin_scheduling 0
		.amdhsa_exception_fp_ieee_invalid_op 0
		.amdhsa_exception_fp_denorm_src 0
		.amdhsa_exception_fp_ieee_div_zero 0
		.amdhsa_exception_fp_ieee_overflow 0
		.amdhsa_exception_fp_ieee_underflow 0
		.amdhsa_exception_fp_ieee_inexact 0
		.amdhsa_exception_int_div_zero 0
	.end_amdhsa_kernel
	.section	.text._ZN2at6native12_GLOBAL__N_111flag_kernelILi512ELi16EsEEvPKT1_PlPKllli,"axG",@progbits,_ZN2at6native12_GLOBAL__N_111flag_kernelILi512ELi16EsEEvPKT1_PlPKllli,comdat
.Lfunc_end908:
	.size	_ZN2at6native12_GLOBAL__N_111flag_kernelILi512ELi16EsEEvPKT1_PlPKllli, .Lfunc_end908-_ZN2at6native12_GLOBAL__N_111flag_kernelILi512ELi16EsEEvPKT1_PlPKllli
                                        ; -- End function
	.set _ZN2at6native12_GLOBAL__N_111flag_kernelILi512ELi16EsEEvPKT1_PlPKllli.num_vgpr, 100
	.set _ZN2at6native12_GLOBAL__N_111flag_kernelILi512ELi16EsEEvPKT1_PlPKllli.num_agpr, 0
	.set _ZN2at6native12_GLOBAL__N_111flag_kernelILi512ELi16EsEEvPKT1_PlPKllli.numbered_sgpr, 27
	.set _ZN2at6native12_GLOBAL__N_111flag_kernelILi512ELi16EsEEvPKT1_PlPKllli.num_named_barrier, 0
	.set _ZN2at6native12_GLOBAL__N_111flag_kernelILi512ELi16EsEEvPKT1_PlPKllli.private_seg_size, 0
	.set _ZN2at6native12_GLOBAL__N_111flag_kernelILi512ELi16EsEEvPKT1_PlPKllli.uses_vcc, 1
	.set _ZN2at6native12_GLOBAL__N_111flag_kernelILi512ELi16EsEEvPKT1_PlPKllli.uses_flat_scratch, 0
	.set _ZN2at6native12_GLOBAL__N_111flag_kernelILi512ELi16EsEEvPKT1_PlPKllli.has_dyn_sized_stack, 0
	.set _ZN2at6native12_GLOBAL__N_111flag_kernelILi512ELi16EsEEvPKT1_PlPKllli.has_recursion, 0
	.set _ZN2at6native12_GLOBAL__N_111flag_kernelILi512ELi16EsEEvPKT1_PlPKllli.has_indirect_call, 0
	.section	.AMDGPU.csdata,"",@progbits
; Kernel info:
; codeLenInByte = 7220
; TotalNumSgprs: 29
; NumVgprs: 100
; ScratchSize: 0
; MemoryBound: 0
; FloatMode: 240
; IeeeMode: 1
; LDSByteSize: 33796 bytes/workgroup (compile time only)
; SGPRBlocks: 0
; VGPRBlocks: 12
; NumSGPRsForWavesPerEU: 29
; NumVGPRsForWavesPerEU: 100
; Occupancy: 12
; WaveLimiterHint : 0
; COMPUTE_PGM_RSRC2:SCRATCH_EN: 0
; COMPUTE_PGM_RSRC2:USER_SGPR: 2
; COMPUTE_PGM_RSRC2:TRAP_HANDLER: 0
; COMPUTE_PGM_RSRC2:TGID_X_EN: 1
; COMPUTE_PGM_RSRC2:TGID_Y_EN: 0
; COMPUTE_PGM_RSRC2:TGID_Z_EN: 0
; COMPUTE_PGM_RSRC2:TIDIG_COMP_CNT: 0
	.section	.text._ZN2at4cuda3cub15calc_block_sumsILi512ELi16ELb1EdiEEvPKT2_PT3_li,"axG",@progbits,_ZN2at4cuda3cub15calc_block_sumsILi512ELi16ELb1EdiEEvPKT2_PT3_li,comdat
	.protected	_ZN2at4cuda3cub15calc_block_sumsILi512ELi16ELb1EdiEEvPKT2_PT3_li ; -- Begin function _ZN2at4cuda3cub15calc_block_sumsILi512ELi16ELb1EdiEEvPKT2_PT3_li
	.globl	_ZN2at4cuda3cub15calc_block_sumsILi512ELi16ELb1EdiEEvPKT2_PT3_li
	.p2align	8
	.type	_ZN2at4cuda3cub15calc_block_sumsILi512ELi16ELb1EdiEEvPKT2_PT3_li,@function
_ZN2at4cuda3cub15calc_block_sumsILi512ELi16ELb1EdiEEvPKT2_PT3_li: ; @_ZN2at4cuda3cub15calc_block_sumsILi512ELi16ELb1EdiEEvPKT2_PT3_li
; %bb.0:
	s_load_b96 s[8:10], s[0:1], 0x10
	s_mov_b32 s2, ttmp9
	s_mov_b32 s3, 0
	s_wait_kmcnt 0x0
	s_lshl_b32 s4, s10, 13
	s_delay_alu instid0(SALU_CYCLE_1) | instskip(NEXT) | instid1(SALU_CYCLE_1)
	s_ashr_i32 s5, s4, 31
	s_mul_u64 s[12:13], s[4:5], s[2:3]
	s_delay_alu instid0(SALU_CYCLE_1) | instskip(NEXT) | instid1(SALU_CYCLE_1)
	s_sub_nc_u64 s[8:9], s[8:9], s[12:13]
	v_cmp_lt_i64_e64 s4, s[8:9], 1
	s_and_b32 vcc_lo, exec_lo, s4
	s_cbranch_vccnz .LBB909_58
; %bb.1:
	s_load_b128 s[4:7], s[0:1], 0x0
	s_mov_b32 s0, -1
	s_cmp_gt_i32 s10, 0
	s_mov_b32 s1, -1
	s_cbranch_scc1 .LBB909_3
; %bb.2:
	s_mov_b32 s1, 0
.LBB909_3:
	v_mov_b32_e32 v20, 0
	s_and_not1_b32 vcc_lo, exec_lo, s1
	s_cbranch_vccnz .LBB909_56
; %bb.4:
	v_lshrrev_b32_e32 v1, 3, v0
	s_lshl_b64 s[12:13], s[12:13], 3
	v_dual_mov_b32 v20, 0 :: v_dual_add_nc_u32 v21, 0x200, v0
	s_wait_kmcnt 0x0
	s_add_nc_u64 s[4:5], s[4:5], s[12:13]
	v_and_b32_e32 v36, 0x7c, v1
	v_lshlrev_b32_e32 v1, 3, v0
	v_or_b32_e32 v22, 0x400, v0
	v_add_nc_u32_e32 v23, 0x600, v0
	v_or_b32_e32 v24, 0x800, v0
	v_add_nc_u32_e32 v25, 0xa00, v0
	v_add_co_u32 v2, s1, s4, v1
	s_delay_alu instid0(VALU_DEP_1) | instskip(SKIP_1) | instid1(VALU_DEP_3)
	v_add_co_ci_u32_e64 v3, null, s5, 0, s1
	v_or_b32_e32 v26, 0xc00, v0
	v_add_co_u32 v18, vcc_lo, 0xf000, v2
	v_add_nc_u32_e32 v27, 0xe00, v0
	v_or_b32_e32 v28, 0x1000, v0
	v_add_nc_u32_e32 v29, 0x1200, v0
	v_or_b32_e32 v30, 0x1400, v0
	;; [unrolled: 2-line block ×4, first 2 shown]
	v_add_nc_u32_e32 v35, 0x1e00, v0
	v_cmp_gt_u32_e64 s0, 32, v0
	v_mov_b32_e32 v1, 0
	v_add_co_ci_u32_e64 v19, null, 0, v3, vcc_lo
	v_mbcnt_lo_u32_b32 v37, -1, 0
	s_movk_i32 s4, 0xe000
	s_mov_b32 s5, -1
	s_branch .LBB909_6
.LBB909_5:                              ;   in Loop: Header=BB909_6 Depth=1
	v_add_nc_u32_e32 v20, v2, v20
	s_and_not1_b32 vcc_lo, exec_lo, s11
	s_wait_alu 0xfffe
	s_cbranch_vccz .LBB909_52
.LBB909_6:                              ; =>This Inner Loop Header: Depth=1
	v_cmp_gt_i64_e64 s1, 0x2000, s[8:9]
                                        ; implicit-def: $vgpr2
	s_and_b32 vcc_lo, exec_lo, s1
	s_mov_b32 s1, -1
	s_wait_alu 0xfffe
	s_cbranch_vccz .LBB909_29
; %bb.7:                                ;   in Loop: Header=BB909_6 Depth=1
	v_mov_b32_e32 v16, v1
	v_dual_mov_b32 v2, v1 :: v_dual_mov_b32 v3, v1
	v_dual_mov_b32 v4, v1 :: v_dual_mov_b32 v5, v1
	;; [unrolled: 1-line block ×7, first 2 shown]
	v_mov_b32_e32 v17, v16
	s_delay_alu instid0(VALU_DEP_2) | instskip(NEXT) | instid1(VALU_DEP_3)
	v_mov_b32_e32 v16, v15
	v_mov_b32_e32 v15, v14
	;; [unrolled: 1-line block ×15, first 2 shown]
	s_mov_b32 s1, exec_lo
	v_cmpx_gt_u32_e64 s8, v0
	s_cbranch_execnz .LBB909_37
; %bb.8:                                ;   in Loop: Header=BB909_6 Depth=1
	s_wait_alu 0xfffe
	s_or_b32 exec_lo, exec_lo, s1
	s_delay_alu instid0(SALU_CYCLE_1)
	s_mov_b32 s1, exec_lo
	v_cmpx_gt_u32_e64 s8, v21
	s_cbranch_execnz .LBB909_38
.LBB909_9:                              ;   in Loop: Header=BB909_6 Depth=1
	s_wait_alu 0xfffe
	s_or_b32 exec_lo, exec_lo, s1
	s_delay_alu instid0(SALU_CYCLE_1)
	s_mov_b32 s1, exec_lo
	v_cmpx_gt_u32_e64 s8, v22
	s_cbranch_execnz .LBB909_39
.LBB909_10:                             ;   in Loop: Header=BB909_6 Depth=1
	s_wait_alu 0xfffe
	s_or_b32 exec_lo, exec_lo, s1
	s_delay_alu instid0(SALU_CYCLE_1)
	s_mov_b32 s1, exec_lo
	v_cmpx_gt_u32_e64 s8, v23
	s_cbranch_execnz .LBB909_40
.LBB909_11:                             ;   in Loop: Header=BB909_6 Depth=1
	s_wait_alu 0xfffe
	s_or_b32 exec_lo, exec_lo, s1
	s_delay_alu instid0(SALU_CYCLE_1)
	s_mov_b32 s1, exec_lo
	v_cmpx_gt_u32_e64 s8, v24
	s_cbranch_execnz .LBB909_41
.LBB909_12:                             ;   in Loop: Header=BB909_6 Depth=1
	s_wait_alu 0xfffe
	s_or_b32 exec_lo, exec_lo, s1
	s_delay_alu instid0(SALU_CYCLE_1)
	s_mov_b32 s1, exec_lo
	v_cmpx_gt_u32_e64 s8, v25
	s_cbranch_execnz .LBB909_42
.LBB909_13:                             ;   in Loop: Header=BB909_6 Depth=1
	s_wait_alu 0xfffe
	s_or_b32 exec_lo, exec_lo, s1
	s_delay_alu instid0(SALU_CYCLE_1)
	s_mov_b32 s1, exec_lo
	v_cmpx_gt_u32_e64 s8, v26
	s_cbranch_execnz .LBB909_43
.LBB909_14:                             ;   in Loop: Header=BB909_6 Depth=1
	s_wait_alu 0xfffe
	s_or_b32 exec_lo, exec_lo, s1
	s_delay_alu instid0(SALU_CYCLE_1)
	s_mov_b32 s1, exec_lo
	v_cmpx_gt_u32_e64 s8, v27
	s_cbranch_execnz .LBB909_44
.LBB909_15:                             ;   in Loop: Header=BB909_6 Depth=1
	s_wait_alu 0xfffe
	s_or_b32 exec_lo, exec_lo, s1
	s_delay_alu instid0(SALU_CYCLE_1)
	s_mov_b32 s1, exec_lo
	v_cmpx_gt_u32_e64 s8, v28
	s_cbranch_execnz .LBB909_45
.LBB909_16:                             ;   in Loop: Header=BB909_6 Depth=1
	s_wait_alu 0xfffe
	s_or_b32 exec_lo, exec_lo, s1
	s_delay_alu instid0(SALU_CYCLE_1)
	s_mov_b32 s1, exec_lo
	v_cmpx_gt_u32_e64 s8, v29
	s_cbranch_execnz .LBB909_46
.LBB909_17:                             ;   in Loop: Header=BB909_6 Depth=1
	s_wait_alu 0xfffe
	s_or_b32 exec_lo, exec_lo, s1
	s_delay_alu instid0(SALU_CYCLE_1)
	s_mov_b32 s1, exec_lo
	v_cmpx_gt_u32_e64 s8, v30
	s_cbranch_execnz .LBB909_47
.LBB909_18:                             ;   in Loop: Header=BB909_6 Depth=1
	s_wait_alu 0xfffe
	s_or_b32 exec_lo, exec_lo, s1
	s_delay_alu instid0(SALU_CYCLE_1)
	s_mov_b32 s1, exec_lo
	v_cmpx_gt_u32_e64 s8, v31
	s_cbranch_execnz .LBB909_48
.LBB909_19:                             ;   in Loop: Header=BB909_6 Depth=1
	s_wait_alu 0xfffe
	s_or_b32 exec_lo, exec_lo, s1
	s_delay_alu instid0(SALU_CYCLE_1)
	s_mov_b32 s1, exec_lo
	v_cmpx_gt_u32_e64 s8, v32
	s_cbranch_execnz .LBB909_49
.LBB909_20:                             ;   in Loop: Header=BB909_6 Depth=1
	s_wait_alu 0xfffe
	s_or_b32 exec_lo, exec_lo, s1
	s_delay_alu instid0(SALU_CYCLE_1)
	s_mov_b32 s1, exec_lo
	v_cmpx_gt_u32_e64 s8, v33
	s_cbranch_execnz .LBB909_50
.LBB909_21:                             ;   in Loop: Header=BB909_6 Depth=1
	s_wait_alu 0xfffe
	s_or_b32 exec_lo, exec_lo, s1
	s_delay_alu instid0(SALU_CYCLE_1)
	s_mov_b32 s1, exec_lo
	v_cmpx_gt_u32_e64 s8, v34
	s_cbranch_execnz .LBB909_51
.LBB909_22:                             ;   in Loop: Header=BB909_6 Depth=1
	s_wait_alu 0xfffe
	s_or_b32 exec_lo, exec_lo, s1
	s_delay_alu instid0(SALU_CYCLE_1)
	s_mov_b32 s1, exec_lo
	v_cmpx_gt_u32_e64 s8, v35
	s_cbranch_execz .LBB909_24
.LBB909_23:                             ;   in Loop: Header=BB909_6 Depth=1
	global_load_b64 v[38:39], v[18:19], off
	s_wait_loadcnt 0x0
	v_cmp_neq_f64_e32 vcc_lo, 0, v[38:39]
	s_wait_alu 0xfffd
	v_cndmask_b32_e64 v17, 0, 1, vcc_lo
.LBB909_24:                             ;   in Loop: Header=BB909_6 Depth=1
	s_wait_alu 0xfffe
	s_or_b32 exec_lo, exec_lo, s1
	v_add_nc_u32_e32 v2, v3, v2
	s_mov_b32 s1, exec_lo
	s_barrier_signal -1
	s_barrier_wait -1
	s_delay_alu instid0(VALU_DEP_1) | instskip(SKIP_2) | instid1(VALU_DEP_1)
	v_add3_u32 v2, v2, v4, v5
	global_inv scope:SCOPE_SE
	v_add3_u32 v2, v2, v6, v7
	v_add3_u32 v2, v2, v8, v9
	s_delay_alu instid0(VALU_DEP_1) | instskip(NEXT) | instid1(VALU_DEP_1)
	v_add3_u32 v2, v2, v10, v11
	v_add3_u32 v2, v2, v12, v13
	s_delay_alu instid0(VALU_DEP_1) | instskip(NEXT) | instid1(VALU_DEP_1)
	;; [unrolled: 3-line block ×3, first 2 shown]
	v_mov_b32_dpp v3, v2 quad_perm:[1,0,3,2] row_mask:0xf bank_mask:0xf
	v_add_nc_u32_e32 v2, v2, v3
	s_delay_alu instid0(VALU_DEP_1) | instskip(NEXT) | instid1(VALU_DEP_1)
	v_mov_b32_dpp v3, v2 quad_perm:[2,3,0,1] row_mask:0xf bank_mask:0xf
	v_add_nc_u32_e32 v2, v2, v3
	s_delay_alu instid0(VALU_DEP_1) | instskip(NEXT) | instid1(VALU_DEP_1)
	v_mov_b32_dpp v3, v2 row_ror:4 row_mask:0xf bank_mask:0xf
	v_add_nc_u32_e32 v2, v2, v3
	s_delay_alu instid0(VALU_DEP_1) | instskip(NEXT) | instid1(VALU_DEP_1)
	v_mov_b32_dpp v3, v2 row_ror:8 row_mask:0xf bank_mask:0xf
	v_add_nc_u32_e32 v2, v2, v3
	ds_swizzle_b32 v3, v2 offset:swizzle(BROADCAST,32,15)
	s_wait_dscnt 0x0
	v_add_nc_u32_e32 v2, v2, v3
	ds_bpermute_b32 v2, v1, v2 offset:124
	v_cmpx_eq_u32_e32 0, v37
	s_cbranch_execz .LBB909_26
; %bb.25:                               ;   in Loop: Header=BB909_6 Depth=1
	s_wait_dscnt 0x0
	ds_store_b32 v36, v2
.LBB909_26:                             ;   in Loop: Header=BB909_6 Depth=1
	s_wait_alu 0xfffe
	s_or_b32 exec_lo, exec_lo, s1
	s_wait_loadcnt_dscnt 0x0
	s_barrier_signal -1
	s_barrier_wait -1
	global_inv scope:SCOPE_SE
	s_and_saveexec_b32 s1, s0
	s_cbranch_execz .LBB909_28
; %bb.27:                               ;   in Loop: Header=BB909_6 Depth=1
	v_and_b32_e32 v2, 15, v37
	s_delay_alu instid0(VALU_DEP_1)
	v_lshlrev_b32_e32 v3, 2, v2
	v_cmp_ne_u32_e32 vcc_lo, 15, v2
	ds_load_b32 v3, v3
	s_wait_alu 0xfffd
	v_add_co_ci_u32_e64 v4, null, 0, v37, vcc_lo
	v_cmp_gt_u32_e32 vcc_lo, 14, v2
	s_delay_alu instid0(VALU_DEP_2) | instskip(SKIP_3) | instid1(VALU_DEP_2)
	v_lshlrev_b32_e32 v4, 2, v4
	s_wait_alu 0xfffd
	v_cndmask_b32_e64 v5, 0, 2, vcc_lo
	v_cmp_gt_u32_e32 vcc_lo, 12, v2
	v_add_lshl_u32 v5, v5, v37, 2
	s_wait_alu 0xfffd
	v_cndmask_b32_e64 v2, 0, 4, vcc_lo
	s_delay_alu instid0(VALU_DEP_1)
	v_add_lshl_u32 v2, v2, v37, 2
	s_wait_dscnt 0x0
	ds_bpermute_b32 v4, v4, v3
	s_wait_dscnt 0x0
	v_add_nc_u32_e32 v3, v4, v3
	ds_bpermute_b32 v4, v5, v3
	s_wait_dscnt 0x0
	v_add_nc_u32_e32 v3, v4, v3
	v_lshlrev_b32_e32 v4, 2, v37
	ds_bpermute_b32 v2, v2, v3
	s_wait_dscnt 0x0
	v_add_nc_u32_e32 v2, v2, v3
	v_or_b32_e32 v3, 32, v4
	ds_bpermute_b32 v3, v3, v2
	s_wait_dscnt 0x0
	v_add_nc_u32_e32 v2, v3, v2
.LBB909_28:                             ;   in Loop: Header=BB909_6 Depth=1
	s_wait_alu 0xfffe
	s_or_b32 exec_lo, exec_lo, s1
	s_mov_b32 s1, 0
.LBB909_29:                             ;   in Loop: Header=BB909_6 Depth=1
	s_wait_alu 0xfffe
	s_and_b32 vcc_lo, exec_lo, s1
	s_wait_alu 0xfffe
	s_cbranch_vccz .LBB909_35
; %bb.30:                               ;   in Loop: Header=BB909_6 Depth=1
	s_clause 0xf
	global_load_b64 v[2:3], v[18:19], off offset:-61440
	global_load_b64 v[4:5], v[18:19], off offset:-53248
	;; [unrolled: 1-line block ×15, first 2 shown]
	global_load_b64 v[52:53], v[18:19], off
	s_mov_b32 s1, exec_lo
	s_wait_loadcnt 0x0
	s_barrier_signal -1
	s_barrier_wait -1
	global_inv scope:SCOPE_SE
	v_cmp_neq_f64_e32 vcc_lo, 0, v[2:3]
	s_wait_alu 0xfffd
	v_cndmask_b32_e64 v2, 0, 1, vcc_lo
	v_cmp_neq_f64_e32 vcc_lo, 0, v[4:5]
	s_wait_alu 0xfffd
	v_cndmask_b32_e64 v3, 0, 1, vcc_lo
	v_cmp_neq_f64_e32 vcc_lo, 0, v[6:7]
	s_wait_alu 0xfffd
	v_add_co_ci_u32_e64 v2, null, 0, v2, vcc_lo
	v_cmp_neq_f64_e32 vcc_lo, 0, v[8:9]
	s_wait_alu 0xfffd
	v_cndmask_b32_e64 v4, 0, 1, vcc_lo
	v_cmp_neq_f64_e32 vcc_lo, 0, v[10:11]
	s_wait_alu 0xfffd
	v_add_co_ci_u32_e64 v2, null, v2, v3, vcc_lo
	;; [unrolled: 6-line block ×7, first 2 shown]
	v_cmp_neq_f64_e32 vcc_lo, 0, v[52:53]
	s_wait_alu 0xfffd
	s_delay_alu instid0(VALU_DEP_2) | instskip(NEXT) | instid1(VALU_DEP_1)
	v_add_co_ci_u32_e64 v2, null, v2, v3, vcc_lo
	v_mov_b32_dpp v3, v2 quad_perm:[1,0,3,2] row_mask:0xf bank_mask:0xf
	s_delay_alu instid0(VALU_DEP_1) | instskip(NEXT) | instid1(VALU_DEP_1)
	v_add_nc_u32_e32 v2, v3, v2
	v_mov_b32_dpp v3, v2 quad_perm:[2,3,0,1] row_mask:0xf bank_mask:0xf
	s_delay_alu instid0(VALU_DEP_1) | instskip(NEXT) | instid1(VALU_DEP_1)
	v_add_nc_u32_e32 v2, v2, v3
	v_mov_b32_dpp v3, v2 row_ror:4 row_mask:0xf bank_mask:0xf
	s_delay_alu instid0(VALU_DEP_1) | instskip(NEXT) | instid1(VALU_DEP_1)
	v_add_nc_u32_e32 v2, v2, v3
	v_mov_b32_dpp v3, v2 row_ror:8 row_mask:0xf bank_mask:0xf
	s_delay_alu instid0(VALU_DEP_1)
	v_add_nc_u32_e32 v2, v2, v3
	ds_swizzle_b32 v3, v2 offset:swizzle(BROADCAST,32,15)
	s_wait_dscnt 0x0
	v_add_nc_u32_e32 v2, v2, v3
	ds_bpermute_b32 v2, v1, v2 offset:124
	v_cmpx_eq_u32_e32 0, v37
	s_cbranch_execz .LBB909_32
; %bb.31:                               ;   in Loop: Header=BB909_6 Depth=1
	s_wait_dscnt 0x0
	ds_store_b32 v36, v2
.LBB909_32:                             ;   in Loop: Header=BB909_6 Depth=1
	s_wait_alu 0xfffe
	s_or_b32 exec_lo, exec_lo, s1
	s_wait_loadcnt_dscnt 0x0
	s_barrier_signal -1
	s_barrier_wait -1
	global_inv scope:SCOPE_SE
	s_and_saveexec_b32 s1, s0
	s_cbranch_execz .LBB909_34
; %bb.33:                               ;   in Loop: Header=BB909_6 Depth=1
	v_and_b32_e32 v2, 15, v37
	s_delay_alu instid0(VALU_DEP_1)
	v_lshlrev_b32_e32 v3, 2, v2
	v_cmp_ne_u32_e32 vcc_lo, 15, v2
	ds_load_b32 v3, v3
	s_wait_alu 0xfffd
	v_add_co_ci_u32_e64 v4, null, 0, v37, vcc_lo
	v_cmp_gt_u32_e32 vcc_lo, 14, v2
	s_delay_alu instid0(VALU_DEP_2) | instskip(SKIP_3) | instid1(VALU_DEP_2)
	v_lshlrev_b32_e32 v4, 2, v4
	s_wait_alu 0xfffd
	v_cndmask_b32_e64 v5, 0, 2, vcc_lo
	v_cmp_gt_u32_e32 vcc_lo, 12, v2
	v_add_lshl_u32 v5, v5, v37, 2
	s_wait_alu 0xfffd
	v_cndmask_b32_e64 v2, 0, 4, vcc_lo
	s_delay_alu instid0(VALU_DEP_1)
	v_add_lshl_u32 v2, v2, v37, 2
	s_wait_dscnt 0x0
	ds_bpermute_b32 v4, v4, v3
	s_wait_dscnt 0x0
	v_add_nc_u32_e32 v3, v4, v3
	ds_bpermute_b32 v4, v5, v3
	s_wait_dscnt 0x0
	v_add_nc_u32_e32 v3, v4, v3
	v_lshlrev_b32_e32 v4, 2, v37
	ds_bpermute_b32 v2, v2, v3
	s_wait_dscnt 0x0
	v_add_nc_u32_e32 v2, v2, v3
	v_or_b32_e32 v3, 32, v4
	ds_bpermute_b32 v3, v3, v2
	s_wait_dscnt 0x0
	v_add_nc_u32_e32 v2, v3, v2
.LBB909_34:                             ;   in Loop: Header=BB909_6 Depth=1
	s_wait_alu 0xfffe
	s_or_b32 exec_lo, exec_lo, s1
.LBB909_35:                             ;   in Loop: Header=BB909_6 Depth=1
	v_cmp_lt_i64_e64 s11, 0x2000, s[8:9]
	s_mov_b32 s1, -1
	s_and_b32 vcc_lo, exec_lo, s11
	s_mov_b32 s11, -1
	s_wait_alu 0xfffe
	s_cbranch_vccz .LBB909_5
; %bb.36:                               ;   in Loop: Header=BB909_6 Depth=1
	v_add_co_u32 v18, vcc_lo, 0x10000, v18
	s_add_co_i32 s10, s10, -1
	s_wait_alu 0xfffd
	v_add_co_ci_u32_e64 v19, null, 0, v19, vcc_lo
	s_cmp_eq_u32 s10, 0
	s_add_nc_u64 s[8:9], s[8:9], s[4:5]
	s_mov_b32 s1, 0
	s_cselect_b32 s11, -1, 0
	s_wait_loadcnt 0x0
	s_barrier_signal -1
	s_barrier_wait -1
	global_inv scope:SCOPE_SE
	s_branch .LBB909_5
.LBB909_37:                             ;   in Loop: Header=BB909_6 Depth=1
	global_load_b64 v[13:14], v[18:19], off offset:-61440
	v_dual_mov_b32 v3, v1 :: v_dual_mov_b32 v4, v1
	v_dual_mov_b32 v5, v1 :: v_dual_mov_b32 v6, v1
	;; [unrolled: 1-line block ×6, first 2 shown]
	v_mov_b32_e32 v17, v1
	s_wait_loadcnt 0x0
	v_cmp_neq_f64_e32 vcc_lo, 0, v[13:14]
	v_dual_mov_b32 v13, v1 :: v_dual_mov_b32 v14, v1
	s_wait_alu 0xfffd
	v_cndmask_b32_e64 v2, 0, 1, vcc_lo
	s_delay_alu instid0(VALU_DEP_1) | instskip(SKIP_2) | instid1(SALU_CYCLE_1)
	v_and_b32_e32 v2, 0xffff, v2
	s_wait_alu 0xfffe
	s_or_b32 exec_lo, exec_lo, s1
	s_mov_b32 s1, exec_lo
	v_cmpx_gt_u32_e64 s8, v21
	s_cbranch_execz .LBB909_9
.LBB909_38:                             ;   in Loop: Header=BB909_6 Depth=1
	global_load_b64 v[38:39], v[18:19], off offset:-57344
	s_wait_loadcnt 0x0
	v_cmp_neq_f64_e32 vcc_lo, 0, v[38:39]
	s_wait_alu 0xfffd
	v_cndmask_b32_e64 v3, 0, 1, vcc_lo
	s_wait_alu 0xfffe
	s_or_b32 exec_lo, exec_lo, s1
	s_delay_alu instid0(SALU_CYCLE_1)
	s_mov_b32 s1, exec_lo
	v_cmpx_gt_u32_e64 s8, v22
	s_cbranch_execz .LBB909_10
.LBB909_39:                             ;   in Loop: Header=BB909_6 Depth=1
	global_load_b64 v[38:39], v[18:19], off offset:-53248
	s_wait_loadcnt 0x0
	v_cmp_neq_f64_e32 vcc_lo, 0, v[38:39]
	s_wait_alu 0xfffd
	v_cndmask_b32_e64 v4, 0, 1, vcc_lo
	s_wait_alu 0xfffe
	s_or_b32 exec_lo, exec_lo, s1
	s_delay_alu instid0(SALU_CYCLE_1)
	s_mov_b32 s1, exec_lo
	v_cmpx_gt_u32_e64 s8, v23
	s_cbranch_execz .LBB909_11
.LBB909_40:                             ;   in Loop: Header=BB909_6 Depth=1
	global_load_b64 v[38:39], v[18:19], off offset:-49152
	s_wait_loadcnt 0x0
	v_cmp_neq_f64_e32 vcc_lo, 0, v[38:39]
	s_wait_alu 0xfffd
	v_cndmask_b32_e64 v5, 0, 1, vcc_lo
	s_wait_alu 0xfffe
	s_or_b32 exec_lo, exec_lo, s1
	s_delay_alu instid0(SALU_CYCLE_1)
	s_mov_b32 s1, exec_lo
	v_cmpx_gt_u32_e64 s8, v24
	s_cbranch_execz .LBB909_12
.LBB909_41:                             ;   in Loop: Header=BB909_6 Depth=1
	global_load_b64 v[38:39], v[18:19], off offset:-45056
	s_wait_loadcnt 0x0
	v_cmp_neq_f64_e32 vcc_lo, 0, v[38:39]
	s_wait_alu 0xfffd
	v_cndmask_b32_e64 v6, 0, 1, vcc_lo
	s_wait_alu 0xfffe
	s_or_b32 exec_lo, exec_lo, s1
	s_delay_alu instid0(SALU_CYCLE_1)
	s_mov_b32 s1, exec_lo
	v_cmpx_gt_u32_e64 s8, v25
	s_cbranch_execz .LBB909_13
.LBB909_42:                             ;   in Loop: Header=BB909_6 Depth=1
	global_load_b64 v[38:39], v[18:19], off offset:-40960
	s_wait_loadcnt 0x0
	v_cmp_neq_f64_e32 vcc_lo, 0, v[38:39]
	s_wait_alu 0xfffd
	v_cndmask_b32_e64 v7, 0, 1, vcc_lo
	s_wait_alu 0xfffe
	s_or_b32 exec_lo, exec_lo, s1
	s_delay_alu instid0(SALU_CYCLE_1)
	s_mov_b32 s1, exec_lo
	v_cmpx_gt_u32_e64 s8, v26
	s_cbranch_execz .LBB909_14
.LBB909_43:                             ;   in Loop: Header=BB909_6 Depth=1
	global_load_b64 v[38:39], v[18:19], off offset:-36864
	s_wait_loadcnt 0x0
	v_cmp_neq_f64_e32 vcc_lo, 0, v[38:39]
	s_wait_alu 0xfffd
	v_cndmask_b32_e64 v8, 0, 1, vcc_lo
	s_wait_alu 0xfffe
	s_or_b32 exec_lo, exec_lo, s1
	s_delay_alu instid0(SALU_CYCLE_1)
	s_mov_b32 s1, exec_lo
	v_cmpx_gt_u32_e64 s8, v27
	s_cbranch_execz .LBB909_15
.LBB909_44:                             ;   in Loop: Header=BB909_6 Depth=1
	global_load_b64 v[38:39], v[18:19], off offset:-32768
	s_wait_loadcnt 0x0
	v_cmp_neq_f64_e32 vcc_lo, 0, v[38:39]
	s_wait_alu 0xfffd
	v_cndmask_b32_e64 v9, 0, 1, vcc_lo
	s_wait_alu 0xfffe
	s_or_b32 exec_lo, exec_lo, s1
	s_delay_alu instid0(SALU_CYCLE_1)
	s_mov_b32 s1, exec_lo
	v_cmpx_gt_u32_e64 s8, v28
	s_cbranch_execz .LBB909_16
.LBB909_45:                             ;   in Loop: Header=BB909_6 Depth=1
	global_load_b64 v[38:39], v[18:19], off offset:-28672
	s_wait_loadcnt 0x0
	v_cmp_neq_f64_e32 vcc_lo, 0, v[38:39]
	s_wait_alu 0xfffd
	v_cndmask_b32_e64 v10, 0, 1, vcc_lo
	s_wait_alu 0xfffe
	s_or_b32 exec_lo, exec_lo, s1
	s_delay_alu instid0(SALU_CYCLE_1)
	s_mov_b32 s1, exec_lo
	v_cmpx_gt_u32_e64 s8, v29
	s_cbranch_execz .LBB909_17
.LBB909_46:                             ;   in Loop: Header=BB909_6 Depth=1
	global_load_b64 v[38:39], v[18:19], off offset:-24576
	s_wait_loadcnt 0x0
	v_cmp_neq_f64_e32 vcc_lo, 0, v[38:39]
	s_wait_alu 0xfffd
	v_cndmask_b32_e64 v11, 0, 1, vcc_lo
	s_wait_alu 0xfffe
	s_or_b32 exec_lo, exec_lo, s1
	s_delay_alu instid0(SALU_CYCLE_1)
	s_mov_b32 s1, exec_lo
	v_cmpx_gt_u32_e64 s8, v30
	s_cbranch_execz .LBB909_18
.LBB909_47:                             ;   in Loop: Header=BB909_6 Depth=1
	global_load_b64 v[38:39], v[18:19], off offset:-20480
	s_wait_loadcnt 0x0
	v_cmp_neq_f64_e32 vcc_lo, 0, v[38:39]
	s_wait_alu 0xfffd
	v_cndmask_b32_e64 v12, 0, 1, vcc_lo
	s_wait_alu 0xfffe
	s_or_b32 exec_lo, exec_lo, s1
	s_delay_alu instid0(SALU_CYCLE_1)
	s_mov_b32 s1, exec_lo
	v_cmpx_gt_u32_e64 s8, v31
	s_cbranch_execz .LBB909_19
.LBB909_48:                             ;   in Loop: Header=BB909_6 Depth=1
	global_load_b64 v[38:39], v[18:19], off offset:-16384
	s_wait_loadcnt 0x0
	v_cmp_neq_f64_e32 vcc_lo, 0, v[38:39]
	s_wait_alu 0xfffd
	v_cndmask_b32_e64 v13, 0, 1, vcc_lo
	s_wait_alu 0xfffe
	s_or_b32 exec_lo, exec_lo, s1
	s_delay_alu instid0(SALU_CYCLE_1)
	s_mov_b32 s1, exec_lo
	v_cmpx_gt_u32_e64 s8, v32
	s_cbranch_execz .LBB909_20
.LBB909_49:                             ;   in Loop: Header=BB909_6 Depth=1
	global_load_b64 v[38:39], v[18:19], off offset:-12288
	s_wait_loadcnt 0x0
	v_cmp_neq_f64_e32 vcc_lo, 0, v[38:39]
	s_wait_alu 0xfffd
	v_cndmask_b32_e64 v14, 0, 1, vcc_lo
	s_wait_alu 0xfffe
	s_or_b32 exec_lo, exec_lo, s1
	s_delay_alu instid0(SALU_CYCLE_1)
	s_mov_b32 s1, exec_lo
	v_cmpx_gt_u32_e64 s8, v33
	s_cbranch_execz .LBB909_21
.LBB909_50:                             ;   in Loop: Header=BB909_6 Depth=1
	global_load_b64 v[38:39], v[18:19], off offset:-8192
	s_wait_loadcnt 0x0
	v_cmp_neq_f64_e32 vcc_lo, 0, v[38:39]
	s_wait_alu 0xfffd
	v_cndmask_b32_e64 v15, 0, 1, vcc_lo
	s_wait_alu 0xfffe
	s_or_b32 exec_lo, exec_lo, s1
	s_delay_alu instid0(SALU_CYCLE_1)
	s_mov_b32 s1, exec_lo
	v_cmpx_gt_u32_e64 s8, v34
	s_cbranch_execz .LBB909_22
.LBB909_51:                             ;   in Loop: Header=BB909_6 Depth=1
	global_load_b64 v[38:39], v[18:19], off offset:-4096
	s_wait_loadcnt 0x0
	v_cmp_neq_f64_e32 vcc_lo, 0, v[38:39]
	s_wait_alu 0xfffd
	v_cndmask_b32_e64 v16, 0, 1, vcc_lo
	s_wait_alu 0xfffe
	s_or_b32 exec_lo, exec_lo, s1
	s_delay_alu instid0(SALU_CYCLE_1)
	s_mov_b32 s1, exec_lo
	v_cmpx_gt_u32_e64 s8, v35
	s_cbranch_execnz .LBB909_23
	s_branch .LBB909_24
.LBB909_52:
	s_and_b32 vcc_lo, exec_lo, s1
	s_mov_b32 s0, -1
	s_wait_alu 0xfffe
	s_cbranch_vccz .LBB909_56
; %bb.53:
	s_mov_b32 s0, 0
	s_mov_b32 s1, exec_lo
	v_cmpx_eq_u32_e32 0, v0
	s_cbranch_execz .LBB909_55
; %bb.54:
	v_mov_b32_e32 v0, 0
	s_lshl_b64 s[4:5], s[2:3], 2
	s_wait_alu 0xfffe
	s_add_nc_u64 s[4:5], s[6:7], s[4:5]
	global_store_b32 v0, v20, s[4:5]
.LBB909_55:
	s_wait_alu 0xfffe
	s_or_b32 exec_lo, exec_lo, s1
.LBB909_56:
	v_cmp_eq_u32_e32 vcc_lo, 0, v0
	s_and_b32 s0, vcc_lo, s0
	s_wait_alu 0xfffe
	s_and_saveexec_b32 s1, s0
	s_cbranch_execz .LBB909_58
; %bb.57:
	v_mov_b32_e32 v0, 0
	s_lshl_b64 s[0:1], s[2:3], 2
	s_wait_kmcnt 0x0
	s_wait_alu 0xfffe
	s_add_nc_u64 s[0:1], s[6:7], s[0:1]
	global_store_b32 v0, v20, s[0:1]
.LBB909_58:
	s_endpgm
	.section	.rodata,"a",@progbits
	.p2align	6, 0x0
	.amdhsa_kernel _ZN2at4cuda3cub15calc_block_sumsILi512ELi16ELb1EdiEEvPKT2_PT3_li
		.amdhsa_group_segment_fixed_size 64
		.amdhsa_private_segment_fixed_size 0
		.amdhsa_kernarg_size 28
		.amdhsa_user_sgpr_count 2
		.amdhsa_user_sgpr_dispatch_ptr 0
		.amdhsa_user_sgpr_queue_ptr 0
		.amdhsa_user_sgpr_kernarg_segment_ptr 1
		.amdhsa_user_sgpr_dispatch_id 0
		.amdhsa_user_sgpr_private_segment_size 0
		.amdhsa_wavefront_size32 1
		.amdhsa_uses_dynamic_stack 0
		.amdhsa_enable_private_segment 0
		.amdhsa_system_sgpr_workgroup_id_x 1
		.amdhsa_system_sgpr_workgroup_id_y 0
		.amdhsa_system_sgpr_workgroup_id_z 0
		.amdhsa_system_sgpr_workgroup_info 0
		.amdhsa_system_vgpr_workitem_id 0
		.amdhsa_next_free_vgpr 54
		.amdhsa_next_free_sgpr 14
		.amdhsa_reserve_vcc 1
		.amdhsa_float_round_mode_32 0
		.amdhsa_float_round_mode_16_64 0
		.amdhsa_float_denorm_mode_32 3
		.amdhsa_float_denorm_mode_16_64 3
		.amdhsa_fp16_overflow 0
		.amdhsa_workgroup_processor_mode 1
		.amdhsa_memory_ordered 1
		.amdhsa_forward_progress 1
		.amdhsa_inst_pref_size 27
		.amdhsa_round_robin_scheduling 0
		.amdhsa_exception_fp_ieee_invalid_op 0
		.amdhsa_exception_fp_denorm_src 0
		.amdhsa_exception_fp_ieee_div_zero 0
		.amdhsa_exception_fp_ieee_overflow 0
		.amdhsa_exception_fp_ieee_underflow 0
		.amdhsa_exception_fp_ieee_inexact 0
		.amdhsa_exception_int_div_zero 0
	.end_amdhsa_kernel
	.section	.text._ZN2at4cuda3cub15calc_block_sumsILi512ELi16ELb1EdiEEvPKT2_PT3_li,"axG",@progbits,_ZN2at4cuda3cub15calc_block_sumsILi512ELi16ELb1EdiEEvPKT2_PT3_li,comdat
.Lfunc_end909:
	.size	_ZN2at4cuda3cub15calc_block_sumsILi512ELi16ELb1EdiEEvPKT2_PT3_li, .Lfunc_end909-_ZN2at4cuda3cub15calc_block_sumsILi512ELi16ELb1EdiEEvPKT2_PT3_li
                                        ; -- End function
	.set _ZN2at4cuda3cub15calc_block_sumsILi512ELi16ELb1EdiEEvPKT2_PT3_li.num_vgpr, 54
	.set _ZN2at4cuda3cub15calc_block_sumsILi512ELi16ELb1EdiEEvPKT2_PT3_li.num_agpr, 0
	.set _ZN2at4cuda3cub15calc_block_sumsILi512ELi16ELb1EdiEEvPKT2_PT3_li.numbered_sgpr, 14
	.set _ZN2at4cuda3cub15calc_block_sumsILi512ELi16ELb1EdiEEvPKT2_PT3_li.num_named_barrier, 0
	.set _ZN2at4cuda3cub15calc_block_sumsILi512ELi16ELb1EdiEEvPKT2_PT3_li.private_seg_size, 0
	.set _ZN2at4cuda3cub15calc_block_sumsILi512ELi16ELb1EdiEEvPKT2_PT3_li.uses_vcc, 1
	.set _ZN2at4cuda3cub15calc_block_sumsILi512ELi16ELb1EdiEEvPKT2_PT3_li.uses_flat_scratch, 0
	.set _ZN2at4cuda3cub15calc_block_sumsILi512ELi16ELb1EdiEEvPKT2_PT3_li.has_dyn_sized_stack, 0
	.set _ZN2at4cuda3cub15calc_block_sumsILi512ELi16ELb1EdiEEvPKT2_PT3_li.has_recursion, 0
	.set _ZN2at4cuda3cub15calc_block_sumsILi512ELi16ELb1EdiEEvPKT2_PT3_li.has_indirect_call, 0
	.section	.AMDGPU.csdata,"",@progbits
; Kernel info:
; codeLenInByte = 3428
; TotalNumSgprs: 16
; NumVgprs: 54
; ScratchSize: 0
; MemoryBound: 0
; FloatMode: 240
; IeeeMode: 1
; LDSByteSize: 64 bytes/workgroup (compile time only)
; SGPRBlocks: 0
; VGPRBlocks: 6
; NumSGPRsForWavesPerEU: 16
; NumVGPRsForWavesPerEU: 54
; Occupancy: 16
; WaveLimiterHint : 1
; COMPUTE_PGM_RSRC2:SCRATCH_EN: 0
; COMPUTE_PGM_RSRC2:USER_SGPR: 2
; COMPUTE_PGM_RSRC2:TRAP_HANDLER: 0
; COMPUTE_PGM_RSRC2:TGID_X_EN: 1
; COMPUTE_PGM_RSRC2:TGID_Y_EN: 0
; COMPUTE_PGM_RSRC2:TGID_Z_EN: 0
; COMPUTE_PGM_RSRC2:TIDIG_COMP_CNT: 0
	.section	.text._ZN2at6native12_GLOBAL__N_111flag_kernelILi512ELi16EdEEvPKT1_PlPKllli,"axG",@progbits,_ZN2at6native12_GLOBAL__N_111flag_kernelILi512ELi16EdEEvPKT1_PlPKllli,comdat
	.globl	_ZN2at6native12_GLOBAL__N_111flag_kernelILi512ELi16EdEEvPKT1_PlPKllli ; -- Begin function _ZN2at6native12_GLOBAL__N_111flag_kernelILi512ELi16EdEEvPKT1_PlPKllli
	.p2align	8
	.type	_ZN2at6native12_GLOBAL__N_111flag_kernelILi512ELi16EdEEvPKT1_PlPKllli,@function
_ZN2at6native12_GLOBAL__N_111flag_kernelILi512ELi16EdEEvPKT1_PlPKllli: ; @_ZN2at6native12_GLOBAL__N_111flag_kernelILi512ELi16EdEEvPKT1_PlPKllli
; %bb.0:
	s_clause 0x1
	s_load_b32 s26, s[0:1], 0x28
	s_load_b256 s[12:19], s[0:1], 0x0
	s_mov_b32 s2, ttmp9
	s_mov_b32 s3, 0
	s_wait_kmcnt 0x0
	s_lshl_b32 s4, s26, 13
	s_delay_alu instid0(SALU_CYCLE_1) | instskip(NEXT) | instid1(SALU_CYCLE_1)
	s_ashr_i32 s5, s4, 31
	s_mul_u64 s[22:23], s[4:5], s[2:3]
	s_delay_alu instid0(SALU_CYCLE_1)
	v_cmp_le_i64_e64 s2, s[18:19], s[22:23]
	s_and_b32 vcc_lo, exec_lo, s2
	s_cbranch_vccnz .LBB910_100
; %bb.1:
	s_load_b64 s[2:3], s[0:1], 0x20
	s_cmp_eq_u32 ttmp9, 0
	s_cbranch_scc1 .LBB910_3
; %bb.2:
	s_add_co_i32 s4, ttmp9, -1
	s_mov_b32 s5, 0
	s_delay_alu instid0(SALU_CYCLE_1) | instskip(NEXT) | instid1(SALU_CYCLE_1)
	s_lshl_b64 s[4:5], s[4:5], 3
	s_add_nc_u64 s[4:5], s[16:17], s[4:5]
	s_load_b64 s[4:5], s[4:5], 0x0
	s_cmp_lt_i32 s26, 1
	s_cbranch_scc0 .LBB910_4
	s_branch .LBB910_100
.LBB910_3:
	s_mov_b64 s[4:5], 0
	s_cmp_lt_i32 s26, 1
	s_cbranch_scc1 .LBB910_100
.LBB910_4:
	v_mbcnt_lo_u32_b32 v2, -1, 0
	v_lshlrev_b32_e32 v1, 4, v0
	s_wait_kmcnt 0x0
	s_sub_nc_u64 s[16:17], s[2:3], s[4:5]
	s_lshl_b64 s[24:25], s[4:5], 3
	v_add_nc_u32_e32 v8, 0x200, v0
	v_and_b32_e32 v4, 15, v2
	v_and_b32_e32 v6, 0x3e00, v1
	;; [unrolled: 1-line block ×3, first 2 shown]
	v_or_b32_e32 v9, 0x800, v0
	v_add_nc_u32_e32 v10, 0xa00, v0
	v_lshlrev_b32_e32 v25, 2, v0
	v_or_b32_e32 v41, v2, v6
	v_cmp_eq_u32_e64 s6, 0, v1
	v_mov_b32_e32 v1, 0
	v_cmp_eq_u32_e64 s2, 0, v4
	v_cmp_lt_u32_e64 s3, 1, v4
	v_cmp_lt_u32_e64 s4, 3, v4
	;; [unrolled: 1-line block ×3, first 2 shown]
	v_sub_co_u32 v4, s8, v2, 1
	v_lshrrev_b32_e32 v9, 3, v9
	v_lshrrev_b32_e32 v10, 3, v10
	v_or_b32_e32 v46, 32, v41
	s_delay_alu instid0(VALU_DEP_4)
	v_cmp_gt_i32_e32 vcc_lo, 0, v4
	v_and_b32_e32 v3, 0x3e0, v0
	v_or_b32_e32 v47, 64, v41
	v_or_b32_e32 v48, 0x60, v41
	;; [unrolled: 1-line block ×3, first 2 shown]
	v_cndmask_b32_e32 v4, v4, v2, vcc_lo
	v_min_u32_e32 v5, 0x1e0, v3
	v_or_b32_e32 v50, 0xa0, v41
	v_or_b32_e32 v51, 0xc0, v41
	;; [unrolled: 1-line block ×3, first 2 shown]
	v_lshlrev_b32_e32 v27, 2, v4
	v_or_b32_e32 v5, 31, v5
	v_lshrrev_b32_e32 v4, 3, v8
	v_add_nc_u32_e32 v8, 0x600, v0
	v_or_b32_e32 v53, 0x100, v41
	v_or_b32_e32 v54, 0x120, v41
	v_cmp_eq_u32_e64 s7, v0, v5
	v_lshlrev_b32_e32 v5, 1, v0
	v_and_b32_e32 v4, 0xfc, v4
	v_lshrrev_b32_e32 v8, 3, v8
	v_or_b32_e32 v55, 0x140, v41
	v_or_b32_e32 v56, 0x160, v41
	v_and_b32_e32 v5, 0x7fc, v5
	v_add_nc_u32_e32 v30, v25, v4
	v_or_b32_e32 v57, 0x180, v41
	v_or_b32_e32 v58, 0x1a0, v41
	v_or_b32_e32 v59, 0x1c0, v41
	v_lshl_add_u32 v28, v0, 6, v5
	v_or_b32_e32 v5, 0x400, v0
	v_or_b32_e32 v60, 0x1e0, v41
	v_lshrrev_b32_e32 v7, 5, v0
	v_or_b32_e32 v3, v2, v3
	s_lshl_b64 s[20:21], s[22:23], 3
	v_lshrrev_b32_e32 v5, 3, v5
	v_lshlrev_b32_e32 v2, 3, v2
	v_cmp_gt_u32_e64 s9, 16, v0
	v_cmp_lt_u32_e64 s10, 31, v0
	v_cmp_eq_u32_e64 s11, 0, v0
	v_and_b32_e32 v4, 0xfc, v5
	v_and_b32_e32 v5, 0x1fc, v8
	;; [unrolled: 1-line block ×4, first 2 shown]
	v_or_b32_e32 v10, 0xc00, v0
	v_add_nc_u32_e32 v31, v25, v4
	v_add_nc_u32_e32 v32, v25, v5
	v_add_nc_u32_e32 v33, v25, v8
	v_add_nc_u32_e32 v34, v25, v9
	v_lshrrev_b32_e32 v4, 3, v10
	v_add_nc_u32_e32 v5, 0xe00, v0
	v_or_b32_e32 v8, 0x1000, v0
	v_add_nc_u32_e32 v9, 0x1200, v0
	v_or_b32_e32 v10, 0x1400, v0
	v_and_b32_e32 v4, 0x1fc, v4
	v_lshrrev_b32_e32 v5, 3, v5
	v_lshrrev_b32_e32 v8, 3, v8
	;; [unrolled: 1-line block ×4, first 2 shown]
	v_add_nc_u32_e32 v35, v25, v4
	v_and_b32_e32 v4, 0x3fc, v5
	v_and_b32_e32 v5, 0x27c, v8
	;; [unrolled: 1-line block ×4, first 2 shown]
	v_add_nc_u32_e32 v10, 0x1600, v0
	v_add_nc_u32_e32 v36, v25, v4
	;; [unrolled: 1-line block ×3, first 2 shown]
	v_or_b32_e32 v5, 0x1800, v0
	v_add_nc_u32_e32 v38, v25, v8
	v_lshrrev_b32_e32 v4, 3, v10
	v_add_nc_u32_e32 v39, v25, v9
	v_add_nc_u32_e32 v8, 0x1a00, v0
	v_or_b32_e32 v9, 0x1c00, v0
	v_lshrrev_b32_e32 v5, 3, v5
	v_and_b32_e32 v4, 0x3fc, v4
	v_add_nc_u32_e32 v10, 0x1e00, v0
	v_lshrrev_b32_e32 v8, 3, v8
	v_lshrrev_b32_e32 v9, 3, v9
	v_lshlrev_b32_e32 v24, 2, v7
	v_add_nc_u32_e32 v40, v25, v4
	v_and_b32_e32 v4, 0x37c, v5
	v_lshrrev_b32_e32 v10, 3, v10
	v_and_b32_e32 v5, 0x3fc, v8
	v_and_b32_e32 v8, 0x3fc, v9
	v_add_nc_u32_e32 v26, -4, v24
	v_add_nc_u32_e32 v42, v25, v4
	v_lshrrev_b32_e32 v4, 3, v46
	v_and_b32_e32 v9, 0x7fc, v10
	v_add_nc_u32_e32 v43, v25, v5
	v_add_nc_u32_e32 v44, v25, v8
	v_lshrrev_b32_e32 v5, 3, v6
	v_lshlrev_b32_e32 v6, 2, v41
	v_and_b32_e32 v4, 0x7c4, v4
	v_lshrrev_b32_e32 v8, 3, v47
	v_add_nc_u32_e32 v45, v25, v9
	v_lshrrev_b32_e32 v9, 3, v50
	v_add_nc_u32_e32 v61, v5, v6
	v_add_nc_u32_e32 v62, v4, v6
	v_and_b32_e32 v4, 0x7c8, v8
	v_lshrrev_b32_e32 v5, 3, v48
	v_lshrrev_b32_e32 v8, 3, v49
	;; [unrolled: 1-line block ×3, first 2 shown]
	v_add_nc_u32_e32 v29, v24, v25
	v_add_nc_u32_e32 v63, v4, v6
	v_and_b32_e32 v4, 0x7cc, v5
	v_and_b32_e32 v5, 0x7d0, v8
	;; [unrolled: 1-line block ×4, first 2 shown]
	v_lshrrev_b32_e32 v10, 3, v52
	v_add_nc_u32_e32 v64, v4, v6
	v_add_nc_u32_e32 v65, v5, v6
	;; [unrolled: 1-line block ×4, first 2 shown]
	v_and_b32_e32 v4, 0x7dc, v10
	v_lshrrev_b32_e32 v5, 3, v53
	v_lshrrev_b32_e32 v8, 3, v54
	;; [unrolled: 1-line block ×4, first 2 shown]
	v_add_nc_u32_e32 v68, v4, v6
	v_and_b32_e32 v4, 0x7e0, v5
	v_and_b32_e32 v5, 0x7e4, v8
	;; [unrolled: 1-line block ×4, first 2 shown]
	v_lshrrev_b32_e32 v10, 3, v57
	v_add_nc_u32_e32 v69, v4, v6
	v_add_nc_u32_e32 v70, v5, v6
	v_lshrrev_b32_e32 v5, 3, v58
	v_add_nc_u32_e32 v71, v8, v6
	v_and_b32_e32 v4, 0x7f0, v10
	v_add_nc_u32_e32 v72, v9, v6
	v_lshrrev_b32_e32 v8, 3, v59
	v_lshrrev_b32_e32 v9, 3, v60
	s_add_nc_u64 s[14:15], s[14:15], s[24:25]
	v_add_nc_u32_e32 v73, v4, v6
	v_and_b32_e32 v4, 0x7f4, v5
	v_and_b32_e32 v5, 0x7f8, v8
	;; [unrolled: 1-line block ×3, first 2 shown]
	v_lshlrev_b32_e32 v9, 4, v3
	v_bfe_u32 v3, v3, 1, 27
	v_add_nc_u32_e32 v74, v4, v6
	v_lshlrev_b32_e32 v4, 12, v7
	v_add_nc_u32_e32 v75, v5, v6
	v_add_nc_u32_e32 v76, v8, v6
	v_add_lshl_u32 v77, v3, v9, 2
	s_add_nc_u64 s[0:1], s[0:1], 48
	v_add_co_u32 v3, s20, s20, v4
	s_wait_alu 0xf1ff
	v_add_co_ci_u32_e64 v4, null, s21, 0, s20
	v_add_co_u32 v18, s20, s22, v0
	s_delay_alu instid0(VALU_DEP_3) | instskip(SKIP_1) | instid1(VALU_DEP_3)
	v_add_co_u32 v0, vcc_lo, v3, v2
	s_wait_alu 0xfffd
	v_add_co_ci_u32_e64 v2, null, 0, v4, vcc_lo
	s_wait_alu 0xf1ff
	v_add_co_ci_u32_e64 v19, null, s23, 0, s20
	v_add_co_u32 v20, vcc_lo, s12, v0
	s_wait_alu 0xfffd
	v_add_co_ci_u32_e64 v21, null, s13, v2, vcc_lo
	s_movk_i32 s20, 0xe000
	s_mov_b32 s21, -1
	s_sub_nc_u64 s[12:13], s[18:19], s[22:23]
	s_branch .LBB910_6
.LBB910_5:                              ;   in Loop: Header=BB910_6 Depth=1
	v_add_co_u32 v18, vcc_lo, 0x2000, v18
	s_wait_alu 0xfffd
	v_add_co_ci_u32_e64 v19, null, 0, v19, vcc_lo
	v_add_co_u32 v20, vcc_lo, 0x10000, v20
	s_add_co_i32 s26, s26, -1
	s_lshl_b64 s[18:19], s[18:19], 3
	s_wait_alu 0xfffd
	v_add_co_ci_u32_e64 v21, null, 0, v21, vcc_lo
	s_cmp_eq_u32 s26, 0
	s_add_nc_u64 s[12:13], s[12:13], s[20:21]
	s_wait_alu 0xfffe
	s_add_nc_u64 s[14:15], s[14:15], s[18:19]
	s_cselect_b32 s18, -1, 0
	s_wait_loadcnt 0x0
	s_wait_storecnt 0x0
	s_barrier_signal -1
	s_barrier_wait -1
	global_inv scope:SCOPE_SE
	s_wait_alu 0xfffe
	s_and_not1_b32 vcc_lo, exec_lo, s18
	s_wait_alu 0xfffe
	s_cbranch_vccz .LBB910_100
.LBB910_6:                              ; =>This Inner Loop Header: Depth=1
	s_wait_alu 0xfffe
	v_cmp_gt_i64_e64 s18, 0x2000, s[12:13]
                                        ; implicit-def: $vgpr3
                                        ; implicit-def: $vgpr5
                                        ; implicit-def: $vgpr13
                                        ; implicit-def: $vgpr17
                                        ; implicit-def: $vgpr15
                                        ; implicit-def: $vgpr11
                                        ; implicit-def: $vgpr9
                                        ; implicit-def: $vgpr7
	s_and_b32 vcc_lo, exec_lo, s18
	s_mov_b32 s18, -1
	s_wait_alu 0xfffe
	s_cbranch_vccz .LBB910_25
; %bb.7:                                ;   in Loop: Header=BB910_6 Depth=1
	v_dual_mov_b32 v14, v1 :: v_dual_mov_b32 v15, v1
	v_dual_mov_b32 v2, v1 :: v_dual_mov_b32 v3, v1
	;; [unrolled: 1-line block ×7, first 2 shown]
	v_mov_b32_e32 v17, v15
	s_delay_alu instid0(VALU_DEP_2) | instskip(NEXT) | instid1(VALU_DEP_3)
	v_dual_mov_b32 v16, v14 :: v_dual_mov_b32 v15, v13
	v_mov_b32_e32 v14, v12
	v_mov_b32_e32 v13, v11
	;; [unrolled: 1-line block ×14, first 2 shown]
	s_mov_b32 s18, exec_lo
	v_cmpx_gt_u32_e64 s12, v41
	s_cbranch_execnz .LBB910_85
; %bb.8:                                ;   in Loop: Header=BB910_6 Depth=1
	s_wait_alu 0xfffe
	s_or_b32 exec_lo, exec_lo, s18
	s_delay_alu instid0(SALU_CYCLE_1)
	s_mov_b32 s18, exec_lo
	v_cmpx_gt_u32_e64 s12, v46
	s_cbranch_execnz .LBB910_86
.LBB910_9:                              ;   in Loop: Header=BB910_6 Depth=1
	s_wait_alu 0xfffe
	s_or_b32 exec_lo, exec_lo, s18
	s_delay_alu instid0(SALU_CYCLE_1)
	s_mov_b32 s18, exec_lo
	v_cmpx_gt_u32_e64 s12, v47
	s_cbranch_execnz .LBB910_87
.LBB910_10:                             ;   in Loop: Header=BB910_6 Depth=1
	s_wait_alu 0xfffe
	s_or_b32 exec_lo, exec_lo, s18
	s_delay_alu instid0(SALU_CYCLE_1)
	s_mov_b32 s18, exec_lo
	v_cmpx_gt_u32_e64 s12, v48
	s_cbranch_execnz .LBB910_88
.LBB910_11:                             ;   in Loop: Header=BB910_6 Depth=1
	s_wait_alu 0xfffe
	s_or_b32 exec_lo, exec_lo, s18
	s_delay_alu instid0(SALU_CYCLE_1)
	s_mov_b32 s18, exec_lo
	v_cmpx_gt_u32_e64 s12, v49
	s_cbranch_execnz .LBB910_89
.LBB910_12:                             ;   in Loop: Header=BB910_6 Depth=1
	s_wait_alu 0xfffe
	s_or_b32 exec_lo, exec_lo, s18
	s_delay_alu instid0(SALU_CYCLE_1)
	s_mov_b32 s18, exec_lo
	v_cmpx_gt_u32_e64 s12, v50
	s_cbranch_execnz .LBB910_90
.LBB910_13:                             ;   in Loop: Header=BB910_6 Depth=1
	s_wait_alu 0xfffe
	s_or_b32 exec_lo, exec_lo, s18
	s_delay_alu instid0(SALU_CYCLE_1)
	s_mov_b32 s18, exec_lo
	v_cmpx_gt_u32_e64 s12, v51
	s_cbranch_execnz .LBB910_91
.LBB910_14:                             ;   in Loop: Header=BB910_6 Depth=1
	s_wait_alu 0xfffe
	s_or_b32 exec_lo, exec_lo, s18
	s_delay_alu instid0(SALU_CYCLE_1)
	s_mov_b32 s18, exec_lo
	v_cmpx_gt_u32_e64 s12, v52
	s_cbranch_execnz .LBB910_92
.LBB910_15:                             ;   in Loop: Header=BB910_6 Depth=1
	s_wait_alu 0xfffe
	s_or_b32 exec_lo, exec_lo, s18
	s_delay_alu instid0(SALU_CYCLE_1)
	s_mov_b32 s18, exec_lo
	v_cmpx_gt_u32_e64 s12, v53
	s_cbranch_execnz .LBB910_93
.LBB910_16:                             ;   in Loop: Header=BB910_6 Depth=1
	s_wait_alu 0xfffe
	s_or_b32 exec_lo, exec_lo, s18
	s_delay_alu instid0(SALU_CYCLE_1)
	s_mov_b32 s18, exec_lo
	v_cmpx_gt_u32_e64 s12, v54
	s_cbranch_execnz .LBB910_94
.LBB910_17:                             ;   in Loop: Header=BB910_6 Depth=1
	s_wait_alu 0xfffe
	s_or_b32 exec_lo, exec_lo, s18
	s_delay_alu instid0(SALU_CYCLE_1)
	s_mov_b32 s18, exec_lo
	v_cmpx_gt_u32_e64 s12, v55
	s_cbranch_execnz .LBB910_95
.LBB910_18:                             ;   in Loop: Header=BB910_6 Depth=1
	s_wait_alu 0xfffe
	s_or_b32 exec_lo, exec_lo, s18
	s_delay_alu instid0(SALU_CYCLE_1)
	s_mov_b32 s18, exec_lo
	v_cmpx_gt_u32_e64 s12, v56
	s_cbranch_execnz .LBB910_96
.LBB910_19:                             ;   in Loop: Header=BB910_6 Depth=1
	s_wait_alu 0xfffe
	s_or_b32 exec_lo, exec_lo, s18
	s_delay_alu instid0(SALU_CYCLE_1)
	s_mov_b32 s18, exec_lo
	v_cmpx_gt_u32_e64 s12, v57
	s_cbranch_execnz .LBB910_97
.LBB910_20:                             ;   in Loop: Header=BB910_6 Depth=1
	s_wait_alu 0xfffe
	s_or_b32 exec_lo, exec_lo, s18
	s_delay_alu instid0(SALU_CYCLE_1)
	s_mov_b32 s18, exec_lo
	v_cmpx_gt_u32_e64 s12, v58
	s_cbranch_execnz .LBB910_98
.LBB910_21:                             ;   in Loop: Header=BB910_6 Depth=1
	s_wait_alu 0xfffe
	s_or_b32 exec_lo, exec_lo, s18
	s_delay_alu instid0(SALU_CYCLE_1)
	s_mov_b32 s18, exec_lo
	v_cmpx_gt_u32_e64 s12, v59
	s_cbranch_execnz .LBB910_99
.LBB910_22:                             ;   in Loop: Header=BB910_6 Depth=1
	s_wait_alu 0xfffe
	s_or_b32 exec_lo, exec_lo, s18
	s_delay_alu instid0(SALU_CYCLE_1)
	s_mov_b32 s18, exec_lo
	v_cmpx_gt_u32_e64 s12, v60
	s_cbranch_execz .LBB910_24
.LBB910_23:                             ;   in Loop: Header=BB910_6 Depth=1
	global_load_b64 v[22:23], v[20:21], off offset:3840
	s_wait_loadcnt 0x0
	v_cmp_neq_f64_e32 vcc_lo, 0, v[22:23]
	s_wait_alu 0xfffd
	v_cndmask_b32_e64 v17, 0, 1, vcc_lo
.LBB910_24:                             ;   in Loop: Header=BB910_6 Depth=1
	s_wait_alu 0xfffe
	s_or_b32 exec_lo, exec_lo, s18
	ds_store_b32 v61, v0
	ds_store_b32 v62, v3 offset:128
	ds_store_b32 v63, v4 offset:256
	;; [unrolled: 1-line block ×15, first 2 shown]
	; wave barrier
	ds_load_2addr_b32 v[6:7], v77 offset1:1
	ds_load_2addr_b32 v[8:9], v77 offset0:2 offset1:3
	ds_load_2addr_b32 v[10:11], v77 offset0:4 offset1:5
	;; [unrolled: 1-line block ×7, first 2 shown]
	s_mov_b32 s18, 0
.LBB910_25:                             ;   in Loop: Header=BB910_6 Depth=1
	s_wait_alu 0xfffe
	s_and_b32 vcc_lo, exec_lo, s18
	s_wait_alu 0xfffe
	s_cbranch_vccz .LBB910_27
; %bb.26:                               ;   in Loop: Header=BB910_6 Depth=1
	s_wait_dscnt 0x0
	s_clause 0xf
	global_load_b64 v[2:3], v[20:21], off
	global_load_b64 v[4:5], v[20:21], off offset:256
	global_load_b64 v[6:7], v[20:21], off offset:512
	;; [unrolled: 1-line block ×15, first 2 shown]
	s_wait_loadcnt 0xf
	v_cmp_neq_f64_e32 vcc_lo, 0, v[2:3]
	s_wait_alu 0xfffd
	v_cndmask_b32_e64 v0, 0, 1, vcc_lo
	s_wait_loadcnt 0xe
	v_cmp_neq_f64_e32 vcc_lo, 0, v[4:5]
	s_wait_alu 0xfffd
	v_cndmask_b32_e64 v2, 0, 1, vcc_lo
	;; [unrolled: 4-line block ×16, first 2 shown]
	ds_store_b32 v61, v0
	ds_store_b32 v62, v2 offset:128
	ds_store_b32 v63, v3 offset:256
	;; [unrolled: 1-line block ×15, first 2 shown]
	; wave barrier
	ds_load_2addr_b32 v[6:7], v77 offset1:1
	ds_load_2addr_b32 v[8:9], v77 offset0:2 offset1:3
	ds_load_2addr_b32 v[10:11], v77 offset0:4 offset1:5
	;; [unrolled: 1-line block ×7, first 2 shown]
.LBB910_27:                             ;   in Loop: Header=BB910_6 Depth=1
	s_wait_dscnt 0x7
	v_add_nc_u32_e32 v0, v7, v6
	s_wait_dscnt 0x0
	s_barrier_signal -1
	s_barrier_wait -1
	global_inv scope:SCOPE_SE
	v_add3_u32 v0, v0, v8, v9
	s_delay_alu instid0(VALU_DEP_1) | instskip(NEXT) | instid1(VALU_DEP_1)
	v_add3_u32 v0, v0, v10, v11
	v_add3_u32 v0, v0, v14, v15
	s_delay_alu instid0(VALU_DEP_1) | instskip(NEXT) | instid1(VALU_DEP_1)
	v_add3_u32 v0, v0, v16, v17
	;; [unrolled: 3-line block ×3, first 2 shown]
	v_add3_u32 v0, v0, v2, v3
	s_delay_alu instid0(VALU_DEP_1) | instskip(NEXT) | instid1(VALU_DEP_1)
	v_mov_b32_dpp v22, v0 row_shr:1 row_mask:0xf bank_mask:0xf
	v_cndmask_b32_e64 v22, v22, 0, s2
	s_delay_alu instid0(VALU_DEP_1) | instskip(NEXT) | instid1(VALU_DEP_1)
	v_add_nc_u32_e32 v0, v0, v22
	v_mov_b32_dpp v22, v0 row_shr:2 row_mask:0xf bank_mask:0xf
	s_delay_alu instid0(VALU_DEP_1) | instskip(NEXT) | instid1(VALU_DEP_1)
	v_cndmask_b32_e64 v22, 0, v22, s3
	v_add_nc_u32_e32 v0, v0, v22
	s_delay_alu instid0(VALU_DEP_1) | instskip(NEXT) | instid1(VALU_DEP_1)
	v_mov_b32_dpp v22, v0 row_shr:4 row_mask:0xf bank_mask:0xf
	v_cndmask_b32_e64 v22, 0, v22, s4
	s_delay_alu instid0(VALU_DEP_1) | instskip(NEXT) | instid1(VALU_DEP_1)
	v_add_nc_u32_e32 v0, v0, v22
	v_mov_b32_dpp v22, v0 row_shr:8 row_mask:0xf bank_mask:0xf
	s_delay_alu instid0(VALU_DEP_1) | instskip(NEXT) | instid1(VALU_DEP_1)
	v_cndmask_b32_e64 v22, 0, v22, s5
	v_add_nc_u32_e32 v0, v0, v22
	ds_swizzle_b32 v22, v0 offset:swizzle(BROADCAST,32,15)
	s_wait_dscnt 0x0
	v_cndmask_b32_e64 v22, v22, 0, s6
	s_delay_alu instid0(VALU_DEP_1)
	v_add_nc_u32_e32 v0, v0, v22
	s_and_saveexec_b32 s18, s7
; %bb.28:                               ;   in Loop: Header=BB910_6 Depth=1
	ds_store_b32 v24, v0
; %bb.29:                               ;   in Loop: Header=BB910_6 Depth=1
	s_wait_alu 0xfffe
	s_or_b32 exec_lo, exec_lo, s18
	s_wait_loadcnt_dscnt 0x0
	s_barrier_signal -1
	s_barrier_wait -1
	global_inv scope:SCOPE_SE
	s_and_saveexec_b32 s18, s9
	s_cbranch_execz .LBB910_31
; %bb.30:                               ;   in Loop: Header=BB910_6 Depth=1
	ds_load_b32 v22, v25
	s_wait_dscnt 0x0
	v_mov_b32_dpp v23, v22 row_shr:1 row_mask:0xf bank_mask:0xf
	s_delay_alu instid0(VALU_DEP_1) | instskip(NEXT) | instid1(VALU_DEP_1)
	v_cndmask_b32_e64 v23, v23, 0, s2
	v_add_nc_u32_e32 v22, v23, v22
	s_delay_alu instid0(VALU_DEP_1) | instskip(NEXT) | instid1(VALU_DEP_1)
	v_mov_b32_dpp v23, v22 row_shr:2 row_mask:0xf bank_mask:0xf
	v_cndmask_b32_e64 v23, 0, v23, s3
	s_delay_alu instid0(VALU_DEP_1) | instskip(NEXT) | instid1(VALU_DEP_1)
	v_add_nc_u32_e32 v22, v22, v23
	v_mov_b32_dpp v23, v22 row_shr:4 row_mask:0xf bank_mask:0xf
	s_delay_alu instid0(VALU_DEP_1) | instskip(NEXT) | instid1(VALU_DEP_1)
	v_cndmask_b32_e64 v23, 0, v23, s4
	v_add_nc_u32_e32 v22, v22, v23
	s_delay_alu instid0(VALU_DEP_1) | instskip(NEXT) | instid1(VALU_DEP_1)
	v_mov_b32_dpp v23, v22 row_shr:8 row_mask:0xf bank_mask:0xf
	v_cndmask_b32_e64 v23, 0, v23, s5
	s_delay_alu instid0(VALU_DEP_1)
	v_add_nc_u32_e32 v22, v22, v23
	ds_store_b32 v25, v22
.LBB910_31:                             ;   in Loop: Header=BB910_6 Depth=1
	s_wait_alu 0xfffe
	s_or_b32 exec_lo, exec_lo, s18
	v_mov_b32_e32 v22, 0
	s_wait_loadcnt_dscnt 0x0
	s_barrier_signal -1
	s_barrier_wait -1
	global_inv scope:SCOPE_SE
	s_and_saveexec_b32 s18, s10
; %bb.32:                               ;   in Loop: Header=BB910_6 Depth=1
	ds_load_b32 v22, v26
; %bb.33:                               ;   in Loop: Header=BB910_6 Depth=1
	s_wait_alu 0xfffe
	s_or_b32 exec_lo, exec_lo, s18
	s_wait_dscnt 0x0
	v_add_nc_u32_e32 v0, v22, v0
	ds_bpermute_b32 v0, v27, v0
	s_and_saveexec_b32 s18, s11
	s_cbranch_execz .LBB910_35
; %bb.34:                               ;   in Loop: Header=BB910_6 Depth=1
	ds_load_b32 v23, v1 offset:60
	s_wait_dscnt 0x0
	ds_store_b32 v1, v23 offset:33792
.LBB910_35:                             ;   in Loop: Header=BB910_6 Depth=1
	s_wait_alu 0xfffe
	s_or_b32 exec_lo, exec_lo, s18
	s_wait_dscnt 0x0
	v_cndmask_b32_e64 v0, v0, v22, s8
	s_wait_loadcnt 0x0
	s_barrier_signal -1
	s_barrier_wait -1
	global_inv scope:SCOPE_SE
	v_cndmask_b32_e64 v22, v0, 0, s11
	ds_store_2addr_b32 v28, v6, v7 offset1:1
	ds_store_2addr_b32 v28, v8, v9 offset0:2 offset1:3
	ds_store_2addr_b32 v28, v10, v11 offset0:4 offset1:5
	;; [unrolled: 1-line block ×7, first 2 shown]
	s_wait_loadcnt_dscnt 0x0
	s_barrier_signal -1
	v_add_nc_u32_e32 v23, v22, v6
	s_barrier_wait -1
	global_inv scope:SCOPE_SE
	s_mov_b32 s18, exec_lo
	v_add_nc_u32_e32 v91, v23, v7
	s_delay_alu instid0(VALU_DEP_1) | instskip(NEXT) | instid1(VALU_DEP_1)
	v_add_nc_u32_e32 v92, v91, v8
	v_add_nc_u32_e32 v93, v92, v9
	s_delay_alu instid0(VALU_DEP_1) | instskip(NEXT) | instid1(VALU_DEP_1)
	v_add_nc_u32_e32 v94, v93, v10
	;; [unrolled: 3-line block ×4, first 2 shown]
	v_add_nc_u32_e32 v6, v98, v17
	ds_load_b32 v99, v29
	ds_load_b32 v17, v30 offset:2048
	ds_load_b32 v90, v31 offset:4096
	;; [unrolled: 1-line block ×15, first 2 shown]
	s_wait_loadcnt_dscnt 0x0
	s_barrier_signal -1
	v_add_nc_u32_e32 v3, v6, v12
	s_barrier_wait -1
	global_inv scope:SCOPE_SE
	v_add_nc_u32_e32 v7, v3, v13
	s_delay_alu instid0(VALU_DEP_1) | instskip(NEXT) | instid1(VALU_DEP_1)
	v_add_nc_u32_e32 v4, v7, v4
	v_add_nc_u32_e32 v5, v4, v5
	s_delay_alu instid0(VALU_DEP_1)
	v_add_nc_u32_e32 v2, v5, v2
	ds_store_2addr_b32 v28, v22, v23 offset1:1
	ds_store_2addr_b32 v28, v91, v92 offset0:2 offset1:3
	ds_store_2addr_b32 v28, v93, v94 offset0:4 offset1:5
	;; [unrolled: 1-line block ×7, first 2 shown]
	s_wait_loadcnt_dscnt 0x0
	s_barrier_signal -1
	s_barrier_wait -1
	global_inv scope:SCOPE_SE
	ds_load_b32 v16, v30 offset:2048
	ds_load_b32 v15, v31 offset:4096
	;; [unrolled: 1-line block ×15, first 2 shown]
	v_cmpx_ne_u32_e32 0, v99
	s_cbranch_execz .LBB910_38
; %bb.36:                               ;   in Loop: Header=BB910_6 Depth=1
	ds_load_b32 v22, v29
	s_wait_dscnt 0x0
	v_ashrrev_i32_e32 v23, 31, v22
	s_delay_alu instid0(VALU_DEP_1)
	v_cmp_gt_i64_e32 vcc_lo, s[16:17], v[22:23]
	s_and_b32 exec_lo, exec_lo, vcc_lo
	s_cbranch_execz .LBB910_38
; %bb.37:                               ;   in Loop: Header=BB910_6 Depth=1
	v_lshlrev_b64_e32 v[22:23], 3, v[22:23]
	s_delay_alu instid0(VALU_DEP_1) | instskip(SKIP_1) | instid1(VALU_DEP_2)
	v_add_co_u32 v22, vcc_lo, s14, v22
	s_wait_alu 0xfffd
	v_add_co_ci_u32_e64 v23, null, s15, v23, vcc_lo
	global_store_b64 v[22:23], v[18:19], off
.LBB910_38:                             ;   in Loop: Header=BB910_6 Depth=1
	s_wait_alu 0xfffe
	s_or_b32 exec_lo, exec_lo, s18
	s_delay_alu instid0(SALU_CYCLE_1)
	s_mov_b32 s18, exec_lo
	v_cmpx_ne_u32_e32 0, v17
	s_cbranch_execz .LBB910_41
; %bb.39:                               ;   in Loop: Header=BB910_6 Depth=1
	s_wait_dscnt 0xe
	v_ashrrev_i32_e32 v17, 31, v16
	s_delay_alu instid0(VALU_DEP_1)
	v_cmp_gt_i64_e32 vcc_lo, s[16:17], v[16:17]
	s_and_b32 exec_lo, exec_lo, vcc_lo
	s_cbranch_execz .LBB910_41
; %bb.40:                               ;   in Loop: Header=BB910_6 Depth=1
	s_load_b32 s19, s[0:1], 0xc
	v_lshlrev_b64_e32 v[16:17], 3, v[16:17]
	s_wait_kmcnt 0x0
	s_and_b32 s19, s19, 0xffff
	s_wait_alu 0xfffe
	v_add_co_u32 v22, vcc_lo, v18, s19
	s_wait_alu 0xfffd
	v_add_co_ci_u32_e64 v23, null, 0, v19, vcc_lo
	v_add_co_u32 v16, vcc_lo, s14, v16
	s_wait_alu 0xfffd
	v_add_co_ci_u32_e64 v17, null, s15, v17, vcc_lo
	global_store_b64 v[16:17], v[22:23], off
.LBB910_41:                             ;   in Loop: Header=BB910_6 Depth=1
	s_wait_alu 0xfffe
	s_or_b32 exec_lo, exec_lo, s18
	s_delay_alu instid0(SALU_CYCLE_1)
	s_mov_b32 s18, exec_lo
	v_cmpx_ne_u32_e32 0, v90
	s_cbranch_execz .LBB910_44
; %bb.42:                               ;   in Loop: Header=BB910_6 Depth=1
	s_wait_dscnt 0xd
	v_ashrrev_i32_e32 v16, 31, v15
	s_delay_alu instid0(VALU_DEP_1)
	v_cmp_gt_i64_e32 vcc_lo, s[16:17], v[15:16]
	s_and_b32 exec_lo, exec_lo, vcc_lo
	s_cbranch_execz .LBB910_44
; %bb.43:                               ;   in Loop: Header=BB910_6 Depth=1
	s_load_b32 s19, s[0:1], 0xc
	v_lshlrev_b64_e32 v[15:16], 3, v[15:16]
	s_wait_kmcnt 0x0
	s_and_b32 s19, s19, 0xffff
	s_wait_alu 0xfffe
	s_lshl_b32 s19, s19, 1
	s_wait_alu 0xfffe
	v_add_co_u32 v22, vcc_lo, v18, s19
	s_wait_alu 0xfffd
	v_add_co_ci_u32_e64 v23, null, 0, v19, vcc_lo
	v_add_co_u32 v15, vcc_lo, s14, v15
	s_wait_alu 0xfffd
	v_add_co_ci_u32_e64 v16, null, s15, v16, vcc_lo
	global_store_b64 v[15:16], v[22:23], off
.LBB910_44:                             ;   in Loop: Header=BB910_6 Depth=1
	s_wait_alu 0xfffe
	s_or_b32 exec_lo, exec_lo, s18
	s_delay_alu instid0(SALU_CYCLE_1)
	s_mov_b32 s18, exec_lo
	v_cmpx_ne_u32_e32 0, v89
	s_cbranch_execz .LBB910_47
; %bb.45:                               ;   in Loop: Header=BB910_6 Depth=1
	s_wait_dscnt 0xc
	v_ashrrev_i32_e32 v15, 31, v14
	s_delay_alu instid0(VALU_DEP_1)
	v_cmp_gt_i64_e32 vcc_lo, s[16:17], v[14:15]
	s_and_b32 exec_lo, exec_lo, vcc_lo
	s_cbranch_execz .LBB910_47
; %bb.46:                               ;   in Loop: Header=BB910_6 Depth=1
	s_load_b32 s19, s[0:1], 0xc
	v_lshlrev_b64_e32 v[14:15], 3, v[14:15]
	s_wait_kmcnt 0x0
	s_and_b32 s19, s19, 0xffff
	s_wait_alu 0xfffe
	s_mul_i32 s19, s19, 3
	s_wait_alu 0xfffe
	v_add_co_u32 v16, vcc_lo, v18, s19
	s_wait_alu 0xfffd
	v_add_co_ci_u32_e64 v17, null, 0, v19, vcc_lo
	v_add_co_u32 v14, vcc_lo, s14, v14
	s_wait_alu 0xfffd
	v_add_co_ci_u32_e64 v15, null, s15, v15, vcc_lo
	global_store_b64 v[14:15], v[16:17], off
.LBB910_47:                             ;   in Loop: Header=BB910_6 Depth=1
	s_wait_alu 0xfffe
	s_or_b32 exec_lo, exec_lo, s18
	s_delay_alu instid0(SALU_CYCLE_1)
	s_mov_b32 s18, exec_lo
	v_cmpx_ne_u32_e32 0, v88
	s_cbranch_execz .LBB910_50
; %bb.48:                               ;   in Loop: Header=BB910_6 Depth=1
	s_wait_dscnt 0xb
	v_ashrrev_i32_e32 v14, 31, v13
	s_delay_alu instid0(VALU_DEP_1)
	v_cmp_gt_i64_e32 vcc_lo, s[16:17], v[13:14]
	s_and_b32 exec_lo, exec_lo, vcc_lo
	s_cbranch_execz .LBB910_50
; %bb.49:                               ;   in Loop: Header=BB910_6 Depth=1
	s_load_b32 s19, s[0:1], 0xc
	v_lshlrev_b64_e32 v[13:14], 3, v[13:14]
	s_wait_kmcnt 0x0
	s_and_b32 s19, s19, 0xffff
	s_wait_alu 0xfffe
	s_lshl_b32 s19, s19, 2
	s_wait_alu 0xfffe
	v_add_co_u32 v15, vcc_lo, v18, s19
	s_wait_alu 0xfffd
	v_add_co_ci_u32_e64 v16, null, 0, v19, vcc_lo
	v_add_co_u32 v13, vcc_lo, s14, v13
	s_wait_alu 0xfffd
	v_add_co_ci_u32_e64 v14, null, s15, v14, vcc_lo
	global_store_b64 v[13:14], v[15:16], off
.LBB910_50:                             ;   in Loop: Header=BB910_6 Depth=1
	s_wait_alu 0xfffe
	s_or_b32 exec_lo, exec_lo, s18
	s_delay_alu instid0(SALU_CYCLE_1)
	s_mov_b32 s18, exec_lo
	v_cmpx_ne_u32_e32 0, v87
	s_cbranch_execz .LBB910_53
; %bb.51:                               ;   in Loop: Header=BB910_6 Depth=1
	s_wait_dscnt 0xa
	v_ashrrev_i32_e32 v13, 31, v12
	s_delay_alu instid0(VALU_DEP_1)
	v_cmp_gt_i64_e32 vcc_lo, s[16:17], v[12:13]
	s_and_b32 exec_lo, exec_lo, vcc_lo
	s_cbranch_execz .LBB910_53
; %bb.52:                               ;   in Loop: Header=BB910_6 Depth=1
	s_load_b32 s19, s[0:1], 0xc
	v_lshlrev_b64_e32 v[12:13], 3, v[12:13]
	s_wait_kmcnt 0x0
	s_and_b32 s19, s19, 0xffff
	s_wait_alu 0xfffe
	s_mul_i32 s19, s19, 5
	s_wait_alu 0xfffe
	v_add_co_u32 v14, vcc_lo, v18, s19
	s_wait_alu 0xfffd
	v_add_co_ci_u32_e64 v15, null, 0, v19, vcc_lo
	v_add_co_u32 v12, vcc_lo, s14, v12
	s_wait_alu 0xfffd
	v_add_co_ci_u32_e64 v13, null, s15, v13, vcc_lo
	global_store_b64 v[12:13], v[14:15], off
.LBB910_53:                             ;   in Loop: Header=BB910_6 Depth=1
	s_wait_alu 0xfffe
	s_or_b32 exec_lo, exec_lo, s18
	s_delay_alu instid0(SALU_CYCLE_1)
	s_mov_b32 s18, exec_lo
	v_cmpx_ne_u32_e32 0, v86
	s_cbranch_execz .LBB910_56
; %bb.54:                               ;   in Loop: Header=BB910_6 Depth=1
	s_wait_dscnt 0x9
	v_ashrrev_i32_e32 v12, 31, v11
	s_delay_alu instid0(VALU_DEP_1)
	v_cmp_gt_i64_e32 vcc_lo, s[16:17], v[11:12]
	s_and_b32 exec_lo, exec_lo, vcc_lo
	s_cbranch_execz .LBB910_56
; %bb.55:                               ;   in Loop: Header=BB910_6 Depth=1
	s_load_b32 s19, s[0:1], 0xc
	v_lshlrev_b64_e32 v[11:12], 3, v[11:12]
	s_wait_kmcnt 0x0
	s_and_b32 s19, s19, 0xffff
	s_wait_alu 0xfffe
	s_mul_i32 s19, s19, 6
	s_wait_alu 0xfffe
	v_add_co_u32 v13, vcc_lo, v18, s19
	s_wait_alu 0xfffd
	v_add_co_ci_u32_e64 v14, null, 0, v19, vcc_lo
	v_add_co_u32 v11, vcc_lo, s14, v11
	s_wait_alu 0xfffd
	v_add_co_ci_u32_e64 v12, null, s15, v12, vcc_lo
	global_store_b64 v[11:12], v[13:14], off
.LBB910_56:                             ;   in Loop: Header=BB910_6 Depth=1
	s_wait_alu 0xfffe
	s_or_b32 exec_lo, exec_lo, s18
	s_delay_alu instid0(SALU_CYCLE_1)
	s_mov_b32 s18, exec_lo
	v_cmpx_ne_u32_e32 0, v85
	s_cbranch_execz .LBB910_59
; %bb.57:                               ;   in Loop: Header=BB910_6 Depth=1
	s_wait_dscnt 0x8
	v_ashrrev_i32_e32 v11, 31, v10
	s_delay_alu instid0(VALU_DEP_1)
	v_cmp_gt_i64_e32 vcc_lo, s[16:17], v[10:11]
	s_and_b32 exec_lo, exec_lo, vcc_lo
	s_cbranch_execz .LBB910_59
; %bb.58:                               ;   in Loop: Header=BB910_6 Depth=1
	s_load_b32 s19, s[0:1], 0xc
	v_lshlrev_b64_e32 v[10:11], 3, v[10:11]
	s_wait_kmcnt 0x0
	s_and_b32 s19, s19, 0xffff
	s_wait_alu 0xfffe
	s_mul_i32 s19, s19, 7
	s_wait_alu 0xfffe
	v_add_co_u32 v12, vcc_lo, v18, s19
	s_wait_alu 0xfffd
	v_add_co_ci_u32_e64 v13, null, 0, v19, vcc_lo
	v_add_co_u32 v10, vcc_lo, s14, v10
	s_wait_alu 0xfffd
	v_add_co_ci_u32_e64 v11, null, s15, v11, vcc_lo
	global_store_b64 v[10:11], v[12:13], off
.LBB910_59:                             ;   in Loop: Header=BB910_6 Depth=1
	s_wait_alu 0xfffe
	s_or_b32 exec_lo, exec_lo, s18
	s_delay_alu instid0(SALU_CYCLE_1)
	s_mov_b32 s18, exec_lo
	v_cmpx_ne_u32_e32 0, v84
	s_cbranch_execz .LBB910_62
; %bb.60:                               ;   in Loop: Header=BB910_6 Depth=1
	s_wait_dscnt 0x7
	v_ashrrev_i32_e32 v10, 31, v9
	s_delay_alu instid0(VALU_DEP_1)
	v_cmp_gt_i64_e32 vcc_lo, s[16:17], v[9:10]
	s_and_b32 exec_lo, exec_lo, vcc_lo
	s_cbranch_execz .LBB910_62
; %bb.61:                               ;   in Loop: Header=BB910_6 Depth=1
	s_load_b32 s19, s[0:1], 0xc
	v_lshlrev_b64_e32 v[9:10], 3, v[9:10]
	s_wait_kmcnt 0x0
	s_and_b32 s19, s19, 0xffff
	s_wait_alu 0xfffe
	s_lshl_b32 s19, s19, 3
	s_wait_alu 0xfffe
	v_add_co_u32 v11, vcc_lo, v18, s19
	s_wait_alu 0xfffd
	v_add_co_ci_u32_e64 v12, null, 0, v19, vcc_lo
	v_add_co_u32 v9, vcc_lo, s14, v9
	s_wait_alu 0xfffd
	v_add_co_ci_u32_e64 v10, null, s15, v10, vcc_lo
	global_store_b64 v[9:10], v[11:12], off
.LBB910_62:                             ;   in Loop: Header=BB910_6 Depth=1
	s_wait_alu 0xfffe
	s_or_b32 exec_lo, exec_lo, s18
	s_delay_alu instid0(SALU_CYCLE_1)
	s_mov_b32 s18, exec_lo
	v_cmpx_ne_u32_e32 0, v83
	s_cbranch_execz .LBB910_65
; %bb.63:                               ;   in Loop: Header=BB910_6 Depth=1
	s_wait_dscnt 0x6
	v_ashrrev_i32_e32 v9, 31, v8
	s_delay_alu instid0(VALU_DEP_1)
	v_cmp_gt_i64_e32 vcc_lo, s[16:17], v[8:9]
	s_and_b32 exec_lo, exec_lo, vcc_lo
	s_cbranch_execz .LBB910_65
; %bb.64:                               ;   in Loop: Header=BB910_6 Depth=1
	s_load_b32 s19, s[0:1], 0xc
	v_lshlrev_b64_e32 v[8:9], 3, v[8:9]
	s_wait_kmcnt 0x0
	s_and_b32 s19, s19, 0xffff
	s_wait_alu 0xfffe
	s_mul_i32 s19, s19, 9
	s_wait_alu 0xfffe
	v_add_co_u32 v10, vcc_lo, v18, s19
	s_wait_alu 0xfffd
	v_add_co_ci_u32_e64 v11, null, 0, v19, vcc_lo
	v_add_co_u32 v8, vcc_lo, s14, v8
	s_wait_alu 0xfffd
	v_add_co_ci_u32_e64 v9, null, s15, v9, vcc_lo
	global_store_b64 v[8:9], v[10:11], off
.LBB910_65:                             ;   in Loop: Header=BB910_6 Depth=1
	s_wait_alu 0xfffe
	s_or_b32 exec_lo, exec_lo, s18
	s_delay_alu instid0(SALU_CYCLE_1)
	s_mov_b32 s18, exec_lo
	v_cmpx_ne_u32_e32 0, v82
	s_cbranch_execz .LBB910_68
; %bb.66:                               ;   in Loop: Header=BB910_6 Depth=1
	s_wait_dscnt 0x5
	v_ashrrev_i32_e32 v8, 31, v7
	s_delay_alu instid0(VALU_DEP_1)
	v_cmp_gt_i64_e32 vcc_lo, s[16:17], v[7:8]
	s_and_b32 exec_lo, exec_lo, vcc_lo
	s_cbranch_execz .LBB910_68
; %bb.67:                               ;   in Loop: Header=BB910_6 Depth=1
	s_load_b32 s19, s[0:1], 0xc
	v_lshlrev_b64_e32 v[7:8], 3, v[7:8]
	s_wait_kmcnt 0x0
	s_and_b32 s19, s19, 0xffff
	s_wait_alu 0xfffe
	s_mul_i32 s19, s19, 10
	s_wait_alu 0xfffe
	v_add_co_u32 v9, vcc_lo, v18, s19
	s_wait_alu 0xfffd
	v_add_co_ci_u32_e64 v10, null, 0, v19, vcc_lo
	v_add_co_u32 v7, vcc_lo, s14, v7
	s_wait_alu 0xfffd
	v_add_co_ci_u32_e64 v8, null, s15, v8, vcc_lo
	global_store_b64 v[7:8], v[9:10], off
.LBB910_68:                             ;   in Loop: Header=BB910_6 Depth=1
	;; [unrolled: 29-line block ×7, first 2 shown]
	s_wait_alu 0xfffe
	s_or_b32 exec_lo, exec_lo, s18
	ds_load_b32 v0, v1 offset:33792
	v_cmp_lt_i64_e64 s22, 0x2000, s[12:13]
	s_wait_dscnt 0x0
	v_readfirstlane_b32 s18, v0
	s_ashr_i32 s19, s18, 31
	s_wait_alu 0xfffe
	s_sub_nc_u64 s[16:17], s[16:17], s[18:19]
	s_wait_alu 0xfffe
	v_cmp_gt_i64_e64 s23, s[16:17], 0
	s_and_b32 s22, s22, s23
	s_wait_alu 0xfffe
	s_and_not1_b32 vcc_lo, exec_lo, s22
	s_wait_alu 0xfffe
	s_cbranch_vccz .LBB910_5
; %bb.84:
                                        ; implicit-def: $sgpr12_sgpr13
                                        ; implicit-def: $sgpr14_sgpr15
                                        ; implicit-def: $vgpr18_vgpr19
                                        ; implicit-def: $sgpr26
                                        ; implicit-def: $vgpr20_vgpr21
	s_branch .LBB910_100
.LBB910_85:                             ;   in Loop: Header=BB910_6 Depth=1
	global_load_b64 v[22:23], v[20:21], off
	v_dual_mov_b32 v14, v1 :: v_dual_mov_b32 v15, v1
	v_dual_mov_b32 v2, v1 :: v_dual_mov_b32 v3, v1
	v_dual_mov_b32 v4, v1 :: v_dual_mov_b32 v5, v1
	v_dual_mov_b32 v6, v1 :: v_dual_mov_b32 v7, v1
	v_dual_mov_b32 v8, v1 :: v_dual_mov_b32 v9, v1
	v_dual_mov_b32 v10, v1 :: v_dual_mov_b32 v11, v1
	v_dual_mov_b32 v12, v1 :: v_dual_mov_b32 v13, v1
	v_mov_b32_e32 v17, v15
	s_delay_alu instid0(VALU_DEP_2) | instskip(NEXT) | instid1(VALU_DEP_3)
	v_dual_mov_b32 v16, v14 :: v_dual_mov_b32 v15, v13
	v_mov_b32_e32 v14, v12
	v_mov_b32_e32 v13, v11
	;; [unrolled: 1-line block ×13, first 2 shown]
	s_wait_loadcnt 0x0
	v_cmp_neq_f64_e32 vcc_lo, 0, v[22:23]
	s_wait_alu 0xfffd
	v_cndmask_b32_e64 v0, 0, 1, vcc_lo
	s_wait_alu 0xfffe
	s_or_b32 exec_lo, exec_lo, s18
	s_delay_alu instid0(SALU_CYCLE_1)
	s_mov_b32 s18, exec_lo
	v_cmpx_gt_u32_e64 s12, v46
	s_cbranch_execz .LBB910_9
.LBB910_86:                             ;   in Loop: Header=BB910_6 Depth=1
	global_load_b64 v[2:3], v[20:21], off offset:256
	s_wait_loadcnt 0x0
	v_cmp_neq_f64_e32 vcc_lo, 0, v[2:3]
	s_wait_alu 0xfffd
	v_cndmask_b32_e64 v3, 0, 1, vcc_lo
	s_wait_alu 0xfffe
	s_or_b32 exec_lo, exec_lo, s18
	s_delay_alu instid0(SALU_CYCLE_1)
	s_mov_b32 s18, exec_lo
	v_cmpx_gt_u32_e64 s12, v47
	s_cbranch_execz .LBB910_10
.LBB910_87:                             ;   in Loop: Header=BB910_6 Depth=1
	global_load_b64 v[22:23], v[20:21], off offset:512
	s_wait_loadcnt 0x0
	v_cmp_neq_f64_e32 vcc_lo, 0, v[22:23]
	s_wait_alu 0xfffd
	v_cndmask_b32_e64 v4, 0, 1, vcc_lo
	s_wait_alu 0xfffe
	s_or_b32 exec_lo, exec_lo, s18
	s_delay_alu instid0(SALU_CYCLE_1)
	s_mov_b32 s18, exec_lo
	v_cmpx_gt_u32_e64 s12, v48
	s_cbranch_execz .LBB910_11
.LBB910_88:                             ;   in Loop: Header=BB910_6 Depth=1
	global_load_b64 v[22:23], v[20:21], off offset:768
	s_wait_loadcnt 0x0
	v_cmp_neq_f64_e32 vcc_lo, 0, v[22:23]
	s_wait_alu 0xfffd
	v_cndmask_b32_e64 v5, 0, 1, vcc_lo
	s_wait_alu 0xfffe
	s_or_b32 exec_lo, exec_lo, s18
	s_delay_alu instid0(SALU_CYCLE_1)
	s_mov_b32 s18, exec_lo
	v_cmpx_gt_u32_e64 s12, v49
	s_cbranch_execz .LBB910_12
.LBB910_89:                             ;   in Loop: Header=BB910_6 Depth=1
	global_load_b64 v[22:23], v[20:21], off offset:1024
	s_wait_loadcnt 0x0
	v_cmp_neq_f64_e32 vcc_lo, 0, v[22:23]
	s_wait_alu 0xfffd
	v_cndmask_b32_e64 v6, 0, 1, vcc_lo
	s_wait_alu 0xfffe
	s_or_b32 exec_lo, exec_lo, s18
	s_delay_alu instid0(SALU_CYCLE_1)
	s_mov_b32 s18, exec_lo
	v_cmpx_gt_u32_e64 s12, v50
	s_cbranch_execz .LBB910_13
.LBB910_90:                             ;   in Loop: Header=BB910_6 Depth=1
	global_load_b64 v[22:23], v[20:21], off offset:1280
	s_wait_loadcnt 0x0
	v_cmp_neq_f64_e32 vcc_lo, 0, v[22:23]
	s_wait_alu 0xfffd
	v_cndmask_b32_e64 v7, 0, 1, vcc_lo
	s_wait_alu 0xfffe
	s_or_b32 exec_lo, exec_lo, s18
	s_delay_alu instid0(SALU_CYCLE_1)
	s_mov_b32 s18, exec_lo
	v_cmpx_gt_u32_e64 s12, v51
	s_cbranch_execz .LBB910_14
.LBB910_91:                             ;   in Loop: Header=BB910_6 Depth=1
	global_load_b64 v[22:23], v[20:21], off offset:1536
	s_wait_loadcnt 0x0
	v_cmp_neq_f64_e32 vcc_lo, 0, v[22:23]
	s_wait_alu 0xfffd
	v_cndmask_b32_e64 v8, 0, 1, vcc_lo
	s_wait_alu 0xfffe
	s_or_b32 exec_lo, exec_lo, s18
	s_delay_alu instid0(SALU_CYCLE_1)
	s_mov_b32 s18, exec_lo
	v_cmpx_gt_u32_e64 s12, v52
	s_cbranch_execz .LBB910_15
.LBB910_92:                             ;   in Loop: Header=BB910_6 Depth=1
	global_load_b64 v[22:23], v[20:21], off offset:1792
	s_wait_loadcnt 0x0
	v_cmp_neq_f64_e32 vcc_lo, 0, v[22:23]
	s_wait_alu 0xfffd
	v_cndmask_b32_e64 v9, 0, 1, vcc_lo
	s_wait_alu 0xfffe
	s_or_b32 exec_lo, exec_lo, s18
	s_delay_alu instid0(SALU_CYCLE_1)
	s_mov_b32 s18, exec_lo
	v_cmpx_gt_u32_e64 s12, v53
	s_cbranch_execz .LBB910_16
.LBB910_93:                             ;   in Loop: Header=BB910_6 Depth=1
	global_load_b64 v[22:23], v[20:21], off offset:2048
	s_wait_loadcnt 0x0
	v_cmp_neq_f64_e32 vcc_lo, 0, v[22:23]
	s_wait_alu 0xfffd
	v_cndmask_b32_e64 v10, 0, 1, vcc_lo
	s_wait_alu 0xfffe
	s_or_b32 exec_lo, exec_lo, s18
	s_delay_alu instid0(SALU_CYCLE_1)
	s_mov_b32 s18, exec_lo
	v_cmpx_gt_u32_e64 s12, v54
	s_cbranch_execz .LBB910_17
.LBB910_94:                             ;   in Loop: Header=BB910_6 Depth=1
	global_load_b64 v[22:23], v[20:21], off offset:2304
	s_wait_loadcnt 0x0
	v_cmp_neq_f64_e32 vcc_lo, 0, v[22:23]
	s_wait_alu 0xfffd
	v_cndmask_b32_e64 v11, 0, 1, vcc_lo
	s_wait_alu 0xfffe
	s_or_b32 exec_lo, exec_lo, s18
	s_delay_alu instid0(SALU_CYCLE_1)
	s_mov_b32 s18, exec_lo
	v_cmpx_gt_u32_e64 s12, v55
	s_cbranch_execz .LBB910_18
.LBB910_95:                             ;   in Loop: Header=BB910_6 Depth=1
	global_load_b64 v[22:23], v[20:21], off offset:2560
	s_wait_loadcnt 0x0
	v_cmp_neq_f64_e32 vcc_lo, 0, v[22:23]
	s_wait_alu 0xfffd
	v_cndmask_b32_e64 v12, 0, 1, vcc_lo
	s_wait_alu 0xfffe
	s_or_b32 exec_lo, exec_lo, s18
	s_delay_alu instid0(SALU_CYCLE_1)
	s_mov_b32 s18, exec_lo
	v_cmpx_gt_u32_e64 s12, v56
	s_cbranch_execz .LBB910_19
.LBB910_96:                             ;   in Loop: Header=BB910_6 Depth=1
	global_load_b64 v[22:23], v[20:21], off offset:2816
	s_wait_loadcnt 0x0
	v_cmp_neq_f64_e32 vcc_lo, 0, v[22:23]
	s_wait_alu 0xfffd
	v_cndmask_b32_e64 v13, 0, 1, vcc_lo
	s_wait_alu 0xfffe
	s_or_b32 exec_lo, exec_lo, s18
	s_delay_alu instid0(SALU_CYCLE_1)
	s_mov_b32 s18, exec_lo
	v_cmpx_gt_u32_e64 s12, v57
	s_cbranch_execz .LBB910_20
.LBB910_97:                             ;   in Loop: Header=BB910_6 Depth=1
	global_load_b64 v[22:23], v[20:21], off offset:3072
	s_wait_loadcnt 0x0
	v_cmp_neq_f64_e32 vcc_lo, 0, v[22:23]
	s_wait_alu 0xfffd
	v_cndmask_b32_e64 v14, 0, 1, vcc_lo
	s_wait_alu 0xfffe
	s_or_b32 exec_lo, exec_lo, s18
	s_delay_alu instid0(SALU_CYCLE_1)
	s_mov_b32 s18, exec_lo
	v_cmpx_gt_u32_e64 s12, v58
	s_cbranch_execz .LBB910_21
.LBB910_98:                             ;   in Loop: Header=BB910_6 Depth=1
	global_load_b64 v[22:23], v[20:21], off offset:3328
	s_wait_loadcnt 0x0
	v_cmp_neq_f64_e32 vcc_lo, 0, v[22:23]
	s_wait_alu 0xfffd
	v_cndmask_b32_e64 v15, 0, 1, vcc_lo
	s_wait_alu 0xfffe
	s_or_b32 exec_lo, exec_lo, s18
	s_delay_alu instid0(SALU_CYCLE_1)
	s_mov_b32 s18, exec_lo
	v_cmpx_gt_u32_e64 s12, v59
	s_cbranch_execz .LBB910_22
.LBB910_99:                             ;   in Loop: Header=BB910_6 Depth=1
	global_load_b64 v[22:23], v[20:21], off offset:3584
	s_wait_loadcnt 0x0
	v_cmp_neq_f64_e32 vcc_lo, 0, v[22:23]
	s_wait_alu 0xfffd
	v_cndmask_b32_e64 v16, 0, 1, vcc_lo
	s_wait_alu 0xfffe
	s_or_b32 exec_lo, exec_lo, s18
	s_delay_alu instid0(SALU_CYCLE_1)
	s_mov_b32 s18, exec_lo
	v_cmpx_gt_u32_e64 s12, v60
	s_cbranch_execnz .LBB910_23
	s_branch .LBB910_24
.LBB910_100:
	s_nop 0
	s_sendmsg sendmsg(MSG_DEALLOC_VGPRS)
	s_endpgm
	.section	.rodata,"a",@progbits
	.p2align	6, 0x0
	.amdhsa_kernel _ZN2at6native12_GLOBAL__N_111flag_kernelILi512ELi16EdEEvPKT1_PlPKllli
		.amdhsa_group_segment_fixed_size 33796
		.amdhsa_private_segment_fixed_size 0
		.amdhsa_kernarg_size 304
		.amdhsa_user_sgpr_count 2
		.amdhsa_user_sgpr_dispatch_ptr 0
		.amdhsa_user_sgpr_queue_ptr 0
		.amdhsa_user_sgpr_kernarg_segment_ptr 1
		.amdhsa_user_sgpr_dispatch_id 0
		.amdhsa_user_sgpr_private_segment_size 0
		.amdhsa_wavefront_size32 1
		.amdhsa_uses_dynamic_stack 0
		.amdhsa_enable_private_segment 0
		.amdhsa_system_sgpr_workgroup_id_x 1
		.amdhsa_system_sgpr_workgroup_id_y 0
		.amdhsa_system_sgpr_workgroup_id_z 0
		.amdhsa_system_sgpr_workgroup_info 0
		.amdhsa_system_vgpr_workitem_id 0
		.amdhsa_next_free_vgpr 100
		.amdhsa_next_free_sgpr 27
		.amdhsa_reserve_vcc 1
		.amdhsa_float_round_mode_32 0
		.amdhsa_float_round_mode_16_64 0
		.amdhsa_float_denorm_mode_32 3
		.amdhsa_float_denorm_mode_16_64 3
		.amdhsa_fp16_overflow 0
		.amdhsa_workgroup_processor_mode 1
		.amdhsa_memory_ordered 1
		.amdhsa_forward_progress 1
		.amdhsa_inst_pref_size 57
		.amdhsa_round_robin_scheduling 0
		.amdhsa_exception_fp_ieee_invalid_op 0
		.amdhsa_exception_fp_denorm_src 0
		.amdhsa_exception_fp_ieee_div_zero 0
		.amdhsa_exception_fp_ieee_overflow 0
		.amdhsa_exception_fp_ieee_underflow 0
		.amdhsa_exception_fp_ieee_inexact 0
		.amdhsa_exception_int_div_zero 0
	.end_amdhsa_kernel
	.section	.text._ZN2at6native12_GLOBAL__N_111flag_kernelILi512ELi16EdEEvPKT1_PlPKllli,"axG",@progbits,_ZN2at6native12_GLOBAL__N_111flag_kernelILi512ELi16EdEEvPKT1_PlPKllli,comdat
.Lfunc_end910:
	.size	_ZN2at6native12_GLOBAL__N_111flag_kernelILi512ELi16EdEEvPKT1_PlPKllli, .Lfunc_end910-_ZN2at6native12_GLOBAL__N_111flag_kernelILi512ELi16EdEEvPKT1_PlPKllli
                                        ; -- End function
	.set _ZN2at6native12_GLOBAL__N_111flag_kernelILi512ELi16EdEEvPKT1_PlPKllli.num_vgpr, 100
	.set _ZN2at6native12_GLOBAL__N_111flag_kernelILi512ELi16EdEEvPKT1_PlPKllli.num_agpr, 0
	.set _ZN2at6native12_GLOBAL__N_111flag_kernelILi512ELi16EdEEvPKT1_PlPKllli.numbered_sgpr, 27
	.set _ZN2at6native12_GLOBAL__N_111flag_kernelILi512ELi16EdEEvPKT1_PlPKllli.num_named_barrier, 0
	.set _ZN2at6native12_GLOBAL__N_111flag_kernelILi512ELi16EdEEvPKT1_PlPKllli.private_seg_size, 0
	.set _ZN2at6native12_GLOBAL__N_111flag_kernelILi512ELi16EdEEvPKT1_PlPKllli.uses_vcc, 1
	.set _ZN2at6native12_GLOBAL__N_111flag_kernelILi512ELi16EdEEvPKT1_PlPKllli.uses_flat_scratch, 0
	.set _ZN2at6native12_GLOBAL__N_111flag_kernelILi512ELi16EdEEvPKT1_PlPKllli.has_dyn_sized_stack, 0
	.set _ZN2at6native12_GLOBAL__N_111flag_kernelILi512ELi16EdEEvPKT1_PlPKllli.has_recursion, 0
	.set _ZN2at6native12_GLOBAL__N_111flag_kernelILi512ELi16EdEEvPKT1_PlPKllli.has_indirect_call, 0
	.section	.AMDGPU.csdata,"",@progbits
; Kernel info:
; codeLenInByte = 7220
; TotalNumSgprs: 29
; NumVgprs: 100
; ScratchSize: 0
; MemoryBound: 0
; FloatMode: 240
; IeeeMode: 1
; LDSByteSize: 33796 bytes/workgroup (compile time only)
; SGPRBlocks: 0
; VGPRBlocks: 12
; NumSGPRsForWavesPerEU: 29
; NumVGPRsForWavesPerEU: 100
; Occupancy: 12
; WaveLimiterHint : 1
; COMPUTE_PGM_RSRC2:SCRATCH_EN: 0
; COMPUTE_PGM_RSRC2:USER_SGPR: 2
; COMPUTE_PGM_RSRC2:TRAP_HANDLER: 0
; COMPUTE_PGM_RSRC2:TGID_X_EN: 1
; COMPUTE_PGM_RSRC2:TGID_Y_EN: 0
; COMPUTE_PGM_RSRC2:TGID_Z_EN: 0
; COMPUTE_PGM_RSRC2:TIDIG_COMP_CNT: 0
	.section	.text._ZN2at4cuda3cub15calc_block_sumsILi512ELi16ELb1EfiEEvPKT2_PT3_li,"axG",@progbits,_ZN2at4cuda3cub15calc_block_sumsILi512ELi16ELb1EfiEEvPKT2_PT3_li,comdat
	.protected	_ZN2at4cuda3cub15calc_block_sumsILi512ELi16ELb1EfiEEvPKT2_PT3_li ; -- Begin function _ZN2at4cuda3cub15calc_block_sumsILi512ELi16ELb1EfiEEvPKT2_PT3_li
	.globl	_ZN2at4cuda3cub15calc_block_sumsILi512ELi16ELb1EfiEEvPKT2_PT3_li
	.p2align	8
	.type	_ZN2at4cuda3cub15calc_block_sumsILi512ELi16ELb1EfiEEvPKT2_PT3_li,@function
_ZN2at4cuda3cub15calc_block_sumsILi512ELi16ELb1EfiEEvPKT2_PT3_li: ; @_ZN2at4cuda3cub15calc_block_sumsILi512ELi16ELb1EfiEEvPKT2_PT3_li
; %bb.0:
	s_load_b96 s[8:10], s[0:1], 0x10
	s_mov_b32 s2, ttmp9
	s_mov_b32 s3, 0
	s_wait_kmcnt 0x0
	s_lshl_b32 s4, s10, 13
	s_delay_alu instid0(SALU_CYCLE_1) | instskip(NEXT) | instid1(SALU_CYCLE_1)
	s_ashr_i32 s5, s4, 31
	s_mul_u64 s[12:13], s[4:5], s[2:3]
	s_delay_alu instid0(SALU_CYCLE_1) | instskip(NEXT) | instid1(SALU_CYCLE_1)
	s_sub_nc_u64 s[8:9], s[8:9], s[12:13]
	v_cmp_lt_i64_e64 s4, s[8:9], 1
	s_and_b32 vcc_lo, exec_lo, s4
	s_cbranch_vccnz .LBB911_58
; %bb.1:
	s_load_b128 s[4:7], s[0:1], 0x0
	s_mov_b32 s0, -1
	s_cmp_gt_i32 s10, 0
	s_mov_b32 s1, -1
	s_cbranch_scc1 .LBB911_3
; %bb.2:
	s_mov_b32 s1, 0
.LBB911_3:
	v_mov_b32_e32 v20, 0
	s_and_not1_b32 vcc_lo, exec_lo, s1
	s_cbranch_vccnz .LBB911_56
; %bb.4:
	v_lshrrev_b32_e32 v1, 3, v0
	s_lshl_b64 s[12:13], s[12:13], 2
	v_dual_mov_b32 v20, 0 :: v_dual_add_nc_u32 v21, 0x200, v0
	s_wait_kmcnt 0x0
	s_add_nc_u64 s[4:5], s[4:5], s[12:13]
	v_and_b32_e32 v36, 0x7c, v1
	v_lshlrev_b32_e32 v1, 2, v0
	v_or_b32_e32 v22, 0x400, v0
	v_add_nc_u32_e32 v23, 0x600, v0
	v_or_b32_e32 v24, 0x800, v0
	v_add_nc_u32_e32 v25, 0xa00, v0
	v_add_co_u32 v2, s1, s4, v1
	s_delay_alu instid0(VALU_DEP_1) | instskip(SKIP_1) | instid1(VALU_DEP_3)
	v_add_co_ci_u32_e64 v3, null, s5, 0, s1
	v_or_b32_e32 v26, 0xc00, v0
	v_add_co_u32 v18, vcc_lo, 0x7800, v2
	v_add_nc_u32_e32 v27, 0xe00, v0
	v_or_b32_e32 v28, 0x1000, v0
	v_add_nc_u32_e32 v29, 0x1200, v0
	v_or_b32_e32 v30, 0x1400, v0
	;; [unrolled: 2-line block ×4, first 2 shown]
	v_add_nc_u32_e32 v35, 0x1e00, v0
	v_cmp_gt_u32_e64 s0, 32, v0
	v_mov_b32_e32 v1, 0
	v_add_co_ci_u32_e64 v19, null, 0, v3, vcc_lo
	v_mbcnt_lo_u32_b32 v37, -1, 0
	s_movk_i32 s4, 0xe000
	s_mov_b32 s5, -1
	s_branch .LBB911_6
.LBB911_5:                              ;   in Loop: Header=BB911_6 Depth=1
	v_add_nc_u32_e32 v20, v2, v20
	s_and_not1_b32 vcc_lo, exec_lo, s11
	s_wait_alu 0xfffe
	s_cbranch_vccz .LBB911_52
.LBB911_6:                              ; =>This Inner Loop Header: Depth=1
	v_cmp_gt_i64_e64 s1, 0x2000, s[8:9]
                                        ; implicit-def: $vgpr2
	s_and_b32 vcc_lo, exec_lo, s1
	s_mov_b32 s1, -1
	s_wait_alu 0xfffe
	s_cbranch_vccz .LBB911_29
; %bb.7:                                ;   in Loop: Header=BB911_6 Depth=1
	v_mov_b32_e32 v16, v1
	v_dual_mov_b32 v2, v1 :: v_dual_mov_b32 v3, v1
	v_dual_mov_b32 v4, v1 :: v_dual_mov_b32 v5, v1
	;; [unrolled: 1-line block ×7, first 2 shown]
	v_mov_b32_e32 v17, v16
	s_delay_alu instid0(VALU_DEP_2) | instskip(NEXT) | instid1(VALU_DEP_3)
	v_mov_b32_e32 v16, v15
	v_mov_b32_e32 v15, v14
	;; [unrolled: 1-line block ×15, first 2 shown]
	s_mov_b32 s1, exec_lo
	v_cmpx_gt_u32_e64 s8, v0
	s_cbranch_execnz .LBB911_37
; %bb.8:                                ;   in Loop: Header=BB911_6 Depth=1
	s_wait_alu 0xfffe
	s_or_b32 exec_lo, exec_lo, s1
	s_delay_alu instid0(SALU_CYCLE_1)
	s_mov_b32 s1, exec_lo
	v_cmpx_gt_u32_e64 s8, v21
	s_cbranch_execnz .LBB911_38
.LBB911_9:                              ;   in Loop: Header=BB911_6 Depth=1
	s_wait_alu 0xfffe
	s_or_b32 exec_lo, exec_lo, s1
	s_delay_alu instid0(SALU_CYCLE_1)
	s_mov_b32 s1, exec_lo
	v_cmpx_gt_u32_e64 s8, v22
	s_cbranch_execnz .LBB911_39
.LBB911_10:                             ;   in Loop: Header=BB911_6 Depth=1
	s_wait_alu 0xfffe
	s_or_b32 exec_lo, exec_lo, s1
	s_delay_alu instid0(SALU_CYCLE_1)
	s_mov_b32 s1, exec_lo
	v_cmpx_gt_u32_e64 s8, v23
	s_cbranch_execnz .LBB911_40
.LBB911_11:                             ;   in Loop: Header=BB911_6 Depth=1
	s_wait_alu 0xfffe
	s_or_b32 exec_lo, exec_lo, s1
	s_delay_alu instid0(SALU_CYCLE_1)
	s_mov_b32 s1, exec_lo
	v_cmpx_gt_u32_e64 s8, v24
	s_cbranch_execnz .LBB911_41
.LBB911_12:                             ;   in Loop: Header=BB911_6 Depth=1
	s_wait_alu 0xfffe
	s_or_b32 exec_lo, exec_lo, s1
	s_delay_alu instid0(SALU_CYCLE_1)
	s_mov_b32 s1, exec_lo
	v_cmpx_gt_u32_e64 s8, v25
	s_cbranch_execnz .LBB911_42
.LBB911_13:                             ;   in Loop: Header=BB911_6 Depth=1
	s_wait_alu 0xfffe
	s_or_b32 exec_lo, exec_lo, s1
	s_delay_alu instid0(SALU_CYCLE_1)
	s_mov_b32 s1, exec_lo
	v_cmpx_gt_u32_e64 s8, v26
	s_cbranch_execnz .LBB911_43
.LBB911_14:                             ;   in Loop: Header=BB911_6 Depth=1
	s_wait_alu 0xfffe
	s_or_b32 exec_lo, exec_lo, s1
	s_delay_alu instid0(SALU_CYCLE_1)
	s_mov_b32 s1, exec_lo
	v_cmpx_gt_u32_e64 s8, v27
	s_cbranch_execnz .LBB911_44
.LBB911_15:                             ;   in Loop: Header=BB911_6 Depth=1
	s_wait_alu 0xfffe
	s_or_b32 exec_lo, exec_lo, s1
	s_delay_alu instid0(SALU_CYCLE_1)
	s_mov_b32 s1, exec_lo
	v_cmpx_gt_u32_e64 s8, v28
	s_cbranch_execnz .LBB911_45
.LBB911_16:                             ;   in Loop: Header=BB911_6 Depth=1
	s_wait_alu 0xfffe
	s_or_b32 exec_lo, exec_lo, s1
	s_delay_alu instid0(SALU_CYCLE_1)
	s_mov_b32 s1, exec_lo
	v_cmpx_gt_u32_e64 s8, v29
	s_cbranch_execnz .LBB911_46
.LBB911_17:                             ;   in Loop: Header=BB911_6 Depth=1
	s_wait_alu 0xfffe
	s_or_b32 exec_lo, exec_lo, s1
	s_delay_alu instid0(SALU_CYCLE_1)
	s_mov_b32 s1, exec_lo
	v_cmpx_gt_u32_e64 s8, v30
	s_cbranch_execnz .LBB911_47
.LBB911_18:                             ;   in Loop: Header=BB911_6 Depth=1
	s_wait_alu 0xfffe
	s_or_b32 exec_lo, exec_lo, s1
	s_delay_alu instid0(SALU_CYCLE_1)
	s_mov_b32 s1, exec_lo
	v_cmpx_gt_u32_e64 s8, v31
	s_cbranch_execnz .LBB911_48
.LBB911_19:                             ;   in Loop: Header=BB911_6 Depth=1
	s_wait_alu 0xfffe
	s_or_b32 exec_lo, exec_lo, s1
	s_delay_alu instid0(SALU_CYCLE_1)
	s_mov_b32 s1, exec_lo
	v_cmpx_gt_u32_e64 s8, v32
	s_cbranch_execnz .LBB911_49
.LBB911_20:                             ;   in Loop: Header=BB911_6 Depth=1
	s_wait_alu 0xfffe
	s_or_b32 exec_lo, exec_lo, s1
	s_delay_alu instid0(SALU_CYCLE_1)
	s_mov_b32 s1, exec_lo
	v_cmpx_gt_u32_e64 s8, v33
	s_cbranch_execnz .LBB911_50
.LBB911_21:                             ;   in Loop: Header=BB911_6 Depth=1
	s_wait_alu 0xfffe
	s_or_b32 exec_lo, exec_lo, s1
	s_delay_alu instid0(SALU_CYCLE_1)
	s_mov_b32 s1, exec_lo
	v_cmpx_gt_u32_e64 s8, v34
	s_cbranch_execnz .LBB911_51
.LBB911_22:                             ;   in Loop: Header=BB911_6 Depth=1
	s_wait_alu 0xfffe
	s_or_b32 exec_lo, exec_lo, s1
	s_delay_alu instid0(SALU_CYCLE_1)
	s_mov_b32 s1, exec_lo
	v_cmpx_gt_u32_e64 s8, v35
	s_cbranch_execz .LBB911_24
.LBB911_23:                             ;   in Loop: Header=BB911_6 Depth=1
	global_load_b32 v17, v[18:19], off
	s_wait_loadcnt 0x0
	v_cmp_neq_f32_e32 vcc_lo, 0, v17
	s_wait_alu 0xfffd
	v_cndmask_b32_e64 v17, 0, 1, vcc_lo
.LBB911_24:                             ;   in Loop: Header=BB911_6 Depth=1
	s_wait_alu 0xfffe
	s_or_b32 exec_lo, exec_lo, s1
	v_add_nc_u32_e32 v2, v3, v2
	s_mov_b32 s1, exec_lo
	s_barrier_signal -1
	s_barrier_wait -1
	s_delay_alu instid0(VALU_DEP_1) | instskip(SKIP_2) | instid1(VALU_DEP_1)
	v_add3_u32 v2, v2, v4, v5
	global_inv scope:SCOPE_SE
	v_add3_u32 v2, v2, v6, v7
	v_add3_u32 v2, v2, v8, v9
	s_delay_alu instid0(VALU_DEP_1) | instskip(NEXT) | instid1(VALU_DEP_1)
	v_add3_u32 v2, v2, v10, v11
	v_add3_u32 v2, v2, v12, v13
	s_delay_alu instid0(VALU_DEP_1) | instskip(NEXT) | instid1(VALU_DEP_1)
	;; [unrolled: 3-line block ×3, first 2 shown]
	v_mov_b32_dpp v3, v2 quad_perm:[1,0,3,2] row_mask:0xf bank_mask:0xf
	v_add_nc_u32_e32 v2, v2, v3
	s_delay_alu instid0(VALU_DEP_1) | instskip(NEXT) | instid1(VALU_DEP_1)
	v_mov_b32_dpp v3, v2 quad_perm:[2,3,0,1] row_mask:0xf bank_mask:0xf
	v_add_nc_u32_e32 v2, v2, v3
	s_delay_alu instid0(VALU_DEP_1) | instskip(NEXT) | instid1(VALU_DEP_1)
	v_mov_b32_dpp v3, v2 row_ror:4 row_mask:0xf bank_mask:0xf
	v_add_nc_u32_e32 v2, v2, v3
	s_delay_alu instid0(VALU_DEP_1) | instskip(NEXT) | instid1(VALU_DEP_1)
	v_mov_b32_dpp v3, v2 row_ror:8 row_mask:0xf bank_mask:0xf
	v_add_nc_u32_e32 v2, v2, v3
	ds_swizzle_b32 v3, v2 offset:swizzle(BROADCAST,32,15)
	s_wait_dscnt 0x0
	v_add_nc_u32_e32 v2, v2, v3
	ds_bpermute_b32 v2, v1, v2 offset:124
	v_cmpx_eq_u32_e32 0, v37
	s_cbranch_execz .LBB911_26
; %bb.25:                               ;   in Loop: Header=BB911_6 Depth=1
	s_wait_dscnt 0x0
	ds_store_b32 v36, v2
.LBB911_26:                             ;   in Loop: Header=BB911_6 Depth=1
	s_wait_alu 0xfffe
	s_or_b32 exec_lo, exec_lo, s1
	s_wait_loadcnt_dscnt 0x0
	s_barrier_signal -1
	s_barrier_wait -1
	global_inv scope:SCOPE_SE
	s_and_saveexec_b32 s1, s0
	s_cbranch_execz .LBB911_28
; %bb.27:                               ;   in Loop: Header=BB911_6 Depth=1
	v_and_b32_e32 v2, 15, v37
	s_delay_alu instid0(VALU_DEP_1)
	v_lshlrev_b32_e32 v3, 2, v2
	v_cmp_ne_u32_e32 vcc_lo, 15, v2
	ds_load_b32 v3, v3
	s_wait_alu 0xfffd
	v_add_co_ci_u32_e64 v4, null, 0, v37, vcc_lo
	v_cmp_gt_u32_e32 vcc_lo, 14, v2
	s_delay_alu instid0(VALU_DEP_2) | instskip(SKIP_3) | instid1(VALU_DEP_2)
	v_lshlrev_b32_e32 v4, 2, v4
	s_wait_alu 0xfffd
	v_cndmask_b32_e64 v5, 0, 2, vcc_lo
	v_cmp_gt_u32_e32 vcc_lo, 12, v2
	v_add_lshl_u32 v5, v5, v37, 2
	s_wait_alu 0xfffd
	v_cndmask_b32_e64 v2, 0, 4, vcc_lo
	s_delay_alu instid0(VALU_DEP_1)
	v_add_lshl_u32 v2, v2, v37, 2
	s_wait_dscnt 0x0
	ds_bpermute_b32 v4, v4, v3
	s_wait_dscnt 0x0
	v_add_nc_u32_e32 v3, v4, v3
	ds_bpermute_b32 v4, v5, v3
	s_wait_dscnt 0x0
	v_add_nc_u32_e32 v3, v4, v3
	v_lshlrev_b32_e32 v4, 2, v37
	ds_bpermute_b32 v2, v2, v3
	s_wait_dscnt 0x0
	v_add_nc_u32_e32 v2, v2, v3
	v_or_b32_e32 v3, 32, v4
	ds_bpermute_b32 v3, v3, v2
	s_wait_dscnt 0x0
	v_add_nc_u32_e32 v2, v3, v2
.LBB911_28:                             ;   in Loop: Header=BB911_6 Depth=1
	s_wait_alu 0xfffe
	s_or_b32 exec_lo, exec_lo, s1
	s_mov_b32 s1, 0
.LBB911_29:                             ;   in Loop: Header=BB911_6 Depth=1
	s_wait_alu 0xfffe
	s_and_b32 vcc_lo, exec_lo, s1
	s_wait_alu 0xfffe
	s_cbranch_vccz .LBB911_35
; %bb.30:                               ;   in Loop: Header=BB911_6 Depth=1
	s_clause 0xf
	global_load_b32 v2, v[18:19], off offset:-30720
	global_load_b32 v3, v[18:19], off offset:-26624
	;; [unrolled: 1-line block ×15, first 2 shown]
	global_load_b32 v17, v[18:19], off
	s_mov_b32 s1, exec_lo
	s_wait_loadcnt 0x0
	s_barrier_signal -1
	s_barrier_wait -1
	global_inv scope:SCOPE_SE
	v_cmp_neq_f32_e32 vcc_lo, 0, v2
	s_wait_alu 0xfffd
	v_cndmask_b32_e64 v2, 0, 1, vcc_lo
	v_cmp_neq_f32_e32 vcc_lo, 0, v3
	s_wait_alu 0xfffd
	v_cndmask_b32_e64 v3, 0, 1, vcc_lo
	v_cmp_neq_f32_e32 vcc_lo, 0, v4
	s_wait_alu 0xfffd
	v_add_co_ci_u32_e64 v2, null, 0, v2, vcc_lo
	v_cmp_neq_f32_e32 vcc_lo, 0, v5
	s_wait_alu 0xfffd
	v_cndmask_b32_e64 v4, 0, 1, vcc_lo
	v_cmp_neq_f32_e32 vcc_lo, 0, v6
	s_wait_alu 0xfffd
	v_add_co_ci_u32_e64 v2, null, v2, v3, vcc_lo
	;; [unrolled: 6-line block ×7, first 2 shown]
	v_cmp_neq_f32_e32 vcc_lo, 0, v17
	s_wait_alu 0xfffd
	s_delay_alu instid0(VALU_DEP_2) | instskip(NEXT) | instid1(VALU_DEP_1)
	v_add_co_ci_u32_e64 v2, null, v2, v3, vcc_lo
	v_mov_b32_dpp v3, v2 quad_perm:[1,0,3,2] row_mask:0xf bank_mask:0xf
	s_delay_alu instid0(VALU_DEP_1) | instskip(NEXT) | instid1(VALU_DEP_1)
	v_add_nc_u32_e32 v2, v3, v2
	v_mov_b32_dpp v3, v2 quad_perm:[2,3,0,1] row_mask:0xf bank_mask:0xf
	s_delay_alu instid0(VALU_DEP_1) | instskip(NEXT) | instid1(VALU_DEP_1)
	v_add_nc_u32_e32 v2, v2, v3
	v_mov_b32_dpp v3, v2 row_ror:4 row_mask:0xf bank_mask:0xf
	s_delay_alu instid0(VALU_DEP_1) | instskip(NEXT) | instid1(VALU_DEP_1)
	v_add_nc_u32_e32 v2, v2, v3
	v_mov_b32_dpp v3, v2 row_ror:8 row_mask:0xf bank_mask:0xf
	s_delay_alu instid0(VALU_DEP_1)
	v_add_nc_u32_e32 v2, v2, v3
	ds_swizzle_b32 v3, v2 offset:swizzle(BROADCAST,32,15)
	s_wait_dscnt 0x0
	v_add_nc_u32_e32 v2, v2, v3
	ds_bpermute_b32 v2, v1, v2 offset:124
	v_cmpx_eq_u32_e32 0, v37
	s_cbranch_execz .LBB911_32
; %bb.31:                               ;   in Loop: Header=BB911_6 Depth=1
	s_wait_dscnt 0x0
	ds_store_b32 v36, v2
.LBB911_32:                             ;   in Loop: Header=BB911_6 Depth=1
	s_wait_alu 0xfffe
	s_or_b32 exec_lo, exec_lo, s1
	s_wait_loadcnt_dscnt 0x0
	s_barrier_signal -1
	s_barrier_wait -1
	global_inv scope:SCOPE_SE
	s_and_saveexec_b32 s1, s0
	s_cbranch_execz .LBB911_34
; %bb.33:                               ;   in Loop: Header=BB911_6 Depth=1
	v_and_b32_e32 v2, 15, v37
	s_delay_alu instid0(VALU_DEP_1)
	v_lshlrev_b32_e32 v3, 2, v2
	v_cmp_ne_u32_e32 vcc_lo, 15, v2
	ds_load_b32 v3, v3
	s_wait_alu 0xfffd
	v_add_co_ci_u32_e64 v4, null, 0, v37, vcc_lo
	v_cmp_gt_u32_e32 vcc_lo, 14, v2
	s_delay_alu instid0(VALU_DEP_2) | instskip(SKIP_3) | instid1(VALU_DEP_2)
	v_lshlrev_b32_e32 v4, 2, v4
	s_wait_alu 0xfffd
	v_cndmask_b32_e64 v5, 0, 2, vcc_lo
	v_cmp_gt_u32_e32 vcc_lo, 12, v2
	v_add_lshl_u32 v5, v5, v37, 2
	s_wait_alu 0xfffd
	v_cndmask_b32_e64 v2, 0, 4, vcc_lo
	s_delay_alu instid0(VALU_DEP_1)
	v_add_lshl_u32 v2, v2, v37, 2
	s_wait_dscnt 0x0
	ds_bpermute_b32 v4, v4, v3
	s_wait_dscnt 0x0
	v_add_nc_u32_e32 v3, v4, v3
	ds_bpermute_b32 v4, v5, v3
	s_wait_dscnt 0x0
	v_add_nc_u32_e32 v3, v4, v3
	v_lshlrev_b32_e32 v4, 2, v37
	ds_bpermute_b32 v2, v2, v3
	s_wait_dscnt 0x0
	v_add_nc_u32_e32 v2, v2, v3
	v_or_b32_e32 v3, 32, v4
	ds_bpermute_b32 v3, v3, v2
	s_wait_dscnt 0x0
	v_add_nc_u32_e32 v2, v3, v2
.LBB911_34:                             ;   in Loop: Header=BB911_6 Depth=1
	s_wait_alu 0xfffe
	s_or_b32 exec_lo, exec_lo, s1
.LBB911_35:                             ;   in Loop: Header=BB911_6 Depth=1
	v_cmp_lt_i64_e64 s11, 0x2000, s[8:9]
	s_mov_b32 s1, -1
	s_and_b32 vcc_lo, exec_lo, s11
	s_mov_b32 s11, -1
	s_wait_alu 0xfffe
	s_cbranch_vccz .LBB911_5
; %bb.36:                               ;   in Loop: Header=BB911_6 Depth=1
	v_add_co_u32 v18, vcc_lo, 0x8000, v18
	s_add_co_i32 s10, s10, -1
	s_wait_alu 0xfffd
	v_add_co_ci_u32_e64 v19, null, 0, v19, vcc_lo
	s_cmp_eq_u32 s10, 0
	s_add_nc_u64 s[8:9], s[8:9], s[4:5]
	s_mov_b32 s1, 0
	s_cselect_b32 s11, -1, 0
	s_wait_loadcnt 0x0
	s_barrier_signal -1
	s_barrier_wait -1
	global_inv scope:SCOPE_SE
	s_branch .LBB911_5
.LBB911_37:                             ;   in Loop: Header=BB911_6 Depth=1
	global_load_b32 v2, v[18:19], off offset:-30720
	v_dual_mov_b32 v3, v1 :: v_dual_mov_b32 v4, v1
	v_dual_mov_b32 v5, v1 :: v_dual_mov_b32 v6, v1
	;; [unrolled: 1-line block ×7, first 2 shown]
	v_mov_b32_e32 v17, v1
	s_wait_loadcnt 0x0
	v_cmp_neq_f32_e32 vcc_lo, 0, v2
	s_wait_alu 0xfffd
	v_cndmask_b32_e64 v2, 0, 1, vcc_lo
	s_delay_alu instid0(VALU_DEP_1) | instskip(SKIP_2) | instid1(SALU_CYCLE_1)
	v_and_b32_e32 v2, 0xffff, v2
	s_wait_alu 0xfffe
	s_or_b32 exec_lo, exec_lo, s1
	s_mov_b32 s1, exec_lo
	v_cmpx_gt_u32_e64 s8, v21
	s_cbranch_execz .LBB911_9
.LBB911_38:                             ;   in Loop: Header=BB911_6 Depth=1
	global_load_b32 v3, v[18:19], off offset:-28672
	s_wait_loadcnt 0x0
	v_cmp_neq_f32_e32 vcc_lo, 0, v3
	s_wait_alu 0xfffd
	v_cndmask_b32_e64 v3, 0, 1, vcc_lo
	s_wait_alu 0xfffe
	s_or_b32 exec_lo, exec_lo, s1
	s_delay_alu instid0(SALU_CYCLE_1)
	s_mov_b32 s1, exec_lo
	v_cmpx_gt_u32_e64 s8, v22
	s_cbranch_execz .LBB911_10
.LBB911_39:                             ;   in Loop: Header=BB911_6 Depth=1
	global_load_b32 v4, v[18:19], off offset:-26624
	s_wait_loadcnt 0x0
	v_cmp_neq_f32_e32 vcc_lo, 0, v4
	s_wait_alu 0xfffd
	v_cndmask_b32_e64 v4, 0, 1, vcc_lo
	s_wait_alu 0xfffe
	s_or_b32 exec_lo, exec_lo, s1
	s_delay_alu instid0(SALU_CYCLE_1)
	s_mov_b32 s1, exec_lo
	v_cmpx_gt_u32_e64 s8, v23
	s_cbranch_execz .LBB911_11
.LBB911_40:                             ;   in Loop: Header=BB911_6 Depth=1
	global_load_b32 v5, v[18:19], off offset:-24576
	s_wait_loadcnt 0x0
	v_cmp_neq_f32_e32 vcc_lo, 0, v5
	s_wait_alu 0xfffd
	v_cndmask_b32_e64 v5, 0, 1, vcc_lo
	s_wait_alu 0xfffe
	s_or_b32 exec_lo, exec_lo, s1
	s_delay_alu instid0(SALU_CYCLE_1)
	s_mov_b32 s1, exec_lo
	v_cmpx_gt_u32_e64 s8, v24
	s_cbranch_execz .LBB911_12
.LBB911_41:                             ;   in Loop: Header=BB911_6 Depth=1
	global_load_b32 v6, v[18:19], off offset:-22528
	s_wait_loadcnt 0x0
	v_cmp_neq_f32_e32 vcc_lo, 0, v6
	s_wait_alu 0xfffd
	v_cndmask_b32_e64 v6, 0, 1, vcc_lo
	s_wait_alu 0xfffe
	s_or_b32 exec_lo, exec_lo, s1
	s_delay_alu instid0(SALU_CYCLE_1)
	s_mov_b32 s1, exec_lo
	v_cmpx_gt_u32_e64 s8, v25
	s_cbranch_execz .LBB911_13
.LBB911_42:                             ;   in Loop: Header=BB911_6 Depth=1
	global_load_b32 v7, v[18:19], off offset:-20480
	s_wait_loadcnt 0x0
	v_cmp_neq_f32_e32 vcc_lo, 0, v7
	s_wait_alu 0xfffd
	v_cndmask_b32_e64 v7, 0, 1, vcc_lo
	s_wait_alu 0xfffe
	s_or_b32 exec_lo, exec_lo, s1
	s_delay_alu instid0(SALU_CYCLE_1)
	s_mov_b32 s1, exec_lo
	v_cmpx_gt_u32_e64 s8, v26
	s_cbranch_execz .LBB911_14
.LBB911_43:                             ;   in Loop: Header=BB911_6 Depth=1
	global_load_b32 v8, v[18:19], off offset:-18432
	s_wait_loadcnt 0x0
	v_cmp_neq_f32_e32 vcc_lo, 0, v8
	s_wait_alu 0xfffd
	v_cndmask_b32_e64 v8, 0, 1, vcc_lo
	s_wait_alu 0xfffe
	s_or_b32 exec_lo, exec_lo, s1
	s_delay_alu instid0(SALU_CYCLE_1)
	s_mov_b32 s1, exec_lo
	v_cmpx_gt_u32_e64 s8, v27
	s_cbranch_execz .LBB911_15
.LBB911_44:                             ;   in Loop: Header=BB911_6 Depth=1
	global_load_b32 v9, v[18:19], off offset:-16384
	s_wait_loadcnt 0x0
	v_cmp_neq_f32_e32 vcc_lo, 0, v9
	s_wait_alu 0xfffd
	v_cndmask_b32_e64 v9, 0, 1, vcc_lo
	s_wait_alu 0xfffe
	s_or_b32 exec_lo, exec_lo, s1
	s_delay_alu instid0(SALU_CYCLE_1)
	s_mov_b32 s1, exec_lo
	v_cmpx_gt_u32_e64 s8, v28
	s_cbranch_execz .LBB911_16
.LBB911_45:                             ;   in Loop: Header=BB911_6 Depth=1
	global_load_b32 v10, v[18:19], off offset:-14336
	s_wait_loadcnt 0x0
	v_cmp_neq_f32_e32 vcc_lo, 0, v10
	s_wait_alu 0xfffd
	v_cndmask_b32_e64 v10, 0, 1, vcc_lo
	s_wait_alu 0xfffe
	s_or_b32 exec_lo, exec_lo, s1
	s_delay_alu instid0(SALU_CYCLE_1)
	s_mov_b32 s1, exec_lo
	v_cmpx_gt_u32_e64 s8, v29
	s_cbranch_execz .LBB911_17
.LBB911_46:                             ;   in Loop: Header=BB911_6 Depth=1
	global_load_b32 v11, v[18:19], off offset:-12288
	s_wait_loadcnt 0x0
	v_cmp_neq_f32_e32 vcc_lo, 0, v11
	s_wait_alu 0xfffd
	v_cndmask_b32_e64 v11, 0, 1, vcc_lo
	s_wait_alu 0xfffe
	s_or_b32 exec_lo, exec_lo, s1
	s_delay_alu instid0(SALU_CYCLE_1)
	s_mov_b32 s1, exec_lo
	v_cmpx_gt_u32_e64 s8, v30
	s_cbranch_execz .LBB911_18
.LBB911_47:                             ;   in Loop: Header=BB911_6 Depth=1
	global_load_b32 v12, v[18:19], off offset:-10240
	s_wait_loadcnt 0x0
	v_cmp_neq_f32_e32 vcc_lo, 0, v12
	s_wait_alu 0xfffd
	v_cndmask_b32_e64 v12, 0, 1, vcc_lo
	s_wait_alu 0xfffe
	s_or_b32 exec_lo, exec_lo, s1
	s_delay_alu instid0(SALU_CYCLE_1)
	s_mov_b32 s1, exec_lo
	v_cmpx_gt_u32_e64 s8, v31
	s_cbranch_execz .LBB911_19
.LBB911_48:                             ;   in Loop: Header=BB911_6 Depth=1
	global_load_b32 v13, v[18:19], off offset:-8192
	s_wait_loadcnt 0x0
	v_cmp_neq_f32_e32 vcc_lo, 0, v13
	s_wait_alu 0xfffd
	v_cndmask_b32_e64 v13, 0, 1, vcc_lo
	s_wait_alu 0xfffe
	s_or_b32 exec_lo, exec_lo, s1
	s_delay_alu instid0(SALU_CYCLE_1)
	s_mov_b32 s1, exec_lo
	v_cmpx_gt_u32_e64 s8, v32
	s_cbranch_execz .LBB911_20
.LBB911_49:                             ;   in Loop: Header=BB911_6 Depth=1
	global_load_b32 v14, v[18:19], off offset:-6144
	s_wait_loadcnt 0x0
	v_cmp_neq_f32_e32 vcc_lo, 0, v14
	s_wait_alu 0xfffd
	v_cndmask_b32_e64 v14, 0, 1, vcc_lo
	s_wait_alu 0xfffe
	s_or_b32 exec_lo, exec_lo, s1
	s_delay_alu instid0(SALU_CYCLE_1)
	s_mov_b32 s1, exec_lo
	v_cmpx_gt_u32_e64 s8, v33
	s_cbranch_execz .LBB911_21
.LBB911_50:                             ;   in Loop: Header=BB911_6 Depth=1
	global_load_b32 v15, v[18:19], off offset:-4096
	s_wait_loadcnt 0x0
	v_cmp_neq_f32_e32 vcc_lo, 0, v15
	s_wait_alu 0xfffd
	v_cndmask_b32_e64 v15, 0, 1, vcc_lo
	s_wait_alu 0xfffe
	s_or_b32 exec_lo, exec_lo, s1
	s_delay_alu instid0(SALU_CYCLE_1)
	s_mov_b32 s1, exec_lo
	v_cmpx_gt_u32_e64 s8, v34
	s_cbranch_execz .LBB911_22
.LBB911_51:                             ;   in Loop: Header=BB911_6 Depth=1
	global_load_b32 v16, v[18:19], off offset:-2048
	s_wait_loadcnt 0x0
	v_cmp_neq_f32_e32 vcc_lo, 0, v16
	s_wait_alu 0xfffd
	v_cndmask_b32_e64 v16, 0, 1, vcc_lo
	s_wait_alu 0xfffe
	s_or_b32 exec_lo, exec_lo, s1
	s_delay_alu instid0(SALU_CYCLE_1)
	s_mov_b32 s1, exec_lo
	v_cmpx_gt_u32_e64 s8, v35
	s_cbranch_execnz .LBB911_23
	s_branch .LBB911_24
.LBB911_52:
	s_and_b32 vcc_lo, exec_lo, s1
	s_mov_b32 s0, -1
	s_wait_alu 0xfffe
	s_cbranch_vccz .LBB911_56
; %bb.53:
	s_mov_b32 s0, 0
	s_mov_b32 s1, exec_lo
	v_cmpx_eq_u32_e32 0, v0
	s_cbranch_execz .LBB911_55
; %bb.54:
	v_mov_b32_e32 v0, 0
	s_lshl_b64 s[4:5], s[2:3], 2
	s_wait_alu 0xfffe
	s_add_nc_u64 s[4:5], s[6:7], s[4:5]
	global_store_b32 v0, v20, s[4:5]
.LBB911_55:
	s_wait_alu 0xfffe
	s_or_b32 exec_lo, exec_lo, s1
.LBB911_56:
	v_cmp_eq_u32_e32 vcc_lo, 0, v0
	s_and_b32 s0, vcc_lo, s0
	s_wait_alu 0xfffe
	s_and_saveexec_b32 s1, s0
	s_cbranch_execz .LBB911_58
; %bb.57:
	v_mov_b32_e32 v0, 0
	s_lshl_b64 s[0:1], s[2:3], 2
	s_wait_kmcnt 0x0
	s_wait_alu 0xfffe
	s_add_nc_u64 s[0:1], s[6:7], s[0:1]
	global_store_b32 v0, v20, s[0:1]
.LBB911_58:
	s_endpgm
	.section	.rodata,"a",@progbits
	.p2align	6, 0x0
	.amdhsa_kernel _ZN2at4cuda3cub15calc_block_sumsILi512ELi16ELb1EfiEEvPKT2_PT3_li
		.amdhsa_group_segment_fixed_size 64
		.amdhsa_private_segment_fixed_size 0
		.amdhsa_kernarg_size 28
		.amdhsa_user_sgpr_count 2
		.amdhsa_user_sgpr_dispatch_ptr 0
		.amdhsa_user_sgpr_queue_ptr 0
		.amdhsa_user_sgpr_kernarg_segment_ptr 1
		.amdhsa_user_sgpr_dispatch_id 0
		.amdhsa_user_sgpr_private_segment_size 0
		.amdhsa_wavefront_size32 1
		.amdhsa_uses_dynamic_stack 0
		.amdhsa_enable_private_segment 0
		.amdhsa_system_sgpr_workgroup_id_x 1
		.amdhsa_system_sgpr_workgroup_id_y 0
		.amdhsa_system_sgpr_workgroup_id_z 0
		.amdhsa_system_sgpr_workgroup_info 0
		.amdhsa_system_vgpr_workitem_id 0
		.amdhsa_next_free_vgpr 38
		.amdhsa_next_free_sgpr 14
		.amdhsa_reserve_vcc 1
		.amdhsa_float_round_mode_32 0
		.amdhsa_float_round_mode_16_64 0
		.amdhsa_float_denorm_mode_32 3
		.amdhsa_float_denorm_mode_16_64 3
		.amdhsa_fp16_overflow 0
		.amdhsa_workgroup_processor_mode 1
		.amdhsa_memory_ordered 1
		.amdhsa_forward_progress 1
		.amdhsa_inst_pref_size 27
		.amdhsa_round_robin_scheduling 0
		.amdhsa_exception_fp_ieee_invalid_op 0
		.amdhsa_exception_fp_denorm_src 0
		.amdhsa_exception_fp_ieee_div_zero 0
		.amdhsa_exception_fp_ieee_overflow 0
		.amdhsa_exception_fp_ieee_underflow 0
		.amdhsa_exception_fp_ieee_inexact 0
		.amdhsa_exception_int_div_zero 0
	.end_amdhsa_kernel
	.section	.text._ZN2at4cuda3cub15calc_block_sumsILi512ELi16ELb1EfiEEvPKT2_PT3_li,"axG",@progbits,_ZN2at4cuda3cub15calc_block_sumsILi512ELi16ELb1EfiEEvPKT2_PT3_li,comdat
.Lfunc_end911:
	.size	_ZN2at4cuda3cub15calc_block_sumsILi512ELi16ELb1EfiEEvPKT2_PT3_li, .Lfunc_end911-_ZN2at4cuda3cub15calc_block_sumsILi512ELi16ELb1EfiEEvPKT2_PT3_li
                                        ; -- End function
	.set _ZN2at4cuda3cub15calc_block_sumsILi512ELi16ELb1EfiEEvPKT2_PT3_li.num_vgpr, 38
	.set _ZN2at4cuda3cub15calc_block_sumsILi512ELi16ELb1EfiEEvPKT2_PT3_li.num_agpr, 0
	.set _ZN2at4cuda3cub15calc_block_sumsILi512ELi16ELb1EfiEEvPKT2_PT3_li.numbered_sgpr, 14
	.set _ZN2at4cuda3cub15calc_block_sumsILi512ELi16ELb1EfiEEvPKT2_PT3_li.num_named_barrier, 0
	.set _ZN2at4cuda3cub15calc_block_sumsILi512ELi16ELb1EfiEEvPKT2_PT3_li.private_seg_size, 0
	.set _ZN2at4cuda3cub15calc_block_sumsILi512ELi16ELb1EfiEEvPKT2_PT3_li.uses_vcc, 1
	.set _ZN2at4cuda3cub15calc_block_sumsILi512ELi16ELb1EfiEEvPKT2_PT3_li.uses_flat_scratch, 0
	.set _ZN2at4cuda3cub15calc_block_sumsILi512ELi16ELb1EfiEEvPKT2_PT3_li.has_dyn_sized_stack, 0
	.set _ZN2at4cuda3cub15calc_block_sumsILi512ELi16ELb1EfiEEvPKT2_PT3_li.has_recursion, 0
	.set _ZN2at4cuda3cub15calc_block_sumsILi512ELi16ELb1EfiEEvPKT2_PT3_li.has_indirect_call, 0
	.section	.AMDGPU.csdata,"",@progbits
; Kernel info:
; codeLenInByte = 3428
; TotalNumSgprs: 16
; NumVgprs: 38
; ScratchSize: 0
; MemoryBound: 0
; FloatMode: 240
; IeeeMode: 1
; LDSByteSize: 64 bytes/workgroup (compile time only)
; SGPRBlocks: 0
; VGPRBlocks: 4
; NumSGPRsForWavesPerEU: 16
; NumVGPRsForWavesPerEU: 38
; Occupancy: 16
; WaveLimiterHint : 1
; COMPUTE_PGM_RSRC2:SCRATCH_EN: 0
; COMPUTE_PGM_RSRC2:USER_SGPR: 2
; COMPUTE_PGM_RSRC2:TRAP_HANDLER: 0
; COMPUTE_PGM_RSRC2:TGID_X_EN: 1
; COMPUTE_PGM_RSRC2:TGID_Y_EN: 0
; COMPUTE_PGM_RSRC2:TGID_Z_EN: 0
; COMPUTE_PGM_RSRC2:TIDIG_COMP_CNT: 0
	.section	.text._ZN2at6native12_GLOBAL__N_111flag_kernelILi512ELi16EfEEvPKT1_PlPKllli,"axG",@progbits,_ZN2at6native12_GLOBAL__N_111flag_kernelILi512ELi16EfEEvPKT1_PlPKllli,comdat
	.globl	_ZN2at6native12_GLOBAL__N_111flag_kernelILi512ELi16EfEEvPKT1_PlPKllli ; -- Begin function _ZN2at6native12_GLOBAL__N_111flag_kernelILi512ELi16EfEEvPKT1_PlPKllli
	.p2align	8
	.type	_ZN2at6native12_GLOBAL__N_111flag_kernelILi512ELi16EfEEvPKT1_PlPKllli,@function
_ZN2at6native12_GLOBAL__N_111flag_kernelILi512ELi16EfEEvPKT1_PlPKllli: ; @_ZN2at6native12_GLOBAL__N_111flag_kernelILi512ELi16EfEEvPKT1_PlPKllli
; %bb.0:
	s_clause 0x1
	s_load_b32 s26, s[0:1], 0x28
	s_load_b256 s[12:19], s[0:1], 0x0
	s_mov_b32 s2, ttmp9
	s_mov_b32 s3, 0
	s_wait_kmcnt 0x0
	s_lshl_b32 s4, s26, 13
	s_delay_alu instid0(SALU_CYCLE_1) | instskip(NEXT) | instid1(SALU_CYCLE_1)
	s_ashr_i32 s5, s4, 31
	s_mul_u64 s[22:23], s[4:5], s[2:3]
	s_delay_alu instid0(SALU_CYCLE_1)
	v_cmp_le_i64_e64 s2, s[18:19], s[22:23]
	s_and_b32 vcc_lo, exec_lo, s2
	s_cbranch_vccnz .LBB912_100
; %bb.1:
	s_load_b64 s[2:3], s[0:1], 0x20
	s_cmp_eq_u32 ttmp9, 0
	s_cbranch_scc1 .LBB912_3
; %bb.2:
	s_add_co_i32 s4, ttmp9, -1
	s_mov_b32 s5, 0
	s_delay_alu instid0(SALU_CYCLE_1) | instskip(NEXT) | instid1(SALU_CYCLE_1)
	s_lshl_b64 s[4:5], s[4:5], 3
	s_add_nc_u64 s[4:5], s[16:17], s[4:5]
	s_load_b64 s[4:5], s[4:5], 0x0
	s_cmp_lt_i32 s26, 1
	s_cbranch_scc0 .LBB912_4
	s_branch .LBB912_100
.LBB912_3:
	s_mov_b64 s[4:5], 0
	s_cmp_lt_i32 s26, 1
	s_cbranch_scc1 .LBB912_100
.LBB912_4:
	v_mbcnt_lo_u32_b32 v2, -1, 0
	v_lshlrev_b32_e32 v1, 4, v0
	s_wait_kmcnt 0x0
	s_sub_nc_u64 s[16:17], s[2:3], s[4:5]
	s_lshl_b64 s[24:25], s[4:5], 3
	v_add_nc_u32_e32 v8, 0x200, v0
	v_and_b32_e32 v4, 15, v2
	v_and_b32_e32 v6, 0x3e00, v1
	;; [unrolled: 1-line block ×3, first 2 shown]
	v_or_b32_e32 v9, 0x800, v0
	v_add_nc_u32_e32 v10, 0xa00, v0
	v_lshlrev_b32_e32 v25, 2, v0
	v_or_b32_e32 v41, v2, v6
	v_cmp_eq_u32_e64 s6, 0, v1
	v_mov_b32_e32 v1, 0
	v_cmp_eq_u32_e64 s2, 0, v4
	v_cmp_lt_u32_e64 s3, 1, v4
	v_cmp_lt_u32_e64 s4, 3, v4
	;; [unrolled: 1-line block ×3, first 2 shown]
	v_sub_co_u32 v4, s8, v2, 1
	v_lshrrev_b32_e32 v9, 3, v9
	v_lshrrev_b32_e32 v10, 3, v10
	v_or_b32_e32 v46, 32, v41
	s_delay_alu instid0(VALU_DEP_4)
	v_cmp_gt_i32_e32 vcc_lo, 0, v4
	v_and_b32_e32 v3, 0x3e0, v0
	v_or_b32_e32 v47, 64, v41
	v_or_b32_e32 v48, 0x60, v41
	;; [unrolled: 1-line block ×3, first 2 shown]
	v_cndmask_b32_e32 v4, v4, v2, vcc_lo
	v_min_u32_e32 v5, 0x1e0, v3
	v_or_b32_e32 v50, 0xa0, v41
	v_or_b32_e32 v51, 0xc0, v41
	;; [unrolled: 1-line block ×3, first 2 shown]
	v_lshlrev_b32_e32 v27, 2, v4
	v_or_b32_e32 v5, 31, v5
	v_lshrrev_b32_e32 v4, 3, v8
	v_add_nc_u32_e32 v8, 0x600, v0
	v_or_b32_e32 v53, 0x100, v41
	v_or_b32_e32 v54, 0x120, v41
	v_cmp_eq_u32_e64 s7, v0, v5
	v_lshlrev_b32_e32 v5, 1, v0
	v_and_b32_e32 v4, 0xfc, v4
	v_lshrrev_b32_e32 v8, 3, v8
	v_or_b32_e32 v55, 0x140, v41
	v_or_b32_e32 v56, 0x160, v41
	v_and_b32_e32 v5, 0x7fc, v5
	v_add_nc_u32_e32 v30, v25, v4
	v_or_b32_e32 v57, 0x180, v41
	v_or_b32_e32 v58, 0x1a0, v41
	;; [unrolled: 1-line block ×3, first 2 shown]
	v_lshl_add_u32 v28, v0, 6, v5
	v_or_b32_e32 v5, 0x400, v0
	v_or_b32_e32 v60, 0x1e0, v41
	v_lshrrev_b32_e32 v7, 5, v0
	v_or_b32_e32 v3, v2, v3
	s_lshl_b64 s[20:21], s[22:23], 2
	v_lshrrev_b32_e32 v5, 3, v5
	v_lshlrev_b32_e32 v2, 2, v2
	v_cmp_gt_u32_e64 s9, 16, v0
	v_cmp_lt_u32_e64 s10, 31, v0
	v_cmp_eq_u32_e64 s11, 0, v0
	v_and_b32_e32 v4, 0xfc, v5
	v_and_b32_e32 v5, 0x1fc, v8
	v_and_b32_e32 v8, 0x17c, v9
	v_and_b32_e32 v9, 0x1fc, v10
	v_or_b32_e32 v10, 0xc00, v0
	v_add_nc_u32_e32 v31, v25, v4
	v_add_nc_u32_e32 v32, v25, v5
	;; [unrolled: 1-line block ×4, first 2 shown]
	v_lshrrev_b32_e32 v4, 3, v10
	v_add_nc_u32_e32 v5, 0xe00, v0
	v_or_b32_e32 v8, 0x1000, v0
	v_add_nc_u32_e32 v9, 0x1200, v0
	v_or_b32_e32 v10, 0x1400, v0
	v_and_b32_e32 v4, 0x1fc, v4
	v_lshrrev_b32_e32 v5, 3, v5
	v_lshrrev_b32_e32 v8, 3, v8
	;; [unrolled: 1-line block ×4, first 2 shown]
	v_add_nc_u32_e32 v35, v25, v4
	v_and_b32_e32 v4, 0x3fc, v5
	v_and_b32_e32 v5, 0x27c, v8
	;; [unrolled: 1-line block ×4, first 2 shown]
	v_add_nc_u32_e32 v10, 0x1600, v0
	v_add_nc_u32_e32 v36, v25, v4
	;; [unrolled: 1-line block ×3, first 2 shown]
	v_or_b32_e32 v5, 0x1800, v0
	v_add_nc_u32_e32 v38, v25, v8
	v_lshrrev_b32_e32 v4, 3, v10
	v_add_nc_u32_e32 v39, v25, v9
	v_add_nc_u32_e32 v8, 0x1a00, v0
	v_or_b32_e32 v9, 0x1c00, v0
	v_lshrrev_b32_e32 v5, 3, v5
	v_and_b32_e32 v4, 0x3fc, v4
	v_add_nc_u32_e32 v10, 0x1e00, v0
	v_lshrrev_b32_e32 v8, 3, v8
	v_lshrrev_b32_e32 v9, 3, v9
	v_lshlrev_b32_e32 v24, 2, v7
	v_add_nc_u32_e32 v40, v25, v4
	v_and_b32_e32 v4, 0x37c, v5
	v_lshrrev_b32_e32 v10, 3, v10
	v_and_b32_e32 v5, 0x3fc, v8
	v_and_b32_e32 v8, 0x3fc, v9
	v_add_nc_u32_e32 v26, -4, v24
	v_add_nc_u32_e32 v42, v25, v4
	v_lshrrev_b32_e32 v4, 3, v46
	v_and_b32_e32 v9, 0x7fc, v10
	v_add_nc_u32_e32 v43, v25, v5
	v_add_nc_u32_e32 v44, v25, v8
	v_lshrrev_b32_e32 v5, 3, v6
	v_lshlrev_b32_e32 v6, 2, v41
	v_and_b32_e32 v4, 0x7c4, v4
	v_lshrrev_b32_e32 v8, 3, v47
	v_add_nc_u32_e32 v45, v25, v9
	v_lshrrev_b32_e32 v9, 3, v50
	v_add_nc_u32_e32 v61, v5, v6
	v_add_nc_u32_e32 v62, v4, v6
	v_and_b32_e32 v4, 0x7c8, v8
	v_lshrrev_b32_e32 v5, 3, v48
	v_lshrrev_b32_e32 v8, 3, v49
	;; [unrolled: 1-line block ×3, first 2 shown]
	v_add_nc_u32_e32 v29, v24, v25
	v_add_nc_u32_e32 v63, v4, v6
	v_and_b32_e32 v4, 0x7cc, v5
	v_and_b32_e32 v5, 0x7d0, v8
	;; [unrolled: 1-line block ×4, first 2 shown]
	v_lshrrev_b32_e32 v10, 3, v52
	v_add_nc_u32_e32 v64, v4, v6
	v_add_nc_u32_e32 v65, v5, v6
	;; [unrolled: 1-line block ×4, first 2 shown]
	v_and_b32_e32 v4, 0x7dc, v10
	v_lshrrev_b32_e32 v5, 3, v53
	v_lshrrev_b32_e32 v8, 3, v54
	;; [unrolled: 1-line block ×4, first 2 shown]
	v_add_nc_u32_e32 v68, v4, v6
	v_and_b32_e32 v4, 0x7e0, v5
	v_and_b32_e32 v5, 0x7e4, v8
	;; [unrolled: 1-line block ×4, first 2 shown]
	v_lshrrev_b32_e32 v10, 3, v57
	v_add_nc_u32_e32 v69, v4, v6
	v_add_nc_u32_e32 v70, v5, v6
	v_lshrrev_b32_e32 v5, 3, v58
	v_add_nc_u32_e32 v71, v8, v6
	v_and_b32_e32 v4, 0x7f0, v10
	v_add_nc_u32_e32 v72, v9, v6
	v_lshrrev_b32_e32 v8, 3, v59
	v_lshrrev_b32_e32 v9, 3, v60
	s_add_nc_u64 s[14:15], s[14:15], s[24:25]
	v_add_nc_u32_e32 v73, v4, v6
	v_and_b32_e32 v4, 0x7f4, v5
	v_and_b32_e32 v5, 0x7f8, v8
	;; [unrolled: 1-line block ×3, first 2 shown]
	v_lshlrev_b32_e32 v9, 4, v3
	v_bfe_u32 v3, v3, 1, 27
	v_add_nc_u32_e32 v74, v4, v6
	v_lshlrev_b32_e32 v4, 11, v7
	v_add_nc_u32_e32 v75, v5, v6
	v_add_nc_u32_e32 v76, v8, v6
	v_add_lshl_u32 v77, v3, v9, 2
	s_add_nc_u64 s[0:1], s[0:1], 48
	v_add_co_u32 v3, s20, s20, v4
	s_wait_alu 0xf1ff
	v_add_co_ci_u32_e64 v4, null, s21, 0, s20
	v_add_co_u32 v18, s20, s22, v0
	s_delay_alu instid0(VALU_DEP_3) | instskip(SKIP_1) | instid1(VALU_DEP_3)
	v_add_co_u32 v0, vcc_lo, v3, v2
	s_wait_alu 0xfffd
	v_add_co_ci_u32_e64 v2, null, 0, v4, vcc_lo
	s_wait_alu 0xf1ff
	v_add_co_ci_u32_e64 v19, null, s23, 0, s20
	v_add_co_u32 v20, vcc_lo, s12, v0
	s_wait_alu 0xfffd
	v_add_co_ci_u32_e64 v21, null, s13, v2, vcc_lo
	s_movk_i32 s20, 0xe000
	s_mov_b32 s21, -1
	s_sub_nc_u64 s[12:13], s[18:19], s[22:23]
	s_branch .LBB912_6
.LBB912_5:                              ;   in Loop: Header=BB912_6 Depth=1
	v_add_co_u32 v18, vcc_lo, 0x2000, v18
	s_wait_alu 0xfffd
	v_add_co_ci_u32_e64 v19, null, 0, v19, vcc_lo
	v_add_co_u32 v20, vcc_lo, 0x8000, v20
	s_add_co_i32 s26, s26, -1
	s_lshl_b64 s[18:19], s[18:19], 3
	s_wait_alu 0xfffd
	v_add_co_ci_u32_e64 v21, null, 0, v21, vcc_lo
	s_cmp_eq_u32 s26, 0
	s_add_nc_u64 s[12:13], s[12:13], s[20:21]
	s_wait_alu 0xfffe
	s_add_nc_u64 s[14:15], s[14:15], s[18:19]
	s_cselect_b32 s18, -1, 0
	s_wait_loadcnt 0x0
	s_wait_storecnt 0x0
	s_barrier_signal -1
	s_barrier_wait -1
	global_inv scope:SCOPE_SE
	s_wait_alu 0xfffe
	s_and_not1_b32 vcc_lo, exec_lo, s18
	s_wait_alu 0xfffe
	s_cbranch_vccz .LBB912_100
.LBB912_6:                              ; =>This Inner Loop Header: Depth=1
	s_wait_alu 0xfffe
	v_cmp_gt_i64_e64 s18, 0x2000, s[12:13]
                                        ; implicit-def: $vgpr3
                                        ; implicit-def: $vgpr5
                                        ; implicit-def: $vgpr13
                                        ; implicit-def: $vgpr17
                                        ; implicit-def: $vgpr15
                                        ; implicit-def: $vgpr11
                                        ; implicit-def: $vgpr9
                                        ; implicit-def: $vgpr7
	s_and_b32 vcc_lo, exec_lo, s18
	s_mov_b32 s18, -1
	s_wait_alu 0xfffe
	s_cbranch_vccz .LBB912_25
; %bb.7:                                ;   in Loop: Header=BB912_6 Depth=1
	v_dual_mov_b32 v14, v1 :: v_dual_mov_b32 v15, v1
	v_dual_mov_b32 v2, v1 :: v_dual_mov_b32 v3, v1
	;; [unrolled: 1-line block ×7, first 2 shown]
	v_mov_b32_e32 v17, v15
	s_delay_alu instid0(VALU_DEP_2) | instskip(NEXT) | instid1(VALU_DEP_3)
	v_dual_mov_b32 v16, v14 :: v_dual_mov_b32 v15, v13
	v_mov_b32_e32 v14, v12
	v_mov_b32_e32 v13, v11
	;; [unrolled: 1-line block ×14, first 2 shown]
	s_mov_b32 s18, exec_lo
	v_cmpx_gt_u32_e64 s12, v41
	s_cbranch_execnz .LBB912_85
; %bb.8:                                ;   in Loop: Header=BB912_6 Depth=1
	s_wait_alu 0xfffe
	s_or_b32 exec_lo, exec_lo, s18
	s_delay_alu instid0(SALU_CYCLE_1)
	s_mov_b32 s18, exec_lo
	v_cmpx_gt_u32_e64 s12, v46
	s_cbranch_execnz .LBB912_86
.LBB912_9:                              ;   in Loop: Header=BB912_6 Depth=1
	s_wait_alu 0xfffe
	s_or_b32 exec_lo, exec_lo, s18
	s_delay_alu instid0(SALU_CYCLE_1)
	s_mov_b32 s18, exec_lo
	v_cmpx_gt_u32_e64 s12, v47
	s_cbranch_execnz .LBB912_87
.LBB912_10:                             ;   in Loop: Header=BB912_6 Depth=1
	s_wait_alu 0xfffe
	s_or_b32 exec_lo, exec_lo, s18
	s_delay_alu instid0(SALU_CYCLE_1)
	s_mov_b32 s18, exec_lo
	v_cmpx_gt_u32_e64 s12, v48
	s_cbranch_execnz .LBB912_88
.LBB912_11:                             ;   in Loop: Header=BB912_6 Depth=1
	s_wait_alu 0xfffe
	s_or_b32 exec_lo, exec_lo, s18
	s_delay_alu instid0(SALU_CYCLE_1)
	s_mov_b32 s18, exec_lo
	v_cmpx_gt_u32_e64 s12, v49
	s_cbranch_execnz .LBB912_89
.LBB912_12:                             ;   in Loop: Header=BB912_6 Depth=1
	s_wait_alu 0xfffe
	s_or_b32 exec_lo, exec_lo, s18
	s_delay_alu instid0(SALU_CYCLE_1)
	s_mov_b32 s18, exec_lo
	v_cmpx_gt_u32_e64 s12, v50
	s_cbranch_execnz .LBB912_90
.LBB912_13:                             ;   in Loop: Header=BB912_6 Depth=1
	s_wait_alu 0xfffe
	s_or_b32 exec_lo, exec_lo, s18
	s_delay_alu instid0(SALU_CYCLE_1)
	s_mov_b32 s18, exec_lo
	v_cmpx_gt_u32_e64 s12, v51
	s_cbranch_execnz .LBB912_91
.LBB912_14:                             ;   in Loop: Header=BB912_6 Depth=1
	s_wait_alu 0xfffe
	s_or_b32 exec_lo, exec_lo, s18
	s_delay_alu instid0(SALU_CYCLE_1)
	s_mov_b32 s18, exec_lo
	v_cmpx_gt_u32_e64 s12, v52
	s_cbranch_execnz .LBB912_92
.LBB912_15:                             ;   in Loop: Header=BB912_6 Depth=1
	s_wait_alu 0xfffe
	s_or_b32 exec_lo, exec_lo, s18
	s_delay_alu instid0(SALU_CYCLE_1)
	s_mov_b32 s18, exec_lo
	v_cmpx_gt_u32_e64 s12, v53
	s_cbranch_execnz .LBB912_93
.LBB912_16:                             ;   in Loop: Header=BB912_6 Depth=1
	s_wait_alu 0xfffe
	s_or_b32 exec_lo, exec_lo, s18
	s_delay_alu instid0(SALU_CYCLE_1)
	s_mov_b32 s18, exec_lo
	v_cmpx_gt_u32_e64 s12, v54
	s_cbranch_execnz .LBB912_94
.LBB912_17:                             ;   in Loop: Header=BB912_6 Depth=1
	s_wait_alu 0xfffe
	s_or_b32 exec_lo, exec_lo, s18
	s_delay_alu instid0(SALU_CYCLE_1)
	s_mov_b32 s18, exec_lo
	v_cmpx_gt_u32_e64 s12, v55
	s_cbranch_execnz .LBB912_95
.LBB912_18:                             ;   in Loop: Header=BB912_6 Depth=1
	s_wait_alu 0xfffe
	s_or_b32 exec_lo, exec_lo, s18
	s_delay_alu instid0(SALU_CYCLE_1)
	s_mov_b32 s18, exec_lo
	v_cmpx_gt_u32_e64 s12, v56
	s_cbranch_execnz .LBB912_96
.LBB912_19:                             ;   in Loop: Header=BB912_6 Depth=1
	s_wait_alu 0xfffe
	s_or_b32 exec_lo, exec_lo, s18
	s_delay_alu instid0(SALU_CYCLE_1)
	s_mov_b32 s18, exec_lo
	v_cmpx_gt_u32_e64 s12, v57
	s_cbranch_execnz .LBB912_97
.LBB912_20:                             ;   in Loop: Header=BB912_6 Depth=1
	s_wait_alu 0xfffe
	s_or_b32 exec_lo, exec_lo, s18
	s_delay_alu instid0(SALU_CYCLE_1)
	s_mov_b32 s18, exec_lo
	v_cmpx_gt_u32_e64 s12, v58
	s_cbranch_execnz .LBB912_98
.LBB912_21:                             ;   in Loop: Header=BB912_6 Depth=1
	s_wait_alu 0xfffe
	s_or_b32 exec_lo, exec_lo, s18
	s_delay_alu instid0(SALU_CYCLE_1)
	s_mov_b32 s18, exec_lo
	v_cmpx_gt_u32_e64 s12, v59
	s_cbranch_execnz .LBB912_99
.LBB912_22:                             ;   in Loop: Header=BB912_6 Depth=1
	s_wait_alu 0xfffe
	s_or_b32 exec_lo, exec_lo, s18
	s_delay_alu instid0(SALU_CYCLE_1)
	s_mov_b32 s18, exec_lo
	v_cmpx_gt_u32_e64 s12, v60
	s_cbranch_execz .LBB912_24
.LBB912_23:                             ;   in Loop: Header=BB912_6 Depth=1
	global_load_b32 v2, v[20:21], off offset:1920
	s_wait_loadcnt 0x0
	v_cmp_neq_f32_e32 vcc_lo, 0, v2
	s_wait_alu 0xfffd
	v_cndmask_b32_e64 v17, 0, 1, vcc_lo
.LBB912_24:                             ;   in Loop: Header=BB912_6 Depth=1
	s_wait_alu 0xfffe
	s_or_b32 exec_lo, exec_lo, s18
	ds_store_b32 v61, v0
	ds_store_b32 v62, v3 offset:128
	ds_store_b32 v63, v4 offset:256
	;; [unrolled: 1-line block ×15, first 2 shown]
	; wave barrier
	ds_load_2addr_b32 v[6:7], v77 offset1:1
	ds_load_2addr_b32 v[8:9], v77 offset0:2 offset1:3
	ds_load_2addr_b32 v[10:11], v77 offset0:4 offset1:5
	;; [unrolled: 1-line block ×7, first 2 shown]
	s_mov_b32 s18, 0
.LBB912_25:                             ;   in Loop: Header=BB912_6 Depth=1
	s_wait_alu 0xfffe
	s_and_b32 vcc_lo, exec_lo, s18
	s_wait_alu 0xfffe
	s_cbranch_vccz .LBB912_27
; %bb.26:                               ;   in Loop: Header=BB912_6 Depth=1
	global_load_b32 v0, v[20:21], off
	s_wait_dscnt 0x0
	s_clause 0xe
	global_load_b32 v2, v[20:21], off offset:128
	global_load_b32 v3, v[20:21], off offset:256
	;; [unrolled: 1-line block ×15, first 2 shown]
	s_wait_loadcnt 0xf
	v_cmp_neq_f32_e32 vcc_lo, 0, v0
	s_wait_alu 0xfffd
	v_cndmask_b32_e64 v0, 0, 1, vcc_lo
	s_wait_loadcnt 0xe
	v_cmp_neq_f32_e32 vcc_lo, 0, v2
	s_wait_alu 0xfffd
	v_cndmask_b32_e64 v2, 0, 1, vcc_lo
	;; [unrolled: 4-line block ×16, first 2 shown]
	ds_store_b32 v61, v0
	ds_store_b32 v62, v2 offset:128
	ds_store_b32 v63, v3 offset:256
	;; [unrolled: 1-line block ×15, first 2 shown]
	; wave barrier
	ds_load_2addr_b32 v[6:7], v77 offset1:1
	ds_load_2addr_b32 v[8:9], v77 offset0:2 offset1:3
	ds_load_2addr_b32 v[10:11], v77 offset0:4 offset1:5
	;; [unrolled: 1-line block ×7, first 2 shown]
.LBB912_27:                             ;   in Loop: Header=BB912_6 Depth=1
	s_wait_dscnt 0x7
	v_add_nc_u32_e32 v0, v7, v6
	s_wait_dscnt 0x0
	s_barrier_signal -1
	s_barrier_wait -1
	global_inv scope:SCOPE_SE
	v_add3_u32 v0, v0, v8, v9
	s_delay_alu instid0(VALU_DEP_1) | instskip(NEXT) | instid1(VALU_DEP_1)
	v_add3_u32 v0, v0, v10, v11
	v_add3_u32 v0, v0, v14, v15
	s_delay_alu instid0(VALU_DEP_1) | instskip(NEXT) | instid1(VALU_DEP_1)
	v_add3_u32 v0, v0, v16, v17
	;; [unrolled: 3-line block ×3, first 2 shown]
	v_add3_u32 v0, v0, v2, v3
	s_delay_alu instid0(VALU_DEP_1) | instskip(NEXT) | instid1(VALU_DEP_1)
	v_mov_b32_dpp v22, v0 row_shr:1 row_mask:0xf bank_mask:0xf
	v_cndmask_b32_e64 v22, v22, 0, s2
	s_delay_alu instid0(VALU_DEP_1) | instskip(NEXT) | instid1(VALU_DEP_1)
	v_add_nc_u32_e32 v0, v0, v22
	v_mov_b32_dpp v22, v0 row_shr:2 row_mask:0xf bank_mask:0xf
	s_delay_alu instid0(VALU_DEP_1) | instskip(NEXT) | instid1(VALU_DEP_1)
	v_cndmask_b32_e64 v22, 0, v22, s3
	v_add_nc_u32_e32 v0, v0, v22
	s_delay_alu instid0(VALU_DEP_1) | instskip(NEXT) | instid1(VALU_DEP_1)
	v_mov_b32_dpp v22, v0 row_shr:4 row_mask:0xf bank_mask:0xf
	v_cndmask_b32_e64 v22, 0, v22, s4
	s_delay_alu instid0(VALU_DEP_1) | instskip(NEXT) | instid1(VALU_DEP_1)
	v_add_nc_u32_e32 v0, v0, v22
	v_mov_b32_dpp v22, v0 row_shr:8 row_mask:0xf bank_mask:0xf
	s_delay_alu instid0(VALU_DEP_1) | instskip(NEXT) | instid1(VALU_DEP_1)
	v_cndmask_b32_e64 v22, 0, v22, s5
	v_add_nc_u32_e32 v0, v0, v22
	ds_swizzle_b32 v22, v0 offset:swizzle(BROADCAST,32,15)
	s_wait_dscnt 0x0
	v_cndmask_b32_e64 v22, v22, 0, s6
	s_delay_alu instid0(VALU_DEP_1)
	v_add_nc_u32_e32 v0, v0, v22
	s_and_saveexec_b32 s18, s7
; %bb.28:                               ;   in Loop: Header=BB912_6 Depth=1
	ds_store_b32 v24, v0
; %bb.29:                               ;   in Loop: Header=BB912_6 Depth=1
	s_wait_alu 0xfffe
	s_or_b32 exec_lo, exec_lo, s18
	s_wait_loadcnt_dscnt 0x0
	s_barrier_signal -1
	s_barrier_wait -1
	global_inv scope:SCOPE_SE
	s_and_saveexec_b32 s18, s9
	s_cbranch_execz .LBB912_31
; %bb.30:                               ;   in Loop: Header=BB912_6 Depth=1
	ds_load_b32 v22, v25
	s_wait_dscnt 0x0
	v_mov_b32_dpp v23, v22 row_shr:1 row_mask:0xf bank_mask:0xf
	s_delay_alu instid0(VALU_DEP_1) | instskip(NEXT) | instid1(VALU_DEP_1)
	v_cndmask_b32_e64 v23, v23, 0, s2
	v_add_nc_u32_e32 v22, v23, v22
	s_delay_alu instid0(VALU_DEP_1) | instskip(NEXT) | instid1(VALU_DEP_1)
	v_mov_b32_dpp v23, v22 row_shr:2 row_mask:0xf bank_mask:0xf
	v_cndmask_b32_e64 v23, 0, v23, s3
	s_delay_alu instid0(VALU_DEP_1) | instskip(NEXT) | instid1(VALU_DEP_1)
	v_add_nc_u32_e32 v22, v22, v23
	v_mov_b32_dpp v23, v22 row_shr:4 row_mask:0xf bank_mask:0xf
	s_delay_alu instid0(VALU_DEP_1) | instskip(NEXT) | instid1(VALU_DEP_1)
	v_cndmask_b32_e64 v23, 0, v23, s4
	v_add_nc_u32_e32 v22, v22, v23
	s_delay_alu instid0(VALU_DEP_1) | instskip(NEXT) | instid1(VALU_DEP_1)
	v_mov_b32_dpp v23, v22 row_shr:8 row_mask:0xf bank_mask:0xf
	v_cndmask_b32_e64 v23, 0, v23, s5
	s_delay_alu instid0(VALU_DEP_1)
	v_add_nc_u32_e32 v22, v22, v23
	ds_store_b32 v25, v22
.LBB912_31:                             ;   in Loop: Header=BB912_6 Depth=1
	s_wait_alu 0xfffe
	s_or_b32 exec_lo, exec_lo, s18
	v_mov_b32_e32 v22, 0
	s_wait_loadcnt_dscnt 0x0
	s_barrier_signal -1
	s_barrier_wait -1
	global_inv scope:SCOPE_SE
	s_and_saveexec_b32 s18, s10
; %bb.32:                               ;   in Loop: Header=BB912_6 Depth=1
	ds_load_b32 v22, v26
; %bb.33:                               ;   in Loop: Header=BB912_6 Depth=1
	s_wait_alu 0xfffe
	s_or_b32 exec_lo, exec_lo, s18
	s_wait_dscnt 0x0
	v_add_nc_u32_e32 v0, v22, v0
	ds_bpermute_b32 v0, v27, v0
	s_and_saveexec_b32 s18, s11
	s_cbranch_execz .LBB912_35
; %bb.34:                               ;   in Loop: Header=BB912_6 Depth=1
	ds_load_b32 v23, v1 offset:60
	s_wait_dscnt 0x0
	ds_store_b32 v1, v23 offset:33792
.LBB912_35:                             ;   in Loop: Header=BB912_6 Depth=1
	s_wait_alu 0xfffe
	s_or_b32 exec_lo, exec_lo, s18
	s_wait_dscnt 0x0
	v_cndmask_b32_e64 v0, v0, v22, s8
	s_wait_loadcnt 0x0
	s_barrier_signal -1
	s_barrier_wait -1
	global_inv scope:SCOPE_SE
	v_cndmask_b32_e64 v22, v0, 0, s11
	ds_store_2addr_b32 v28, v6, v7 offset1:1
	ds_store_2addr_b32 v28, v8, v9 offset0:2 offset1:3
	ds_store_2addr_b32 v28, v10, v11 offset0:4 offset1:5
	;; [unrolled: 1-line block ×7, first 2 shown]
	s_wait_loadcnt_dscnt 0x0
	s_barrier_signal -1
	v_add_nc_u32_e32 v23, v22, v6
	s_barrier_wait -1
	global_inv scope:SCOPE_SE
	s_mov_b32 s18, exec_lo
	v_add_nc_u32_e32 v91, v23, v7
	s_delay_alu instid0(VALU_DEP_1) | instskip(NEXT) | instid1(VALU_DEP_1)
	v_add_nc_u32_e32 v92, v91, v8
	v_add_nc_u32_e32 v93, v92, v9
	s_delay_alu instid0(VALU_DEP_1) | instskip(NEXT) | instid1(VALU_DEP_1)
	v_add_nc_u32_e32 v94, v93, v10
	;; [unrolled: 3-line block ×4, first 2 shown]
	v_add_nc_u32_e32 v6, v98, v17
	ds_load_b32 v99, v29
	ds_load_b32 v17, v30 offset:2048
	ds_load_b32 v90, v31 offset:4096
	ds_load_b32 v89, v32 offset:6144
	ds_load_b32 v88, v33 offset:8192
	ds_load_b32 v87, v34 offset:10240
	ds_load_b32 v86, v35 offset:12288
	ds_load_b32 v85, v36 offset:14336
	ds_load_b32 v84, v37 offset:16384
	ds_load_b32 v83, v38 offset:18432
	ds_load_b32 v82, v39 offset:20480
	ds_load_b32 v81, v40 offset:22528
	ds_load_b32 v80, v42 offset:24576
	ds_load_b32 v79, v43 offset:26624
	ds_load_b32 v78, v44 offset:28672
	ds_load_b32 v0, v45 offset:30720
	s_wait_loadcnt_dscnt 0x0
	s_barrier_signal -1
	v_add_nc_u32_e32 v3, v6, v12
	s_barrier_wait -1
	global_inv scope:SCOPE_SE
	v_add_nc_u32_e32 v7, v3, v13
	s_delay_alu instid0(VALU_DEP_1) | instskip(NEXT) | instid1(VALU_DEP_1)
	v_add_nc_u32_e32 v4, v7, v4
	v_add_nc_u32_e32 v5, v4, v5
	s_delay_alu instid0(VALU_DEP_1)
	v_add_nc_u32_e32 v2, v5, v2
	ds_store_2addr_b32 v28, v22, v23 offset1:1
	ds_store_2addr_b32 v28, v91, v92 offset0:2 offset1:3
	ds_store_2addr_b32 v28, v93, v94 offset0:4 offset1:5
	;; [unrolled: 1-line block ×7, first 2 shown]
	s_wait_loadcnt_dscnt 0x0
	s_barrier_signal -1
	s_barrier_wait -1
	global_inv scope:SCOPE_SE
	ds_load_b32 v16, v30 offset:2048
	ds_load_b32 v15, v31 offset:4096
	;; [unrolled: 1-line block ×15, first 2 shown]
	v_cmpx_ne_u32_e32 0, v99
	s_cbranch_execz .LBB912_38
; %bb.36:                               ;   in Loop: Header=BB912_6 Depth=1
	ds_load_b32 v22, v29
	s_wait_dscnt 0x0
	v_ashrrev_i32_e32 v23, 31, v22
	s_delay_alu instid0(VALU_DEP_1)
	v_cmp_gt_i64_e32 vcc_lo, s[16:17], v[22:23]
	s_and_b32 exec_lo, exec_lo, vcc_lo
	s_cbranch_execz .LBB912_38
; %bb.37:                               ;   in Loop: Header=BB912_6 Depth=1
	v_lshlrev_b64_e32 v[22:23], 3, v[22:23]
	s_delay_alu instid0(VALU_DEP_1) | instskip(SKIP_1) | instid1(VALU_DEP_2)
	v_add_co_u32 v22, vcc_lo, s14, v22
	s_wait_alu 0xfffd
	v_add_co_ci_u32_e64 v23, null, s15, v23, vcc_lo
	global_store_b64 v[22:23], v[18:19], off
.LBB912_38:                             ;   in Loop: Header=BB912_6 Depth=1
	s_wait_alu 0xfffe
	s_or_b32 exec_lo, exec_lo, s18
	s_delay_alu instid0(SALU_CYCLE_1)
	s_mov_b32 s18, exec_lo
	v_cmpx_ne_u32_e32 0, v17
	s_cbranch_execz .LBB912_41
; %bb.39:                               ;   in Loop: Header=BB912_6 Depth=1
	s_wait_dscnt 0xe
	v_ashrrev_i32_e32 v17, 31, v16
	s_delay_alu instid0(VALU_DEP_1)
	v_cmp_gt_i64_e32 vcc_lo, s[16:17], v[16:17]
	s_and_b32 exec_lo, exec_lo, vcc_lo
	s_cbranch_execz .LBB912_41
; %bb.40:                               ;   in Loop: Header=BB912_6 Depth=1
	s_load_b32 s19, s[0:1], 0xc
	v_lshlrev_b64_e32 v[16:17], 3, v[16:17]
	s_wait_kmcnt 0x0
	s_and_b32 s19, s19, 0xffff
	s_wait_alu 0xfffe
	v_add_co_u32 v22, vcc_lo, v18, s19
	s_wait_alu 0xfffd
	v_add_co_ci_u32_e64 v23, null, 0, v19, vcc_lo
	v_add_co_u32 v16, vcc_lo, s14, v16
	s_wait_alu 0xfffd
	v_add_co_ci_u32_e64 v17, null, s15, v17, vcc_lo
	global_store_b64 v[16:17], v[22:23], off
.LBB912_41:                             ;   in Loop: Header=BB912_6 Depth=1
	s_wait_alu 0xfffe
	s_or_b32 exec_lo, exec_lo, s18
	s_delay_alu instid0(SALU_CYCLE_1)
	s_mov_b32 s18, exec_lo
	v_cmpx_ne_u32_e32 0, v90
	s_cbranch_execz .LBB912_44
; %bb.42:                               ;   in Loop: Header=BB912_6 Depth=1
	s_wait_dscnt 0xd
	v_ashrrev_i32_e32 v16, 31, v15
	s_delay_alu instid0(VALU_DEP_1)
	v_cmp_gt_i64_e32 vcc_lo, s[16:17], v[15:16]
	s_and_b32 exec_lo, exec_lo, vcc_lo
	s_cbranch_execz .LBB912_44
; %bb.43:                               ;   in Loop: Header=BB912_6 Depth=1
	s_load_b32 s19, s[0:1], 0xc
	v_lshlrev_b64_e32 v[15:16], 3, v[15:16]
	s_wait_kmcnt 0x0
	s_and_b32 s19, s19, 0xffff
	s_wait_alu 0xfffe
	s_lshl_b32 s19, s19, 1
	s_wait_alu 0xfffe
	v_add_co_u32 v22, vcc_lo, v18, s19
	s_wait_alu 0xfffd
	v_add_co_ci_u32_e64 v23, null, 0, v19, vcc_lo
	v_add_co_u32 v15, vcc_lo, s14, v15
	s_wait_alu 0xfffd
	v_add_co_ci_u32_e64 v16, null, s15, v16, vcc_lo
	global_store_b64 v[15:16], v[22:23], off
.LBB912_44:                             ;   in Loop: Header=BB912_6 Depth=1
	s_wait_alu 0xfffe
	s_or_b32 exec_lo, exec_lo, s18
	s_delay_alu instid0(SALU_CYCLE_1)
	s_mov_b32 s18, exec_lo
	v_cmpx_ne_u32_e32 0, v89
	s_cbranch_execz .LBB912_47
; %bb.45:                               ;   in Loop: Header=BB912_6 Depth=1
	s_wait_dscnt 0xc
	v_ashrrev_i32_e32 v15, 31, v14
	s_delay_alu instid0(VALU_DEP_1)
	v_cmp_gt_i64_e32 vcc_lo, s[16:17], v[14:15]
	s_and_b32 exec_lo, exec_lo, vcc_lo
	s_cbranch_execz .LBB912_47
; %bb.46:                               ;   in Loop: Header=BB912_6 Depth=1
	s_load_b32 s19, s[0:1], 0xc
	v_lshlrev_b64_e32 v[14:15], 3, v[14:15]
	s_wait_kmcnt 0x0
	s_and_b32 s19, s19, 0xffff
	s_wait_alu 0xfffe
	s_mul_i32 s19, s19, 3
	s_wait_alu 0xfffe
	v_add_co_u32 v16, vcc_lo, v18, s19
	s_wait_alu 0xfffd
	v_add_co_ci_u32_e64 v17, null, 0, v19, vcc_lo
	v_add_co_u32 v14, vcc_lo, s14, v14
	s_wait_alu 0xfffd
	v_add_co_ci_u32_e64 v15, null, s15, v15, vcc_lo
	global_store_b64 v[14:15], v[16:17], off
.LBB912_47:                             ;   in Loop: Header=BB912_6 Depth=1
	s_wait_alu 0xfffe
	s_or_b32 exec_lo, exec_lo, s18
	s_delay_alu instid0(SALU_CYCLE_1)
	s_mov_b32 s18, exec_lo
	v_cmpx_ne_u32_e32 0, v88
	s_cbranch_execz .LBB912_50
; %bb.48:                               ;   in Loop: Header=BB912_6 Depth=1
	s_wait_dscnt 0xb
	v_ashrrev_i32_e32 v14, 31, v13
	s_delay_alu instid0(VALU_DEP_1)
	v_cmp_gt_i64_e32 vcc_lo, s[16:17], v[13:14]
	s_and_b32 exec_lo, exec_lo, vcc_lo
	s_cbranch_execz .LBB912_50
; %bb.49:                               ;   in Loop: Header=BB912_6 Depth=1
	s_load_b32 s19, s[0:1], 0xc
	v_lshlrev_b64_e32 v[13:14], 3, v[13:14]
	s_wait_kmcnt 0x0
	s_and_b32 s19, s19, 0xffff
	s_wait_alu 0xfffe
	s_lshl_b32 s19, s19, 2
	s_wait_alu 0xfffe
	v_add_co_u32 v15, vcc_lo, v18, s19
	s_wait_alu 0xfffd
	v_add_co_ci_u32_e64 v16, null, 0, v19, vcc_lo
	v_add_co_u32 v13, vcc_lo, s14, v13
	s_wait_alu 0xfffd
	v_add_co_ci_u32_e64 v14, null, s15, v14, vcc_lo
	global_store_b64 v[13:14], v[15:16], off
.LBB912_50:                             ;   in Loop: Header=BB912_6 Depth=1
	s_wait_alu 0xfffe
	s_or_b32 exec_lo, exec_lo, s18
	s_delay_alu instid0(SALU_CYCLE_1)
	s_mov_b32 s18, exec_lo
	v_cmpx_ne_u32_e32 0, v87
	s_cbranch_execz .LBB912_53
; %bb.51:                               ;   in Loop: Header=BB912_6 Depth=1
	s_wait_dscnt 0xa
	v_ashrrev_i32_e32 v13, 31, v12
	s_delay_alu instid0(VALU_DEP_1)
	v_cmp_gt_i64_e32 vcc_lo, s[16:17], v[12:13]
	s_and_b32 exec_lo, exec_lo, vcc_lo
	s_cbranch_execz .LBB912_53
; %bb.52:                               ;   in Loop: Header=BB912_6 Depth=1
	s_load_b32 s19, s[0:1], 0xc
	v_lshlrev_b64_e32 v[12:13], 3, v[12:13]
	s_wait_kmcnt 0x0
	s_and_b32 s19, s19, 0xffff
	s_wait_alu 0xfffe
	s_mul_i32 s19, s19, 5
	s_wait_alu 0xfffe
	v_add_co_u32 v14, vcc_lo, v18, s19
	s_wait_alu 0xfffd
	v_add_co_ci_u32_e64 v15, null, 0, v19, vcc_lo
	v_add_co_u32 v12, vcc_lo, s14, v12
	s_wait_alu 0xfffd
	v_add_co_ci_u32_e64 v13, null, s15, v13, vcc_lo
	global_store_b64 v[12:13], v[14:15], off
.LBB912_53:                             ;   in Loop: Header=BB912_6 Depth=1
	s_wait_alu 0xfffe
	s_or_b32 exec_lo, exec_lo, s18
	s_delay_alu instid0(SALU_CYCLE_1)
	s_mov_b32 s18, exec_lo
	v_cmpx_ne_u32_e32 0, v86
	s_cbranch_execz .LBB912_56
; %bb.54:                               ;   in Loop: Header=BB912_6 Depth=1
	s_wait_dscnt 0x9
	v_ashrrev_i32_e32 v12, 31, v11
	s_delay_alu instid0(VALU_DEP_1)
	v_cmp_gt_i64_e32 vcc_lo, s[16:17], v[11:12]
	s_and_b32 exec_lo, exec_lo, vcc_lo
	s_cbranch_execz .LBB912_56
; %bb.55:                               ;   in Loop: Header=BB912_6 Depth=1
	s_load_b32 s19, s[0:1], 0xc
	v_lshlrev_b64_e32 v[11:12], 3, v[11:12]
	s_wait_kmcnt 0x0
	s_and_b32 s19, s19, 0xffff
	s_wait_alu 0xfffe
	s_mul_i32 s19, s19, 6
	s_wait_alu 0xfffe
	v_add_co_u32 v13, vcc_lo, v18, s19
	s_wait_alu 0xfffd
	v_add_co_ci_u32_e64 v14, null, 0, v19, vcc_lo
	v_add_co_u32 v11, vcc_lo, s14, v11
	s_wait_alu 0xfffd
	v_add_co_ci_u32_e64 v12, null, s15, v12, vcc_lo
	global_store_b64 v[11:12], v[13:14], off
.LBB912_56:                             ;   in Loop: Header=BB912_6 Depth=1
	;; [unrolled: 29-line block ×3, first 2 shown]
	s_wait_alu 0xfffe
	s_or_b32 exec_lo, exec_lo, s18
	s_delay_alu instid0(SALU_CYCLE_1)
	s_mov_b32 s18, exec_lo
	v_cmpx_ne_u32_e32 0, v84
	s_cbranch_execz .LBB912_62
; %bb.60:                               ;   in Loop: Header=BB912_6 Depth=1
	s_wait_dscnt 0x7
	v_ashrrev_i32_e32 v10, 31, v9
	s_delay_alu instid0(VALU_DEP_1)
	v_cmp_gt_i64_e32 vcc_lo, s[16:17], v[9:10]
	s_and_b32 exec_lo, exec_lo, vcc_lo
	s_cbranch_execz .LBB912_62
; %bb.61:                               ;   in Loop: Header=BB912_6 Depth=1
	s_load_b32 s19, s[0:1], 0xc
	v_lshlrev_b64_e32 v[9:10], 3, v[9:10]
	s_wait_kmcnt 0x0
	s_and_b32 s19, s19, 0xffff
	s_wait_alu 0xfffe
	s_lshl_b32 s19, s19, 3
	s_wait_alu 0xfffe
	v_add_co_u32 v11, vcc_lo, v18, s19
	s_wait_alu 0xfffd
	v_add_co_ci_u32_e64 v12, null, 0, v19, vcc_lo
	v_add_co_u32 v9, vcc_lo, s14, v9
	s_wait_alu 0xfffd
	v_add_co_ci_u32_e64 v10, null, s15, v10, vcc_lo
	global_store_b64 v[9:10], v[11:12], off
.LBB912_62:                             ;   in Loop: Header=BB912_6 Depth=1
	s_wait_alu 0xfffe
	s_or_b32 exec_lo, exec_lo, s18
	s_delay_alu instid0(SALU_CYCLE_1)
	s_mov_b32 s18, exec_lo
	v_cmpx_ne_u32_e32 0, v83
	s_cbranch_execz .LBB912_65
; %bb.63:                               ;   in Loop: Header=BB912_6 Depth=1
	s_wait_dscnt 0x6
	v_ashrrev_i32_e32 v9, 31, v8
	s_delay_alu instid0(VALU_DEP_1)
	v_cmp_gt_i64_e32 vcc_lo, s[16:17], v[8:9]
	s_and_b32 exec_lo, exec_lo, vcc_lo
	s_cbranch_execz .LBB912_65
; %bb.64:                               ;   in Loop: Header=BB912_6 Depth=1
	s_load_b32 s19, s[0:1], 0xc
	v_lshlrev_b64_e32 v[8:9], 3, v[8:9]
	s_wait_kmcnt 0x0
	s_and_b32 s19, s19, 0xffff
	s_wait_alu 0xfffe
	s_mul_i32 s19, s19, 9
	s_wait_alu 0xfffe
	v_add_co_u32 v10, vcc_lo, v18, s19
	s_wait_alu 0xfffd
	v_add_co_ci_u32_e64 v11, null, 0, v19, vcc_lo
	v_add_co_u32 v8, vcc_lo, s14, v8
	s_wait_alu 0xfffd
	v_add_co_ci_u32_e64 v9, null, s15, v9, vcc_lo
	global_store_b64 v[8:9], v[10:11], off
.LBB912_65:                             ;   in Loop: Header=BB912_6 Depth=1
	s_wait_alu 0xfffe
	s_or_b32 exec_lo, exec_lo, s18
	s_delay_alu instid0(SALU_CYCLE_1)
	s_mov_b32 s18, exec_lo
	v_cmpx_ne_u32_e32 0, v82
	s_cbranch_execz .LBB912_68
; %bb.66:                               ;   in Loop: Header=BB912_6 Depth=1
	s_wait_dscnt 0x5
	v_ashrrev_i32_e32 v8, 31, v7
	s_delay_alu instid0(VALU_DEP_1)
	v_cmp_gt_i64_e32 vcc_lo, s[16:17], v[7:8]
	s_and_b32 exec_lo, exec_lo, vcc_lo
	s_cbranch_execz .LBB912_68
; %bb.67:                               ;   in Loop: Header=BB912_6 Depth=1
	s_load_b32 s19, s[0:1], 0xc
	v_lshlrev_b64_e32 v[7:8], 3, v[7:8]
	s_wait_kmcnt 0x0
	s_and_b32 s19, s19, 0xffff
	s_wait_alu 0xfffe
	s_mul_i32 s19, s19, 10
	s_wait_alu 0xfffe
	v_add_co_u32 v9, vcc_lo, v18, s19
	s_wait_alu 0xfffd
	v_add_co_ci_u32_e64 v10, null, 0, v19, vcc_lo
	v_add_co_u32 v7, vcc_lo, s14, v7
	s_wait_alu 0xfffd
	v_add_co_ci_u32_e64 v8, null, s15, v8, vcc_lo
	global_store_b64 v[7:8], v[9:10], off
.LBB912_68:                             ;   in Loop: Header=BB912_6 Depth=1
	;; [unrolled: 29-line block ×7, first 2 shown]
	s_wait_alu 0xfffe
	s_or_b32 exec_lo, exec_lo, s18
	ds_load_b32 v0, v1 offset:33792
	v_cmp_lt_i64_e64 s22, 0x2000, s[12:13]
	s_wait_dscnt 0x0
	v_readfirstlane_b32 s18, v0
	s_ashr_i32 s19, s18, 31
	s_wait_alu 0xfffe
	s_sub_nc_u64 s[16:17], s[16:17], s[18:19]
	s_wait_alu 0xfffe
	v_cmp_gt_i64_e64 s23, s[16:17], 0
	s_and_b32 s22, s22, s23
	s_wait_alu 0xfffe
	s_and_not1_b32 vcc_lo, exec_lo, s22
	s_wait_alu 0xfffe
	s_cbranch_vccz .LBB912_5
; %bb.84:
                                        ; implicit-def: $sgpr12_sgpr13
                                        ; implicit-def: $sgpr14_sgpr15
                                        ; implicit-def: $vgpr18_vgpr19
                                        ; implicit-def: $sgpr26
                                        ; implicit-def: $vgpr20_vgpr21
	s_branch .LBB912_100
.LBB912_85:                             ;   in Loop: Header=BB912_6 Depth=1
	global_load_b32 v0, v[20:21], off
	v_dual_mov_b32 v14, v1 :: v_dual_mov_b32 v15, v1
	v_dual_mov_b32 v2, v1 :: v_dual_mov_b32 v3, v1
	;; [unrolled: 1-line block ×7, first 2 shown]
	s_wait_loadcnt 0x0
	v_mov_b32_e32 v17, v15
	s_delay_alu instid0(VALU_DEP_2) | instskip(NEXT) | instid1(VALU_DEP_3)
	v_dual_mov_b32 v16, v14 :: v_dual_mov_b32 v15, v13
	v_mov_b32_e32 v14, v12
	v_mov_b32_e32 v13, v11
	;; [unrolled: 1-line block ×12, first 2 shown]
	v_cmp_neq_f32_e32 vcc_lo, 0, v0
	v_mov_b32_e32 v2, v0
	s_wait_alu 0xfffd
	v_cndmask_b32_e64 v0, 0, 1, vcc_lo
	s_wait_alu 0xfffe
	s_or_b32 exec_lo, exec_lo, s18
	s_delay_alu instid0(SALU_CYCLE_1)
	s_mov_b32 s18, exec_lo
	v_cmpx_gt_u32_e64 s12, v46
	s_cbranch_execz .LBB912_9
.LBB912_86:                             ;   in Loop: Header=BB912_6 Depth=1
	global_load_b32 v2, v[20:21], off offset:128
	s_wait_loadcnt 0x0
	v_cmp_neq_f32_e32 vcc_lo, 0, v2
	s_wait_alu 0xfffd
	v_cndmask_b32_e64 v3, 0, 1, vcc_lo
	s_wait_alu 0xfffe
	s_or_b32 exec_lo, exec_lo, s18
	s_delay_alu instid0(SALU_CYCLE_1)
	s_mov_b32 s18, exec_lo
	v_cmpx_gt_u32_e64 s12, v47
	s_cbranch_execz .LBB912_10
.LBB912_87:                             ;   in Loop: Header=BB912_6 Depth=1
	global_load_b32 v2, v[20:21], off offset:256
	s_wait_loadcnt 0x0
	v_cmp_neq_f32_e32 vcc_lo, 0, v2
	s_wait_alu 0xfffd
	v_cndmask_b32_e64 v4, 0, 1, vcc_lo
	s_wait_alu 0xfffe
	s_or_b32 exec_lo, exec_lo, s18
	s_delay_alu instid0(SALU_CYCLE_1)
	s_mov_b32 s18, exec_lo
	v_cmpx_gt_u32_e64 s12, v48
	s_cbranch_execz .LBB912_11
.LBB912_88:                             ;   in Loop: Header=BB912_6 Depth=1
	global_load_b32 v2, v[20:21], off offset:384
	s_wait_loadcnt 0x0
	v_cmp_neq_f32_e32 vcc_lo, 0, v2
	s_wait_alu 0xfffd
	v_cndmask_b32_e64 v5, 0, 1, vcc_lo
	s_wait_alu 0xfffe
	s_or_b32 exec_lo, exec_lo, s18
	s_delay_alu instid0(SALU_CYCLE_1)
	s_mov_b32 s18, exec_lo
	v_cmpx_gt_u32_e64 s12, v49
	s_cbranch_execz .LBB912_12
.LBB912_89:                             ;   in Loop: Header=BB912_6 Depth=1
	global_load_b32 v2, v[20:21], off offset:512
	s_wait_loadcnt 0x0
	v_cmp_neq_f32_e32 vcc_lo, 0, v2
	s_wait_alu 0xfffd
	v_cndmask_b32_e64 v6, 0, 1, vcc_lo
	s_wait_alu 0xfffe
	s_or_b32 exec_lo, exec_lo, s18
	s_delay_alu instid0(SALU_CYCLE_1)
	s_mov_b32 s18, exec_lo
	v_cmpx_gt_u32_e64 s12, v50
	s_cbranch_execz .LBB912_13
.LBB912_90:                             ;   in Loop: Header=BB912_6 Depth=1
	global_load_b32 v2, v[20:21], off offset:640
	s_wait_loadcnt 0x0
	v_cmp_neq_f32_e32 vcc_lo, 0, v2
	s_wait_alu 0xfffd
	v_cndmask_b32_e64 v7, 0, 1, vcc_lo
	s_wait_alu 0xfffe
	s_or_b32 exec_lo, exec_lo, s18
	s_delay_alu instid0(SALU_CYCLE_1)
	s_mov_b32 s18, exec_lo
	v_cmpx_gt_u32_e64 s12, v51
	s_cbranch_execz .LBB912_14
.LBB912_91:                             ;   in Loop: Header=BB912_6 Depth=1
	global_load_b32 v2, v[20:21], off offset:768
	s_wait_loadcnt 0x0
	v_cmp_neq_f32_e32 vcc_lo, 0, v2
	s_wait_alu 0xfffd
	v_cndmask_b32_e64 v8, 0, 1, vcc_lo
	s_wait_alu 0xfffe
	s_or_b32 exec_lo, exec_lo, s18
	s_delay_alu instid0(SALU_CYCLE_1)
	s_mov_b32 s18, exec_lo
	v_cmpx_gt_u32_e64 s12, v52
	s_cbranch_execz .LBB912_15
.LBB912_92:                             ;   in Loop: Header=BB912_6 Depth=1
	global_load_b32 v2, v[20:21], off offset:896
	s_wait_loadcnt 0x0
	v_cmp_neq_f32_e32 vcc_lo, 0, v2
	s_wait_alu 0xfffd
	v_cndmask_b32_e64 v9, 0, 1, vcc_lo
	s_wait_alu 0xfffe
	s_or_b32 exec_lo, exec_lo, s18
	s_delay_alu instid0(SALU_CYCLE_1)
	s_mov_b32 s18, exec_lo
	v_cmpx_gt_u32_e64 s12, v53
	s_cbranch_execz .LBB912_16
.LBB912_93:                             ;   in Loop: Header=BB912_6 Depth=1
	global_load_b32 v2, v[20:21], off offset:1024
	s_wait_loadcnt 0x0
	v_cmp_neq_f32_e32 vcc_lo, 0, v2
	s_wait_alu 0xfffd
	v_cndmask_b32_e64 v10, 0, 1, vcc_lo
	s_wait_alu 0xfffe
	s_or_b32 exec_lo, exec_lo, s18
	s_delay_alu instid0(SALU_CYCLE_1)
	s_mov_b32 s18, exec_lo
	v_cmpx_gt_u32_e64 s12, v54
	s_cbranch_execz .LBB912_17
.LBB912_94:                             ;   in Loop: Header=BB912_6 Depth=1
	global_load_b32 v2, v[20:21], off offset:1152
	s_wait_loadcnt 0x0
	v_cmp_neq_f32_e32 vcc_lo, 0, v2
	s_wait_alu 0xfffd
	v_cndmask_b32_e64 v11, 0, 1, vcc_lo
	s_wait_alu 0xfffe
	s_or_b32 exec_lo, exec_lo, s18
	s_delay_alu instid0(SALU_CYCLE_1)
	s_mov_b32 s18, exec_lo
	v_cmpx_gt_u32_e64 s12, v55
	s_cbranch_execz .LBB912_18
.LBB912_95:                             ;   in Loop: Header=BB912_6 Depth=1
	global_load_b32 v2, v[20:21], off offset:1280
	s_wait_loadcnt 0x0
	v_cmp_neq_f32_e32 vcc_lo, 0, v2
	s_wait_alu 0xfffd
	v_cndmask_b32_e64 v12, 0, 1, vcc_lo
	s_wait_alu 0xfffe
	s_or_b32 exec_lo, exec_lo, s18
	s_delay_alu instid0(SALU_CYCLE_1)
	s_mov_b32 s18, exec_lo
	v_cmpx_gt_u32_e64 s12, v56
	s_cbranch_execz .LBB912_19
.LBB912_96:                             ;   in Loop: Header=BB912_6 Depth=1
	global_load_b32 v2, v[20:21], off offset:1408
	s_wait_loadcnt 0x0
	v_cmp_neq_f32_e32 vcc_lo, 0, v2
	s_wait_alu 0xfffd
	v_cndmask_b32_e64 v13, 0, 1, vcc_lo
	s_wait_alu 0xfffe
	s_or_b32 exec_lo, exec_lo, s18
	s_delay_alu instid0(SALU_CYCLE_1)
	s_mov_b32 s18, exec_lo
	v_cmpx_gt_u32_e64 s12, v57
	s_cbranch_execz .LBB912_20
.LBB912_97:                             ;   in Loop: Header=BB912_6 Depth=1
	global_load_b32 v2, v[20:21], off offset:1536
	s_wait_loadcnt 0x0
	v_cmp_neq_f32_e32 vcc_lo, 0, v2
	s_wait_alu 0xfffd
	v_cndmask_b32_e64 v14, 0, 1, vcc_lo
	s_wait_alu 0xfffe
	s_or_b32 exec_lo, exec_lo, s18
	s_delay_alu instid0(SALU_CYCLE_1)
	s_mov_b32 s18, exec_lo
	v_cmpx_gt_u32_e64 s12, v58
	s_cbranch_execz .LBB912_21
.LBB912_98:                             ;   in Loop: Header=BB912_6 Depth=1
	global_load_b32 v2, v[20:21], off offset:1664
	s_wait_loadcnt 0x0
	v_cmp_neq_f32_e32 vcc_lo, 0, v2
	s_wait_alu 0xfffd
	v_cndmask_b32_e64 v15, 0, 1, vcc_lo
	s_wait_alu 0xfffe
	s_or_b32 exec_lo, exec_lo, s18
	s_delay_alu instid0(SALU_CYCLE_1)
	s_mov_b32 s18, exec_lo
	v_cmpx_gt_u32_e64 s12, v59
	s_cbranch_execz .LBB912_22
.LBB912_99:                             ;   in Loop: Header=BB912_6 Depth=1
	global_load_b32 v2, v[20:21], off offset:1792
	s_wait_loadcnt 0x0
	v_cmp_neq_f32_e32 vcc_lo, 0, v2
	s_wait_alu 0xfffd
	v_cndmask_b32_e64 v16, 0, 1, vcc_lo
	s_wait_alu 0xfffe
	s_or_b32 exec_lo, exec_lo, s18
	s_delay_alu instid0(SALU_CYCLE_1)
	s_mov_b32 s18, exec_lo
	v_cmpx_gt_u32_e64 s12, v60
	s_cbranch_execnz .LBB912_23
	s_branch .LBB912_24
.LBB912_100:
	s_nop 0
	s_sendmsg sendmsg(MSG_DEALLOC_VGPRS)
	s_endpgm
	.section	.rodata,"a",@progbits
	.p2align	6, 0x0
	.amdhsa_kernel _ZN2at6native12_GLOBAL__N_111flag_kernelILi512ELi16EfEEvPKT1_PlPKllli
		.amdhsa_group_segment_fixed_size 33796
		.amdhsa_private_segment_fixed_size 0
		.amdhsa_kernarg_size 304
		.amdhsa_user_sgpr_count 2
		.amdhsa_user_sgpr_dispatch_ptr 0
		.amdhsa_user_sgpr_queue_ptr 0
		.amdhsa_user_sgpr_kernarg_segment_ptr 1
		.amdhsa_user_sgpr_dispatch_id 0
		.amdhsa_user_sgpr_private_segment_size 0
		.amdhsa_wavefront_size32 1
		.amdhsa_uses_dynamic_stack 0
		.amdhsa_enable_private_segment 0
		.amdhsa_system_sgpr_workgroup_id_x 1
		.amdhsa_system_sgpr_workgroup_id_y 0
		.amdhsa_system_sgpr_workgroup_id_z 0
		.amdhsa_system_sgpr_workgroup_info 0
		.amdhsa_system_vgpr_workitem_id 0
		.amdhsa_next_free_vgpr 100
		.amdhsa_next_free_sgpr 27
		.amdhsa_reserve_vcc 1
		.amdhsa_float_round_mode_32 0
		.amdhsa_float_round_mode_16_64 0
		.amdhsa_float_denorm_mode_32 3
		.amdhsa_float_denorm_mode_16_64 3
		.amdhsa_fp16_overflow 0
		.amdhsa_workgroup_processor_mode 1
		.amdhsa_memory_ordered 1
		.amdhsa_forward_progress 1
		.amdhsa_inst_pref_size 57
		.amdhsa_round_robin_scheduling 0
		.amdhsa_exception_fp_ieee_invalid_op 0
		.amdhsa_exception_fp_denorm_src 0
		.amdhsa_exception_fp_ieee_div_zero 0
		.amdhsa_exception_fp_ieee_overflow 0
		.amdhsa_exception_fp_ieee_underflow 0
		.amdhsa_exception_fp_ieee_inexact 0
		.amdhsa_exception_int_div_zero 0
	.end_amdhsa_kernel
	.section	.text._ZN2at6native12_GLOBAL__N_111flag_kernelILi512ELi16EfEEvPKT1_PlPKllli,"axG",@progbits,_ZN2at6native12_GLOBAL__N_111flag_kernelILi512ELi16EfEEvPKT1_PlPKllli,comdat
.Lfunc_end912:
	.size	_ZN2at6native12_GLOBAL__N_111flag_kernelILi512ELi16EfEEvPKT1_PlPKllli, .Lfunc_end912-_ZN2at6native12_GLOBAL__N_111flag_kernelILi512ELi16EfEEvPKT1_PlPKllli
                                        ; -- End function
	.set _ZN2at6native12_GLOBAL__N_111flag_kernelILi512ELi16EfEEvPKT1_PlPKllli.num_vgpr, 100
	.set _ZN2at6native12_GLOBAL__N_111flag_kernelILi512ELi16EfEEvPKT1_PlPKllli.num_agpr, 0
	.set _ZN2at6native12_GLOBAL__N_111flag_kernelILi512ELi16EfEEvPKT1_PlPKllli.numbered_sgpr, 27
	.set _ZN2at6native12_GLOBAL__N_111flag_kernelILi512ELi16EfEEvPKT1_PlPKllli.num_named_barrier, 0
	.set _ZN2at6native12_GLOBAL__N_111flag_kernelILi512ELi16EfEEvPKT1_PlPKllli.private_seg_size, 0
	.set _ZN2at6native12_GLOBAL__N_111flag_kernelILi512ELi16EfEEvPKT1_PlPKllli.uses_vcc, 1
	.set _ZN2at6native12_GLOBAL__N_111flag_kernelILi512ELi16EfEEvPKT1_PlPKllli.uses_flat_scratch, 0
	.set _ZN2at6native12_GLOBAL__N_111flag_kernelILi512ELi16EfEEvPKT1_PlPKllli.has_dyn_sized_stack, 0
	.set _ZN2at6native12_GLOBAL__N_111flag_kernelILi512ELi16EfEEvPKT1_PlPKllli.has_recursion, 0
	.set _ZN2at6native12_GLOBAL__N_111flag_kernelILi512ELi16EfEEvPKT1_PlPKllli.has_indirect_call, 0
	.section	.AMDGPU.csdata,"",@progbits
; Kernel info:
; codeLenInByte = 7220
; TotalNumSgprs: 29
; NumVgprs: 100
; ScratchSize: 0
; MemoryBound: 0
; FloatMode: 240
; IeeeMode: 1
; LDSByteSize: 33796 bytes/workgroup (compile time only)
; SGPRBlocks: 0
; VGPRBlocks: 12
; NumSGPRsForWavesPerEU: 29
; NumVGPRsForWavesPerEU: 100
; Occupancy: 12
; WaveLimiterHint : 1
; COMPUTE_PGM_RSRC2:SCRATCH_EN: 0
; COMPUTE_PGM_RSRC2:USER_SGPR: 2
; COMPUTE_PGM_RSRC2:TRAP_HANDLER: 0
; COMPUTE_PGM_RSRC2:TGID_X_EN: 1
; COMPUTE_PGM_RSRC2:TGID_Y_EN: 0
; COMPUTE_PGM_RSRC2:TGID_Z_EN: 0
; COMPUTE_PGM_RSRC2:TIDIG_COMP_CNT: 0
	.section	.text._ZN2at4cuda3cub15calc_block_sumsILi512ELi16ELb1EN3c107complexIdEEiEEvPKT2_PT3_li,"axG",@progbits,_ZN2at4cuda3cub15calc_block_sumsILi512ELi16ELb1EN3c107complexIdEEiEEvPKT2_PT3_li,comdat
	.protected	_ZN2at4cuda3cub15calc_block_sumsILi512ELi16ELb1EN3c107complexIdEEiEEvPKT2_PT3_li ; -- Begin function _ZN2at4cuda3cub15calc_block_sumsILi512ELi16ELb1EN3c107complexIdEEiEEvPKT2_PT3_li
	.globl	_ZN2at4cuda3cub15calc_block_sumsILi512ELi16ELb1EN3c107complexIdEEiEEvPKT2_PT3_li
	.p2align	8
	.type	_ZN2at4cuda3cub15calc_block_sumsILi512ELi16ELb1EN3c107complexIdEEiEEvPKT2_PT3_li,@function
_ZN2at4cuda3cub15calc_block_sumsILi512ELi16ELb1EN3c107complexIdEEiEEvPKT2_PT3_li: ; @_ZN2at4cuda3cub15calc_block_sumsILi512ELi16ELb1EN3c107complexIdEEiEEvPKT2_PT3_li
; %bb.0:
	s_load_b96 s[40:42], s[0:1], 0x10
	s_mov_b32 s34, ttmp9
	s_mov_b32 s35, 0
	s_wait_kmcnt 0x0
	s_lshl_b32 s2, s42, 13
	s_delay_alu instid0(SALU_CYCLE_1) | instskip(NEXT) | instid1(SALU_CYCLE_1)
	s_ashr_i32 s3, s2, 31
	s_mul_u64 s[2:3], s[2:3], s[34:35]
	s_delay_alu instid0(SALU_CYCLE_1) | instskip(NEXT) | instid1(SALU_CYCLE_1)
	s_sub_nc_u64 s[40:41], s[40:41], s[2:3]
	v_cmp_lt_i64_e64 s4, s[40:41], 1
	s_and_b32 vcc_lo, exec_lo, s4
	s_cbranch_vccnz .LBB913_58
; %bb.1:
	s_load_b128 s[36:39], s[0:1], 0x0
	s_mov_b32 s0, -1
	s_cmp_gt_i32 s42, 0
	s_mov_b32 s1, -1
	s_cbranch_scc1 .LBB913_3
; %bb.2:
	s_mov_b32 s1, 0
.LBB913_3:
	v_mov_b32_e32 v20, 0
	s_and_not1_b32 vcc_lo, exec_lo, s1
	s_cbranch_vccnz .LBB913_56
; %bb.4:
	v_lshrrev_b32_e32 v1, 3, v0
	s_lshl_b64 s[2:3], s[2:3], 4
	v_dual_mov_b32 v20, 0 :: v_dual_add_nc_u32 v21, 0x200, v0
	s_wait_kmcnt 0x0
	s_add_nc_u64 s[2:3], s[36:37], s[2:3]
	v_and_b32_e32 v36, 0x7c, v1
	v_lshlrev_b32_e32 v1, 4, v0
	v_or_b32_e32 v22, 0x400, v0
	v_add_nc_u32_e32 v23, 0x600, v0
	v_or_b32_e32 v24, 0x800, v0
	v_add_nc_u32_e32 v25, 0xa00, v0
	v_add_co_u32 v2, s1, s2, v1
	s_delay_alu instid0(VALU_DEP_1) | instskip(SKIP_1) | instid1(VALU_DEP_3)
	v_add_co_ci_u32_e64 v3, null, s3, 0, s1
	v_or_b32_e32 v26, 0xc00, v0
	v_add_co_u32 v18, vcc_lo, 0x1e008, v2
	v_add_nc_u32_e32 v27, 0xe00, v0
	v_or_b32_e32 v28, 0x1000, v0
	v_add_nc_u32_e32 v29, 0x1200, v0
	v_or_b32_e32 v30, 0x1400, v0
	;; [unrolled: 2-line block ×4, first 2 shown]
	v_add_nc_u32_e32 v35, 0x1e00, v0
	v_cmp_gt_u32_e64 s0, 32, v0
	v_mov_b32_e32 v1, 0
	v_add_co_ci_u32_e64 v19, null, 0, v3, vcc_lo
	v_mbcnt_lo_u32_b32 v37, -1, 0
	s_movk_i32 s36, 0xe000
	s_mov_b32 s37, -1
	s_branch .LBB913_6
.LBB913_5:                              ;   in Loop: Header=BB913_6 Depth=1
	v_add_nc_u32_e32 v20, v2, v20
	s_wait_alu 0xfffe
	s_and_not1_b32 vcc_lo, exec_lo, s2
	s_wait_alu 0xfffe
	s_cbranch_vccz .LBB913_52
.LBB913_6:                              ; =>This Inner Loop Header: Depth=1
	v_cmp_gt_i64_e64 s1, 0x2000, s[40:41]
                                        ; implicit-def: $vgpr2
	s_and_b32 vcc_lo, exec_lo, s1
	s_mov_b32 s1, -1
	s_wait_alu 0xfffe
	s_cbranch_vccz .LBB913_29
; %bb.7:                                ;   in Loop: Header=BB913_6 Depth=1
	v_mov_b32_e32 v16, v1
	v_dual_mov_b32 v2, v1 :: v_dual_mov_b32 v3, v1
	v_dual_mov_b32 v4, v1 :: v_dual_mov_b32 v5, v1
	;; [unrolled: 1-line block ×7, first 2 shown]
	v_mov_b32_e32 v17, v16
	s_delay_alu instid0(VALU_DEP_2) | instskip(NEXT) | instid1(VALU_DEP_3)
	v_mov_b32_e32 v16, v15
	v_mov_b32_e32 v15, v14
	;; [unrolled: 1-line block ×15, first 2 shown]
	s_mov_b32 s2, exec_lo
	v_cmpx_gt_u32_e64 s40, v0
	s_cbranch_execnz .LBB913_37
; %bb.8:                                ;   in Loop: Header=BB913_6 Depth=1
	s_wait_alu 0xfffe
	s_or_b32 exec_lo, exec_lo, s2
	s_delay_alu instid0(SALU_CYCLE_1)
	s_mov_b32 s2, exec_lo
	v_cmpx_gt_u32_e64 s40, v21
	s_cbranch_execnz .LBB913_38
.LBB913_9:                              ;   in Loop: Header=BB913_6 Depth=1
	s_wait_alu 0xfffe
	s_or_b32 exec_lo, exec_lo, s2
	s_delay_alu instid0(SALU_CYCLE_1)
	s_mov_b32 s2, exec_lo
	v_cmpx_gt_u32_e64 s40, v22
	s_cbranch_execnz .LBB913_39
.LBB913_10:                             ;   in Loop: Header=BB913_6 Depth=1
	s_wait_alu 0xfffe
	s_or_b32 exec_lo, exec_lo, s2
	s_delay_alu instid0(SALU_CYCLE_1)
	s_mov_b32 s2, exec_lo
	v_cmpx_gt_u32_e64 s40, v23
	s_cbranch_execnz .LBB913_40
.LBB913_11:                             ;   in Loop: Header=BB913_6 Depth=1
	s_wait_alu 0xfffe
	s_or_b32 exec_lo, exec_lo, s2
	s_delay_alu instid0(SALU_CYCLE_1)
	s_mov_b32 s2, exec_lo
	v_cmpx_gt_u32_e64 s40, v24
	s_cbranch_execnz .LBB913_41
.LBB913_12:                             ;   in Loop: Header=BB913_6 Depth=1
	s_wait_alu 0xfffe
	s_or_b32 exec_lo, exec_lo, s2
	s_delay_alu instid0(SALU_CYCLE_1)
	s_mov_b32 s2, exec_lo
	v_cmpx_gt_u32_e64 s40, v25
	s_cbranch_execnz .LBB913_42
.LBB913_13:                             ;   in Loop: Header=BB913_6 Depth=1
	s_wait_alu 0xfffe
	s_or_b32 exec_lo, exec_lo, s2
	s_delay_alu instid0(SALU_CYCLE_1)
	s_mov_b32 s2, exec_lo
	v_cmpx_gt_u32_e64 s40, v26
	s_cbranch_execnz .LBB913_43
.LBB913_14:                             ;   in Loop: Header=BB913_6 Depth=1
	s_wait_alu 0xfffe
	s_or_b32 exec_lo, exec_lo, s2
	s_delay_alu instid0(SALU_CYCLE_1)
	s_mov_b32 s2, exec_lo
	v_cmpx_gt_u32_e64 s40, v27
	s_cbranch_execnz .LBB913_44
.LBB913_15:                             ;   in Loop: Header=BB913_6 Depth=1
	s_wait_alu 0xfffe
	s_or_b32 exec_lo, exec_lo, s2
	s_delay_alu instid0(SALU_CYCLE_1)
	s_mov_b32 s2, exec_lo
	v_cmpx_gt_u32_e64 s40, v28
	s_cbranch_execnz .LBB913_45
.LBB913_16:                             ;   in Loop: Header=BB913_6 Depth=1
	s_wait_alu 0xfffe
	s_or_b32 exec_lo, exec_lo, s2
	s_delay_alu instid0(SALU_CYCLE_1)
	s_mov_b32 s2, exec_lo
	v_cmpx_gt_u32_e64 s40, v29
	s_cbranch_execnz .LBB913_46
.LBB913_17:                             ;   in Loop: Header=BB913_6 Depth=1
	s_wait_alu 0xfffe
	s_or_b32 exec_lo, exec_lo, s2
	s_delay_alu instid0(SALU_CYCLE_1)
	s_mov_b32 s2, exec_lo
	v_cmpx_gt_u32_e64 s40, v30
	s_cbranch_execnz .LBB913_47
.LBB913_18:                             ;   in Loop: Header=BB913_6 Depth=1
	s_wait_alu 0xfffe
	s_or_b32 exec_lo, exec_lo, s2
	s_delay_alu instid0(SALU_CYCLE_1)
	s_mov_b32 s2, exec_lo
	v_cmpx_gt_u32_e64 s40, v31
	s_cbranch_execnz .LBB913_48
.LBB913_19:                             ;   in Loop: Header=BB913_6 Depth=1
	s_wait_alu 0xfffe
	s_or_b32 exec_lo, exec_lo, s2
	s_delay_alu instid0(SALU_CYCLE_1)
	s_mov_b32 s2, exec_lo
	v_cmpx_gt_u32_e64 s40, v32
	s_cbranch_execnz .LBB913_49
.LBB913_20:                             ;   in Loop: Header=BB913_6 Depth=1
	s_wait_alu 0xfffe
	s_or_b32 exec_lo, exec_lo, s2
	s_delay_alu instid0(SALU_CYCLE_1)
	s_mov_b32 s2, exec_lo
	v_cmpx_gt_u32_e64 s40, v33
	s_cbranch_execnz .LBB913_50
.LBB913_21:                             ;   in Loop: Header=BB913_6 Depth=1
	s_wait_alu 0xfffe
	s_or_b32 exec_lo, exec_lo, s2
	s_delay_alu instid0(SALU_CYCLE_1)
	s_mov_b32 s2, exec_lo
	v_cmpx_gt_u32_e64 s40, v34
	s_cbranch_execnz .LBB913_51
.LBB913_22:                             ;   in Loop: Header=BB913_6 Depth=1
	s_wait_alu 0xfffe
	s_or_b32 exec_lo, exec_lo, s2
	s_delay_alu instid0(SALU_CYCLE_1)
	s_mov_b32 s2, exec_lo
	v_cmpx_gt_u32_e64 s40, v35
	s_cbranch_execz .LBB913_24
.LBB913_23:                             ;   in Loop: Header=BB913_6 Depth=1
	global_load_b128 v[38:41], v[18:19], off offset:-8
	s_wait_loadcnt 0x0
	v_cmp_neq_f64_e32 vcc_lo, 0, v[38:39]
	v_cmp_neq_f64_e64 s1, 0, v[40:41]
	s_or_b32 s1, vcc_lo, s1
	s_wait_alu 0xfffe
	v_cndmask_b32_e64 v17, 0, 1, s1
.LBB913_24:                             ;   in Loop: Header=BB913_6 Depth=1
	s_wait_alu 0xfffe
	s_or_b32 exec_lo, exec_lo, s2
	v_add_nc_u32_e32 v2, v3, v2
	s_mov_b32 s1, exec_lo
	s_barrier_signal -1
	s_barrier_wait -1
	s_delay_alu instid0(VALU_DEP_1) | instskip(SKIP_2) | instid1(VALU_DEP_1)
	v_add3_u32 v2, v2, v4, v5
	global_inv scope:SCOPE_SE
	v_add3_u32 v2, v2, v6, v7
	v_add3_u32 v2, v2, v8, v9
	s_delay_alu instid0(VALU_DEP_1) | instskip(NEXT) | instid1(VALU_DEP_1)
	v_add3_u32 v2, v2, v10, v11
	v_add3_u32 v2, v2, v12, v13
	s_delay_alu instid0(VALU_DEP_1) | instskip(NEXT) | instid1(VALU_DEP_1)
	;; [unrolled: 3-line block ×3, first 2 shown]
	v_mov_b32_dpp v3, v2 quad_perm:[1,0,3,2] row_mask:0xf bank_mask:0xf
	v_add_nc_u32_e32 v2, v2, v3
	s_delay_alu instid0(VALU_DEP_1) | instskip(NEXT) | instid1(VALU_DEP_1)
	v_mov_b32_dpp v3, v2 quad_perm:[2,3,0,1] row_mask:0xf bank_mask:0xf
	v_add_nc_u32_e32 v2, v2, v3
	s_delay_alu instid0(VALU_DEP_1) | instskip(NEXT) | instid1(VALU_DEP_1)
	v_mov_b32_dpp v3, v2 row_ror:4 row_mask:0xf bank_mask:0xf
	v_add_nc_u32_e32 v2, v2, v3
	s_delay_alu instid0(VALU_DEP_1) | instskip(NEXT) | instid1(VALU_DEP_1)
	v_mov_b32_dpp v3, v2 row_ror:8 row_mask:0xf bank_mask:0xf
	v_add_nc_u32_e32 v2, v2, v3
	ds_swizzle_b32 v3, v2 offset:swizzle(BROADCAST,32,15)
	s_wait_dscnt 0x0
	v_add_nc_u32_e32 v2, v2, v3
	ds_bpermute_b32 v2, v1, v2 offset:124
	v_cmpx_eq_u32_e32 0, v37
	s_cbranch_execz .LBB913_26
; %bb.25:                               ;   in Loop: Header=BB913_6 Depth=1
	s_wait_dscnt 0x0
	ds_store_b32 v36, v2
.LBB913_26:                             ;   in Loop: Header=BB913_6 Depth=1
	s_wait_alu 0xfffe
	s_or_b32 exec_lo, exec_lo, s1
	s_wait_loadcnt_dscnt 0x0
	s_barrier_signal -1
	s_barrier_wait -1
	global_inv scope:SCOPE_SE
	s_and_saveexec_b32 s1, s0
	s_cbranch_execz .LBB913_28
; %bb.27:                               ;   in Loop: Header=BB913_6 Depth=1
	v_and_b32_e32 v2, 15, v37
	s_delay_alu instid0(VALU_DEP_1)
	v_lshlrev_b32_e32 v3, 2, v2
	v_cmp_ne_u32_e32 vcc_lo, 15, v2
	ds_load_b32 v3, v3
	s_wait_alu 0xfffd
	v_add_co_ci_u32_e64 v4, null, 0, v37, vcc_lo
	v_cmp_gt_u32_e32 vcc_lo, 14, v2
	s_delay_alu instid0(VALU_DEP_2) | instskip(SKIP_3) | instid1(VALU_DEP_2)
	v_lshlrev_b32_e32 v4, 2, v4
	s_wait_alu 0xfffd
	v_cndmask_b32_e64 v5, 0, 2, vcc_lo
	v_cmp_gt_u32_e32 vcc_lo, 12, v2
	v_add_lshl_u32 v5, v5, v37, 2
	s_wait_alu 0xfffd
	v_cndmask_b32_e64 v2, 0, 4, vcc_lo
	s_delay_alu instid0(VALU_DEP_1)
	v_add_lshl_u32 v2, v2, v37, 2
	s_wait_dscnt 0x0
	ds_bpermute_b32 v4, v4, v3
	s_wait_dscnt 0x0
	v_add_nc_u32_e32 v3, v4, v3
	ds_bpermute_b32 v4, v5, v3
	s_wait_dscnt 0x0
	v_add_nc_u32_e32 v3, v4, v3
	v_lshlrev_b32_e32 v4, 2, v37
	ds_bpermute_b32 v2, v2, v3
	s_wait_dscnt 0x0
	v_add_nc_u32_e32 v2, v2, v3
	v_or_b32_e32 v3, 32, v4
	ds_bpermute_b32 v3, v3, v2
	s_wait_dscnt 0x0
	v_add_nc_u32_e32 v2, v3, v2
.LBB913_28:                             ;   in Loop: Header=BB913_6 Depth=1
	s_wait_alu 0xfffe
	s_or_b32 exec_lo, exec_lo, s1
	s_mov_b32 s1, 0
.LBB913_29:                             ;   in Loop: Header=BB913_6 Depth=1
	s_wait_alu 0xfffe
	s_and_b32 vcc_lo, exec_lo, s1
	s_wait_alu 0xfffe
	s_cbranch_vccz .LBB913_35
; %bb.30:                               ;   in Loop: Header=BB913_6 Depth=1
	s_clause 0xf
	global_load_b128 v[2:5], v[18:19], off offset:-122888
	global_load_b128 v[6:9], v[18:19], off offset:-106504
	;; [unrolled: 1-line block ×16, first 2 shown]
	s_wait_loadcnt 0x0
	s_barrier_signal -1
	s_barrier_wait -1
	global_inv scope:SCOPE_SE
	v_cmp_neq_f64_e32 vcc_lo, 0, v[2:3]
	v_cmp_neq_f64_e64 s1, 0, v[4:5]
	v_cmp_neq_f64_e64 s2, 0, v[6:7]
	;; [unrolled: 1-line block ×30, first 2 shown]
	s_or_b32 s1, vcc_lo, s1
	v_cmp_neq_f64_e32 vcc_lo, 0, v[84:85]
	s_wait_alu 0xfffe
	v_cndmask_b32_e64 v2, 0, 1, s1
	s_or_b32 s1, s2, s3
	s_wait_alu 0xfffe
	v_cndmask_b32_e64 v3, 0, 1, s1
	s_or_b32 s1, s4, s5
	s_wait_alu 0xfffe
	v_add_co_ci_u32_e64 v2, null, 0, v2, s1
	s_or_b32 s1, s6, s7
	s_wait_alu 0xfffe
	v_cndmask_b32_e64 v4, 0, 1, s1
	s_or_b32 s1, s8, s9
	s_wait_alu 0xfffe
	v_add_co_ci_u32_e64 v2, null, v2, v3, s1
	;; [unrolled: 6-line block ×5, first 2 shown]
	s_or_b32 s1, s22, s23
	s_or_b32 vcc_lo, s30, vcc_lo
	s_wait_alu 0xfffe
	v_cndmask_b32_e64 v4, 0, 1, s1
	s_or_b32 s1, s24, s25
	s_wait_alu 0xfffe
	v_add_co_ci_u32_e64 v2, null, v2, v3, s1
	s_or_b32 s1, s26, s27
	s_wait_alu 0xfffe
	v_cndmask_b32_e64 v3, 0, 1, s1
	s_or_b32 s1, s28, s29
	s_wait_alu 0xfffe
	v_add_co_ci_u32_e64 v2, null, v2, v4, s1
	s_mov_b32 s1, exec_lo
	v_add_co_ci_u32_e64 v2, null, v2, v3, vcc_lo
	s_delay_alu instid0(VALU_DEP_1) | instskip(NEXT) | instid1(VALU_DEP_1)
	v_mov_b32_dpp v3, v2 quad_perm:[1,0,3,2] row_mask:0xf bank_mask:0xf
	v_add_nc_u32_e32 v2, v3, v2
	s_delay_alu instid0(VALU_DEP_1) | instskip(NEXT) | instid1(VALU_DEP_1)
	v_mov_b32_dpp v3, v2 quad_perm:[2,3,0,1] row_mask:0xf bank_mask:0xf
	v_add_nc_u32_e32 v2, v2, v3
	s_delay_alu instid0(VALU_DEP_1) | instskip(NEXT) | instid1(VALU_DEP_1)
	v_mov_b32_dpp v3, v2 row_ror:4 row_mask:0xf bank_mask:0xf
	v_add_nc_u32_e32 v2, v2, v3
	s_delay_alu instid0(VALU_DEP_1) | instskip(NEXT) | instid1(VALU_DEP_1)
	v_mov_b32_dpp v3, v2 row_ror:8 row_mask:0xf bank_mask:0xf
	v_add_nc_u32_e32 v2, v2, v3
	ds_swizzle_b32 v3, v2 offset:swizzle(BROADCAST,32,15)
	s_wait_dscnt 0x0
	v_add_nc_u32_e32 v2, v2, v3
	ds_bpermute_b32 v2, v1, v2 offset:124
	v_cmpx_eq_u32_e32 0, v37
	s_cbranch_execz .LBB913_32
; %bb.31:                               ;   in Loop: Header=BB913_6 Depth=1
	s_wait_dscnt 0x0
	ds_store_b32 v36, v2
.LBB913_32:                             ;   in Loop: Header=BB913_6 Depth=1
	s_wait_alu 0xfffe
	s_or_b32 exec_lo, exec_lo, s1
	s_wait_loadcnt_dscnt 0x0
	s_barrier_signal -1
	s_barrier_wait -1
	global_inv scope:SCOPE_SE
	s_and_saveexec_b32 s1, s0
	s_cbranch_execz .LBB913_34
; %bb.33:                               ;   in Loop: Header=BB913_6 Depth=1
	v_and_b32_e32 v2, 15, v37
	s_delay_alu instid0(VALU_DEP_1)
	v_lshlrev_b32_e32 v3, 2, v2
	v_cmp_ne_u32_e32 vcc_lo, 15, v2
	ds_load_b32 v3, v3
	s_wait_alu 0xfffd
	v_add_co_ci_u32_e64 v4, null, 0, v37, vcc_lo
	v_cmp_gt_u32_e32 vcc_lo, 14, v2
	s_delay_alu instid0(VALU_DEP_2) | instskip(SKIP_3) | instid1(VALU_DEP_2)
	v_lshlrev_b32_e32 v4, 2, v4
	s_wait_alu 0xfffd
	v_cndmask_b32_e64 v5, 0, 2, vcc_lo
	v_cmp_gt_u32_e32 vcc_lo, 12, v2
	v_add_lshl_u32 v5, v5, v37, 2
	s_wait_alu 0xfffd
	v_cndmask_b32_e64 v2, 0, 4, vcc_lo
	s_delay_alu instid0(VALU_DEP_1)
	v_add_lshl_u32 v2, v2, v37, 2
	s_wait_dscnt 0x0
	ds_bpermute_b32 v4, v4, v3
	s_wait_dscnt 0x0
	v_add_nc_u32_e32 v3, v4, v3
	ds_bpermute_b32 v4, v5, v3
	s_wait_dscnt 0x0
	v_add_nc_u32_e32 v3, v4, v3
	v_lshlrev_b32_e32 v4, 2, v37
	ds_bpermute_b32 v2, v2, v3
	s_wait_dscnt 0x0
	v_add_nc_u32_e32 v2, v2, v3
	v_or_b32_e32 v3, 32, v4
	ds_bpermute_b32 v3, v3, v2
	s_wait_dscnt 0x0
	v_add_nc_u32_e32 v2, v3, v2
.LBB913_34:                             ;   in Loop: Header=BB913_6 Depth=1
	s_wait_alu 0xfffe
	s_or_b32 exec_lo, exec_lo, s1
.LBB913_35:                             ;   in Loop: Header=BB913_6 Depth=1
	v_cmp_lt_i64_e64 s2, 0x2000, s[40:41]
	s_mov_b32 s1, -1
	s_and_b32 vcc_lo, exec_lo, s2
	s_mov_b32 s2, -1
	s_wait_alu 0xfffe
	s_cbranch_vccz .LBB913_5
; %bb.36:                               ;   in Loop: Header=BB913_6 Depth=1
	v_add_co_u32 v18, vcc_lo, 0x20000, v18
	s_add_co_i32 s42, s42, -1
	s_wait_alu 0xfffd
	v_add_co_ci_u32_e64 v19, null, 0, v19, vcc_lo
	s_cmp_eq_u32 s42, 0
	s_add_nc_u64 s[40:41], s[40:41], s[36:37]
	s_mov_b32 s1, 0
	s_cselect_b32 s2, -1, 0
	s_wait_loadcnt 0x0
	s_barrier_signal -1
	s_barrier_wait -1
	global_inv scope:SCOPE_SE
	s_branch .LBB913_5
.LBB913_37:                             ;   in Loop: Header=BB913_6 Depth=1
	global_load_b128 v[2:5], v[18:19], off offset:-122888
	v_dual_mov_b32 v7, v1 :: v_dual_mov_b32 v8, v1
	v_dual_mov_b32 v9, v1 :: v_dual_mov_b32 v10, v1
	;; [unrolled: 1-line block ×6, first 2 shown]
	s_wait_loadcnt 0x0
	v_cmp_neq_f64_e32 vcc_lo, 0, v[2:3]
	v_cmp_neq_f64_e64 s1, 0, v[4:5]
	v_dual_mov_b32 v3, v1 :: v_dual_mov_b32 v4, v1
	v_mov_b32_e32 v5, v1
	s_or_b32 s1, vcc_lo, s1
	s_wait_alu 0xfffe
	v_cndmask_b32_e64 v2, 0, 1, s1
	s_delay_alu instid0(VALU_DEP_1) | instskip(SKIP_1) | instid1(SALU_CYCLE_1)
	v_and_b32_e32 v2, 0xffff, v2
	s_or_b32 exec_lo, exec_lo, s2
	s_mov_b32 s2, exec_lo
	v_cmpx_gt_u32_e64 s40, v21
	s_cbranch_execz .LBB913_9
.LBB913_38:                             ;   in Loop: Header=BB913_6 Depth=1
	global_load_b128 v[38:41], v[18:19], off offset:-114696
	s_wait_loadcnt 0x0
	v_cmp_neq_f64_e32 vcc_lo, 0, v[38:39]
	v_cmp_neq_f64_e64 s1, 0, v[40:41]
	s_or_b32 s1, vcc_lo, s1
	s_wait_alu 0xfffe
	v_cndmask_b32_e64 v3, 0, 1, s1
	s_or_b32 exec_lo, exec_lo, s2
	s_delay_alu instid0(SALU_CYCLE_1)
	s_mov_b32 s2, exec_lo
	v_cmpx_gt_u32_e64 s40, v22
	s_cbranch_execz .LBB913_10
.LBB913_39:                             ;   in Loop: Header=BB913_6 Depth=1
	global_load_b128 v[38:41], v[18:19], off offset:-106504
	s_wait_loadcnt 0x0
	v_cmp_neq_f64_e32 vcc_lo, 0, v[38:39]
	v_cmp_neq_f64_e64 s1, 0, v[40:41]
	s_or_b32 s1, vcc_lo, s1
	s_wait_alu 0xfffe
	v_cndmask_b32_e64 v4, 0, 1, s1
	s_or_b32 exec_lo, exec_lo, s2
	s_delay_alu instid0(SALU_CYCLE_1)
	s_mov_b32 s2, exec_lo
	v_cmpx_gt_u32_e64 s40, v23
	s_cbranch_execz .LBB913_11
.LBB913_40:                             ;   in Loop: Header=BB913_6 Depth=1
	global_load_b128 v[38:41], v[18:19], off offset:-98312
	s_wait_loadcnt 0x0
	v_cmp_neq_f64_e32 vcc_lo, 0, v[38:39]
	v_cmp_neq_f64_e64 s1, 0, v[40:41]
	s_or_b32 s1, vcc_lo, s1
	s_wait_alu 0xfffe
	v_cndmask_b32_e64 v5, 0, 1, s1
	s_or_b32 exec_lo, exec_lo, s2
	s_delay_alu instid0(SALU_CYCLE_1)
	s_mov_b32 s2, exec_lo
	v_cmpx_gt_u32_e64 s40, v24
	s_cbranch_execz .LBB913_12
.LBB913_41:                             ;   in Loop: Header=BB913_6 Depth=1
	global_load_b128 v[38:41], v[18:19], off offset:-90120
	s_wait_loadcnt 0x0
	v_cmp_neq_f64_e32 vcc_lo, 0, v[38:39]
	v_cmp_neq_f64_e64 s1, 0, v[40:41]
	s_or_b32 s1, vcc_lo, s1
	s_wait_alu 0xfffe
	v_cndmask_b32_e64 v6, 0, 1, s1
	s_or_b32 exec_lo, exec_lo, s2
	s_delay_alu instid0(SALU_CYCLE_1)
	s_mov_b32 s2, exec_lo
	v_cmpx_gt_u32_e64 s40, v25
	s_cbranch_execz .LBB913_13
.LBB913_42:                             ;   in Loop: Header=BB913_6 Depth=1
	global_load_b128 v[38:41], v[18:19], off offset:-81928
	s_wait_loadcnt 0x0
	v_cmp_neq_f64_e32 vcc_lo, 0, v[38:39]
	v_cmp_neq_f64_e64 s1, 0, v[40:41]
	s_or_b32 s1, vcc_lo, s1
	s_wait_alu 0xfffe
	v_cndmask_b32_e64 v7, 0, 1, s1
	s_or_b32 exec_lo, exec_lo, s2
	s_delay_alu instid0(SALU_CYCLE_1)
	s_mov_b32 s2, exec_lo
	v_cmpx_gt_u32_e64 s40, v26
	s_cbranch_execz .LBB913_14
.LBB913_43:                             ;   in Loop: Header=BB913_6 Depth=1
	global_load_b128 v[38:41], v[18:19], off offset:-73736
	s_wait_loadcnt 0x0
	v_cmp_neq_f64_e32 vcc_lo, 0, v[38:39]
	v_cmp_neq_f64_e64 s1, 0, v[40:41]
	s_or_b32 s1, vcc_lo, s1
	s_wait_alu 0xfffe
	v_cndmask_b32_e64 v8, 0, 1, s1
	s_or_b32 exec_lo, exec_lo, s2
	s_delay_alu instid0(SALU_CYCLE_1)
	s_mov_b32 s2, exec_lo
	v_cmpx_gt_u32_e64 s40, v27
	s_cbranch_execz .LBB913_15
.LBB913_44:                             ;   in Loop: Header=BB913_6 Depth=1
	global_load_b128 v[38:41], v[18:19], off offset:-65544
	s_wait_loadcnt 0x0
	v_cmp_neq_f64_e32 vcc_lo, 0, v[38:39]
	v_cmp_neq_f64_e64 s1, 0, v[40:41]
	s_or_b32 s1, vcc_lo, s1
	s_wait_alu 0xfffe
	v_cndmask_b32_e64 v9, 0, 1, s1
	s_or_b32 exec_lo, exec_lo, s2
	s_delay_alu instid0(SALU_CYCLE_1)
	s_mov_b32 s2, exec_lo
	v_cmpx_gt_u32_e64 s40, v28
	s_cbranch_execz .LBB913_16
.LBB913_45:                             ;   in Loop: Header=BB913_6 Depth=1
	global_load_b128 v[38:41], v[18:19], off offset:-57352
	s_wait_loadcnt 0x0
	v_cmp_neq_f64_e32 vcc_lo, 0, v[38:39]
	v_cmp_neq_f64_e64 s1, 0, v[40:41]
	s_or_b32 s1, vcc_lo, s1
	s_wait_alu 0xfffe
	v_cndmask_b32_e64 v10, 0, 1, s1
	s_or_b32 exec_lo, exec_lo, s2
	s_delay_alu instid0(SALU_CYCLE_1)
	s_mov_b32 s2, exec_lo
	v_cmpx_gt_u32_e64 s40, v29
	s_cbranch_execz .LBB913_17
.LBB913_46:                             ;   in Loop: Header=BB913_6 Depth=1
	global_load_b128 v[38:41], v[18:19], off offset:-49160
	s_wait_loadcnt 0x0
	v_cmp_neq_f64_e32 vcc_lo, 0, v[38:39]
	v_cmp_neq_f64_e64 s1, 0, v[40:41]
	s_or_b32 s1, vcc_lo, s1
	s_wait_alu 0xfffe
	v_cndmask_b32_e64 v11, 0, 1, s1
	s_or_b32 exec_lo, exec_lo, s2
	s_delay_alu instid0(SALU_CYCLE_1)
	s_mov_b32 s2, exec_lo
	v_cmpx_gt_u32_e64 s40, v30
	s_cbranch_execz .LBB913_18
.LBB913_47:                             ;   in Loop: Header=BB913_6 Depth=1
	global_load_b128 v[38:41], v[18:19], off offset:-40968
	s_wait_loadcnt 0x0
	v_cmp_neq_f64_e32 vcc_lo, 0, v[38:39]
	v_cmp_neq_f64_e64 s1, 0, v[40:41]
	s_or_b32 s1, vcc_lo, s1
	s_wait_alu 0xfffe
	v_cndmask_b32_e64 v12, 0, 1, s1
	s_or_b32 exec_lo, exec_lo, s2
	s_delay_alu instid0(SALU_CYCLE_1)
	s_mov_b32 s2, exec_lo
	v_cmpx_gt_u32_e64 s40, v31
	s_cbranch_execz .LBB913_19
.LBB913_48:                             ;   in Loop: Header=BB913_6 Depth=1
	global_load_b128 v[38:41], v[18:19], off offset:-32776
	s_wait_loadcnt 0x0
	v_cmp_neq_f64_e32 vcc_lo, 0, v[38:39]
	v_cmp_neq_f64_e64 s1, 0, v[40:41]
	s_or_b32 s1, vcc_lo, s1
	s_wait_alu 0xfffe
	v_cndmask_b32_e64 v13, 0, 1, s1
	s_or_b32 exec_lo, exec_lo, s2
	s_delay_alu instid0(SALU_CYCLE_1)
	s_mov_b32 s2, exec_lo
	v_cmpx_gt_u32_e64 s40, v32
	s_cbranch_execz .LBB913_20
.LBB913_49:                             ;   in Loop: Header=BB913_6 Depth=1
	global_load_b128 v[38:41], v[18:19], off offset:-24584
	s_wait_loadcnt 0x0
	v_cmp_neq_f64_e32 vcc_lo, 0, v[38:39]
	v_cmp_neq_f64_e64 s1, 0, v[40:41]
	s_or_b32 s1, vcc_lo, s1
	s_wait_alu 0xfffe
	v_cndmask_b32_e64 v14, 0, 1, s1
	s_or_b32 exec_lo, exec_lo, s2
	s_delay_alu instid0(SALU_CYCLE_1)
	s_mov_b32 s2, exec_lo
	v_cmpx_gt_u32_e64 s40, v33
	s_cbranch_execz .LBB913_21
.LBB913_50:                             ;   in Loop: Header=BB913_6 Depth=1
	global_load_b128 v[38:41], v[18:19], off offset:-16392
	s_wait_loadcnt 0x0
	v_cmp_neq_f64_e32 vcc_lo, 0, v[38:39]
	v_cmp_neq_f64_e64 s1, 0, v[40:41]
	s_or_b32 s1, vcc_lo, s1
	s_wait_alu 0xfffe
	v_cndmask_b32_e64 v15, 0, 1, s1
	s_or_b32 exec_lo, exec_lo, s2
	s_delay_alu instid0(SALU_CYCLE_1)
	s_mov_b32 s2, exec_lo
	v_cmpx_gt_u32_e64 s40, v34
	s_cbranch_execz .LBB913_22
.LBB913_51:                             ;   in Loop: Header=BB913_6 Depth=1
	global_load_b128 v[38:41], v[18:19], off offset:-8200
	s_wait_loadcnt 0x0
	v_cmp_neq_f64_e32 vcc_lo, 0, v[38:39]
	v_cmp_neq_f64_e64 s1, 0, v[40:41]
	s_or_b32 s1, vcc_lo, s1
	s_wait_alu 0xfffe
	v_cndmask_b32_e64 v16, 0, 1, s1
	s_or_b32 exec_lo, exec_lo, s2
	s_delay_alu instid0(SALU_CYCLE_1)
	s_mov_b32 s2, exec_lo
	v_cmpx_gt_u32_e64 s40, v35
	s_cbranch_execnz .LBB913_23
	s_branch .LBB913_24
.LBB913_52:
	s_and_b32 vcc_lo, exec_lo, s1
	s_mov_b32 s0, -1
	s_wait_alu 0xfffe
	s_cbranch_vccz .LBB913_56
; %bb.53:
	s_mov_b32 s0, 0
	s_mov_b32 s1, exec_lo
	v_cmpx_eq_u32_e32 0, v0
	s_cbranch_execz .LBB913_55
; %bb.54:
	v_mov_b32_e32 v0, 0
	s_lshl_b64 s[2:3], s[34:35], 2
	s_wait_alu 0xfffe
	s_add_nc_u64 s[2:3], s[38:39], s[2:3]
	global_store_b32 v0, v20, s[2:3]
.LBB913_55:
	s_wait_alu 0xfffe
	s_or_b32 exec_lo, exec_lo, s1
.LBB913_56:
	v_cmp_eq_u32_e32 vcc_lo, 0, v0
	s_and_b32 s0, vcc_lo, s0
	s_wait_alu 0xfffe
	s_and_saveexec_b32 s1, s0
	s_cbranch_execz .LBB913_58
; %bb.57:
	v_mov_b32_e32 v0, 0
	s_lshl_b64 s[0:1], s[34:35], 2
	s_wait_kmcnt 0x0
	s_wait_alu 0xfffe
	s_add_nc_u64 s[0:1], s[38:39], s[0:1]
	global_store_b32 v0, v20, s[0:1]
.LBB913_58:
	s_endpgm
	.section	.rodata,"a",@progbits
	.p2align	6, 0x0
	.amdhsa_kernel _ZN2at4cuda3cub15calc_block_sumsILi512ELi16ELb1EN3c107complexIdEEiEEvPKT2_PT3_li
		.amdhsa_group_segment_fixed_size 64
		.amdhsa_private_segment_fixed_size 0
		.amdhsa_kernarg_size 28
		.amdhsa_user_sgpr_count 2
		.amdhsa_user_sgpr_dispatch_ptr 0
		.amdhsa_user_sgpr_queue_ptr 0
		.amdhsa_user_sgpr_kernarg_segment_ptr 1
		.amdhsa_user_sgpr_dispatch_id 0
		.amdhsa_user_sgpr_private_segment_size 0
		.amdhsa_wavefront_size32 1
		.amdhsa_uses_dynamic_stack 0
		.amdhsa_enable_private_segment 0
		.amdhsa_system_sgpr_workgroup_id_x 1
		.amdhsa_system_sgpr_workgroup_id_y 0
		.amdhsa_system_sgpr_workgroup_id_z 0
		.amdhsa_system_sgpr_workgroup_info 0
		.amdhsa_system_vgpr_workitem_id 0
		.amdhsa_next_free_vgpr 86
		.amdhsa_next_free_sgpr 43
		.amdhsa_reserve_vcc 1
		.amdhsa_float_round_mode_32 0
		.amdhsa_float_round_mode_16_64 0
		.amdhsa_float_denorm_mode_32 3
		.amdhsa_float_denorm_mode_16_64 3
		.amdhsa_fp16_overflow 0
		.amdhsa_workgroup_processor_mode 1
		.amdhsa_memory_ordered 1
		.amdhsa_forward_progress 1
		.amdhsa_inst_pref_size 30
		.amdhsa_round_robin_scheduling 0
		.amdhsa_exception_fp_ieee_invalid_op 0
		.amdhsa_exception_fp_denorm_src 0
		.amdhsa_exception_fp_ieee_div_zero 0
		.amdhsa_exception_fp_ieee_overflow 0
		.amdhsa_exception_fp_ieee_underflow 0
		.amdhsa_exception_fp_ieee_inexact 0
		.amdhsa_exception_int_div_zero 0
	.end_amdhsa_kernel
	.section	.text._ZN2at4cuda3cub15calc_block_sumsILi512ELi16ELb1EN3c107complexIdEEiEEvPKT2_PT3_li,"axG",@progbits,_ZN2at4cuda3cub15calc_block_sumsILi512ELi16ELb1EN3c107complexIdEEiEEvPKT2_PT3_li,comdat
.Lfunc_end913:
	.size	_ZN2at4cuda3cub15calc_block_sumsILi512ELi16ELb1EN3c107complexIdEEiEEvPKT2_PT3_li, .Lfunc_end913-_ZN2at4cuda3cub15calc_block_sumsILi512ELi16ELb1EN3c107complexIdEEiEEvPKT2_PT3_li
                                        ; -- End function
	.set _ZN2at4cuda3cub15calc_block_sumsILi512ELi16ELb1EN3c107complexIdEEiEEvPKT2_PT3_li.num_vgpr, 86
	.set _ZN2at4cuda3cub15calc_block_sumsILi512ELi16ELb1EN3c107complexIdEEiEEvPKT2_PT3_li.num_agpr, 0
	.set _ZN2at4cuda3cub15calc_block_sumsILi512ELi16ELb1EN3c107complexIdEEiEEvPKT2_PT3_li.numbered_sgpr, 43
	.set _ZN2at4cuda3cub15calc_block_sumsILi512ELi16ELb1EN3c107complexIdEEiEEvPKT2_PT3_li.num_named_barrier, 0
	.set _ZN2at4cuda3cub15calc_block_sumsILi512ELi16ELb1EN3c107complexIdEEiEEvPKT2_PT3_li.private_seg_size, 0
	.set _ZN2at4cuda3cub15calc_block_sumsILi512ELi16ELb1EN3c107complexIdEEiEEvPKT2_PT3_li.uses_vcc, 1
	.set _ZN2at4cuda3cub15calc_block_sumsILi512ELi16ELb1EN3c107complexIdEEiEEvPKT2_PT3_li.uses_flat_scratch, 0
	.set _ZN2at4cuda3cub15calc_block_sumsILi512ELi16ELb1EN3c107complexIdEEiEEvPKT2_PT3_li.has_dyn_sized_stack, 0
	.set _ZN2at4cuda3cub15calc_block_sumsILi512ELi16ELb1EN3c107complexIdEEiEEvPKT2_PT3_li.has_recursion, 0
	.set _ZN2at4cuda3cub15calc_block_sumsILi512ELi16ELb1EN3c107complexIdEEiEEvPKT2_PT3_li.has_indirect_call, 0
	.section	.AMDGPU.csdata,"",@progbits
; Kernel info:
; codeLenInByte = 3804
; TotalNumSgprs: 45
; NumVgprs: 86
; ScratchSize: 0
; MemoryBound: 0
; FloatMode: 240
; IeeeMode: 1
; LDSByteSize: 64 bytes/workgroup (compile time only)
; SGPRBlocks: 0
; VGPRBlocks: 10
; NumSGPRsForWavesPerEU: 45
; NumVGPRsForWavesPerEU: 86
; Occupancy: 16
; WaveLimiterHint : 1
; COMPUTE_PGM_RSRC2:SCRATCH_EN: 0
; COMPUTE_PGM_RSRC2:USER_SGPR: 2
; COMPUTE_PGM_RSRC2:TRAP_HANDLER: 0
; COMPUTE_PGM_RSRC2:TGID_X_EN: 1
; COMPUTE_PGM_RSRC2:TGID_Y_EN: 0
; COMPUTE_PGM_RSRC2:TGID_Z_EN: 0
; COMPUTE_PGM_RSRC2:TIDIG_COMP_CNT: 0
	.section	.text._ZN2at6native12_GLOBAL__N_111flag_kernelILi512ELi16EN3c107complexIdEEEEvPKT1_PlPKllli,"axG",@progbits,_ZN2at6native12_GLOBAL__N_111flag_kernelILi512ELi16EN3c107complexIdEEEEvPKT1_PlPKllli,comdat
	.globl	_ZN2at6native12_GLOBAL__N_111flag_kernelILi512ELi16EN3c107complexIdEEEEvPKT1_PlPKllli ; -- Begin function _ZN2at6native12_GLOBAL__N_111flag_kernelILi512ELi16EN3c107complexIdEEEEvPKT1_PlPKllli
	.p2align	8
	.type	_ZN2at6native12_GLOBAL__N_111flag_kernelILi512ELi16EN3c107complexIdEEEEvPKT1_PlPKllli,@function
_ZN2at6native12_GLOBAL__N_111flag_kernelILi512ELi16EN3c107complexIdEEEEvPKT1_PlPKllli: ; @_ZN2at6native12_GLOBAL__N_111flag_kernelILi512ELi16EN3c107complexIdEEEEvPKT1_PlPKllli
; %bb.0:
	s_clause 0x1
	s_load_b32 s52, s[0:1], 0x28
	s_load_b256 s[12:19], s[0:1], 0x0
	s_mov_b32 s2, ttmp9
	s_mov_b32 s3, 0
	s_wait_kmcnt 0x0
	s_lshl_b32 s4, s52, 13
	s_delay_alu instid0(SALU_CYCLE_1) | instskip(NEXT) | instid1(SALU_CYCLE_1)
	s_ashr_i32 s5, s4, 31
	s_mul_u64 s[20:21], s[4:5], s[2:3]
	s_delay_alu instid0(SALU_CYCLE_1)
	v_cmp_le_i64_e64 s2, s[18:19], s[20:21]
	s_and_b32 vcc_lo, exec_lo, s2
	s_cbranch_vccnz .LBB914_100
; %bb.1:
	s_load_b64 s[2:3], s[0:1], 0x20
	s_cmp_eq_u32 ttmp9, 0
	s_cbranch_scc1 .LBB914_3
; %bb.2:
	s_add_co_i32 s4, ttmp9, -1
	s_mov_b32 s5, 0
	s_delay_alu instid0(SALU_CYCLE_1) | instskip(NEXT) | instid1(SALU_CYCLE_1)
	s_lshl_b64 s[4:5], s[4:5], 3
	s_add_nc_u64 s[4:5], s[16:17], s[4:5]
	s_load_b64 s[4:5], s[4:5], 0x0
	s_cmp_lt_i32 s52, 1
	s_cbranch_scc0 .LBB914_4
	s_branch .LBB914_100
.LBB914_3:
	s_mov_b64 s[4:5], 0
	s_cmp_lt_i32 s52, 1
	s_cbranch_scc1 .LBB914_100
.LBB914_4:
	v_mbcnt_lo_u32_b32 v2, -1, 0
	v_lshlrev_b32_e32 v1, 4, v0
	s_wait_kmcnt 0x0
	s_sub_nc_u64 s[42:43], s[2:3], s[4:5]
	s_lshl_b64 s[16:17], s[4:5], 3
	v_add_nc_u32_e32 v8, 0x200, v0
	v_and_b32_e32 v4, 15, v2
	v_and_b32_e32 v6, 0x3e00, v1
	;; [unrolled: 1-line block ×3, first 2 shown]
	v_or_b32_e32 v9, 0x800, v0
	v_add_nc_u32_e32 v10, 0xa00, v0
	v_lshlrev_b32_e32 v25, 2, v0
	v_or_b32_e32 v41, v2, v6
	v_cmp_eq_u32_e64 s6, 0, v1
	v_mov_b32_e32 v1, 0
	v_cmp_eq_u32_e64 s2, 0, v4
	v_cmp_lt_u32_e64 s3, 1, v4
	v_cmp_lt_u32_e64 s4, 3, v4
	;; [unrolled: 1-line block ×3, first 2 shown]
	v_sub_co_u32 v4, s8, v2, 1
	v_lshrrev_b32_e32 v9, 3, v9
	v_lshrrev_b32_e32 v10, 3, v10
	v_or_b32_e32 v46, 32, v41
	s_delay_alu instid0(VALU_DEP_4)
	v_cmp_gt_i32_e32 vcc_lo, 0, v4
	v_and_b32_e32 v3, 0x3e0, v0
	v_or_b32_e32 v47, 64, v41
	v_or_b32_e32 v48, 0x60, v41
	;; [unrolled: 1-line block ×3, first 2 shown]
	v_cndmask_b32_e32 v4, v4, v2, vcc_lo
	v_min_u32_e32 v5, 0x1e0, v3
	v_or_b32_e32 v50, 0xa0, v41
	v_or_b32_e32 v51, 0xc0, v41
	v_or_b32_e32 v52, 0xe0, v41
	v_lshlrev_b32_e32 v27, 2, v4
	v_or_b32_e32 v5, 31, v5
	v_lshrrev_b32_e32 v4, 3, v8
	v_add_nc_u32_e32 v8, 0x600, v0
	v_or_b32_e32 v53, 0x100, v41
	v_or_b32_e32 v54, 0x120, v41
	v_cmp_eq_u32_e64 s7, v0, v5
	v_lshlrev_b32_e32 v5, 1, v0
	v_and_b32_e32 v4, 0xfc, v4
	v_lshrrev_b32_e32 v8, 3, v8
	v_or_b32_e32 v55, 0x140, v41
	v_or_b32_e32 v56, 0x160, v41
	v_and_b32_e32 v5, 0x7fc, v5
	v_add_nc_u32_e32 v30, v25, v4
	v_or_b32_e32 v57, 0x180, v41
	v_or_b32_e32 v58, 0x1a0, v41
	;; [unrolled: 1-line block ×3, first 2 shown]
	v_lshl_add_u32 v28, v0, 6, v5
	v_or_b32_e32 v5, 0x400, v0
	v_or_b32_e32 v60, 0x1e0, v41
	v_lshrrev_b32_e32 v7, 5, v0
	v_or_b32_e32 v3, v2, v3
	s_lshl_b64 s[22:23], s[20:21], 4
	v_lshrrev_b32_e32 v5, 3, v5
	v_lshlrev_b32_e32 v2, 4, v2
	v_cmp_gt_u32_e64 s9, 16, v0
	v_cmp_lt_u32_e64 s10, 31, v0
	v_cmp_eq_u32_e64 s11, 0, v0
	v_and_b32_e32 v4, 0xfc, v5
	v_and_b32_e32 v5, 0x1fc, v8
	;; [unrolled: 1-line block ×4, first 2 shown]
	v_or_b32_e32 v10, 0xc00, v0
	v_add_nc_u32_e32 v31, v25, v4
	v_add_nc_u32_e32 v32, v25, v5
	;; [unrolled: 1-line block ×4, first 2 shown]
	v_lshrrev_b32_e32 v4, 3, v10
	v_add_nc_u32_e32 v5, 0xe00, v0
	v_or_b32_e32 v8, 0x1000, v0
	v_add_nc_u32_e32 v9, 0x1200, v0
	v_or_b32_e32 v10, 0x1400, v0
	v_and_b32_e32 v4, 0x1fc, v4
	v_lshrrev_b32_e32 v5, 3, v5
	v_lshrrev_b32_e32 v8, 3, v8
	;; [unrolled: 1-line block ×4, first 2 shown]
	v_add_nc_u32_e32 v35, v25, v4
	v_and_b32_e32 v4, 0x3fc, v5
	v_and_b32_e32 v5, 0x27c, v8
	;; [unrolled: 1-line block ×4, first 2 shown]
	v_add_nc_u32_e32 v10, 0x1600, v0
	v_add_nc_u32_e32 v36, v25, v4
	;; [unrolled: 1-line block ×3, first 2 shown]
	v_or_b32_e32 v5, 0x1800, v0
	v_add_nc_u32_e32 v38, v25, v8
	v_lshrrev_b32_e32 v4, 3, v10
	v_add_nc_u32_e32 v39, v25, v9
	v_add_nc_u32_e32 v8, 0x1a00, v0
	v_or_b32_e32 v9, 0x1c00, v0
	v_lshrrev_b32_e32 v5, 3, v5
	v_and_b32_e32 v4, 0x3fc, v4
	v_add_nc_u32_e32 v10, 0x1e00, v0
	v_lshrrev_b32_e32 v8, 3, v8
	v_lshrrev_b32_e32 v9, 3, v9
	v_lshlrev_b32_e32 v24, 2, v7
	v_add_nc_u32_e32 v40, v25, v4
	v_and_b32_e32 v4, 0x37c, v5
	v_lshrrev_b32_e32 v10, 3, v10
	v_and_b32_e32 v5, 0x3fc, v8
	v_and_b32_e32 v8, 0x3fc, v9
	v_add_nc_u32_e32 v26, -4, v24
	v_add_nc_u32_e32 v42, v25, v4
	v_lshrrev_b32_e32 v4, 3, v46
	v_and_b32_e32 v9, 0x7fc, v10
	v_add_nc_u32_e32 v43, v25, v5
	v_add_nc_u32_e32 v44, v25, v8
	v_lshrrev_b32_e32 v5, 3, v6
	v_lshlrev_b32_e32 v6, 2, v41
	v_and_b32_e32 v4, 0x7c4, v4
	v_lshrrev_b32_e32 v8, 3, v47
	v_add_nc_u32_e32 v45, v25, v9
	v_lshrrev_b32_e32 v9, 3, v50
	v_add_nc_u32_e32 v61, v5, v6
	v_add_nc_u32_e32 v62, v4, v6
	v_and_b32_e32 v4, 0x7c8, v8
	v_lshrrev_b32_e32 v5, 3, v48
	v_lshrrev_b32_e32 v8, 3, v49
	;; [unrolled: 1-line block ×3, first 2 shown]
	v_add_nc_u32_e32 v29, v24, v25
	v_add_nc_u32_e32 v63, v4, v6
	v_and_b32_e32 v4, 0x7cc, v5
	v_and_b32_e32 v5, 0x7d0, v8
	;; [unrolled: 1-line block ×4, first 2 shown]
	v_lshrrev_b32_e32 v10, 3, v52
	v_add_nc_u32_e32 v64, v4, v6
	v_add_nc_u32_e32 v65, v5, v6
	;; [unrolled: 1-line block ×4, first 2 shown]
	v_and_b32_e32 v4, 0x7dc, v10
	v_lshrrev_b32_e32 v5, 3, v53
	v_lshrrev_b32_e32 v8, 3, v54
	;; [unrolled: 1-line block ×4, first 2 shown]
	v_add_nc_u32_e32 v68, v4, v6
	v_and_b32_e32 v4, 0x7e0, v5
	v_and_b32_e32 v5, 0x7e4, v8
	;; [unrolled: 1-line block ×4, first 2 shown]
	v_lshrrev_b32_e32 v10, 3, v57
	v_add_nc_u32_e32 v69, v4, v6
	v_add_nc_u32_e32 v70, v5, v6
	v_lshrrev_b32_e32 v5, 3, v58
	v_add_nc_u32_e32 v71, v8, v6
	v_and_b32_e32 v4, 0x7f0, v10
	v_add_nc_u32_e32 v72, v9, v6
	v_lshrrev_b32_e32 v8, 3, v59
	v_lshrrev_b32_e32 v9, 3, v60
	s_movk_i32 s44, 0xe000
	v_add_nc_u32_e32 v73, v4, v6
	v_and_b32_e32 v4, 0x7f4, v5
	v_and_b32_e32 v5, 0x7f8, v8
	;; [unrolled: 1-line block ×3, first 2 shown]
	v_lshlrev_b32_e32 v9, 4, v3
	v_bfe_u32 v3, v3, 1, 27
	v_add_nc_u32_e32 v74, v4, v6
	v_lshlrev_b32_e32 v4, 13, v7
	v_add_nc_u32_e32 v75, v5, v6
	v_add_nc_u32_e32 v76, v8, v6
	v_add_lshl_u32 v77, v3, v9, 2
	s_mov_b32 s45, -1
	v_add_co_u32 v3, s22, s22, v4
	s_wait_alu 0xf1ff
	v_add_co_ci_u32_e64 v4, null, s23, 0, s22
	v_add_co_u32 v18, s22, s20, v0
	s_delay_alu instid0(VALU_DEP_3) | instskip(SKIP_1) | instid1(VALU_DEP_3)
	v_add_co_u32 v0, vcc_lo, v3, v2
	s_wait_alu 0xfffd
	v_add_co_ci_u32_e64 v2, null, 0, v4, vcc_lo
	s_wait_alu 0xf1ff
	v_add_co_ci_u32_e64 v19, null, s21, 0, s22
	v_add_co_u32 v20, vcc_lo, s12, v0
	s_wait_alu 0xfffd
	v_add_co_ci_u32_e64 v21, null, s13, v2, vcc_lo
	s_sub_nc_u64 s[48:49], s[18:19], s[20:21]
	s_add_nc_u64 s[50:51], s[14:15], s[16:17]
	s_add_nc_u64 s[46:47], s[0:1], 48
	s_branch .LBB914_6
.LBB914_5:                              ;   in Loop: Header=BB914_6 Depth=1
	v_add_co_u32 v18, vcc_lo, 0x2000, v18
	s_wait_alu 0xfffd
	v_add_co_ci_u32_e64 v19, null, 0, v19, vcc_lo
	v_add_co_u32 v20, vcc_lo, 0x20000, v20
	s_add_co_i32 s52, s52, -1
	s_lshl_b64 s[0:1], s[0:1], 3
	s_wait_alu 0xfffd
	v_add_co_ci_u32_e64 v21, null, 0, v21, vcc_lo
	s_cmp_eq_u32 s52, 0
	s_add_nc_u64 s[48:49], s[48:49], s[44:45]
	s_wait_alu 0xfffe
	s_add_nc_u64 s[50:51], s[50:51], s[0:1]
	s_cselect_b32 s0, -1, 0
	s_wait_loadcnt 0x0
	s_wait_storecnt 0x0
	s_barrier_signal -1
	s_barrier_wait -1
	global_inv scope:SCOPE_SE
	s_wait_alu 0xfffe
	s_and_not1_b32 vcc_lo, exec_lo, s0
	s_wait_alu 0xfffe
	s_cbranch_vccz .LBB914_100
.LBB914_6:                              ; =>This Inner Loop Header: Depth=1
	v_cmp_gt_i64_e64 s0, 0x2000, s[48:49]
                                        ; implicit-def: $vgpr3
                                        ; implicit-def: $vgpr5
                                        ; implicit-def: $vgpr13
                                        ; implicit-def: $vgpr17
                                        ; implicit-def: $vgpr15
                                        ; implicit-def: $vgpr11
                                        ; implicit-def: $vgpr9
                                        ; implicit-def: $vgpr7
	s_and_b32 vcc_lo, exec_lo, s0
	s_mov_b32 s0, -1
	s_wait_alu 0xfffe
	s_cbranch_vccz .LBB914_25
; %bb.7:                                ;   in Loop: Header=BB914_6 Depth=1
	v_dual_mov_b32 v14, v1 :: v_dual_mov_b32 v15, v1
	v_dual_mov_b32 v2, v1 :: v_dual_mov_b32 v3, v1
	;; [unrolled: 1-line block ×7, first 2 shown]
	v_mov_b32_e32 v17, v15
	s_delay_alu instid0(VALU_DEP_2) | instskip(NEXT) | instid1(VALU_DEP_3)
	v_dual_mov_b32 v16, v14 :: v_dual_mov_b32 v15, v13
	v_mov_b32_e32 v14, v12
	v_mov_b32_e32 v13, v11
	;; [unrolled: 1-line block ×14, first 2 shown]
	s_mov_b32 s1, exec_lo
	v_cmpx_gt_u32_e64 s48, v41
	s_cbranch_execnz .LBB914_85
; %bb.8:                                ;   in Loop: Header=BB914_6 Depth=1
	s_wait_alu 0xfffe
	s_or_b32 exec_lo, exec_lo, s1
	s_delay_alu instid0(SALU_CYCLE_1)
	s_mov_b32 s1, exec_lo
	v_cmpx_gt_u32_e64 s48, v46
	s_cbranch_execnz .LBB914_86
.LBB914_9:                              ;   in Loop: Header=BB914_6 Depth=1
	s_wait_alu 0xfffe
	s_or_b32 exec_lo, exec_lo, s1
	s_delay_alu instid0(SALU_CYCLE_1)
	s_mov_b32 s1, exec_lo
	v_cmpx_gt_u32_e64 s48, v47
	s_cbranch_execnz .LBB914_87
.LBB914_10:                             ;   in Loop: Header=BB914_6 Depth=1
	s_wait_alu 0xfffe
	s_or_b32 exec_lo, exec_lo, s1
	s_delay_alu instid0(SALU_CYCLE_1)
	s_mov_b32 s1, exec_lo
	v_cmpx_gt_u32_e64 s48, v48
	s_cbranch_execnz .LBB914_88
.LBB914_11:                             ;   in Loop: Header=BB914_6 Depth=1
	s_wait_alu 0xfffe
	s_or_b32 exec_lo, exec_lo, s1
	s_delay_alu instid0(SALU_CYCLE_1)
	s_mov_b32 s1, exec_lo
	v_cmpx_gt_u32_e64 s48, v49
	s_cbranch_execnz .LBB914_89
.LBB914_12:                             ;   in Loop: Header=BB914_6 Depth=1
	s_wait_alu 0xfffe
	s_or_b32 exec_lo, exec_lo, s1
	s_delay_alu instid0(SALU_CYCLE_1)
	s_mov_b32 s1, exec_lo
	v_cmpx_gt_u32_e64 s48, v50
	s_cbranch_execnz .LBB914_90
.LBB914_13:                             ;   in Loop: Header=BB914_6 Depth=1
	s_wait_alu 0xfffe
	s_or_b32 exec_lo, exec_lo, s1
	s_delay_alu instid0(SALU_CYCLE_1)
	s_mov_b32 s1, exec_lo
	v_cmpx_gt_u32_e64 s48, v51
	s_cbranch_execnz .LBB914_91
.LBB914_14:                             ;   in Loop: Header=BB914_6 Depth=1
	s_wait_alu 0xfffe
	s_or_b32 exec_lo, exec_lo, s1
	s_delay_alu instid0(SALU_CYCLE_1)
	s_mov_b32 s1, exec_lo
	v_cmpx_gt_u32_e64 s48, v52
	s_cbranch_execnz .LBB914_92
.LBB914_15:                             ;   in Loop: Header=BB914_6 Depth=1
	s_wait_alu 0xfffe
	s_or_b32 exec_lo, exec_lo, s1
	s_delay_alu instid0(SALU_CYCLE_1)
	s_mov_b32 s1, exec_lo
	v_cmpx_gt_u32_e64 s48, v53
	s_cbranch_execnz .LBB914_93
.LBB914_16:                             ;   in Loop: Header=BB914_6 Depth=1
	s_wait_alu 0xfffe
	s_or_b32 exec_lo, exec_lo, s1
	s_delay_alu instid0(SALU_CYCLE_1)
	s_mov_b32 s1, exec_lo
	v_cmpx_gt_u32_e64 s48, v54
	s_cbranch_execnz .LBB914_94
.LBB914_17:                             ;   in Loop: Header=BB914_6 Depth=1
	s_wait_alu 0xfffe
	s_or_b32 exec_lo, exec_lo, s1
	s_delay_alu instid0(SALU_CYCLE_1)
	s_mov_b32 s1, exec_lo
	v_cmpx_gt_u32_e64 s48, v55
	s_cbranch_execnz .LBB914_95
.LBB914_18:                             ;   in Loop: Header=BB914_6 Depth=1
	s_wait_alu 0xfffe
	s_or_b32 exec_lo, exec_lo, s1
	s_delay_alu instid0(SALU_CYCLE_1)
	s_mov_b32 s1, exec_lo
	v_cmpx_gt_u32_e64 s48, v56
	s_cbranch_execnz .LBB914_96
.LBB914_19:                             ;   in Loop: Header=BB914_6 Depth=1
	s_wait_alu 0xfffe
	s_or_b32 exec_lo, exec_lo, s1
	s_delay_alu instid0(SALU_CYCLE_1)
	s_mov_b32 s1, exec_lo
	v_cmpx_gt_u32_e64 s48, v57
	s_cbranch_execnz .LBB914_97
.LBB914_20:                             ;   in Loop: Header=BB914_6 Depth=1
	s_wait_alu 0xfffe
	s_or_b32 exec_lo, exec_lo, s1
	s_delay_alu instid0(SALU_CYCLE_1)
	s_mov_b32 s1, exec_lo
	v_cmpx_gt_u32_e64 s48, v58
	s_cbranch_execnz .LBB914_98
.LBB914_21:                             ;   in Loop: Header=BB914_6 Depth=1
	s_wait_alu 0xfffe
	s_or_b32 exec_lo, exec_lo, s1
	s_delay_alu instid0(SALU_CYCLE_1)
	s_mov_b32 s1, exec_lo
	v_cmpx_gt_u32_e64 s48, v59
	s_cbranch_execnz .LBB914_99
.LBB914_22:                             ;   in Loop: Header=BB914_6 Depth=1
	s_wait_alu 0xfffe
	s_or_b32 exec_lo, exec_lo, s1
	s_delay_alu instid0(SALU_CYCLE_1)
	s_mov_b32 s1, exec_lo
	v_cmpx_gt_u32_e64 s48, v60
	s_cbranch_execz .LBB914_24
.LBB914_23:                             ;   in Loop: Header=BB914_6 Depth=1
	global_load_b128 v[78:81], v[20:21], off offset:7680
	s_wait_loadcnt 0x0
	v_cmp_neq_f64_e32 vcc_lo, 0, v[78:79]
	v_cmp_neq_f64_e64 s0, 0, v[80:81]
	s_or_b32 s0, vcc_lo, s0
	s_wait_alu 0xfffe
	v_cndmask_b32_e64 v17, 0, 1, s0
.LBB914_24:                             ;   in Loop: Header=BB914_6 Depth=1
	s_wait_alu 0xfffe
	s_or_b32 exec_lo, exec_lo, s1
	ds_store_b32 v61, v0
	ds_store_b32 v62, v3 offset:128
	ds_store_b32 v63, v4 offset:256
	;; [unrolled: 1-line block ×15, first 2 shown]
	; wave barrier
	ds_load_2addr_b32 v[6:7], v77 offset1:1
	ds_load_2addr_b32 v[8:9], v77 offset0:2 offset1:3
	ds_load_2addr_b32 v[10:11], v77 offset0:4 offset1:5
	;; [unrolled: 1-line block ×7, first 2 shown]
	s_mov_b32 s0, 0
.LBB914_25:                             ;   in Loop: Header=BB914_6 Depth=1
	s_wait_alu 0xfffe
	s_and_b32 vcc_lo, exec_lo, s0
	s_wait_alu 0xfffe
	s_cbranch_vccz .LBB914_27
; %bb.26:                               ;   in Loop: Header=BB914_6 Depth=1
	s_wait_dscnt 0x0
	s_clause 0xf
	global_load_b128 v[2:5], v[20:21], off
	global_load_b128 v[6:9], v[20:21], off offset:512
	global_load_b128 v[10:13], v[20:21], off offset:1024
	global_load_b128 v[14:17], v[20:21], off offset:1536
	global_load_b128 v[78:81], v[20:21], off offset:2048
	global_load_b128 v[82:85], v[20:21], off offset:2560
	global_load_b128 v[86:89], v[20:21], off offset:3072
	global_load_b128 v[90:93], v[20:21], off offset:3584
	global_load_b128 v[94:97], v[20:21], off offset:4096
	global_load_b128 v[98:101], v[20:21], off offset:4608
	global_load_b128 v[102:105], v[20:21], off offset:5120
	global_load_b128 v[106:109], v[20:21], off offset:5632
	global_load_b128 v[110:113], v[20:21], off offset:6144
	global_load_b128 v[114:117], v[20:21], off offset:6656
	global_load_b128 v[118:121], v[20:21], off offset:7168
	global_load_b128 v[122:125], v[20:21], off offset:7680
	s_wait_loadcnt 0xf
	v_cmp_neq_f64_e32 vcc_lo, 0, v[2:3]
	v_cmp_neq_f64_e64 s0, 0, v[4:5]
	s_wait_loadcnt 0xe
	v_cmp_neq_f64_e64 s1, 0, v[6:7]
	v_cmp_neq_f64_e64 s12, 0, v[8:9]
	s_wait_loadcnt 0xd
	v_cmp_neq_f64_e64 s13, 0, v[10:11]
	;; [unrolled: 3-line block ×15, first 2 shown]
	v_cmp_neq_f64_e64 s41, 0, v[124:125]
	s_or_b32 s0, vcc_lo, s0
	s_wait_alu 0xfffe
	v_cndmask_b32_e64 v0, 0, 1, s0
	s_or_b32 s0, s1, s12
	s_wait_alu 0xfffe
	v_cndmask_b32_e64 v2, 0, 1, s0
	s_or_b32 s0, s13, s14
	;; [unrolled: 3-line block ×15, first 2 shown]
	s_wait_alu 0xfffe
	v_cndmask_b32_e64 v16, 0, 1, s0
	ds_store_b32 v61, v0
	ds_store_b32 v62, v2 offset:128
	ds_store_b32 v63, v3 offset:256
	;; [unrolled: 1-line block ×15, first 2 shown]
	; wave barrier
	ds_load_2addr_b32 v[6:7], v77 offset1:1
	ds_load_2addr_b32 v[8:9], v77 offset0:2 offset1:3
	ds_load_2addr_b32 v[10:11], v77 offset0:4 offset1:5
	;; [unrolled: 1-line block ×7, first 2 shown]
.LBB914_27:                             ;   in Loop: Header=BB914_6 Depth=1
	s_wait_dscnt 0x7
	v_add_nc_u32_e32 v0, v7, v6
	s_wait_dscnt 0x0
	s_barrier_signal -1
	s_barrier_wait -1
	global_inv scope:SCOPE_SE
	v_add3_u32 v0, v0, v8, v9
	s_delay_alu instid0(VALU_DEP_1) | instskip(NEXT) | instid1(VALU_DEP_1)
	v_add3_u32 v0, v0, v10, v11
	v_add3_u32 v0, v0, v14, v15
	s_delay_alu instid0(VALU_DEP_1) | instskip(NEXT) | instid1(VALU_DEP_1)
	v_add3_u32 v0, v0, v16, v17
	v_add3_u32 v0, v0, v12, v13
	s_delay_alu instid0(VALU_DEP_1) | instskip(NEXT) | instid1(VALU_DEP_1)
	v_add3_u32 v0, v0, v4, v5
	v_add3_u32 v0, v0, v2, v3
	s_delay_alu instid0(VALU_DEP_1) | instskip(NEXT) | instid1(VALU_DEP_1)
	v_mov_b32_dpp v22, v0 row_shr:1 row_mask:0xf bank_mask:0xf
	v_cndmask_b32_e64 v22, v22, 0, s2
	s_delay_alu instid0(VALU_DEP_1) | instskip(NEXT) | instid1(VALU_DEP_1)
	v_add_nc_u32_e32 v0, v0, v22
	v_mov_b32_dpp v22, v0 row_shr:2 row_mask:0xf bank_mask:0xf
	s_delay_alu instid0(VALU_DEP_1) | instskip(NEXT) | instid1(VALU_DEP_1)
	v_cndmask_b32_e64 v22, 0, v22, s3
	v_add_nc_u32_e32 v0, v0, v22
	s_delay_alu instid0(VALU_DEP_1) | instskip(NEXT) | instid1(VALU_DEP_1)
	v_mov_b32_dpp v22, v0 row_shr:4 row_mask:0xf bank_mask:0xf
	v_cndmask_b32_e64 v22, 0, v22, s4
	s_delay_alu instid0(VALU_DEP_1) | instskip(NEXT) | instid1(VALU_DEP_1)
	v_add_nc_u32_e32 v0, v0, v22
	v_mov_b32_dpp v22, v0 row_shr:8 row_mask:0xf bank_mask:0xf
	s_delay_alu instid0(VALU_DEP_1) | instskip(NEXT) | instid1(VALU_DEP_1)
	v_cndmask_b32_e64 v22, 0, v22, s5
	v_add_nc_u32_e32 v0, v0, v22
	ds_swizzle_b32 v22, v0 offset:swizzle(BROADCAST,32,15)
	s_wait_dscnt 0x0
	v_cndmask_b32_e64 v22, v22, 0, s6
	s_delay_alu instid0(VALU_DEP_1)
	v_add_nc_u32_e32 v0, v0, v22
	s_and_saveexec_b32 s0, s7
; %bb.28:                               ;   in Loop: Header=BB914_6 Depth=1
	ds_store_b32 v24, v0
; %bb.29:                               ;   in Loop: Header=BB914_6 Depth=1
	s_wait_alu 0xfffe
	s_or_b32 exec_lo, exec_lo, s0
	s_wait_loadcnt_dscnt 0x0
	s_barrier_signal -1
	s_barrier_wait -1
	global_inv scope:SCOPE_SE
	s_and_saveexec_b32 s0, s9
	s_cbranch_execz .LBB914_31
; %bb.30:                               ;   in Loop: Header=BB914_6 Depth=1
	ds_load_b32 v22, v25
	s_wait_dscnt 0x0
	v_mov_b32_dpp v23, v22 row_shr:1 row_mask:0xf bank_mask:0xf
	s_delay_alu instid0(VALU_DEP_1) | instskip(NEXT) | instid1(VALU_DEP_1)
	v_cndmask_b32_e64 v23, v23, 0, s2
	v_add_nc_u32_e32 v22, v23, v22
	s_delay_alu instid0(VALU_DEP_1) | instskip(NEXT) | instid1(VALU_DEP_1)
	v_mov_b32_dpp v23, v22 row_shr:2 row_mask:0xf bank_mask:0xf
	v_cndmask_b32_e64 v23, 0, v23, s3
	s_delay_alu instid0(VALU_DEP_1) | instskip(NEXT) | instid1(VALU_DEP_1)
	v_add_nc_u32_e32 v22, v22, v23
	v_mov_b32_dpp v23, v22 row_shr:4 row_mask:0xf bank_mask:0xf
	s_delay_alu instid0(VALU_DEP_1) | instskip(NEXT) | instid1(VALU_DEP_1)
	v_cndmask_b32_e64 v23, 0, v23, s4
	v_add_nc_u32_e32 v22, v22, v23
	s_delay_alu instid0(VALU_DEP_1) | instskip(NEXT) | instid1(VALU_DEP_1)
	v_mov_b32_dpp v23, v22 row_shr:8 row_mask:0xf bank_mask:0xf
	v_cndmask_b32_e64 v23, 0, v23, s5
	s_delay_alu instid0(VALU_DEP_1)
	v_add_nc_u32_e32 v22, v22, v23
	ds_store_b32 v25, v22
.LBB914_31:                             ;   in Loop: Header=BB914_6 Depth=1
	s_wait_alu 0xfffe
	s_or_b32 exec_lo, exec_lo, s0
	v_mov_b32_e32 v22, 0
	s_wait_loadcnt_dscnt 0x0
	s_barrier_signal -1
	s_barrier_wait -1
	global_inv scope:SCOPE_SE
	s_and_saveexec_b32 s0, s10
; %bb.32:                               ;   in Loop: Header=BB914_6 Depth=1
	ds_load_b32 v22, v26
; %bb.33:                               ;   in Loop: Header=BB914_6 Depth=1
	s_wait_alu 0xfffe
	s_or_b32 exec_lo, exec_lo, s0
	s_wait_dscnt 0x0
	v_add_nc_u32_e32 v0, v22, v0
	ds_bpermute_b32 v0, v27, v0
	s_and_saveexec_b32 s0, s11
	s_cbranch_execz .LBB914_35
; %bb.34:                               ;   in Loop: Header=BB914_6 Depth=1
	ds_load_b32 v23, v1 offset:60
	s_wait_dscnt 0x0
	ds_store_b32 v1, v23 offset:33792
.LBB914_35:                             ;   in Loop: Header=BB914_6 Depth=1
	s_wait_alu 0xfffe
	s_or_b32 exec_lo, exec_lo, s0
	s_wait_dscnt 0x0
	v_cndmask_b32_e64 v0, v0, v22, s8
	s_wait_loadcnt 0x0
	s_barrier_signal -1
	s_barrier_wait -1
	global_inv scope:SCOPE_SE
	v_cndmask_b32_e64 v22, v0, 0, s11
	ds_store_2addr_b32 v28, v6, v7 offset1:1
	ds_store_2addr_b32 v28, v8, v9 offset0:2 offset1:3
	ds_store_2addr_b32 v28, v10, v11 offset0:4 offset1:5
	;; [unrolled: 1-line block ×7, first 2 shown]
	s_wait_loadcnt_dscnt 0x0
	s_barrier_signal -1
	v_add_nc_u32_e32 v23, v22, v6
	s_barrier_wait -1
	global_inv scope:SCOPE_SE
	s_mov_b32 s0, exec_lo
	v_add_nc_u32_e32 v91, v23, v7
	s_delay_alu instid0(VALU_DEP_1) | instskip(NEXT) | instid1(VALU_DEP_1)
	v_add_nc_u32_e32 v92, v91, v8
	v_add_nc_u32_e32 v93, v92, v9
	s_delay_alu instid0(VALU_DEP_1) | instskip(NEXT) | instid1(VALU_DEP_1)
	v_add_nc_u32_e32 v94, v93, v10
	;; [unrolled: 3-line block ×4, first 2 shown]
	v_add_nc_u32_e32 v6, v98, v17
	ds_load_b32 v99, v29
	ds_load_b32 v17, v30 offset:2048
	ds_load_b32 v90, v31 offset:4096
	;; [unrolled: 1-line block ×15, first 2 shown]
	s_wait_loadcnt_dscnt 0x0
	s_barrier_signal -1
	v_add_nc_u32_e32 v3, v6, v12
	s_barrier_wait -1
	global_inv scope:SCOPE_SE
	v_add_nc_u32_e32 v7, v3, v13
	s_delay_alu instid0(VALU_DEP_1) | instskip(NEXT) | instid1(VALU_DEP_1)
	v_add_nc_u32_e32 v4, v7, v4
	v_add_nc_u32_e32 v5, v4, v5
	s_delay_alu instid0(VALU_DEP_1)
	v_add_nc_u32_e32 v2, v5, v2
	ds_store_2addr_b32 v28, v22, v23 offset1:1
	ds_store_2addr_b32 v28, v91, v92 offset0:2 offset1:3
	ds_store_2addr_b32 v28, v93, v94 offset0:4 offset1:5
	;; [unrolled: 1-line block ×7, first 2 shown]
	s_wait_loadcnt_dscnt 0x0
	s_barrier_signal -1
	s_barrier_wait -1
	global_inv scope:SCOPE_SE
	ds_load_b32 v16, v30 offset:2048
	ds_load_b32 v15, v31 offset:4096
	;; [unrolled: 1-line block ×15, first 2 shown]
	v_cmpx_ne_u32_e32 0, v99
	s_cbranch_execz .LBB914_38
; %bb.36:                               ;   in Loop: Header=BB914_6 Depth=1
	ds_load_b32 v22, v29
	s_wait_dscnt 0x0
	v_ashrrev_i32_e32 v23, 31, v22
	s_delay_alu instid0(VALU_DEP_1)
	v_cmp_gt_i64_e32 vcc_lo, s[42:43], v[22:23]
	s_and_b32 exec_lo, exec_lo, vcc_lo
	s_cbranch_execz .LBB914_38
; %bb.37:                               ;   in Loop: Header=BB914_6 Depth=1
	v_lshlrev_b64_e32 v[22:23], 3, v[22:23]
	s_delay_alu instid0(VALU_DEP_1) | instskip(SKIP_1) | instid1(VALU_DEP_2)
	v_add_co_u32 v22, vcc_lo, s50, v22
	s_wait_alu 0xfffd
	v_add_co_ci_u32_e64 v23, null, s51, v23, vcc_lo
	global_store_b64 v[22:23], v[18:19], off
.LBB914_38:                             ;   in Loop: Header=BB914_6 Depth=1
	s_wait_alu 0xfffe
	s_or_b32 exec_lo, exec_lo, s0
	s_delay_alu instid0(SALU_CYCLE_1)
	s_mov_b32 s0, exec_lo
	v_cmpx_ne_u32_e32 0, v17
	s_cbranch_execz .LBB914_41
; %bb.39:                               ;   in Loop: Header=BB914_6 Depth=1
	s_wait_dscnt 0xe
	v_ashrrev_i32_e32 v17, 31, v16
	s_delay_alu instid0(VALU_DEP_1)
	v_cmp_gt_i64_e32 vcc_lo, s[42:43], v[16:17]
	s_and_b32 exec_lo, exec_lo, vcc_lo
	s_cbranch_execz .LBB914_41
; %bb.40:                               ;   in Loop: Header=BB914_6 Depth=1
	s_load_b32 s1, s[46:47], 0xc
	v_lshlrev_b64_e32 v[16:17], 3, v[16:17]
	s_wait_kmcnt 0x0
	s_and_b32 s1, s1, 0xffff
	s_wait_alu 0xfffe
	v_add_co_u32 v22, vcc_lo, v18, s1
	s_wait_alu 0xfffd
	v_add_co_ci_u32_e64 v23, null, 0, v19, vcc_lo
	v_add_co_u32 v16, vcc_lo, s50, v16
	s_wait_alu 0xfffd
	v_add_co_ci_u32_e64 v17, null, s51, v17, vcc_lo
	global_store_b64 v[16:17], v[22:23], off
.LBB914_41:                             ;   in Loop: Header=BB914_6 Depth=1
	s_wait_alu 0xfffe
	s_or_b32 exec_lo, exec_lo, s0
	s_delay_alu instid0(SALU_CYCLE_1)
	s_mov_b32 s0, exec_lo
	v_cmpx_ne_u32_e32 0, v90
	s_cbranch_execz .LBB914_44
; %bb.42:                               ;   in Loop: Header=BB914_6 Depth=1
	s_wait_dscnt 0xd
	v_ashrrev_i32_e32 v16, 31, v15
	s_delay_alu instid0(VALU_DEP_1)
	v_cmp_gt_i64_e32 vcc_lo, s[42:43], v[15:16]
	s_and_b32 exec_lo, exec_lo, vcc_lo
	s_cbranch_execz .LBB914_44
; %bb.43:                               ;   in Loop: Header=BB914_6 Depth=1
	s_load_b32 s1, s[46:47], 0xc
	v_lshlrev_b64_e32 v[15:16], 3, v[15:16]
	s_wait_kmcnt 0x0
	s_and_b32 s1, s1, 0xffff
	s_wait_alu 0xfffe
	s_lshl_b32 s1, s1, 1
	s_wait_alu 0xfffe
	v_add_co_u32 v22, vcc_lo, v18, s1
	s_wait_alu 0xfffd
	v_add_co_ci_u32_e64 v23, null, 0, v19, vcc_lo
	v_add_co_u32 v15, vcc_lo, s50, v15
	s_wait_alu 0xfffd
	v_add_co_ci_u32_e64 v16, null, s51, v16, vcc_lo
	global_store_b64 v[15:16], v[22:23], off
.LBB914_44:                             ;   in Loop: Header=BB914_6 Depth=1
	s_wait_alu 0xfffe
	s_or_b32 exec_lo, exec_lo, s0
	s_delay_alu instid0(SALU_CYCLE_1)
	s_mov_b32 s0, exec_lo
	v_cmpx_ne_u32_e32 0, v89
	s_cbranch_execz .LBB914_47
; %bb.45:                               ;   in Loop: Header=BB914_6 Depth=1
	s_wait_dscnt 0xc
	v_ashrrev_i32_e32 v15, 31, v14
	s_delay_alu instid0(VALU_DEP_1)
	v_cmp_gt_i64_e32 vcc_lo, s[42:43], v[14:15]
	s_and_b32 exec_lo, exec_lo, vcc_lo
	s_cbranch_execz .LBB914_47
; %bb.46:                               ;   in Loop: Header=BB914_6 Depth=1
	s_load_b32 s1, s[46:47], 0xc
	v_lshlrev_b64_e32 v[14:15], 3, v[14:15]
	s_wait_kmcnt 0x0
	s_and_b32 s1, s1, 0xffff
	s_wait_alu 0xfffe
	s_mul_i32 s1, s1, 3
	s_wait_alu 0xfffe
	v_add_co_u32 v16, vcc_lo, v18, s1
	s_wait_alu 0xfffd
	v_add_co_ci_u32_e64 v17, null, 0, v19, vcc_lo
	v_add_co_u32 v14, vcc_lo, s50, v14
	s_wait_alu 0xfffd
	v_add_co_ci_u32_e64 v15, null, s51, v15, vcc_lo
	global_store_b64 v[14:15], v[16:17], off
.LBB914_47:                             ;   in Loop: Header=BB914_6 Depth=1
	s_wait_alu 0xfffe
	s_or_b32 exec_lo, exec_lo, s0
	s_delay_alu instid0(SALU_CYCLE_1)
	s_mov_b32 s0, exec_lo
	v_cmpx_ne_u32_e32 0, v88
	s_cbranch_execz .LBB914_50
; %bb.48:                               ;   in Loop: Header=BB914_6 Depth=1
	s_wait_dscnt 0xb
	v_ashrrev_i32_e32 v14, 31, v13
	s_delay_alu instid0(VALU_DEP_1)
	v_cmp_gt_i64_e32 vcc_lo, s[42:43], v[13:14]
	s_and_b32 exec_lo, exec_lo, vcc_lo
	s_cbranch_execz .LBB914_50
; %bb.49:                               ;   in Loop: Header=BB914_6 Depth=1
	s_load_b32 s1, s[46:47], 0xc
	v_lshlrev_b64_e32 v[13:14], 3, v[13:14]
	s_wait_kmcnt 0x0
	s_and_b32 s1, s1, 0xffff
	s_wait_alu 0xfffe
	s_lshl_b32 s1, s1, 2
	s_wait_alu 0xfffe
	v_add_co_u32 v15, vcc_lo, v18, s1
	s_wait_alu 0xfffd
	v_add_co_ci_u32_e64 v16, null, 0, v19, vcc_lo
	v_add_co_u32 v13, vcc_lo, s50, v13
	s_wait_alu 0xfffd
	v_add_co_ci_u32_e64 v14, null, s51, v14, vcc_lo
	global_store_b64 v[13:14], v[15:16], off
.LBB914_50:                             ;   in Loop: Header=BB914_6 Depth=1
	s_wait_alu 0xfffe
	s_or_b32 exec_lo, exec_lo, s0
	s_delay_alu instid0(SALU_CYCLE_1)
	s_mov_b32 s0, exec_lo
	v_cmpx_ne_u32_e32 0, v87
	s_cbranch_execz .LBB914_53
; %bb.51:                               ;   in Loop: Header=BB914_6 Depth=1
	s_wait_dscnt 0xa
	v_ashrrev_i32_e32 v13, 31, v12
	s_delay_alu instid0(VALU_DEP_1)
	v_cmp_gt_i64_e32 vcc_lo, s[42:43], v[12:13]
	s_and_b32 exec_lo, exec_lo, vcc_lo
	s_cbranch_execz .LBB914_53
; %bb.52:                               ;   in Loop: Header=BB914_6 Depth=1
	s_load_b32 s1, s[46:47], 0xc
	v_lshlrev_b64_e32 v[12:13], 3, v[12:13]
	s_wait_kmcnt 0x0
	s_and_b32 s1, s1, 0xffff
	s_wait_alu 0xfffe
	s_mul_i32 s1, s1, 5
	s_wait_alu 0xfffe
	v_add_co_u32 v14, vcc_lo, v18, s1
	s_wait_alu 0xfffd
	v_add_co_ci_u32_e64 v15, null, 0, v19, vcc_lo
	v_add_co_u32 v12, vcc_lo, s50, v12
	s_wait_alu 0xfffd
	v_add_co_ci_u32_e64 v13, null, s51, v13, vcc_lo
	global_store_b64 v[12:13], v[14:15], off
.LBB914_53:                             ;   in Loop: Header=BB914_6 Depth=1
	s_wait_alu 0xfffe
	s_or_b32 exec_lo, exec_lo, s0
	s_delay_alu instid0(SALU_CYCLE_1)
	s_mov_b32 s0, exec_lo
	v_cmpx_ne_u32_e32 0, v86
	s_cbranch_execz .LBB914_56
; %bb.54:                               ;   in Loop: Header=BB914_6 Depth=1
	s_wait_dscnt 0x9
	v_ashrrev_i32_e32 v12, 31, v11
	s_delay_alu instid0(VALU_DEP_1)
	v_cmp_gt_i64_e32 vcc_lo, s[42:43], v[11:12]
	s_and_b32 exec_lo, exec_lo, vcc_lo
	s_cbranch_execz .LBB914_56
; %bb.55:                               ;   in Loop: Header=BB914_6 Depth=1
	s_load_b32 s1, s[46:47], 0xc
	v_lshlrev_b64_e32 v[11:12], 3, v[11:12]
	s_wait_kmcnt 0x0
	s_and_b32 s1, s1, 0xffff
	s_wait_alu 0xfffe
	s_mul_i32 s1, s1, 6
	s_wait_alu 0xfffe
	v_add_co_u32 v13, vcc_lo, v18, s1
	s_wait_alu 0xfffd
	v_add_co_ci_u32_e64 v14, null, 0, v19, vcc_lo
	v_add_co_u32 v11, vcc_lo, s50, v11
	s_wait_alu 0xfffd
	v_add_co_ci_u32_e64 v12, null, s51, v12, vcc_lo
	global_store_b64 v[11:12], v[13:14], off
.LBB914_56:                             ;   in Loop: Header=BB914_6 Depth=1
	;; [unrolled: 29-line block ×3, first 2 shown]
	s_wait_alu 0xfffe
	s_or_b32 exec_lo, exec_lo, s0
	s_delay_alu instid0(SALU_CYCLE_1)
	s_mov_b32 s0, exec_lo
	v_cmpx_ne_u32_e32 0, v84
	s_cbranch_execz .LBB914_62
; %bb.60:                               ;   in Loop: Header=BB914_6 Depth=1
	s_wait_dscnt 0x7
	v_ashrrev_i32_e32 v10, 31, v9
	s_delay_alu instid0(VALU_DEP_1)
	v_cmp_gt_i64_e32 vcc_lo, s[42:43], v[9:10]
	s_and_b32 exec_lo, exec_lo, vcc_lo
	s_cbranch_execz .LBB914_62
; %bb.61:                               ;   in Loop: Header=BB914_6 Depth=1
	s_load_b32 s1, s[46:47], 0xc
	v_lshlrev_b64_e32 v[9:10], 3, v[9:10]
	s_wait_kmcnt 0x0
	s_and_b32 s1, s1, 0xffff
	s_wait_alu 0xfffe
	s_lshl_b32 s1, s1, 3
	s_wait_alu 0xfffe
	v_add_co_u32 v11, vcc_lo, v18, s1
	s_wait_alu 0xfffd
	v_add_co_ci_u32_e64 v12, null, 0, v19, vcc_lo
	v_add_co_u32 v9, vcc_lo, s50, v9
	s_wait_alu 0xfffd
	v_add_co_ci_u32_e64 v10, null, s51, v10, vcc_lo
	global_store_b64 v[9:10], v[11:12], off
.LBB914_62:                             ;   in Loop: Header=BB914_6 Depth=1
	s_wait_alu 0xfffe
	s_or_b32 exec_lo, exec_lo, s0
	s_delay_alu instid0(SALU_CYCLE_1)
	s_mov_b32 s0, exec_lo
	v_cmpx_ne_u32_e32 0, v83
	s_cbranch_execz .LBB914_65
; %bb.63:                               ;   in Loop: Header=BB914_6 Depth=1
	s_wait_dscnt 0x6
	v_ashrrev_i32_e32 v9, 31, v8
	s_delay_alu instid0(VALU_DEP_1)
	v_cmp_gt_i64_e32 vcc_lo, s[42:43], v[8:9]
	s_and_b32 exec_lo, exec_lo, vcc_lo
	s_cbranch_execz .LBB914_65
; %bb.64:                               ;   in Loop: Header=BB914_6 Depth=1
	s_load_b32 s1, s[46:47], 0xc
	v_lshlrev_b64_e32 v[8:9], 3, v[8:9]
	s_wait_kmcnt 0x0
	s_and_b32 s1, s1, 0xffff
	s_wait_alu 0xfffe
	s_mul_i32 s1, s1, 9
	s_wait_alu 0xfffe
	v_add_co_u32 v10, vcc_lo, v18, s1
	s_wait_alu 0xfffd
	v_add_co_ci_u32_e64 v11, null, 0, v19, vcc_lo
	v_add_co_u32 v8, vcc_lo, s50, v8
	s_wait_alu 0xfffd
	v_add_co_ci_u32_e64 v9, null, s51, v9, vcc_lo
	global_store_b64 v[8:9], v[10:11], off
.LBB914_65:                             ;   in Loop: Header=BB914_6 Depth=1
	s_wait_alu 0xfffe
	s_or_b32 exec_lo, exec_lo, s0
	s_delay_alu instid0(SALU_CYCLE_1)
	s_mov_b32 s0, exec_lo
	v_cmpx_ne_u32_e32 0, v82
	s_cbranch_execz .LBB914_68
; %bb.66:                               ;   in Loop: Header=BB914_6 Depth=1
	s_wait_dscnt 0x5
	v_ashrrev_i32_e32 v8, 31, v7
	s_delay_alu instid0(VALU_DEP_1)
	v_cmp_gt_i64_e32 vcc_lo, s[42:43], v[7:8]
	s_and_b32 exec_lo, exec_lo, vcc_lo
	s_cbranch_execz .LBB914_68
; %bb.67:                               ;   in Loop: Header=BB914_6 Depth=1
	s_load_b32 s1, s[46:47], 0xc
	v_lshlrev_b64_e32 v[7:8], 3, v[7:8]
	s_wait_kmcnt 0x0
	s_and_b32 s1, s1, 0xffff
	s_wait_alu 0xfffe
	s_mul_i32 s1, s1, 10
	s_wait_alu 0xfffe
	v_add_co_u32 v9, vcc_lo, v18, s1
	s_wait_alu 0xfffd
	v_add_co_ci_u32_e64 v10, null, 0, v19, vcc_lo
	v_add_co_u32 v7, vcc_lo, s50, v7
	s_wait_alu 0xfffd
	v_add_co_ci_u32_e64 v8, null, s51, v8, vcc_lo
	global_store_b64 v[7:8], v[9:10], off
.LBB914_68:                             ;   in Loop: Header=BB914_6 Depth=1
	;; [unrolled: 29-line block ×7, first 2 shown]
	s_wait_alu 0xfffe
	s_or_b32 exec_lo, exec_lo, s0
	ds_load_b32 v0, v1 offset:33792
	v_cmp_lt_i64_e64 s12, 0x2000, s[48:49]
	s_wait_dscnt 0x0
	v_readfirstlane_b32 s0, v0
	s_ashr_i32 s1, s0, 31
	s_wait_alu 0xfffe
	s_sub_nc_u64 s[42:43], s[42:43], s[0:1]
	s_wait_alu 0xfffe
	v_cmp_gt_i64_e64 s13, s[42:43], 0
	s_and_b32 s12, s12, s13
	s_wait_alu 0xfffe
	s_and_not1_b32 vcc_lo, exec_lo, s12
	s_wait_alu 0xfffe
	s_cbranch_vccz .LBB914_5
; %bb.84:
                                        ; implicit-def: $sgpr48_sgpr49
                                        ; implicit-def: $sgpr50_sgpr51
                                        ; implicit-def: $vgpr18_vgpr19
                                        ; implicit-def: $sgpr52
                                        ; implicit-def: $vgpr20_vgpr21
	s_branch .LBB914_100
.LBB914_85:                             ;   in Loop: Header=BB914_6 Depth=1
	global_load_b128 v[2:5], v[20:21], off
	v_dual_mov_b32 v14, v1 :: v_dual_mov_b32 v15, v1
	v_dual_mov_b32 v6, v1 :: v_dual_mov_b32 v7, v1
	;; [unrolled: 1-line block ×5, first 2 shown]
	s_wait_loadcnt 0x0
	v_cmp_neq_f64_e32 vcc_lo, 0, v[2:3]
	v_cmp_neq_f64_e64 s0, 0, v[4:5]
	v_dual_mov_b32 v2, v1 :: v_dual_mov_b32 v3, v1
	v_dual_mov_b32 v4, v1 :: v_dual_mov_b32 v5, v1
	v_mov_b32_e32 v17, v15
	v_dual_mov_b32 v16, v14 :: v_dual_mov_b32 v15, v13
	v_mov_b32_e32 v14, v12
	v_mov_b32_e32 v13, v11
	;; [unrolled: 1-line block ×13, first 2 shown]
	s_or_b32 s0, vcc_lo, s0
	s_wait_alu 0xfffe
	v_cndmask_b32_e64 v0, 0, 1, s0
	s_or_b32 exec_lo, exec_lo, s1
	s_delay_alu instid0(SALU_CYCLE_1)
	s_mov_b32 s1, exec_lo
	v_cmpx_gt_u32_e64 s48, v46
	s_cbranch_execz .LBB914_9
.LBB914_86:                             ;   in Loop: Header=BB914_6 Depth=1
	global_load_b128 v[78:81], v[20:21], off offset:512
	s_wait_loadcnt 0x0
	v_cmp_neq_f64_e32 vcc_lo, 0, v[78:79]
	v_cmp_neq_f64_e64 s0, 0, v[80:81]
	s_or_b32 s0, vcc_lo, s0
	s_wait_alu 0xfffe
	v_cndmask_b32_e64 v3, 0, 1, s0
	s_or_b32 exec_lo, exec_lo, s1
	s_delay_alu instid0(SALU_CYCLE_1)
	s_mov_b32 s1, exec_lo
	v_cmpx_gt_u32_e64 s48, v47
	s_cbranch_execz .LBB914_10
.LBB914_87:                             ;   in Loop: Header=BB914_6 Depth=1
	global_load_b128 v[78:81], v[20:21], off offset:1024
	s_wait_loadcnt 0x0
	v_cmp_neq_f64_e32 vcc_lo, 0, v[78:79]
	v_cmp_neq_f64_e64 s0, 0, v[80:81]
	s_or_b32 s0, vcc_lo, s0
	s_wait_alu 0xfffe
	v_cndmask_b32_e64 v4, 0, 1, s0
	s_or_b32 exec_lo, exec_lo, s1
	s_delay_alu instid0(SALU_CYCLE_1)
	s_mov_b32 s1, exec_lo
	v_cmpx_gt_u32_e64 s48, v48
	s_cbranch_execz .LBB914_11
.LBB914_88:                             ;   in Loop: Header=BB914_6 Depth=1
	global_load_b128 v[78:81], v[20:21], off offset:1536
	s_wait_loadcnt 0x0
	v_cmp_neq_f64_e32 vcc_lo, 0, v[78:79]
	v_cmp_neq_f64_e64 s0, 0, v[80:81]
	s_or_b32 s0, vcc_lo, s0
	s_wait_alu 0xfffe
	v_cndmask_b32_e64 v5, 0, 1, s0
	s_or_b32 exec_lo, exec_lo, s1
	s_delay_alu instid0(SALU_CYCLE_1)
	s_mov_b32 s1, exec_lo
	v_cmpx_gt_u32_e64 s48, v49
	s_cbranch_execz .LBB914_12
.LBB914_89:                             ;   in Loop: Header=BB914_6 Depth=1
	global_load_b128 v[78:81], v[20:21], off offset:2048
	s_wait_loadcnt 0x0
	v_cmp_neq_f64_e32 vcc_lo, 0, v[78:79]
	v_cmp_neq_f64_e64 s0, 0, v[80:81]
	s_or_b32 s0, vcc_lo, s0
	s_wait_alu 0xfffe
	v_cndmask_b32_e64 v6, 0, 1, s0
	s_or_b32 exec_lo, exec_lo, s1
	s_delay_alu instid0(SALU_CYCLE_1)
	s_mov_b32 s1, exec_lo
	v_cmpx_gt_u32_e64 s48, v50
	s_cbranch_execz .LBB914_13
.LBB914_90:                             ;   in Loop: Header=BB914_6 Depth=1
	global_load_b128 v[78:81], v[20:21], off offset:2560
	s_wait_loadcnt 0x0
	v_cmp_neq_f64_e32 vcc_lo, 0, v[78:79]
	v_cmp_neq_f64_e64 s0, 0, v[80:81]
	s_or_b32 s0, vcc_lo, s0
	s_wait_alu 0xfffe
	v_cndmask_b32_e64 v7, 0, 1, s0
	s_or_b32 exec_lo, exec_lo, s1
	s_delay_alu instid0(SALU_CYCLE_1)
	s_mov_b32 s1, exec_lo
	v_cmpx_gt_u32_e64 s48, v51
	s_cbranch_execz .LBB914_14
.LBB914_91:                             ;   in Loop: Header=BB914_6 Depth=1
	global_load_b128 v[78:81], v[20:21], off offset:3072
	s_wait_loadcnt 0x0
	v_cmp_neq_f64_e32 vcc_lo, 0, v[78:79]
	v_cmp_neq_f64_e64 s0, 0, v[80:81]
	s_or_b32 s0, vcc_lo, s0
	s_wait_alu 0xfffe
	v_cndmask_b32_e64 v8, 0, 1, s0
	s_or_b32 exec_lo, exec_lo, s1
	s_delay_alu instid0(SALU_CYCLE_1)
	s_mov_b32 s1, exec_lo
	v_cmpx_gt_u32_e64 s48, v52
	s_cbranch_execz .LBB914_15
.LBB914_92:                             ;   in Loop: Header=BB914_6 Depth=1
	global_load_b128 v[78:81], v[20:21], off offset:3584
	s_wait_loadcnt 0x0
	v_cmp_neq_f64_e32 vcc_lo, 0, v[78:79]
	v_cmp_neq_f64_e64 s0, 0, v[80:81]
	s_or_b32 s0, vcc_lo, s0
	s_wait_alu 0xfffe
	v_cndmask_b32_e64 v9, 0, 1, s0
	s_or_b32 exec_lo, exec_lo, s1
	s_delay_alu instid0(SALU_CYCLE_1)
	s_mov_b32 s1, exec_lo
	v_cmpx_gt_u32_e64 s48, v53
	s_cbranch_execz .LBB914_16
.LBB914_93:                             ;   in Loop: Header=BB914_6 Depth=1
	global_load_b128 v[78:81], v[20:21], off offset:4096
	s_wait_loadcnt 0x0
	v_cmp_neq_f64_e32 vcc_lo, 0, v[78:79]
	v_cmp_neq_f64_e64 s0, 0, v[80:81]
	s_or_b32 s0, vcc_lo, s0
	s_wait_alu 0xfffe
	v_cndmask_b32_e64 v10, 0, 1, s0
	s_or_b32 exec_lo, exec_lo, s1
	s_delay_alu instid0(SALU_CYCLE_1)
	s_mov_b32 s1, exec_lo
	v_cmpx_gt_u32_e64 s48, v54
	s_cbranch_execz .LBB914_17
.LBB914_94:                             ;   in Loop: Header=BB914_6 Depth=1
	global_load_b128 v[78:81], v[20:21], off offset:4608
	s_wait_loadcnt 0x0
	v_cmp_neq_f64_e32 vcc_lo, 0, v[78:79]
	v_cmp_neq_f64_e64 s0, 0, v[80:81]
	s_or_b32 s0, vcc_lo, s0
	s_wait_alu 0xfffe
	v_cndmask_b32_e64 v11, 0, 1, s0
	s_or_b32 exec_lo, exec_lo, s1
	s_delay_alu instid0(SALU_CYCLE_1)
	s_mov_b32 s1, exec_lo
	v_cmpx_gt_u32_e64 s48, v55
	s_cbranch_execz .LBB914_18
.LBB914_95:                             ;   in Loop: Header=BB914_6 Depth=1
	global_load_b128 v[78:81], v[20:21], off offset:5120
	s_wait_loadcnt 0x0
	v_cmp_neq_f64_e32 vcc_lo, 0, v[78:79]
	v_cmp_neq_f64_e64 s0, 0, v[80:81]
	s_or_b32 s0, vcc_lo, s0
	s_wait_alu 0xfffe
	v_cndmask_b32_e64 v12, 0, 1, s0
	s_or_b32 exec_lo, exec_lo, s1
	s_delay_alu instid0(SALU_CYCLE_1)
	s_mov_b32 s1, exec_lo
	v_cmpx_gt_u32_e64 s48, v56
	s_cbranch_execz .LBB914_19
.LBB914_96:                             ;   in Loop: Header=BB914_6 Depth=1
	global_load_b128 v[78:81], v[20:21], off offset:5632
	s_wait_loadcnt 0x0
	v_cmp_neq_f64_e32 vcc_lo, 0, v[78:79]
	v_cmp_neq_f64_e64 s0, 0, v[80:81]
	s_or_b32 s0, vcc_lo, s0
	s_wait_alu 0xfffe
	v_cndmask_b32_e64 v13, 0, 1, s0
	s_or_b32 exec_lo, exec_lo, s1
	s_delay_alu instid0(SALU_CYCLE_1)
	s_mov_b32 s1, exec_lo
	v_cmpx_gt_u32_e64 s48, v57
	s_cbranch_execz .LBB914_20
.LBB914_97:                             ;   in Loop: Header=BB914_6 Depth=1
	global_load_b128 v[78:81], v[20:21], off offset:6144
	s_wait_loadcnt 0x0
	v_cmp_neq_f64_e32 vcc_lo, 0, v[78:79]
	v_cmp_neq_f64_e64 s0, 0, v[80:81]
	s_or_b32 s0, vcc_lo, s0
	s_wait_alu 0xfffe
	v_cndmask_b32_e64 v14, 0, 1, s0
	s_or_b32 exec_lo, exec_lo, s1
	s_delay_alu instid0(SALU_CYCLE_1)
	s_mov_b32 s1, exec_lo
	v_cmpx_gt_u32_e64 s48, v58
	s_cbranch_execz .LBB914_21
.LBB914_98:                             ;   in Loop: Header=BB914_6 Depth=1
	global_load_b128 v[78:81], v[20:21], off offset:6656
	s_wait_loadcnt 0x0
	v_cmp_neq_f64_e32 vcc_lo, 0, v[78:79]
	v_cmp_neq_f64_e64 s0, 0, v[80:81]
	s_or_b32 s0, vcc_lo, s0
	s_wait_alu 0xfffe
	v_cndmask_b32_e64 v15, 0, 1, s0
	s_or_b32 exec_lo, exec_lo, s1
	s_delay_alu instid0(SALU_CYCLE_1)
	s_mov_b32 s1, exec_lo
	v_cmpx_gt_u32_e64 s48, v59
	s_cbranch_execz .LBB914_22
.LBB914_99:                             ;   in Loop: Header=BB914_6 Depth=1
	global_load_b128 v[78:81], v[20:21], off offset:7168
	s_wait_loadcnt 0x0
	v_cmp_neq_f64_e32 vcc_lo, 0, v[78:79]
	v_cmp_neq_f64_e64 s0, 0, v[80:81]
	s_or_b32 s0, vcc_lo, s0
	s_wait_alu 0xfffe
	v_cndmask_b32_e64 v16, 0, 1, s0
	s_or_b32 exec_lo, exec_lo, s1
	s_delay_alu instid0(SALU_CYCLE_1)
	s_mov_b32 s1, exec_lo
	v_cmpx_gt_u32_e64 s48, v60
	s_cbranch_execnz .LBB914_23
	s_branch .LBB914_24
.LBB914_100:
	s_nop 0
	s_sendmsg sendmsg(MSG_DEALLOC_VGPRS)
	s_endpgm
	.section	.rodata,"a",@progbits
	.p2align	6, 0x0
	.amdhsa_kernel _ZN2at6native12_GLOBAL__N_111flag_kernelILi512ELi16EN3c107complexIdEEEEvPKT1_PlPKllli
		.amdhsa_group_segment_fixed_size 33796
		.amdhsa_private_segment_fixed_size 0
		.amdhsa_kernarg_size 304
		.amdhsa_user_sgpr_count 2
		.amdhsa_user_sgpr_dispatch_ptr 0
		.amdhsa_user_sgpr_queue_ptr 0
		.amdhsa_user_sgpr_kernarg_segment_ptr 1
		.amdhsa_user_sgpr_dispatch_id 0
		.amdhsa_user_sgpr_private_segment_size 0
		.amdhsa_wavefront_size32 1
		.amdhsa_uses_dynamic_stack 0
		.amdhsa_enable_private_segment 0
		.amdhsa_system_sgpr_workgroup_id_x 1
		.amdhsa_system_sgpr_workgroup_id_y 0
		.amdhsa_system_sgpr_workgroup_id_z 0
		.amdhsa_system_sgpr_workgroup_info 0
		.amdhsa_system_vgpr_workitem_id 0
		.amdhsa_next_free_vgpr 126
		.amdhsa_next_free_sgpr 53
		.amdhsa_reserve_vcc 1
		.amdhsa_float_round_mode_32 0
		.amdhsa_float_round_mode_16_64 0
		.amdhsa_float_denorm_mode_32 3
		.amdhsa_float_denorm_mode_16_64 3
		.amdhsa_fp16_overflow 0
		.amdhsa_workgroup_processor_mode 1
		.amdhsa_memory_ordered 1
		.amdhsa_forward_progress 1
		.amdhsa_inst_pref_size 60
		.amdhsa_round_robin_scheduling 0
		.amdhsa_exception_fp_ieee_invalid_op 0
		.amdhsa_exception_fp_denorm_src 0
		.amdhsa_exception_fp_ieee_div_zero 0
		.amdhsa_exception_fp_ieee_overflow 0
		.amdhsa_exception_fp_ieee_underflow 0
		.amdhsa_exception_fp_ieee_inexact 0
		.amdhsa_exception_int_div_zero 0
	.end_amdhsa_kernel
	.section	.text._ZN2at6native12_GLOBAL__N_111flag_kernelILi512ELi16EN3c107complexIdEEEEvPKT1_PlPKllli,"axG",@progbits,_ZN2at6native12_GLOBAL__N_111flag_kernelILi512ELi16EN3c107complexIdEEEEvPKT1_PlPKllli,comdat
.Lfunc_end914:
	.size	_ZN2at6native12_GLOBAL__N_111flag_kernelILi512ELi16EN3c107complexIdEEEEvPKT1_PlPKllli, .Lfunc_end914-_ZN2at6native12_GLOBAL__N_111flag_kernelILi512ELi16EN3c107complexIdEEEEvPKT1_PlPKllli
                                        ; -- End function
	.set _ZN2at6native12_GLOBAL__N_111flag_kernelILi512ELi16EN3c107complexIdEEEEvPKT1_PlPKllli.num_vgpr, 126
	.set _ZN2at6native12_GLOBAL__N_111flag_kernelILi512ELi16EN3c107complexIdEEEEvPKT1_PlPKllli.num_agpr, 0
	.set _ZN2at6native12_GLOBAL__N_111flag_kernelILi512ELi16EN3c107complexIdEEEEvPKT1_PlPKllli.numbered_sgpr, 53
	.set _ZN2at6native12_GLOBAL__N_111flag_kernelILi512ELi16EN3c107complexIdEEEEvPKT1_PlPKllli.num_named_barrier, 0
	.set _ZN2at6native12_GLOBAL__N_111flag_kernelILi512ELi16EN3c107complexIdEEEEvPKT1_PlPKllli.private_seg_size, 0
	.set _ZN2at6native12_GLOBAL__N_111flag_kernelILi512ELi16EN3c107complexIdEEEEvPKT1_PlPKllli.uses_vcc, 1
	.set _ZN2at6native12_GLOBAL__N_111flag_kernelILi512ELi16EN3c107complexIdEEEEvPKT1_PlPKllli.uses_flat_scratch, 0
	.set _ZN2at6native12_GLOBAL__N_111flag_kernelILi512ELi16EN3c107complexIdEEEEvPKT1_PlPKllli.has_dyn_sized_stack, 0
	.set _ZN2at6native12_GLOBAL__N_111flag_kernelILi512ELi16EN3c107complexIdEEEEvPKT1_PlPKllli.has_recursion, 0
	.set _ZN2at6native12_GLOBAL__N_111flag_kernelILi512ELi16EN3c107complexIdEEEEvPKT1_PlPKllli.has_indirect_call, 0
	.section	.AMDGPU.csdata,"",@progbits
; Kernel info:
; codeLenInByte = 7596
; TotalNumSgprs: 55
; NumVgprs: 126
; ScratchSize: 0
; MemoryBound: 0
; FloatMode: 240
; IeeeMode: 1
; LDSByteSize: 33796 bytes/workgroup (compile time only)
; SGPRBlocks: 0
; VGPRBlocks: 15
; NumSGPRsForWavesPerEU: 55
; NumVGPRsForWavesPerEU: 126
; Occupancy: 10
; WaveLimiterHint : 1
; COMPUTE_PGM_RSRC2:SCRATCH_EN: 0
; COMPUTE_PGM_RSRC2:USER_SGPR: 2
; COMPUTE_PGM_RSRC2:TRAP_HANDLER: 0
; COMPUTE_PGM_RSRC2:TGID_X_EN: 1
; COMPUTE_PGM_RSRC2:TGID_Y_EN: 0
; COMPUTE_PGM_RSRC2:TGID_Z_EN: 0
; COMPUTE_PGM_RSRC2:TIDIG_COMP_CNT: 0
	.section	.text._ZN2at4cuda3cub15calc_block_sumsILi512ELi16ELb1EN3c107complexIfEEiEEvPKT2_PT3_li,"axG",@progbits,_ZN2at4cuda3cub15calc_block_sumsILi512ELi16ELb1EN3c107complexIfEEiEEvPKT2_PT3_li,comdat
	.protected	_ZN2at4cuda3cub15calc_block_sumsILi512ELi16ELb1EN3c107complexIfEEiEEvPKT2_PT3_li ; -- Begin function _ZN2at4cuda3cub15calc_block_sumsILi512ELi16ELb1EN3c107complexIfEEiEEvPKT2_PT3_li
	.globl	_ZN2at4cuda3cub15calc_block_sumsILi512ELi16ELb1EN3c107complexIfEEiEEvPKT2_PT3_li
	.p2align	8
	.type	_ZN2at4cuda3cub15calc_block_sumsILi512ELi16ELb1EN3c107complexIfEEiEEvPKT2_PT3_li,@function
_ZN2at4cuda3cub15calc_block_sumsILi512ELi16ELb1EN3c107complexIfEEiEEvPKT2_PT3_li: ; @_ZN2at4cuda3cub15calc_block_sumsILi512ELi16ELb1EN3c107complexIfEEiEEvPKT2_PT3_li
; %bb.0:
	s_load_b96 s[8:10], s[0:1], 0x10
	s_mov_b32 s2, ttmp9
	s_mov_b32 s3, 0
	s_wait_kmcnt 0x0
	s_lshl_b32 s4, s10, 13
	s_delay_alu instid0(SALU_CYCLE_1) | instskip(NEXT) | instid1(SALU_CYCLE_1)
	s_ashr_i32 s5, s4, 31
	s_mul_u64 s[12:13], s[4:5], s[2:3]
	s_delay_alu instid0(SALU_CYCLE_1) | instskip(NEXT) | instid1(SALU_CYCLE_1)
	s_sub_nc_u64 s[8:9], s[8:9], s[12:13]
	v_cmp_lt_i64_e64 s4, s[8:9], 1
	s_and_b32 vcc_lo, exec_lo, s4
	s_cbranch_vccnz .LBB915_58
; %bb.1:
	s_load_b128 s[4:7], s[0:1], 0x0
	s_mov_b32 s0, -1
	s_cmp_gt_i32 s10, 0
	s_mov_b32 s1, -1
	s_cbranch_scc1 .LBB915_3
; %bb.2:
	s_mov_b32 s1, 0
.LBB915_3:
	v_mov_b32_e32 v20, 0
	s_and_not1_b32 vcc_lo, exec_lo, s1
	s_cbranch_vccnz .LBB915_56
; %bb.4:
	v_lshrrev_b32_e32 v1, 3, v0
	s_lshl_b64 s[12:13], s[12:13], 3
	v_dual_mov_b32 v20, 0 :: v_dual_add_nc_u32 v21, 0x200, v0
	s_wait_kmcnt 0x0
	s_add_nc_u64 s[4:5], s[4:5], s[12:13]
	v_and_b32_e32 v36, 0x7c, v1
	v_lshlrev_b32_e32 v1, 3, v0
	v_or_b32_e32 v22, 0x400, v0
	v_add_nc_u32_e32 v23, 0x600, v0
	v_or_b32_e32 v24, 0x800, v0
	v_add_nc_u32_e32 v25, 0xa00, v0
	v_add_co_u32 v2, s1, s4, v1
	s_delay_alu instid0(VALU_DEP_1) | instskip(SKIP_1) | instid1(VALU_DEP_3)
	v_add_co_ci_u32_e64 v3, null, s5, 0, s1
	v_or_b32_e32 v26, 0xc00, v0
	v_add_co_u32 v18, vcc_lo, 0xf004, v2
	v_add_nc_u32_e32 v27, 0xe00, v0
	v_or_b32_e32 v28, 0x1000, v0
	v_add_nc_u32_e32 v29, 0x1200, v0
	v_or_b32_e32 v30, 0x1400, v0
	;; [unrolled: 2-line block ×4, first 2 shown]
	v_add_nc_u32_e32 v35, 0x1e00, v0
	v_cmp_gt_u32_e64 s0, 32, v0
	v_mov_b32_e32 v1, 0
	v_add_co_ci_u32_e64 v19, null, 0, v3, vcc_lo
	v_mbcnt_lo_u32_b32 v37, -1, 0
	s_movk_i32 s4, 0xe000
	s_mov_b32 s5, -1
	s_branch .LBB915_6
.LBB915_5:                              ;   in Loop: Header=BB915_6 Depth=1
	v_add_nc_u32_e32 v20, v2, v20
	s_and_not1_b32 vcc_lo, exec_lo, s11
	s_wait_alu 0xfffe
	s_cbranch_vccz .LBB915_52
.LBB915_6:                              ; =>This Inner Loop Header: Depth=1
	v_cmp_gt_i64_e64 s1, 0x2000, s[8:9]
                                        ; implicit-def: $vgpr2
	s_and_b32 vcc_lo, exec_lo, s1
	s_mov_b32 s1, -1
	s_wait_alu 0xfffe
	s_cbranch_vccz .LBB915_29
; %bb.7:                                ;   in Loop: Header=BB915_6 Depth=1
	v_mov_b32_e32 v16, v1
	v_dual_mov_b32 v2, v1 :: v_dual_mov_b32 v3, v1
	v_dual_mov_b32 v4, v1 :: v_dual_mov_b32 v5, v1
	;; [unrolled: 1-line block ×7, first 2 shown]
	v_mov_b32_e32 v17, v16
	s_delay_alu instid0(VALU_DEP_2) | instskip(NEXT) | instid1(VALU_DEP_3)
	v_mov_b32_e32 v16, v15
	v_mov_b32_e32 v15, v14
	;; [unrolled: 1-line block ×15, first 2 shown]
	s_mov_b32 s1, exec_lo
	v_cmpx_gt_u32_e64 s8, v0
	s_cbranch_execnz .LBB915_37
; %bb.8:                                ;   in Loop: Header=BB915_6 Depth=1
	s_wait_alu 0xfffe
	s_or_b32 exec_lo, exec_lo, s1
	s_delay_alu instid0(SALU_CYCLE_1)
	s_mov_b32 s1, exec_lo
	v_cmpx_gt_u32_e64 s8, v21
	s_cbranch_execnz .LBB915_38
.LBB915_9:                              ;   in Loop: Header=BB915_6 Depth=1
	s_wait_alu 0xfffe
	s_or_b32 exec_lo, exec_lo, s1
	s_delay_alu instid0(SALU_CYCLE_1)
	s_mov_b32 s1, exec_lo
	v_cmpx_gt_u32_e64 s8, v22
	s_cbranch_execnz .LBB915_39
.LBB915_10:                             ;   in Loop: Header=BB915_6 Depth=1
	s_wait_alu 0xfffe
	s_or_b32 exec_lo, exec_lo, s1
	s_delay_alu instid0(SALU_CYCLE_1)
	s_mov_b32 s1, exec_lo
	v_cmpx_gt_u32_e64 s8, v23
	s_cbranch_execnz .LBB915_40
.LBB915_11:                             ;   in Loop: Header=BB915_6 Depth=1
	s_wait_alu 0xfffe
	s_or_b32 exec_lo, exec_lo, s1
	s_delay_alu instid0(SALU_CYCLE_1)
	s_mov_b32 s1, exec_lo
	v_cmpx_gt_u32_e64 s8, v24
	s_cbranch_execnz .LBB915_41
.LBB915_12:                             ;   in Loop: Header=BB915_6 Depth=1
	s_wait_alu 0xfffe
	s_or_b32 exec_lo, exec_lo, s1
	s_delay_alu instid0(SALU_CYCLE_1)
	s_mov_b32 s1, exec_lo
	v_cmpx_gt_u32_e64 s8, v25
	s_cbranch_execnz .LBB915_42
.LBB915_13:                             ;   in Loop: Header=BB915_6 Depth=1
	s_wait_alu 0xfffe
	s_or_b32 exec_lo, exec_lo, s1
	s_delay_alu instid0(SALU_CYCLE_1)
	s_mov_b32 s1, exec_lo
	v_cmpx_gt_u32_e64 s8, v26
	s_cbranch_execnz .LBB915_43
.LBB915_14:                             ;   in Loop: Header=BB915_6 Depth=1
	s_wait_alu 0xfffe
	s_or_b32 exec_lo, exec_lo, s1
	s_delay_alu instid0(SALU_CYCLE_1)
	s_mov_b32 s1, exec_lo
	v_cmpx_gt_u32_e64 s8, v27
	s_cbranch_execnz .LBB915_44
.LBB915_15:                             ;   in Loop: Header=BB915_6 Depth=1
	s_wait_alu 0xfffe
	s_or_b32 exec_lo, exec_lo, s1
	s_delay_alu instid0(SALU_CYCLE_1)
	s_mov_b32 s1, exec_lo
	v_cmpx_gt_u32_e64 s8, v28
	s_cbranch_execnz .LBB915_45
.LBB915_16:                             ;   in Loop: Header=BB915_6 Depth=1
	s_wait_alu 0xfffe
	s_or_b32 exec_lo, exec_lo, s1
	s_delay_alu instid0(SALU_CYCLE_1)
	s_mov_b32 s1, exec_lo
	v_cmpx_gt_u32_e64 s8, v29
	s_cbranch_execnz .LBB915_46
.LBB915_17:                             ;   in Loop: Header=BB915_6 Depth=1
	s_wait_alu 0xfffe
	s_or_b32 exec_lo, exec_lo, s1
	s_delay_alu instid0(SALU_CYCLE_1)
	s_mov_b32 s1, exec_lo
	v_cmpx_gt_u32_e64 s8, v30
	s_cbranch_execnz .LBB915_47
.LBB915_18:                             ;   in Loop: Header=BB915_6 Depth=1
	s_wait_alu 0xfffe
	s_or_b32 exec_lo, exec_lo, s1
	s_delay_alu instid0(SALU_CYCLE_1)
	s_mov_b32 s1, exec_lo
	v_cmpx_gt_u32_e64 s8, v31
	s_cbranch_execnz .LBB915_48
.LBB915_19:                             ;   in Loop: Header=BB915_6 Depth=1
	s_wait_alu 0xfffe
	s_or_b32 exec_lo, exec_lo, s1
	s_delay_alu instid0(SALU_CYCLE_1)
	s_mov_b32 s1, exec_lo
	v_cmpx_gt_u32_e64 s8, v32
	s_cbranch_execnz .LBB915_49
.LBB915_20:                             ;   in Loop: Header=BB915_6 Depth=1
	s_wait_alu 0xfffe
	s_or_b32 exec_lo, exec_lo, s1
	s_delay_alu instid0(SALU_CYCLE_1)
	s_mov_b32 s1, exec_lo
	v_cmpx_gt_u32_e64 s8, v33
	s_cbranch_execnz .LBB915_50
.LBB915_21:                             ;   in Loop: Header=BB915_6 Depth=1
	s_wait_alu 0xfffe
	s_or_b32 exec_lo, exec_lo, s1
	s_delay_alu instid0(SALU_CYCLE_1)
	s_mov_b32 s1, exec_lo
	v_cmpx_gt_u32_e64 s8, v34
	s_cbranch_execnz .LBB915_51
.LBB915_22:                             ;   in Loop: Header=BB915_6 Depth=1
	s_wait_alu 0xfffe
	s_or_b32 exec_lo, exec_lo, s1
	s_delay_alu instid0(SALU_CYCLE_1)
	s_mov_b32 s1, exec_lo
	v_cmpx_gt_u32_e64 s8, v35
	s_cbranch_execz .LBB915_24
.LBB915_23:                             ;   in Loop: Header=BB915_6 Depth=1
	global_load_b64 v[38:39], v[18:19], off offset:-4
	s_wait_loadcnt 0x0
	v_or_b32_e32 v17, v38, v39
	s_delay_alu instid0(VALU_DEP_1) | instskip(NEXT) | instid1(VALU_DEP_1)
	v_and_b32_e32 v17, 0x7fffffff, v17
	v_cmp_ne_u32_e32 vcc_lo, 0, v17
	s_wait_alu 0xfffd
	v_cndmask_b32_e64 v17, 0, 1, vcc_lo
.LBB915_24:                             ;   in Loop: Header=BB915_6 Depth=1
	s_wait_alu 0xfffe
	s_or_b32 exec_lo, exec_lo, s1
	v_add_nc_u32_e32 v2, v3, v2
	s_mov_b32 s1, exec_lo
	s_barrier_signal -1
	s_barrier_wait -1
	s_delay_alu instid0(VALU_DEP_1) | instskip(SKIP_2) | instid1(VALU_DEP_1)
	v_add3_u32 v2, v2, v4, v5
	global_inv scope:SCOPE_SE
	v_add3_u32 v2, v2, v6, v7
	v_add3_u32 v2, v2, v8, v9
	s_delay_alu instid0(VALU_DEP_1) | instskip(NEXT) | instid1(VALU_DEP_1)
	v_add3_u32 v2, v2, v10, v11
	v_add3_u32 v2, v2, v12, v13
	s_delay_alu instid0(VALU_DEP_1) | instskip(NEXT) | instid1(VALU_DEP_1)
	;; [unrolled: 3-line block ×3, first 2 shown]
	v_mov_b32_dpp v3, v2 quad_perm:[1,0,3,2] row_mask:0xf bank_mask:0xf
	v_add_nc_u32_e32 v2, v2, v3
	s_delay_alu instid0(VALU_DEP_1) | instskip(NEXT) | instid1(VALU_DEP_1)
	v_mov_b32_dpp v3, v2 quad_perm:[2,3,0,1] row_mask:0xf bank_mask:0xf
	v_add_nc_u32_e32 v2, v2, v3
	s_delay_alu instid0(VALU_DEP_1) | instskip(NEXT) | instid1(VALU_DEP_1)
	v_mov_b32_dpp v3, v2 row_ror:4 row_mask:0xf bank_mask:0xf
	v_add_nc_u32_e32 v2, v2, v3
	s_delay_alu instid0(VALU_DEP_1) | instskip(NEXT) | instid1(VALU_DEP_1)
	v_mov_b32_dpp v3, v2 row_ror:8 row_mask:0xf bank_mask:0xf
	v_add_nc_u32_e32 v2, v2, v3
	ds_swizzle_b32 v3, v2 offset:swizzle(BROADCAST,32,15)
	s_wait_dscnt 0x0
	v_add_nc_u32_e32 v2, v2, v3
	ds_bpermute_b32 v2, v1, v2 offset:124
	v_cmpx_eq_u32_e32 0, v37
	s_cbranch_execz .LBB915_26
; %bb.25:                               ;   in Loop: Header=BB915_6 Depth=1
	s_wait_dscnt 0x0
	ds_store_b32 v36, v2
.LBB915_26:                             ;   in Loop: Header=BB915_6 Depth=1
	s_wait_alu 0xfffe
	s_or_b32 exec_lo, exec_lo, s1
	s_wait_loadcnt_dscnt 0x0
	s_barrier_signal -1
	s_barrier_wait -1
	global_inv scope:SCOPE_SE
	s_and_saveexec_b32 s1, s0
	s_cbranch_execz .LBB915_28
; %bb.27:                               ;   in Loop: Header=BB915_6 Depth=1
	v_and_b32_e32 v2, 15, v37
	s_delay_alu instid0(VALU_DEP_1)
	v_lshlrev_b32_e32 v3, 2, v2
	v_cmp_ne_u32_e32 vcc_lo, 15, v2
	ds_load_b32 v3, v3
	s_wait_alu 0xfffd
	v_add_co_ci_u32_e64 v4, null, 0, v37, vcc_lo
	v_cmp_gt_u32_e32 vcc_lo, 14, v2
	s_delay_alu instid0(VALU_DEP_2) | instskip(SKIP_3) | instid1(VALU_DEP_2)
	v_lshlrev_b32_e32 v4, 2, v4
	s_wait_alu 0xfffd
	v_cndmask_b32_e64 v5, 0, 2, vcc_lo
	v_cmp_gt_u32_e32 vcc_lo, 12, v2
	v_add_lshl_u32 v5, v5, v37, 2
	s_wait_alu 0xfffd
	v_cndmask_b32_e64 v2, 0, 4, vcc_lo
	s_delay_alu instid0(VALU_DEP_1)
	v_add_lshl_u32 v2, v2, v37, 2
	s_wait_dscnt 0x0
	ds_bpermute_b32 v4, v4, v3
	s_wait_dscnt 0x0
	v_add_nc_u32_e32 v3, v4, v3
	ds_bpermute_b32 v4, v5, v3
	s_wait_dscnt 0x0
	v_add_nc_u32_e32 v3, v4, v3
	v_lshlrev_b32_e32 v4, 2, v37
	ds_bpermute_b32 v2, v2, v3
	s_wait_dscnt 0x0
	v_add_nc_u32_e32 v2, v2, v3
	v_or_b32_e32 v3, 32, v4
	ds_bpermute_b32 v3, v3, v2
	s_wait_dscnt 0x0
	v_add_nc_u32_e32 v2, v3, v2
.LBB915_28:                             ;   in Loop: Header=BB915_6 Depth=1
	s_wait_alu 0xfffe
	s_or_b32 exec_lo, exec_lo, s1
	s_mov_b32 s1, 0
.LBB915_29:                             ;   in Loop: Header=BB915_6 Depth=1
	s_wait_alu 0xfffe
	s_and_b32 vcc_lo, exec_lo, s1
	s_wait_alu 0xfffe
	s_cbranch_vccz .LBB915_35
; %bb.30:                               ;   in Loop: Header=BB915_6 Depth=1
	s_clause 0xf
	global_load_b64 v[2:3], v[18:19], off offset:-61444
	global_load_b64 v[4:5], v[18:19], off offset:-57348
	;; [unrolled: 1-line block ×16, first 2 shown]
	s_mov_b32 s1, exec_lo
	s_wait_loadcnt 0x0
	s_barrier_signal -1
	s_barrier_wait -1
	global_inv scope:SCOPE_SE
	v_or_b32_e32 v2, v2, v3
	v_or_b32_e32 v3, v4, v5
	;; [unrolled: 1-line block ×5, first 2 shown]
	v_and_b32_e32 v2, 0x7fffffff, v2
	v_and_b32_e32 v3, 0x7fffffff, v3
	;; [unrolled: 1-line block ×3, first 2 shown]
	v_or_b32_e32 v8, v14, v15
	v_and_b32_e32 v6, 0x7fffffff, v6
	v_cmp_ne_u32_e32 vcc_lo, 0, v2
	v_and_b32_e32 v5, 0x7fffffff, v5
	v_or_b32_e32 v7, v12, v13
	v_and_b32_e32 v8, 0x7fffffff, v8
	v_or_b32_e32 v10, v38, v39
	s_wait_alu 0xfffd
	v_cndmask_b32_e64 v2, 0, 1, vcc_lo
	v_cmp_ne_u32_e32 vcc_lo, 0, v4
	v_and_b32_e32 v7, 0x7fffffff, v7
	v_or_b32_e32 v9, v16, v17
	v_and_b32_e32 v10, 0x7fffffff, v10
	v_or_b32_e32 v12, v42, v43
	s_wait_alu 0xfffd
	v_cndmask_b32_e64 v4, 0, 1, vcc_lo
	v_cmp_ne_u32_e32 vcc_lo, 0, v3
	v_and_b32_e32 v9, 0x7fffffff, v9
	v_or_b32_e32 v11, v40, v41
	v_and_b32_e32 v12, 0x7fffffff, v12
	v_or_b32_e32 v14, v46, v47
	s_wait_alu 0xfffd
	v_add_co_ci_u32_e64 v2, null, 0, v2, vcc_lo
	v_cmp_ne_u32_e32 vcc_lo, 0, v6
	v_and_b32_e32 v11, 0x7fffffff, v11
	v_or_b32_e32 v13, v44, v45
	v_and_b32_e32 v14, 0x7fffffff, v14
	v_or_b32_e32 v16, v50, v51
	s_wait_alu 0xfffd
	v_cndmask_b32_e64 v3, 0, 1, vcc_lo
	v_cmp_ne_u32_e32 vcc_lo, 0, v5
	v_and_b32_e32 v13, 0x7fffffff, v13
	v_or_b32_e32 v15, v48, v49
	v_and_b32_e32 v16, 0x7fffffff, v16
	v_or_b32_e32 v17, v52, v53
	s_wait_alu 0xfffd
	v_add_co_ci_u32_e64 v2, null, v2, v4, vcc_lo
	v_cmp_ne_u32_e32 vcc_lo, 0, v8
	v_and_b32_e32 v15, 0x7fffffff, v15
	v_and_b32_e32 v5, 0x7fffffff, v17
	s_wait_alu 0xfffd
	v_cndmask_b32_e64 v4, 0, 1, vcc_lo
	v_cmp_ne_u32_e32 vcc_lo, 0, v7
	s_wait_alu 0xfffd
	v_add_co_ci_u32_e64 v2, null, v2, v3, vcc_lo
	v_cmp_ne_u32_e32 vcc_lo, 0, v10
	s_wait_alu 0xfffd
	v_cndmask_b32_e64 v3, 0, 1, vcc_lo
	v_cmp_ne_u32_e32 vcc_lo, 0, v9
	s_wait_alu 0xfffd
	v_add_co_ci_u32_e64 v2, null, v2, v4, vcc_lo
	v_cmp_ne_u32_e32 vcc_lo, 0, v12
	;; [unrolled: 6-line block ×5, first 2 shown]
	s_wait_alu 0xfffd
	s_delay_alu instid0(VALU_DEP_2) | instskip(NEXT) | instid1(VALU_DEP_1)
	v_add_co_ci_u32_e64 v2, null, v2, v4, vcc_lo
	v_mov_b32_dpp v3, v2 quad_perm:[1,0,3,2] row_mask:0xf bank_mask:0xf
	s_delay_alu instid0(VALU_DEP_1) | instskip(NEXT) | instid1(VALU_DEP_1)
	v_add_nc_u32_e32 v2, v3, v2
	v_mov_b32_dpp v3, v2 quad_perm:[2,3,0,1] row_mask:0xf bank_mask:0xf
	s_delay_alu instid0(VALU_DEP_1) | instskip(NEXT) | instid1(VALU_DEP_1)
	v_add_nc_u32_e32 v2, v2, v3
	v_mov_b32_dpp v3, v2 row_ror:4 row_mask:0xf bank_mask:0xf
	s_delay_alu instid0(VALU_DEP_1) | instskip(NEXT) | instid1(VALU_DEP_1)
	v_add_nc_u32_e32 v2, v2, v3
	v_mov_b32_dpp v3, v2 row_ror:8 row_mask:0xf bank_mask:0xf
	s_delay_alu instid0(VALU_DEP_1)
	v_add_nc_u32_e32 v2, v2, v3
	ds_swizzle_b32 v3, v2 offset:swizzle(BROADCAST,32,15)
	s_wait_dscnt 0x0
	v_add_nc_u32_e32 v2, v2, v3
	ds_bpermute_b32 v2, v1, v2 offset:124
	v_cmpx_eq_u32_e32 0, v37
	s_cbranch_execz .LBB915_32
; %bb.31:                               ;   in Loop: Header=BB915_6 Depth=1
	s_wait_dscnt 0x0
	ds_store_b32 v36, v2
.LBB915_32:                             ;   in Loop: Header=BB915_6 Depth=1
	s_wait_alu 0xfffe
	s_or_b32 exec_lo, exec_lo, s1
	s_wait_loadcnt_dscnt 0x0
	s_barrier_signal -1
	s_barrier_wait -1
	global_inv scope:SCOPE_SE
	s_and_saveexec_b32 s1, s0
	s_cbranch_execz .LBB915_34
; %bb.33:                               ;   in Loop: Header=BB915_6 Depth=1
	v_and_b32_e32 v2, 15, v37
	s_delay_alu instid0(VALU_DEP_1)
	v_lshlrev_b32_e32 v3, 2, v2
	v_cmp_ne_u32_e32 vcc_lo, 15, v2
	ds_load_b32 v3, v3
	s_wait_alu 0xfffd
	v_add_co_ci_u32_e64 v4, null, 0, v37, vcc_lo
	v_cmp_gt_u32_e32 vcc_lo, 14, v2
	s_delay_alu instid0(VALU_DEP_2) | instskip(SKIP_3) | instid1(VALU_DEP_2)
	v_lshlrev_b32_e32 v4, 2, v4
	s_wait_alu 0xfffd
	v_cndmask_b32_e64 v5, 0, 2, vcc_lo
	v_cmp_gt_u32_e32 vcc_lo, 12, v2
	v_add_lshl_u32 v5, v5, v37, 2
	s_wait_alu 0xfffd
	v_cndmask_b32_e64 v2, 0, 4, vcc_lo
	s_delay_alu instid0(VALU_DEP_1)
	v_add_lshl_u32 v2, v2, v37, 2
	s_wait_dscnt 0x0
	ds_bpermute_b32 v4, v4, v3
	s_wait_dscnt 0x0
	v_add_nc_u32_e32 v3, v4, v3
	ds_bpermute_b32 v4, v5, v3
	s_wait_dscnt 0x0
	v_add_nc_u32_e32 v3, v4, v3
	v_lshlrev_b32_e32 v4, 2, v37
	ds_bpermute_b32 v2, v2, v3
	s_wait_dscnt 0x0
	v_add_nc_u32_e32 v2, v2, v3
	v_or_b32_e32 v3, 32, v4
	ds_bpermute_b32 v3, v3, v2
	s_wait_dscnt 0x0
	v_add_nc_u32_e32 v2, v3, v2
.LBB915_34:                             ;   in Loop: Header=BB915_6 Depth=1
	s_wait_alu 0xfffe
	s_or_b32 exec_lo, exec_lo, s1
.LBB915_35:                             ;   in Loop: Header=BB915_6 Depth=1
	v_cmp_lt_i64_e64 s11, 0x2000, s[8:9]
	s_mov_b32 s1, -1
	s_and_b32 vcc_lo, exec_lo, s11
	s_mov_b32 s11, -1
	s_wait_alu 0xfffe
	s_cbranch_vccz .LBB915_5
; %bb.36:                               ;   in Loop: Header=BB915_6 Depth=1
	v_add_co_u32 v18, vcc_lo, 0x10000, v18
	s_add_co_i32 s10, s10, -1
	s_wait_alu 0xfffd
	v_add_co_ci_u32_e64 v19, null, 0, v19, vcc_lo
	s_cmp_eq_u32 s10, 0
	s_add_nc_u64 s[8:9], s[8:9], s[4:5]
	s_mov_b32 s1, 0
	s_cselect_b32 s11, -1, 0
	s_wait_loadcnt 0x0
	s_barrier_signal -1
	s_barrier_wait -1
	global_inv scope:SCOPE_SE
	s_branch .LBB915_5
.LBB915_37:                             ;   in Loop: Header=BB915_6 Depth=1
	global_load_b64 v[5:6], v[18:19], off offset:-61444
	v_dual_mov_b32 v3, v1 :: v_dual_mov_b32 v4, v1
	v_dual_mov_b32 v7, v1 :: v_dual_mov_b32 v8, v1
	;; [unrolled: 1-line block ×6, first 2 shown]
	v_mov_b32_e32 v9, v1
	s_wait_loadcnt 0x0
	v_or_b32_e32 v2, v5, v6
	v_dual_mov_b32 v5, v1 :: v_dual_mov_b32 v6, v1
	s_delay_alu instid0(VALU_DEP_2) | instskip(NEXT) | instid1(VALU_DEP_1)
	v_and_b32_e32 v2, 0x7fffffff, v2
	v_cmp_ne_u32_e32 vcc_lo, 0, v2
	s_wait_alu 0xfffd
	v_cndmask_b32_e64 v2, 0, 1, vcc_lo
	s_delay_alu instid0(VALU_DEP_1) | instskip(SKIP_2) | instid1(SALU_CYCLE_1)
	v_and_b32_e32 v2, 0xffff, v2
	s_wait_alu 0xfffe
	s_or_b32 exec_lo, exec_lo, s1
	s_mov_b32 s1, exec_lo
	v_cmpx_gt_u32_e64 s8, v21
	s_cbranch_execz .LBB915_9
.LBB915_38:                             ;   in Loop: Header=BB915_6 Depth=1
	global_load_b64 v[38:39], v[18:19], off offset:-57348
	s_wait_loadcnt 0x0
	v_or_b32_e32 v3, v38, v39
	s_delay_alu instid0(VALU_DEP_1) | instskip(NEXT) | instid1(VALU_DEP_1)
	v_and_b32_e32 v3, 0x7fffffff, v3
	v_cmp_ne_u32_e32 vcc_lo, 0, v3
	s_wait_alu 0xfffd
	v_cndmask_b32_e64 v3, 0, 1, vcc_lo
	s_wait_alu 0xfffe
	s_or_b32 exec_lo, exec_lo, s1
	s_delay_alu instid0(SALU_CYCLE_1)
	s_mov_b32 s1, exec_lo
	v_cmpx_gt_u32_e64 s8, v22
	s_cbranch_execz .LBB915_10
.LBB915_39:                             ;   in Loop: Header=BB915_6 Depth=1
	global_load_b64 v[38:39], v[18:19], off offset:-53252
	s_wait_loadcnt 0x0
	v_or_b32_e32 v4, v38, v39
	s_delay_alu instid0(VALU_DEP_1) | instskip(NEXT) | instid1(VALU_DEP_1)
	v_and_b32_e32 v4, 0x7fffffff, v4
	v_cmp_ne_u32_e32 vcc_lo, 0, v4
	s_wait_alu 0xfffd
	v_cndmask_b32_e64 v4, 0, 1, vcc_lo
	s_wait_alu 0xfffe
	s_or_b32 exec_lo, exec_lo, s1
	s_delay_alu instid0(SALU_CYCLE_1)
	s_mov_b32 s1, exec_lo
	v_cmpx_gt_u32_e64 s8, v23
	s_cbranch_execz .LBB915_11
.LBB915_40:                             ;   in Loop: Header=BB915_6 Depth=1
	global_load_b64 v[38:39], v[18:19], off offset:-49156
	s_wait_loadcnt 0x0
	v_or_b32_e32 v5, v38, v39
	s_delay_alu instid0(VALU_DEP_1) | instskip(NEXT) | instid1(VALU_DEP_1)
	v_and_b32_e32 v5, 0x7fffffff, v5
	v_cmp_ne_u32_e32 vcc_lo, 0, v5
	s_wait_alu 0xfffd
	v_cndmask_b32_e64 v5, 0, 1, vcc_lo
	s_wait_alu 0xfffe
	s_or_b32 exec_lo, exec_lo, s1
	s_delay_alu instid0(SALU_CYCLE_1)
	s_mov_b32 s1, exec_lo
	v_cmpx_gt_u32_e64 s8, v24
	s_cbranch_execz .LBB915_12
.LBB915_41:                             ;   in Loop: Header=BB915_6 Depth=1
	global_load_b64 v[38:39], v[18:19], off offset:-45060
	s_wait_loadcnt 0x0
	v_or_b32_e32 v6, v38, v39
	s_delay_alu instid0(VALU_DEP_1) | instskip(NEXT) | instid1(VALU_DEP_1)
	v_and_b32_e32 v6, 0x7fffffff, v6
	v_cmp_ne_u32_e32 vcc_lo, 0, v6
	s_wait_alu 0xfffd
	v_cndmask_b32_e64 v6, 0, 1, vcc_lo
	s_wait_alu 0xfffe
	s_or_b32 exec_lo, exec_lo, s1
	s_delay_alu instid0(SALU_CYCLE_1)
	s_mov_b32 s1, exec_lo
	v_cmpx_gt_u32_e64 s8, v25
	s_cbranch_execz .LBB915_13
.LBB915_42:                             ;   in Loop: Header=BB915_6 Depth=1
	global_load_b64 v[38:39], v[18:19], off offset:-40964
	s_wait_loadcnt 0x0
	v_or_b32_e32 v7, v38, v39
	s_delay_alu instid0(VALU_DEP_1) | instskip(NEXT) | instid1(VALU_DEP_1)
	v_and_b32_e32 v7, 0x7fffffff, v7
	v_cmp_ne_u32_e32 vcc_lo, 0, v7
	s_wait_alu 0xfffd
	v_cndmask_b32_e64 v7, 0, 1, vcc_lo
	s_wait_alu 0xfffe
	s_or_b32 exec_lo, exec_lo, s1
	s_delay_alu instid0(SALU_CYCLE_1)
	s_mov_b32 s1, exec_lo
	v_cmpx_gt_u32_e64 s8, v26
	s_cbranch_execz .LBB915_14
.LBB915_43:                             ;   in Loop: Header=BB915_6 Depth=1
	global_load_b64 v[38:39], v[18:19], off offset:-36868
	s_wait_loadcnt 0x0
	v_or_b32_e32 v8, v38, v39
	s_delay_alu instid0(VALU_DEP_1) | instskip(NEXT) | instid1(VALU_DEP_1)
	v_and_b32_e32 v8, 0x7fffffff, v8
	v_cmp_ne_u32_e32 vcc_lo, 0, v8
	s_wait_alu 0xfffd
	v_cndmask_b32_e64 v8, 0, 1, vcc_lo
	s_wait_alu 0xfffe
	s_or_b32 exec_lo, exec_lo, s1
	s_delay_alu instid0(SALU_CYCLE_1)
	s_mov_b32 s1, exec_lo
	v_cmpx_gt_u32_e64 s8, v27
	s_cbranch_execz .LBB915_15
.LBB915_44:                             ;   in Loop: Header=BB915_6 Depth=1
	global_load_b64 v[38:39], v[18:19], off offset:-32772
	s_wait_loadcnt 0x0
	v_or_b32_e32 v9, v38, v39
	s_delay_alu instid0(VALU_DEP_1) | instskip(NEXT) | instid1(VALU_DEP_1)
	v_and_b32_e32 v9, 0x7fffffff, v9
	v_cmp_ne_u32_e32 vcc_lo, 0, v9
	s_wait_alu 0xfffd
	v_cndmask_b32_e64 v9, 0, 1, vcc_lo
	s_wait_alu 0xfffe
	s_or_b32 exec_lo, exec_lo, s1
	s_delay_alu instid0(SALU_CYCLE_1)
	s_mov_b32 s1, exec_lo
	v_cmpx_gt_u32_e64 s8, v28
	s_cbranch_execz .LBB915_16
.LBB915_45:                             ;   in Loop: Header=BB915_6 Depth=1
	global_load_b64 v[38:39], v[18:19], off offset:-28676
	s_wait_loadcnt 0x0
	v_or_b32_e32 v10, v38, v39
	s_delay_alu instid0(VALU_DEP_1) | instskip(NEXT) | instid1(VALU_DEP_1)
	v_and_b32_e32 v10, 0x7fffffff, v10
	v_cmp_ne_u32_e32 vcc_lo, 0, v10
	s_wait_alu 0xfffd
	v_cndmask_b32_e64 v10, 0, 1, vcc_lo
	s_wait_alu 0xfffe
	s_or_b32 exec_lo, exec_lo, s1
	s_delay_alu instid0(SALU_CYCLE_1)
	s_mov_b32 s1, exec_lo
	v_cmpx_gt_u32_e64 s8, v29
	s_cbranch_execz .LBB915_17
.LBB915_46:                             ;   in Loop: Header=BB915_6 Depth=1
	global_load_b64 v[38:39], v[18:19], off offset:-24580
	s_wait_loadcnt 0x0
	v_or_b32_e32 v11, v38, v39
	s_delay_alu instid0(VALU_DEP_1) | instskip(NEXT) | instid1(VALU_DEP_1)
	v_and_b32_e32 v11, 0x7fffffff, v11
	v_cmp_ne_u32_e32 vcc_lo, 0, v11
	s_wait_alu 0xfffd
	v_cndmask_b32_e64 v11, 0, 1, vcc_lo
	s_wait_alu 0xfffe
	s_or_b32 exec_lo, exec_lo, s1
	s_delay_alu instid0(SALU_CYCLE_1)
	s_mov_b32 s1, exec_lo
	v_cmpx_gt_u32_e64 s8, v30
	s_cbranch_execz .LBB915_18
.LBB915_47:                             ;   in Loop: Header=BB915_6 Depth=1
	global_load_b64 v[38:39], v[18:19], off offset:-20484
	s_wait_loadcnt 0x0
	v_or_b32_e32 v12, v38, v39
	s_delay_alu instid0(VALU_DEP_1) | instskip(NEXT) | instid1(VALU_DEP_1)
	v_and_b32_e32 v12, 0x7fffffff, v12
	v_cmp_ne_u32_e32 vcc_lo, 0, v12
	s_wait_alu 0xfffd
	v_cndmask_b32_e64 v12, 0, 1, vcc_lo
	s_wait_alu 0xfffe
	s_or_b32 exec_lo, exec_lo, s1
	s_delay_alu instid0(SALU_CYCLE_1)
	s_mov_b32 s1, exec_lo
	v_cmpx_gt_u32_e64 s8, v31
	s_cbranch_execz .LBB915_19
.LBB915_48:                             ;   in Loop: Header=BB915_6 Depth=1
	global_load_b64 v[38:39], v[18:19], off offset:-16388
	s_wait_loadcnt 0x0
	v_or_b32_e32 v13, v38, v39
	s_delay_alu instid0(VALU_DEP_1) | instskip(NEXT) | instid1(VALU_DEP_1)
	v_and_b32_e32 v13, 0x7fffffff, v13
	v_cmp_ne_u32_e32 vcc_lo, 0, v13
	s_wait_alu 0xfffd
	v_cndmask_b32_e64 v13, 0, 1, vcc_lo
	s_wait_alu 0xfffe
	s_or_b32 exec_lo, exec_lo, s1
	s_delay_alu instid0(SALU_CYCLE_1)
	s_mov_b32 s1, exec_lo
	v_cmpx_gt_u32_e64 s8, v32
	s_cbranch_execz .LBB915_20
.LBB915_49:                             ;   in Loop: Header=BB915_6 Depth=1
	global_load_b64 v[38:39], v[18:19], off offset:-12292
	s_wait_loadcnt 0x0
	v_or_b32_e32 v14, v38, v39
	s_delay_alu instid0(VALU_DEP_1) | instskip(NEXT) | instid1(VALU_DEP_1)
	v_and_b32_e32 v14, 0x7fffffff, v14
	v_cmp_ne_u32_e32 vcc_lo, 0, v14
	s_wait_alu 0xfffd
	v_cndmask_b32_e64 v14, 0, 1, vcc_lo
	s_wait_alu 0xfffe
	s_or_b32 exec_lo, exec_lo, s1
	s_delay_alu instid0(SALU_CYCLE_1)
	s_mov_b32 s1, exec_lo
	v_cmpx_gt_u32_e64 s8, v33
	s_cbranch_execz .LBB915_21
.LBB915_50:                             ;   in Loop: Header=BB915_6 Depth=1
	global_load_b64 v[38:39], v[18:19], off offset:-8196
	s_wait_loadcnt 0x0
	v_or_b32_e32 v15, v38, v39
	s_delay_alu instid0(VALU_DEP_1) | instskip(NEXT) | instid1(VALU_DEP_1)
	v_and_b32_e32 v15, 0x7fffffff, v15
	v_cmp_ne_u32_e32 vcc_lo, 0, v15
	s_wait_alu 0xfffd
	v_cndmask_b32_e64 v15, 0, 1, vcc_lo
	s_wait_alu 0xfffe
	s_or_b32 exec_lo, exec_lo, s1
	s_delay_alu instid0(SALU_CYCLE_1)
	s_mov_b32 s1, exec_lo
	v_cmpx_gt_u32_e64 s8, v34
	s_cbranch_execz .LBB915_22
.LBB915_51:                             ;   in Loop: Header=BB915_6 Depth=1
	global_load_b64 v[38:39], v[18:19], off offset:-4100
	s_wait_loadcnt 0x0
	v_or_b32_e32 v16, v38, v39
	s_delay_alu instid0(VALU_DEP_1) | instskip(NEXT) | instid1(VALU_DEP_1)
	v_and_b32_e32 v16, 0x7fffffff, v16
	v_cmp_ne_u32_e32 vcc_lo, 0, v16
	s_wait_alu 0xfffd
	v_cndmask_b32_e64 v16, 0, 1, vcc_lo
	s_wait_alu 0xfffe
	s_or_b32 exec_lo, exec_lo, s1
	s_delay_alu instid0(SALU_CYCLE_1)
	s_mov_b32 s1, exec_lo
	v_cmpx_gt_u32_e64 s8, v35
	s_cbranch_execnz .LBB915_23
	s_branch .LBB915_24
.LBB915_52:
	s_and_b32 vcc_lo, exec_lo, s1
	s_mov_b32 s0, -1
	s_wait_alu 0xfffe
	s_cbranch_vccz .LBB915_56
; %bb.53:
	s_mov_b32 s0, 0
	s_mov_b32 s1, exec_lo
	v_cmpx_eq_u32_e32 0, v0
	s_cbranch_execz .LBB915_55
; %bb.54:
	v_mov_b32_e32 v0, 0
	s_lshl_b64 s[4:5], s[2:3], 2
	s_wait_alu 0xfffe
	s_add_nc_u64 s[4:5], s[6:7], s[4:5]
	global_store_b32 v0, v20, s[4:5]
.LBB915_55:
	s_wait_alu 0xfffe
	s_or_b32 exec_lo, exec_lo, s1
.LBB915_56:
	v_cmp_eq_u32_e32 vcc_lo, 0, v0
	s_and_b32 s0, vcc_lo, s0
	s_wait_alu 0xfffe
	s_and_saveexec_b32 s1, s0
	s_cbranch_execz .LBB915_58
; %bb.57:
	v_mov_b32_e32 v0, 0
	s_lshl_b64 s[0:1], s[2:3], 2
	s_wait_kmcnt 0x0
	s_wait_alu 0xfffe
	s_add_nc_u64 s[0:1], s[6:7], s[0:1]
	global_store_b32 v0, v20, s[0:1]
.LBB915_58:
	s_endpgm
	.section	.rodata,"a",@progbits
	.p2align	6, 0x0
	.amdhsa_kernel _ZN2at4cuda3cub15calc_block_sumsILi512ELi16ELb1EN3c107complexIfEEiEEvPKT2_PT3_li
		.amdhsa_group_segment_fixed_size 64
		.amdhsa_private_segment_fixed_size 0
		.amdhsa_kernarg_size 28
		.amdhsa_user_sgpr_count 2
		.amdhsa_user_sgpr_dispatch_ptr 0
		.amdhsa_user_sgpr_queue_ptr 0
		.amdhsa_user_sgpr_kernarg_segment_ptr 1
		.amdhsa_user_sgpr_dispatch_id 0
		.amdhsa_user_sgpr_private_segment_size 0
		.amdhsa_wavefront_size32 1
		.amdhsa_uses_dynamic_stack 0
		.amdhsa_enable_private_segment 0
		.amdhsa_system_sgpr_workgroup_id_x 1
		.amdhsa_system_sgpr_workgroup_id_y 0
		.amdhsa_system_sgpr_workgroup_id_z 0
		.amdhsa_system_sgpr_workgroup_info 0
		.amdhsa_system_vgpr_workitem_id 0
		.amdhsa_next_free_vgpr 54
		.amdhsa_next_free_sgpr 14
		.amdhsa_reserve_vcc 1
		.amdhsa_float_round_mode_32 0
		.amdhsa_float_round_mode_16_64 0
		.amdhsa_float_denorm_mode_32 3
		.amdhsa_float_denorm_mode_16_64 3
		.amdhsa_fp16_overflow 0
		.amdhsa_workgroup_processor_mode 1
		.amdhsa_memory_ordered 1
		.amdhsa_forward_progress 1
		.amdhsa_inst_pref_size 31
		.amdhsa_round_robin_scheduling 0
		.amdhsa_exception_fp_ieee_invalid_op 0
		.amdhsa_exception_fp_denorm_src 0
		.amdhsa_exception_fp_ieee_div_zero 0
		.amdhsa_exception_fp_ieee_overflow 0
		.amdhsa_exception_fp_ieee_underflow 0
		.amdhsa_exception_fp_ieee_inexact 0
		.amdhsa_exception_int_div_zero 0
	.end_amdhsa_kernel
	.section	.text._ZN2at4cuda3cub15calc_block_sumsILi512ELi16ELb1EN3c107complexIfEEiEEvPKT2_PT3_li,"axG",@progbits,_ZN2at4cuda3cub15calc_block_sumsILi512ELi16ELb1EN3c107complexIfEEiEEvPKT2_PT3_li,comdat
.Lfunc_end915:
	.size	_ZN2at4cuda3cub15calc_block_sumsILi512ELi16ELb1EN3c107complexIfEEiEEvPKT2_PT3_li, .Lfunc_end915-_ZN2at4cuda3cub15calc_block_sumsILi512ELi16ELb1EN3c107complexIfEEiEEvPKT2_PT3_li
                                        ; -- End function
	.set _ZN2at4cuda3cub15calc_block_sumsILi512ELi16ELb1EN3c107complexIfEEiEEvPKT2_PT3_li.num_vgpr, 54
	.set _ZN2at4cuda3cub15calc_block_sumsILi512ELi16ELb1EN3c107complexIfEEiEEvPKT2_PT3_li.num_agpr, 0
	.set _ZN2at4cuda3cub15calc_block_sumsILi512ELi16ELb1EN3c107complexIfEEiEEvPKT2_PT3_li.numbered_sgpr, 14
	.set _ZN2at4cuda3cub15calc_block_sumsILi512ELi16ELb1EN3c107complexIfEEiEEvPKT2_PT3_li.num_named_barrier, 0
	.set _ZN2at4cuda3cub15calc_block_sumsILi512ELi16ELb1EN3c107complexIfEEiEEvPKT2_PT3_li.private_seg_size, 0
	.set _ZN2at4cuda3cub15calc_block_sumsILi512ELi16ELb1EN3c107complexIfEEiEEvPKT2_PT3_li.uses_vcc, 1
	.set _ZN2at4cuda3cub15calc_block_sumsILi512ELi16ELb1EN3c107complexIfEEiEEvPKT2_PT3_li.uses_flat_scratch, 0
	.set _ZN2at4cuda3cub15calc_block_sumsILi512ELi16ELb1EN3c107complexIfEEiEEvPKT2_PT3_li.has_dyn_sized_stack, 0
	.set _ZN2at4cuda3cub15calc_block_sumsILi512ELi16ELb1EN3c107complexIfEEiEEvPKT2_PT3_li.has_recursion, 0
	.set _ZN2at4cuda3cub15calc_block_sumsILi512ELi16ELb1EN3c107complexIfEEiEEvPKT2_PT3_li.has_indirect_call, 0
	.section	.AMDGPU.csdata,"",@progbits
; Kernel info:
; codeLenInByte = 3876
; TotalNumSgprs: 16
; NumVgprs: 54
; ScratchSize: 0
; MemoryBound: 0
; FloatMode: 240
; IeeeMode: 1
; LDSByteSize: 64 bytes/workgroup (compile time only)
; SGPRBlocks: 0
; VGPRBlocks: 6
; NumSGPRsForWavesPerEU: 16
; NumVGPRsForWavesPerEU: 54
; Occupancy: 16
; WaveLimiterHint : 1
; COMPUTE_PGM_RSRC2:SCRATCH_EN: 0
; COMPUTE_PGM_RSRC2:USER_SGPR: 2
; COMPUTE_PGM_RSRC2:TRAP_HANDLER: 0
; COMPUTE_PGM_RSRC2:TGID_X_EN: 1
; COMPUTE_PGM_RSRC2:TGID_Y_EN: 0
; COMPUTE_PGM_RSRC2:TGID_Z_EN: 0
; COMPUTE_PGM_RSRC2:TIDIG_COMP_CNT: 0
	.section	.text._ZN2at6native12_GLOBAL__N_111flag_kernelILi512ELi16EN3c107complexIfEEEEvPKT1_PlPKllli,"axG",@progbits,_ZN2at6native12_GLOBAL__N_111flag_kernelILi512ELi16EN3c107complexIfEEEEvPKT1_PlPKllli,comdat
	.globl	_ZN2at6native12_GLOBAL__N_111flag_kernelILi512ELi16EN3c107complexIfEEEEvPKT1_PlPKllli ; -- Begin function _ZN2at6native12_GLOBAL__N_111flag_kernelILi512ELi16EN3c107complexIfEEEEvPKT1_PlPKllli
	.p2align	8
	.type	_ZN2at6native12_GLOBAL__N_111flag_kernelILi512ELi16EN3c107complexIfEEEEvPKT1_PlPKllli,@function
_ZN2at6native12_GLOBAL__N_111flag_kernelILi512ELi16EN3c107complexIfEEEEvPKT1_PlPKllli: ; @_ZN2at6native12_GLOBAL__N_111flag_kernelILi512ELi16EN3c107complexIfEEEEvPKT1_PlPKllli
; %bb.0:
	s_clause 0x1
	s_load_b32 s52, s[0:1], 0x28
	s_load_b256 s[12:19], s[0:1], 0x0
	s_mov_b32 s2, ttmp9
	s_mov_b32 s3, 0
	s_wait_kmcnt 0x0
	s_lshl_b32 s4, s52, 13
	s_delay_alu instid0(SALU_CYCLE_1) | instskip(NEXT) | instid1(SALU_CYCLE_1)
	s_ashr_i32 s5, s4, 31
	s_mul_u64 s[20:21], s[4:5], s[2:3]
	s_delay_alu instid0(SALU_CYCLE_1)
	v_cmp_le_i64_e64 s2, s[18:19], s[20:21]
	s_and_b32 vcc_lo, exec_lo, s2
	s_cbranch_vccnz .LBB916_100
; %bb.1:
	s_load_b64 s[2:3], s[0:1], 0x20
	s_cmp_eq_u32 ttmp9, 0
	s_cbranch_scc1 .LBB916_3
; %bb.2:
	s_add_co_i32 s4, ttmp9, -1
	s_mov_b32 s5, 0
	s_delay_alu instid0(SALU_CYCLE_1) | instskip(NEXT) | instid1(SALU_CYCLE_1)
	s_lshl_b64 s[4:5], s[4:5], 3
	s_add_nc_u64 s[4:5], s[16:17], s[4:5]
	s_load_b64 s[4:5], s[4:5], 0x0
	s_cmp_lt_i32 s52, 1
	s_cbranch_scc0 .LBB916_4
	s_branch .LBB916_100
.LBB916_3:
	s_mov_b64 s[4:5], 0
	s_cmp_lt_i32 s52, 1
	s_cbranch_scc1 .LBB916_100
.LBB916_4:
	v_mbcnt_lo_u32_b32 v2, -1, 0
	v_lshlrev_b32_e32 v1, 4, v0
	s_wait_kmcnt 0x0
	s_sub_nc_u64 s[42:43], s[2:3], s[4:5]
	s_lshl_b64 s[16:17], s[4:5], 3
	v_add_nc_u32_e32 v8, 0x200, v0
	v_and_b32_e32 v4, 15, v2
	v_and_b32_e32 v6, 0x3e00, v1
	;; [unrolled: 1-line block ×3, first 2 shown]
	v_or_b32_e32 v9, 0x800, v0
	v_add_nc_u32_e32 v10, 0xa00, v0
	v_lshlrev_b32_e32 v25, 2, v0
	v_or_b32_e32 v41, v2, v6
	v_cmp_eq_u32_e64 s6, 0, v1
	v_mov_b32_e32 v1, 0
	v_cmp_eq_u32_e64 s2, 0, v4
	v_cmp_lt_u32_e64 s3, 1, v4
	v_cmp_lt_u32_e64 s4, 3, v4
	;; [unrolled: 1-line block ×3, first 2 shown]
	v_sub_co_u32 v4, s8, v2, 1
	v_lshrrev_b32_e32 v9, 3, v9
	v_lshrrev_b32_e32 v10, 3, v10
	v_or_b32_e32 v46, 32, v41
	s_delay_alu instid0(VALU_DEP_4)
	v_cmp_gt_i32_e32 vcc_lo, 0, v4
	v_and_b32_e32 v3, 0x3e0, v0
	v_or_b32_e32 v47, 64, v41
	v_or_b32_e32 v48, 0x60, v41
	;; [unrolled: 1-line block ×3, first 2 shown]
	v_cndmask_b32_e32 v4, v4, v2, vcc_lo
	v_min_u32_e32 v5, 0x1e0, v3
	v_or_b32_e32 v50, 0xa0, v41
	v_or_b32_e32 v51, 0xc0, v41
	;; [unrolled: 1-line block ×3, first 2 shown]
	v_lshlrev_b32_e32 v27, 2, v4
	v_or_b32_e32 v5, 31, v5
	v_lshrrev_b32_e32 v4, 3, v8
	v_add_nc_u32_e32 v8, 0x600, v0
	v_or_b32_e32 v53, 0x100, v41
	v_or_b32_e32 v54, 0x120, v41
	v_cmp_eq_u32_e64 s7, v0, v5
	v_lshlrev_b32_e32 v5, 1, v0
	v_and_b32_e32 v4, 0xfc, v4
	v_lshrrev_b32_e32 v8, 3, v8
	v_or_b32_e32 v55, 0x140, v41
	v_or_b32_e32 v56, 0x160, v41
	v_and_b32_e32 v5, 0x7fc, v5
	v_add_nc_u32_e32 v30, v25, v4
	v_or_b32_e32 v57, 0x180, v41
	v_or_b32_e32 v58, 0x1a0, v41
	;; [unrolled: 1-line block ×3, first 2 shown]
	v_lshl_add_u32 v28, v0, 6, v5
	v_or_b32_e32 v5, 0x400, v0
	v_or_b32_e32 v60, 0x1e0, v41
	v_lshrrev_b32_e32 v7, 5, v0
	v_or_b32_e32 v3, v2, v3
	s_lshl_b64 s[22:23], s[20:21], 3
	v_lshrrev_b32_e32 v5, 3, v5
	v_lshlrev_b32_e32 v2, 3, v2
	v_cmp_gt_u32_e64 s9, 16, v0
	v_cmp_lt_u32_e64 s10, 31, v0
	v_cmp_eq_u32_e64 s11, 0, v0
	v_and_b32_e32 v4, 0xfc, v5
	v_and_b32_e32 v5, 0x1fc, v8
	;; [unrolled: 1-line block ×4, first 2 shown]
	v_or_b32_e32 v10, 0xc00, v0
	v_add_nc_u32_e32 v31, v25, v4
	v_add_nc_u32_e32 v32, v25, v5
	v_add_nc_u32_e32 v33, v25, v8
	v_add_nc_u32_e32 v34, v25, v9
	v_lshrrev_b32_e32 v4, 3, v10
	v_add_nc_u32_e32 v5, 0xe00, v0
	v_or_b32_e32 v8, 0x1000, v0
	v_add_nc_u32_e32 v9, 0x1200, v0
	v_or_b32_e32 v10, 0x1400, v0
	v_and_b32_e32 v4, 0x1fc, v4
	v_lshrrev_b32_e32 v5, 3, v5
	v_lshrrev_b32_e32 v8, 3, v8
	;; [unrolled: 1-line block ×4, first 2 shown]
	v_add_nc_u32_e32 v35, v25, v4
	v_and_b32_e32 v4, 0x3fc, v5
	v_and_b32_e32 v5, 0x27c, v8
	;; [unrolled: 1-line block ×4, first 2 shown]
	v_add_nc_u32_e32 v10, 0x1600, v0
	v_add_nc_u32_e32 v36, v25, v4
	v_add_nc_u32_e32 v37, v25, v5
	v_or_b32_e32 v5, 0x1800, v0
	v_add_nc_u32_e32 v38, v25, v8
	v_lshrrev_b32_e32 v4, 3, v10
	v_add_nc_u32_e32 v39, v25, v9
	v_add_nc_u32_e32 v8, 0x1a00, v0
	v_or_b32_e32 v9, 0x1c00, v0
	v_lshrrev_b32_e32 v5, 3, v5
	v_and_b32_e32 v4, 0x3fc, v4
	v_add_nc_u32_e32 v10, 0x1e00, v0
	v_lshrrev_b32_e32 v8, 3, v8
	v_lshrrev_b32_e32 v9, 3, v9
	v_lshlrev_b32_e32 v24, 2, v7
	v_add_nc_u32_e32 v40, v25, v4
	v_and_b32_e32 v4, 0x37c, v5
	v_lshrrev_b32_e32 v10, 3, v10
	v_and_b32_e32 v5, 0x3fc, v8
	v_and_b32_e32 v8, 0x3fc, v9
	v_add_nc_u32_e32 v26, -4, v24
	v_add_nc_u32_e32 v42, v25, v4
	v_lshrrev_b32_e32 v4, 3, v46
	v_and_b32_e32 v9, 0x7fc, v10
	v_add_nc_u32_e32 v43, v25, v5
	v_add_nc_u32_e32 v44, v25, v8
	v_lshrrev_b32_e32 v5, 3, v6
	v_lshlrev_b32_e32 v6, 2, v41
	v_and_b32_e32 v4, 0x7c4, v4
	v_lshrrev_b32_e32 v8, 3, v47
	v_add_nc_u32_e32 v45, v25, v9
	v_lshrrev_b32_e32 v9, 3, v50
	v_add_nc_u32_e32 v61, v5, v6
	v_add_nc_u32_e32 v62, v4, v6
	v_and_b32_e32 v4, 0x7c8, v8
	v_lshrrev_b32_e32 v5, 3, v48
	v_lshrrev_b32_e32 v8, 3, v49
	v_lshrrev_b32_e32 v10, 3, v51
	v_add_nc_u32_e32 v29, v24, v25
	v_add_nc_u32_e32 v63, v4, v6
	v_and_b32_e32 v4, 0x7cc, v5
	v_and_b32_e32 v5, 0x7d0, v8
	;; [unrolled: 1-line block ×4, first 2 shown]
	v_lshrrev_b32_e32 v10, 3, v52
	v_add_nc_u32_e32 v64, v4, v6
	v_add_nc_u32_e32 v65, v5, v6
	;; [unrolled: 1-line block ×4, first 2 shown]
	v_and_b32_e32 v4, 0x7dc, v10
	v_lshrrev_b32_e32 v5, 3, v53
	v_lshrrev_b32_e32 v8, 3, v54
	;; [unrolled: 1-line block ×4, first 2 shown]
	v_add_nc_u32_e32 v68, v4, v6
	v_and_b32_e32 v4, 0x7e0, v5
	v_and_b32_e32 v5, 0x7e4, v8
	;; [unrolled: 1-line block ×4, first 2 shown]
	v_lshrrev_b32_e32 v10, 3, v57
	v_add_nc_u32_e32 v69, v4, v6
	v_add_nc_u32_e32 v70, v5, v6
	v_lshrrev_b32_e32 v5, 3, v58
	v_add_nc_u32_e32 v71, v8, v6
	v_and_b32_e32 v4, 0x7f0, v10
	v_add_nc_u32_e32 v72, v9, v6
	v_lshrrev_b32_e32 v8, 3, v59
	v_lshrrev_b32_e32 v9, 3, v60
	s_movk_i32 s44, 0xe000
	v_add_nc_u32_e32 v73, v4, v6
	v_and_b32_e32 v4, 0x7f4, v5
	v_and_b32_e32 v5, 0x7f8, v8
	v_and_b32_e32 v8, 0x7fc, v9
	v_lshlrev_b32_e32 v9, 4, v3
	v_bfe_u32 v3, v3, 1, 27
	v_add_nc_u32_e32 v74, v4, v6
	v_lshlrev_b32_e32 v4, 12, v7
	v_add_nc_u32_e32 v75, v5, v6
	v_add_nc_u32_e32 v76, v8, v6
	v_add_lshl_u32 v77, v3, v9, 2
	s_mov_b32 s45, -1
	v_add_co_u32 v3, s22, s22, v4
	s_wait_alu 0xf1ff
	v_add_co_ci_u32_e64 v4, null, s23, 0, s22
	v_add_co_u32 v18, s22, s20, v0
	s_delay_alu instid0(VALU_DEP_3) | instskip(SKIP_1) | instid1(VALU_DEP_3)
	v_add_co_u32 v0, vcc_lo, v3, v2
	s_wait_alu 0xfffd
	v_add_co_ci_u32_e64 v2, null, 0, v4, vcc_lo
	s_wait_alu 0xf1ff
	v_add_co_ci_u32_e64 v19, null, s21, 0, s22
	v_add_co_u32 v20, vcc_lo, s12, v0
	s_wait_alu 0xfffd
	v_add_co_ci_u32_e64 v21, null, s13, v2, vcc_lo
	s_sub_nc_u64 s[48:49], s[18:19], s[20:21]
	s_add_nc_u64 s[50:51], s[14:15], s[16:17]
	s_add_nc_u64 s[46:47], s[0:1], 48
	s_branch .LBB916_6
.LBB916_5:                              ;   in Loop: Header=BB916_6 Depth=1
	v_add_co_u32 v18, vcc_lo, 0x2000, v18
	s_wait_alu 0xfffd
	v_add_co_ci_u32_e64 v19, null, 0, v19, vcc_lo
	v_add_co_u32 v20, vcc_lo, 0x10000, v20
	s_add_co_i32 s52, s52, -1
	s_lshl_b64 s[0:1], s[0:1], 3
	s_wait_alu 0xfffd
	v_add_co_ci_u32_e64 v21, null, 0, v21, vcc_lo
	s_cmp_eq_u32 s52, 0
	s_add_nc_u64 s[48:49], s[48:49], s[44:45]
	s_wait_alu 0xfffe
	s_add_nc_u64 s[50:51], s[50:51], s[0:1]
	s_cselect_b32 s0, -1, 0
	s_wait_loadcnt 0x0
	s_wait_storecnt 0x0
	s_barrier_signal -1
	s_barrier_wait -1
	global_inv scope:SCOPE_SE
	s_wait_alu 0xfffe
	s_and_not1_b32 vcc_lo, exec_lo, s0
	s_wait_alu 0xfffe
	s_cbranch_vccz .LBB916_100
.LBB916_6:                              ; =>This Inner Loop Header: Depth=1
	v_cmp_gt_i64_e64 s0, 0x2000, s[48:49]
                                        ; implicit-def: $vgpr3
                                        ; implicit-def: $vgpr5
                                        ; implicit-def: $vgpr13
                                        ; implicit-def: $vgpr17
                                        ; implicit-def: $vgpr15
                                        ; implicit-def: $vgpr11
                                        ; implicit-def: $vgpr9
                                        ; implicit-def: $vgpr7
	s_and_b32 vcc_lo, exec_lo, s0
	s_mov_b32 s0, -1
	s_wait_alu 0xfffe
	s_cbranch_vccz .LBB916_25
; %bb.7:                                ;   in Loop: Header=BB916_6 Depth=1
	v_dual_mov_b32 v14, v1 :: v_dual_mov_b32 v15, v1
	v_dual_mov_b32 v2, v1 :: v_dual_mov_b32 v3, v1
	;; [unrolled: 1-line block ×7, first 2 shown]
	v_mov_b32_e32 v17, v15
	s_delay_alu instid0(VALU_DEP_2) | instskip(NEXT) | instid1(VALU_DEP_3)
	v_dual_mov_b32 v16, v14 :: v_dual_mov_b32 v15, v13
	v_mov_b32_e32 v14, v12
	v_mov_b32_e32 v13, v11
	;; [unrolled: 1-line block ×14, first 2 shown]
	s_mov_b32 s1, exec_lo
	v_cmpx_gt_u32_e64 s48, v41
	s_cbranch_execnz .LBB916_85
; %bb.8:                                ;   in Loop: Header=BB916_6 Depth=1
	s_wait_alu 0xfffe
	s_or_b32 exec_lo, exec_lo, s1
	s_delay_alu instid0(SALU_CYCLE_1)
	s_mov_b32 s1, exec_lo
	v_cmpx_gt_u32_e64 s48, v46
	s_cbranch_execnz .LBB916_86
.LBB916_9:                              ;   in Loop: Header=BB916_6 Depth=1
	s_wait_alu 0xfffe
	s_or_b32 exec_lo, exec_lo, s1
	s_delay_alu instid0(SALU_CYCLE_1)
	s_mov_b32 s1, exec_lo
	v_cmpx_gt_u32_e64 s48, v47
	s_cbranch_execnz .LBB916_87
.LBB916_10:                             ;   in Loop: Header=BB916_6 Depth=1
	s_wait_alu 0xfffe
	s_or_b32 exec_lo, exec_lo, s1
	s_delay_alu instid0(SALU_CYCLE_1)
	s_mov_b32 s1, exec_lo
	v_cmpx_gt_u32_e64 s48, v48
	s_cbranch_execnz .LBB916_88
.LBB916_11:                             ;   in Loop: Header=BB916_6 Depth=1
	s_wait_alu 0xfffe
	s_or_b32 exec_lo, exec_lo, s1
	s_delay_alu instid0(SALU_CYCLE_1)
	s_mov_b32 s1, exec_lo
	v_cmpx_gt_u32_e64 s48, v49
	s_cbranch_execnz .LBB916_89
.LBB916_12:                             ;   in Loop: Header=BB916_6 Depth=1
	s_wait_alu 0xfffe
	s_or_b32 exec_lo, exec_lo, s1
	s_delay_alu instid0(SALU_CYCLE_1)
	s_mov_b32 s1, exec_lo
	v_cmpx_gt_u32_e64 s48, v50
	s_cbranch_execnz .LBB916_90
.LBB916_13:                             ;   in Loop: Header=BB916_6 Depth=1
	s_wait_alu 0xfffe
	s_or_b32 exec_lo, exec_lo, s1
	s_delay_alu instid0(SALU_CYCLE_1)
	s_mov_b32 s1, exec_lo
	v_cmpx_gt_u32_e64 s48, v51
	s_cbranch_execnz .LBB916_91
.LBB916_14:                             ;   in Loop: Header=BB916_6 Depth=1
	s_wait_alu 0xfffe
	s_or_b32 exec_lo, exec_lo, s1
	s_delay_alu instid0(SALU_CYCLE_1)
	s_mov_b32 s1, exec_lo
	v_cmpx_gt_u32_e64 s48, v52
	s_cbranch_execnz .LBB916_92
.LBB916_15:                             ;   in Loop: Header=BB916_6 Depth=1
	s_wait_alu 0xfffe
	s_or_b32 exec_lo, exec_lo, s1
	s_delay_alu instid0(SALU_CYCLE_1)
	s_mov_b32 s1, exec_lo
	v_cmpx_gt_u32_e64 s48, v53
	s_cbranch_execnz .LBB916_93
.LBB916_16:                             ;   in Loop: Header=BB916_6 Depth=1
	s_wait_alu 0xfffe
	s_or_b32 exec_lo, exec_lo, s1
	s_delay_alu instid0(SALU_CYCLE_1)
	s_mov_b32 s1, exec_lo
	v_cmpx_gt_u32_e64 s48, v54
	s_cbranch_execnz .LBB916_94
.LBB916_17:                             ;   in Loop: Header=BB916_6 Depth=1
	s_wait_alu 0xfffe
	s_or_b32 exec_lo, exec_lo, s1
	s_delay_alu instid0(SALU_CYCLE_1)
	s_mov_b32 s1, exec_lo
	v_cmpx_gt_u32_e64 s48, v55
	s_cbranch_execnz .LBB916_95
.LBB916_18:                             ;   in Loop: Header=BB916_6 Depth=1
	s_wait_alu 0xfffe
	s_or_b32 exec_lo, exec_lo, s1
	s_delay_alu instid0(SALU_CYCLE_1)
	s_mov_b32 s1, exec_lo
	v_cmpx_gt_u32_e64 s48, v56
	s_cbranch_execnz .LBB916_96
.LBB916_19:                             ;   in Loop: Header=BB916_6 Depth=1
	s_wait_alu 0xfffe
	s_or_b32 exec_lo, exec_lo, s1
	s_delay_alu instid0(SALU_CYCLE_1)
	s_mov_b32 s1, exec_lo
	v_cmpx_gt_u32_e64 s48, v57
	s_cbranch_execnz .LBB916_97
.LBB916_20:                             ;   in Loop: Header=BB916_6 Depth=1
	s_wait_alu 0xfffe
	s_or_b32 exec_lo, exec_lo, s1
	s_delay_alu instid0(SALU_CYCLE_1)
	s_mov_b32 s1, exec_lo
	v_cmpx_gt_u32_e64 s48, v58
	s_cbranch_execnz .LBB916_98
.LBB916_21:                             ;   in Loop: Header=BB916_6 Depth=1
	s_wait_alu 0xfffe
	s_or_b32 exec_lo, exec_lo, s1
	s_delay_alu instid0(SALU_CYCLE_1)
	s_mov_b32 s1, exec_lo
	v_cmpx_gt_u32_e64 s48, v59
	s_cbranch_execnz .LBB916_99
.LBB916_22:                             ;   in Loop: Header=BB916_6 Depth=1
	s_wait_alu 0xfffe
	s_or_b32 exec_lo, exec_lo, s1
	s_delay_alu instid0(SALU_CYCLE_1)
	s_mov_b32 s1, exec_lo
	v_cmpx_gt_u32_e64 s48, v60
	s_cbranch_execz .LBB916_24
.LBB916_23:                             ;   in Loop: Header=BB916_6 Depth=1
	global_load_b64 v[22:23], v[20:21], off offset:3840
	s_wait_loadcnt 0x0
	v_cmp_neq_f32_e32 vcc_lo, 0, v22
	v_cmp_neq_f32_e64 s0, 0, v23
	s_or_b32 s0, vcc_lo, s0
	s_wait_alu 0xfffe
	v_cndmask_b32_e64 v17, 0, 1, s0
.LBB916_24:                             ;   in Loop: Header=BB916_6 Depth=1
	s_wait_alu 0xfffe
	s_or_b32 exec_lo, exec_lo, s1
	ds_store_b32 v61, v0
	ds_store_b32 v62, v3 offset:128
	ds_store_b32 v63, v4 offset:256
	;; [unrolled: 1-line block ×15, first 2 shown]
	; wave barrier
	ds_load_2addr_b32 v[6:7], v77 offset1:1
	ds_load_2addr_b32 v[8:9], v77 offset0:2 offset1:3
	ds_load_2addr_b32 v[10:11], v77 offset0:4 offset1:5
	;; [unrolled: 1-line block ×7, first 2 shown]
	s_mov_b32 s0, 0
.LBB916_25:                             ;   in Loop: Header=BB916_6 Depth=1
	s_wait_alu 0xfffe
	s_and_b32 vcc_lo, exec_lo, s0
	s_wait_alu 0xfffe
	s_cbranch_vccz .LBB916_27
; %bb.26:                               ;   in Loop: Header=BB916_6 Depth=1
	s_wait_dscnt 0x0
	s_clause 0xf
	global_load_b64 v[2:3], v[20:21], off
	global_load_b64 v[4:5], v[20:21], off offset:256
	global_load_b64 v[6:7], v[20:21], off offset:512
	;; [unrolled: 1-line block ×15, first 2 shown]
	s_wait_loadcnt 0xf
	v_cmp_neq_f32_e32 vcc_lo, 0, v2
	v_cmp_neq_f32_e64 s0, 0, v3
	s_wait_loadcnt 0xe
	v_cmp_neq_f32_e64 s1, 0, v4
	v_cmp_neq_f32_e64 s12, 0, v5
	s_wait_loadcnt 0xd
	v_cmp_neq_f32_e64 s13, 0, v6
	v_cmp_neq_f32_e64 s14, 0, v7
	s_or_b32 s0, vcc_lo, s0
	s_wait_loadcnt 0xc
	v_cmp_neq_f32_e64 s15, 0, v8
	v_cmp_neq_f32_e64 s16, 0, v9
	s_wait_alu 0xfffe
	v_cndmask_b32_e64 v0, 0, 1, s0
	s_or_b32 s0, s1, s12
	s_wait_loadcnt 0xb
	v_cmp_neq_f32_e64 s17, 0, v10
	v_cmp_neq_f32_e64 s18, 0, v11
	s_wait_alu 0xfffe
	v_cndmask_b32_e64 v2, 0, 1, s0
	s_or_b32 s0, s13, s14
	;; [unrolled: 6-line block ×13, first 2 shown]
	s_wait_alu 0xfffe
	v_cndmask_b32_e64 v14, 0, 1, s0
	s_or_b32 s0, s38, s39
	s_wait_alu 0xfffe
	v_cndmask_b32_e64 v15, 0, 1, s0
	s_or_b32 s0, s40, s41
	s_wait_alu 0xfffe
	v_cndmask_b32_e64 v16, 0, 1, s0
	ds_store_b32 v61, v0
	ds_store_b32 v62, v2 offset:128
	ds_store_b32 v63, v3 offset:256
	;; [unrolled: 1-line block ×15, first 2 shown]
	; wave barrier
	ds_load_2addr_b32 v[6:7], v77 offset1:1
	ds_load_2addr_b32 v[8:9], v77 offset0:2 offset1:3
	ds_load_2addr_b32 v[10:11], v77 offset0:4 offset1:5
	;; [unrolled: 1-line block ×7, first 2 shown]
.LBB916_27:                             ;   in Loop: Header=BB916_6 Depth=1
	s_wait_dscnt 0x7
	v_add_nc_u32_e32 v0, v7, v6
	s_wait_dscnt 0x0
	s_barrier_signal -1
	s_barrier_wait -1
	global_inv scope:SCOPE_SE
	v_add3_u32 v0, v0, v8, v9
	s_delay_alu instid0(VALU_DEP_1) | instskip(NEXT) | instid1(VALU_DEP_1)
	v_add3_u32 v0, v0, v10, v11
	v_add3_u32 v0, v0, v14, v15
	s_delay_alu instid0(VALU_DEP_1) | instskip(NEXT) | instid1(VALU_DEP_1)
	v_add3_u32 v0, v0, v16, v17
	;; [unrolled: 3-line block ×3, first 2 shown]
	v_add3_u32 v0, v0, v2, v3
	s_delay_alu instid0(VALU_DEP_1) | instskip(NEXT) | instid1(VALU_DEP_1)
	v_mov_b32_dpp v22, v0 row_shr:1 row_mask:0xf bank_mask:0xf
	v_cndmask_b32_e64 v22, v22, 0, s2
	s_delay_alu instid0(VALU_DEP_1) | instskip(NEXT) | instid1(VALU_DEP_1)
	v_add_nc_u32_e32 v0, v0, v22
	v_mov_b32_dpp v22, v0 row_shr:2 row_mask:0xf bank_mask:0xf
	s_delay_alu instid0(VALU_DEP_1) | instskip(NEXT) | instid1(VALU_DEP_1)
	v_cndmask_b32_e64 v22, 0, v22, s3
	v_add_nc_u32_e32 v0, v0, v22
	s_delay_alu instid0(VALU_DEP_1) | instskip(NEXT) | instid1(VALU_DEP_1)
	v_mov_b32_dpp v22, v0 row_shr:4 row_mask:0xf bank_mask:0xf
	v_cndmask_b32_e64 v22, 0, v22, s4
	s_delay_alu instid0(VALU_DEP_1) | instskip(NEXT) | instid1(VALU_DEP_1)
	v_add_nc_u32_e32 v0, v0, v22
	v_mov_b32_dpp v22, v0 row_shr:8 row_mask:0xf bank_mask:0xf
	s_delay_alu instid0(VALU_DEP_1) | instskip(NEXT) | instid1(VALU_DEP_1)
	v_cndmask_b32_e64 v22, 0, v22, s5
	v_add_nc_u32_e32 v0, v0, v22
	ds_swizzle_b32 v22, v0 offset:swizzle(BROADCAST,32,15)
	s_wait_dscnt 0x0
	v_cndmask_b32_e64 v22, v22, 0, s6
	s_delay_alu instid0(VALU_DEP_1)
	v_add_nc_u32_e32 v0, v0, v22
	s_and_saveexec_b32 s0, s7
; %bb.28:                               ;   in Loop: Header=BB916_6 Depth=1
	ds_store_b32 v24, v0
; %bb.29:                               ;   in Loop: Header=BB916_6 Depth=1
	s_wait_alu 0xfffe
	s_or_b32 exec_lo, exec_lo, s0
	s_wait_loadcnt_dscnt 0x0
	s_barrier_signal -1
	s_barrier_wait -1
	global_inv scope:SCOPE_SE
	s_and_saveexec_b32 s0, s9
	s_cbranch_execz .LBB916_31
; %bb.30:                               ;   in Loop: Header=BB916_6 Depth=1
	ds_load_b32 v22, v25
	s_wait_dscnt 0x0
	v_mov_b32_dpp v23, v22 row_shr:1 row_mask:0xf bank_mask:0xf
	s_delay_alu instid0(VALU_DEP_1) | instskip(NEXT) | instid1(VALU_DEP_1)
	v_cndmask_b32_e64 v23, v23, 0, s2
	v_add_nc_u32_e32 v22, v23, v22
	s_delay_alu instid0(VALU_DEP_1) | instskip(NEXT) | instid1(VALU_DEP_1)
	v_mov_b32_dpp v23, v22 row_shr:2 row_mask:0xf bank_mask:0xf
	v_cndmask_b32_e64 v23, 0, v23, s3
	s_delay_alu instid0(VALU_DEP_1) | instskip(NEXT) | instid1(VALU_DEP_1)
	v_add_nc_u32_e32 v22, v22, v23
	v_mov_b32_dpp v23, v22 row_shr:4 row_mask:0xf bank_mask:0xf
	s_delay_alu instid0(VALU_DEP_1) | instskip(NEXT) | instid1(VALU_DEP_1)
	v_cndmask_b32_e64 v23, 0, v23, s4
	v_add_nc_u32_e32 v22, v22, v23
	s_delay_alu instid0(VALU_DEP_1) | instskip(NEXT) | instid1(VALU_DEP_1)
	v_mov_b32_dpp v23, v22 row_shr:8 row_mask:0xf bank_mask:0xf
	v_cndmask_b32_e64 v23, 0, v23, s5
	s_delay_alu instid0(VALU_DEP_1)
	v_add_nc_u32_e32 v22, v22, v23
	ds_store_b32 v25, v22
.LBB916_31:                             ;   in Loop: Header=BB916_6 Depth=1
	s_wait_alu 0xfffe
	s_or_b32 exec_lo, exec_lo, s0
	v_mov_b32_e32 v22, 0
	s_wait_loadcnt_dscnt 0x0
	s_barrier_signal -1
	s_barrier_wait -1
	global_inv scope:SCOPE_SE
	s_and_saveexec_b32 s0, s10
; %bb.32:                               ;   in Loop: Header=BB916_6 Depth=1
	ds_load_b32 v22, v26
; %bb.33:                               ;   in Loop: Header=BB916_6 Depth=1
	s_wait_alu 0xfffe
	s_or_b32 exec_lo, exec_lo, s0
	s_wait_dscnt 0x0
	v_add_nc_u32_e32 v0, v22, v0
	ds_bpermute_b32 v0, v27, v0
	s_and_saveexec_b32 s0, s11
	s_cbranch_execz .LBB916_35
; %bb.34:                               ;   in Loop: Header=BB916_6 Depth=1
	ds_load_b32 v23, v1 offset:60
	s_wait_dscnt 0x0
	ds_store_b32 v1, v23 offset:33792
.LBB916_35:                             ;   in Loop: Header=BB916_6 Depth=1
	s_wait_alu 0xfffe
	s_or_b32 exec_lo, exec_lo, s0
	s_wait_dscnt 0x0
	v_cndmask_b32_e64 v0, v0, v22, s8
	s_wait_loadcnt 0x0
	s_barrier_signal -1
	s_barrier_wait -1
	global_inv scope:SCOPE_SE
	v_cndmask_b32_e64 v22, v0, 0, s11
	ds_store_2addr_b32 v28, v6, v7 offset1:1
	ds_store_2addr_b32 v28, v8, v9 offset0:2 offset1:3
	ds_store_2addr_b32 v28, v10, v11 offset0:4 offset1:5
	;; [unrolled: 1-line block ×7, first 2 shown]
	s_wait_loadcnt_dscnt 0x0
	s_barrier_signal -1
	v_add_nc_u32_e32 v23, v22, v6
	s_barrier_wait -1
	global_inv scope:SCOPE_SE
	s_mov_b32 s0, exec_lo
	v_add_nc_u32_e32 v91, v23, v7
	s_delay_alu instid0(VALU_DEP_1) | instskip(NEXT) | instid1(VALU_DEP_1)
	v_add_nc_u32_e32 v92, v91, v8
	v_add_nc_u32_e32 v93, v92, v9
	s_delay_alu instid0(VALU_DEP_1) | instskip(NEXT) | instid1(VALU_DEP_1)
	v_add_nc_u32_e32 v94, v93, v10
	;; [unrolled: 3-line block ×4, first 2 shown]
	v_add_nc_u32_e32 v6, v98, v17
	ds_load_b32 v99, v29
	ds_load_b32 v17, v30 offset:2048
	ds_load_b32 v90, v31 offset:4096
	ds_load_b32 v89, v32 offset:6144
	ds_load_b32 v88, v33 offset:8192
	ds_load_b32 v87, v34 offset:10240
	ds_load_b32 v86, v35 offset:12288
	ds_load_b32 v85, v36 offset:14336
	ds_load_b32 v84, v37 offset:16384
	ds_load_b32 v83, v38 offset:18432
	ds_load_b32 v82, v39 offset:20480
	ds_load_b32 v81, v40 offset:22528
	ds_load_b32 v80, v42 offset:24576
	ds_load_b32 v79, v43 offset:26624
	ds_load_b32 v78, v44 offset:28672
	ds_load_b32 v0, v45 offset:30720
	s_wait_loadcnt_dscnt 0x0
	s_barrier_signal -1
	v_add_nc_u32_e32 v3, v6, v12
	s_barrier_wait -1
	global_inv scope:SCOPE_SE
	v_add_nc_u32_e32 v7, v3, v13
	s_delay_alu instid0(VALU_DEP_1) | instskip(NEXT) | instid1(VALU_DEP_1)
	v_add_nc_u32_e32 v4, v7, v4
	v_add_nc_u32_e32 v5, v4, v5
	s_delay_alu instid0(VALU_DEP_1)
	v_add_nc_u32_e32 v2, v5, v2
	ds_store_2addr_b32 v28, v22, v23 offset1:1
	ds_store_2addr_b32 v28, v91, v92 offset0:2 offset1:3
	ds_store_2addr_b32 v28, v93, v94 offset0:4 offset1:5
	ds_store_2addr_b32 v28, v95, v96 offset0:6 offset1:7
	ds_store_2addr_b32 v28, v97, v98 offset0:8 offset1:9
	ds_store_2addr_b32 v28, v6, v3 offset0:10 offset1:11
	ds_store_2addr_b32 v28, v7, v4 offset0:12 offset1:13
	ds_store_2addr_b32 v28, v5, v2 offset0:14 offset1:15
	s_wait_loadcnt_dscnt 0x0
	s_barrier_signal -1
	s_barrier_wait -1
	global_inv scope:SCOPE_SE
	ds_load_b32 v16, v30 offset:2048
	ds_load_b32 v15, v31 offset:4096
	;; [unrolled: 1-line block ×15, first 2 shown]
	v_cmpx_ne_u32_e32 0, v99
	s_cbranch_execz .LBB916_38
; %bb.36:                               ;   in Loop: Header=BB916_6 Depth=1
	ds_load_b32 v22, v29
	s_wait_dscnt 0x0
	v_ashrrev_i32_e32 v23, 31, v22
	s_delay_alu instid0(VALU_DEP_1)
	v_cmp_gt_i64_e32 vcc_lo, s[42:43], v[22:23]
	s_and_b32 exec_lo, exec_lo, vcc_lo
	s_cbranch_execz .LBB916_38
; %bb.37:                               ;   in Loop: Header=BB916_6 Depth=1
	v_lshlrev_b64_e32 v[22:23], 3, v[22:23]
	s_delay_alu instid0(VALU_DEP_1) | instskip(SKIP_1) | instid1(VALU_DEP_2)
	v_add_co_u32 v22, vcc_lo, s50, v22
	s_wait_alu 0xfffd
	v_add_co_ci_u32_e64 v23, null, s51, v23, vcc_lo
	global_store_b64 v[22:23], v[18:19], off
.LBB916_38:                             ;   in Loop: Header=BB916_6 Depth=1
	s_wait_alu 0xfffe
	s_or_b32 exec_lo, exec_lo, s0
	s_delay_alu instid0(SALU_CYCLE_1)
	s_mov_b32 s0, exec_lo
	v_cmpx_ne_u32_e32 0, v17
	s_cbranch_execz .LBB916_41
; %bb.39:                               ;   in Loop: Header=BB916_6 Depth=1
	s_wait_dscnt 0xe
	v_ashrrev_i32_e32 v17, 31, v16
	s_delay_alu instid0(VALU_DEP_1)
	v_cmp_gt_i64_e32 vcc_lo, s[42:43], v[16:17]
	s_and_b32 exec_lo, exec_lo, vcc_lo
	s_cbranch_execz .LBB916_41
; %bb.40:                               ;   in Loop: Header=BB916_6 Depth=1
	s_load_b32 s1, s[46:47], 0xc
	v_lshlrev_b64_e32 v[16:17], 3, v[16:17]
	s_wait_kmcnt 0x0
	s_and_b32 s1, s1, 0xffff
	s_wait_alu 0xfffe
	v_add_co_u32 v22, vcc_lo, v18, s1
	s_wait_alu 0xfffd
	v_add_co_ci_u32_e64 v23, null, 0, v19, vcc_lo
	v_add_co_u32 v16, vcc_lo, s50, v16
	s_wait_alu 0xfffd
	v_add_co_ci_u32_e64 v17, null, s51, v17, vcc_lo
	global_store_b64 v[16:17], v[22:23], off
.LBB916_41:                             ;   in Loop: Header=BB916_6 Depth=1
	s_wait_alu 0xfffe
	s_or_b32 exec_lo, exec_lo, s0
	s_delay_alu instid0(SALU_CYCLE_1)
	s_mov_b32 s0, exec_lo
	v_cmpx_ne_u32_e32 0, v90
	s_cbranch_execz .LBB916_44
; %bb.42:                               ;   in Loop: Header=BB916_6 Depth=1
	s_wait_dscnt 0xd
	v_ashrrev_i32_e32 v16, 31, v15
	s_delay_alu instid0(VALU_DEP_1)
	v_cmp_gt_i64_e32 vcc_lo, s[42:43], v[15:16]
	s_and_b32 exec_lo, exec_lo, vcc_lo
	s_cbranch_execz .LBB916_44
; %bb.43:                               ;   in Loop: Header=BB916_6 Depth=1
	s_load_b32 s1, s[46:47], 0xc
	v_lshlrev_b64_e32 v[15:16], 3, v[15:16]
	s_wait_kmcnt 0x0
	s_and_b32 s1, s1, 0xffff
	s_wait_alu 0xfffe
	s_lshl_b32 s1, s1, 1
	s_wait_alu 0xfffe
	v_add_co_u32 v22, vcc_lo, v18, s1
	s_wait_alu 0xfffd
	v_add_co_ci_u32_e64 v23, null, 0, v19, vcc_lo
	v_add_co_u32 v15, vcc_lo, s50, v15
	s_wait_alu 0xfffd
	v_add_co_ci_u32_e64 v16, null, s51, v16, vcc_lo
	global_store_b64 v[15:16], v[22:23], off
.LBB916_44:                             ;   in Loop: Header=BB916_6 Depth=1
	s_wait_alu 0xfffe
	s_or_b32 exec_lo, exec_lo, s0
	s_delay_alu instid0(SALU_CYCLE_1)
	s_mov_b32 s0, exec_lo
	v_cmpx_ne_u32_e32 0, v89
	s_cbranch_execz .LBB916_47
; %bb.45:                               ;   in Loop: Header=BB916_6 Depth=1
	s_wait_dscnt 0xc
	v_ashrrev_i32_e32 v15, 31, v14
	s_delay_alu instid0(VALU_DEP_1)
	v_cmp_gt_i64_e32 vcc_lo, s[42:43], v[14:15]
	s_and_b32 exec_lo, exec_lo, vcc_lo
	s_cbranch_execz .LBB916_47
; %bb.46:                               ;   in Loop: Header=BB916_6 Depth=1
	s_load_b32 s1, s[46:47], 0xc
	v_lshlrev_b64_e32 v[14:15], 3, v[14:15]
	s_wait_kmcnt 0x0
	s_and_b32 s1, s1, 0xffff
	s_wait_alu 0xfffe
	s_mul_i32 s1, s1, 3
	s_wait_alu 0xfffe
	v_add_co_u32 v16, vcc_lo, v18, s1
	s_wait_alu 0xfffd
	v_add_co_ci_u32_e64 v17, null, 0, v19, vcc_lo
	v_add_co_u32 v14, vcc_lo, s50, v14
	s_wait_alu 0xfffd
	v_add_co_ci_u32_e64 v15, null, s51, v15, vcc_lo
	global_store_b64 v[14:15], v[16:17], off
.LBB916_47:                             ;   in Loop: Header=BB916_6 Depth=1
	s_wait_alu 0xfffe
	s_or_b32 exec_lo, exec_lo, s0
	s_delay_alu instid0(SALU_CYCLE_1)
	s_mov_b32 s0, exec_lo
	v_cmpx_ne_u32_e32 0, v88
	s_cbranch_execz .LBB916_50
; %bb.48:                               ;   in Loop: Header=BB916_6 Depth=1
	s_wait_dscnt 0xb
	v_ashrrev_i32_e32 v14, 31, v13
	s_delay_alu instid0(VALU_DEP_1)
	v_cmp_gt_i64_e32 vcc_lo, s[42:43], v[13:14]
	s_and_b32 exec_lo, exec_lo, vcc_lo
	s_cbranch_execz .LBB916_50
; %bb.49:                               ;   in Loop: Header=BB916_6 Depth=1
	s_load_b32 s1, s[46:47], 0xc
	v_lshlrev_b64_e32 v[13:14], 3, v[13:14]
	s_wait_kmcnt 0x0
	s_and_b32 s1, s1, 0xffff
	s_wait_alu 0xfffe
	s_lshl_b32 s1, s1, 2
	s_wait_alu 0xfffe
	v_add_co_u32 v15, vcc_lo, v18, s1
	s_wait_alu 0xfffd
	v_add_co_ci_u32_e64 v16, null, 0, v19, vcc_lo
	v_add_co_u32 v13, vcc_lo, s50, v13
	s_wait_alu 0xfffd
	v_add_co_ci_u32_e64 v14, null, s51, v14, vcc_lo
	global_store_b64 v[13:14], v[15:16], off
.LBB916_50:                             ;   in Loop: Header=BB916_6 Depth=1
	s_wait_alu 0xfffe
	s_or_b32 exec_lo, exec_lo, s0
	s_delay_alu instid0(SALU_CYCLE_1)
	s_mov_b32 s0, exec_lo
	v_cmpx_ne_u32_e32 0, v87
	s_cbranch_execz .LBB916_53
; %bb.51:                               ;   in Loop: Header=BB916_6 Depth=1
	s_wait_dscnt 0xa
	v_ashrrev_i32_e32 v13, 31, v12
	s_delay_alu instid0(VALU_DEP_1)
	v_cmp_gt_i64_e32 vcc_lo, s[42:43], v[12:13]
	s_and_b32 exec_lo, exec_lo, vcc_lo
	s_cbranch_execz .LBB916_53
; %bb.52:                               ;   in Loop: Header=BB916_6 Depth=1
	s_load_b32 s1, s[46:47], 0xc
	v_lshlrev_b64_e32 v[12:13], 3, v[12:13]
	s_wait_kmcnt 0x0
	s_and_b32 s1, s1, 0xffff
	s_wait_alu 0xfffe
	s_mul_i32 s1, s1, 5
	s_wait_alu 0xfffe
	v_add_co_u32 v14, vcc_lo, v18, s1
	s_wait_alu 0xfffd
	v_add_co_ci_u32_e64 v15, null, 0, v19, vcc_lo
	v_add_co_u32 v12, vcc_lo, s50, v12
	s_wait_alu 0xfffd
	v_add_co_ci_u32_e64 v13, null, s51, v13, vcc_lo
	global_store_b64 v[12:13], v[14:15], off
.LBB916_53:                             ;   in Loop: Header=BB916_6 Depth=1
	s_wait_alu 0xfffe
	s_or_b32 exec_lo, exec_lo, s0
	s_delay_alu instid0(SALU_CYCLE_1)
	s_mov_b32 s0, exec_lo
	v_cmpx_ne_u32_e32 0, v86
	s_cbranch_execz .LBB916_56
; %bb.54:                               ;   in Loop: Header=BB916_6 Depth=1
	s_wait_dscnt 0x9
	v_ashrrev_i32_e32 v12, 31, v11
	s_delay_alu instid0(VALU_DEP_1)
	v_cmp_gt_i64_e32 vcc_lo, s[42:43], v[11:12]
	s_and_b32 exec_lo, exec_lo, vcc_lo
	s_cbranch_execz .LBB916_56
; %bb.55:                               ;   in Loop: Header=BB916_6 Depth=1
	s_load_b32 s1, s[46:47], 0xc
	v_lshlrev_b64_e32 v[11:12], 3, v[11:12]
	s_wait_kmcnt 0x0
	s_and_b32 s1, s1, 0xffff
	s_wait_alu 0xfffe
	s_mul_i32 s1, s1, 6
	s_wait_alu 0xfffe
	v_add_co_u32 v13, vcc_lo, v18, s1
	s_wait_alu 0xfffd
	v_add_co_ci_u32_e64 v14, null, 0, v19, vcc_lo
	v_add_co_u32 v11, vcc_lo, s50, v11
	s_wait_alu 0xfffd
	v_add_co_ci_u32_e64 v12, null, s51, v12, vcc_lo
	global_store_b64 v[11:12], v[13:14], off
.LBB916_56:                             ;   in Loop: Header=BB916_6 Depth=1
	;; [unrolled: 29-line block ×3, first 2 shown]
	s_wait_alu 0xfffe
	s_or_b32 exec_lo, exec_lo, s0
	s_delay_alu instid0(SALU_CYCLE_1)
	s_mov_b32 s0, exec_lo
	v_cmpx_ne_u32_e32 0, v84
	s_cbranch_execz .LBB916_62
; %bb.60:                               ;   in Loop: Header=BB916_6 Depth=1
	s_wait_dscnt 0x7
	v_ashrrev_i32_e32 v10, 31, v9
	s_delay_alu instid0(VALU_DEP_1)
	v_cmp_gt_i64_e32 vcc_lo, s[42:43], v[9:10]
	s_and_b32 exec_lo, exec_lo, vcc_lo
	s_cbranch_execz .LBB916_62
; %bb.61:                               ;   in Loop: Header=BB916_6 Depth=1
	s_load_b32 s1, s[46:47], 0xc
	v_lshlrev_b64_e32 v[9:10], 3, v[9:10]
	s_wait_kmcnt 0x0
	s_and_b32 s1, s1, 0xffff
	s_wait_alu 0xfffe
	s_lshl_b32 s1, s1, 3
	s_wait_alu 0xfffe
	v_add_co_u32 v11, vcc_lo, v18, s1
	s_wait_alu 0xfffd
	v_add_co_ci_u32_e64 v12, null, 0, v19, vcc_lo
	v_add_co_u32 v9, vcc_lo, s50, v9
	s_wait_alu 0xfffd
	v_add_co_ci_u32_e64 v10, null, s51, v10, vcc_lo
	global_store_b64 v[9:10], v[11:12], off
.LBB916_62:                             ;   in Loop: Header=BB916_6 Depth=1
	s_wait_alu 0xfffe
	s_or_b32 exec_lo, exec_lo, s0
	s_delay_alu instid0(SALU_CYCLE_1)
	s_mov_b32 s0, exec_lo
	v_cmpx_ne_u32_e32 0, v83
	s_cbranch_execz .LBB916_65
; %bb.63:                               ;   in Loop: Header=BB916_6 Depth=1
	s_wait_dscnt 0x6
	v_ashrrev_i32_e32 v9, 31, v8
	s_delay_alu instid0(VALU_DEP_1)
	v_cmp_gt_i64_e32 vcc_lo, s[42:43], v[8:9]
	s_and_b32 exec_lo, exec_lo, vcc_lo
	s_cbranch_execz .LBB916_65
; %bb.64:                               ;   in Loop: Header=BB916_6 Depth=1
	s_load_b32 s1, s[46:47], 0xc
	v_lshlrev_b64_e32 v[8:9], 3, v[8:9]
	s_wait_kmcnt 0x0
	s_and_b32 s1, s1, 0xffff
	s_wait_alu 0xfffe
	s_mul_i32 s1, s1, 9
	s_wait_alu 0xfffe
	v_add_co_u32 v10, vcc_lo, v18, s1
	s_wait_alu 0xfffd
	v_add_co_ci_u32_e64 v11, null, 0, v19, vcc_lo
	v_add_co_u32 v8, vcc_lo, s50, v8
	s_wait_alu 0xfffd
	v_add_co_ci_u32_e64 v9, null, s51, v9, vcc_lo
	global_store_b64 v[8:9], v[10:11], off
.LBB916_65:                             ;   in Loop: Header=BB916_6 Depth=1
	s_wait_alu 0xfffe
	s_or_b32 exec_lo, exec_lo, s0
	s_delay_alu instid0(SALU_CYCLE_1)
	s_mov_b32 s0, exec_lo
	v_cmpx_ne_u32_e32 0, v82
	s_cbranch_execz .LBB916_68
; %bb.66:                               ;   in Loop: Header=BB916_6 Depth=1
	s_wait_dscnt 0x5
	v_ashrrev_i32_e32 v8, 31, v7
	s_delay_alu instid0(VALU_DEP_1)
	v_cmp_gt_i64_e32 vcc_lo, s[42:43], v[7:8]
	s_and_b32 exec_lo, exec_lo, vcc_lo
	s_cbranch_execz .LBB916_68
; %bb.67:                               ;   in Loop: Header=BB916_6 Depth=1
	s_load_b32 s1, s[46:47], 0xc
	v_lshlrev_b64_e32 v[7:8], 3, v[7:8]
	s_wait_kmcnt 0x0
	s_and_b32 s1, s1, 0xffff
	s_wait_alu 0xfffe
	s_mul_i32 s1, s1, 10
	s_wait_alu 0xfffe
	v_add_co_u32 v9, vcc_lo, v18, s1
	s_wait_alu 0xfffd
	v_add_co_ci_u32_e64 v10, null, 0, v19, vcc_lo
	v_add_co_u32 v7, vcc_lo, s50, v7
	s_wait_alu 0xfffd
	v_add_co_ci_u32_e64 v8, null, s51, v8, vcc_lo
	global_store_b64 v[7:8], v[9:10], off
.LBB916_68:                             ;   in Loop: Header=BB916_6 Depth=1
	;; [unrolled: 29-line block ×7, first 2 shown]
	s_wait_alu 0xfffe
	s_or_b32 exec_lo, exec_lo, s0
	ds_load_b32 v0, v1 offset:33792
	v_cmp_lt_i64_e64 s12, 0x2000, s[48:49]
	s_wait_dscnt 0x0
	v_readfirstlane_b32 s0, v0
	s_ashr_i32 s1, s0, 31
	s_wait_alu 0xfffe
	s_sub_nc_u64 s[42:43], s[42:43], s[0:1]
	s_wait_alu 0xfffe
	v_cmp_gt_i64_e64 s13, s[42:43], 0
	s_and_b32 s12, s12, s13
	s_wait_alu 0xfffe
	s_and_not1_b32 vcc_lo, exec_lo, s12
	s_wait_alu 0xfffe
	s_cbranch_vccz .LBB916_5
; %bb.84:
                                        ; implicit-def: $sgpr48_sgpr49
                                        ; implicit-def: $sgpr50_sgpr51
                                        ; implicit-def: $vgpr18_vgpr19
                                        ; implicit-def: $sgpr52
                                        ; implicit-def: $vgpr20_vgpr21
	s_branch .LBB916_100
.LBB916_85:                             ;   in Loop: Header=BB916_6 Depth=1
	global_load_b64 v[16:17], v[20:21], off
	v_dual_mov_b32 v14, v1 :: v_dual_mov_b32 v15, v1
	v_dual_mov_b32 v2, v1 :: v_dual_mov_b32 v3, v1
	v_dual_mov_b32 v4, v1 :: v_dual_mov_b32 v5, v1
	v_dual_mov_b32 v6, v1 :: v_dual_mov_b32 v7, v1
	v_dual_mov_b32 v8, v1 :: v_dual_mov_b32 v9, v1
	v_dual_mov_b32 v10, v1 :: v_dual_mov_b32 v11, v1
	v_dual_mov_b32 v12, v1 :: v_dual_mov_b32 v13, v1
	s_wait_loadcnt 0x0
	v_cmp_neq_f32_e32 vcc_lo, 0, v16
	v_cmp_neq_f32_e64 s0, 0, v17
	v_mov_b32_e32 v17, v15
	v_dual_mov_b32 v16, v14 :: v_dual_mov_b32 v15, v13
	v_mov_b32_e32 v14, v12
	s_or_b32 s0, vcc_lo, s0
	v_mov_b32_e32 v13, v11
	v_mov_b32_e32 v12, v10
	v_mov_b32_e32 v11, v9
	v_mov_b32_e32 v10, v8
	v_mov_b32_e32 v9, v7
	v_mov_b32_e32 v8, v6
	v_mov_b32_e32 v7, v5
	v_mov_b32_e32 v6, v4
	v_mov_b32_e32 v5, v3
	v_mov_b32_e32 v4, v2
	v_mov_b32_e32 v3, v1
	v_mov_b32_e32 v2, v0
	s_wait_alu 0xfffe
	v_cndmask_b32_e64 v0, 0, 1, s0
	s_or_b32 exec_lo, exec_lo, s1
	s_delay_alu instid0(SALU_CYCLE_1)
	s_mov_b32 s1, exec_lo
	v_cmpx_gt_u32_e64 s48, v46
	s_cbranch_execz .LBB916_9
.LBB916_86:                             ;   in Loop: Header=BB916_6 Depth=1
	global_load_b64 v[2:3], v[20:21], off offset:256
	s_wait_loadcnt 0x0
	v_cmp_neq_f32_e32 vcc_lo, 0, v2
	v_cmp_neq_f32_e64 s0, 0, v3
	s_or_b32 s0, vcc_lo, s0
	s_wait_alu 0xfffe
	v_cndmask_b32_e64 v3, 0, 1, s0
	s_or_b32 exec_lo, exec_lo, s1
	s_delay_alu instid0(SALU_CYCLE_1)
	s_mov_b32 s1, exec_lo
	v_cmpx_gt_u32_e64 s48, v47
	s_cbranch_execz .LBB916_10
.LBB916_87:                             ;   in Loop: Header=BB916_6 Depth=1
	global_load_b64 v[22:23], v[20:21], off offset:512
	s_wait_loadcnt 0x0
	v_cmp_neq_f32_e32 vcc_lo, 0, v22
	v_cmp_neq_f32_e64 s0, 0, v23
	s_or_b32 s0, vcc_lo, s0
	s_wait_alu 0xfffe
	v_cndmask_b32_e64 v4, 0, 1, s0
	s_or_b32 exec_lo, exec_lo, s1
	s_delay_alu instid0(SALU_CYCLE_1)
	s_mov_b32 s1, exec_lo
	v_cmpx_gt_u32_e64 s48, v48
	s_cbranch_execz .LBB916_11
.LBB916_88:                             ;   in Loop: Header=BB916_6 Depth=1
	global_load_b64 v[22:23], v[20:21], off offset:768
	s_wait_loadcnt 0x0
	v_cmp_neq_f32_e32 vcc_lo, 0, v22
	v_cmp_neq_f32_e64 s0, 0, v23
	s_or_b32 s0, vcc_lo, s0
	s_wait_alu 0xfffe
	v_cndmask_b32_e64 v5, 0, 1, s0
	s_or_b32 exec_lo, exec_lo, s1
	s_delay_alu instid0(SALU_CYCLE_1)
	s_mov_b32 s1, exec_lo
	v_cmpx_gt_u32_e64 s48, v49
	s_cbranch_execz .LBB916_12
.LBB916_89:                             ;   in Loop: Header=BB916_6 Depth=1
	global_load_b64 v[22:23], v[20:21], off offset:1024
	s_wait_loadcnt 0x0
	v_cmp_neq_f32_e32 vcc_lo, 0, v22
	v_cmp_neq_f32_e64 s0, 0, v23
	s_or_b32 s0, vcc_lo, s0
	s_wait_alu 0xfffe
	v_cndmask_b32_e64 v6, 0, 1, s0
	s_or_b32 exec_lo, exec_lo, s1
	s_delay_alu instid0(SALU_CYCLE_1)
	s_mov_b32 s1, exec_lo
	v_cmpx_gt_u32_e64 s48, v50
	s_cbranch_execz .LBB916_13
.LBB916_90:                             ;   in Loop: Header=BB916_6 Depth=1
	global_load_b64 v[22:23], v[20:21], off offset:1280
	s_wait_loadcnt 0x0
	v_cmp_neq_f32_e32 vcc_lo, 0, v22
	v_cmp_neq_f32_e64 s0, 0, v23
	s_or_b32 s0, vcc_lo, s0
	s_wait_alu 0xfffe
	v_cndmask_b32_e64 v7, 0, 1, s0
	s_or_b32 exec_lo, exec_lo, s1
	s_delay_alu instid0(SALU_CYCLE_1)
	s_mov_b32 s1, exec_lo
	v_cmpx_gt_u32_e64 s48, v51
	s_cbranch_execz .LBB916_14
.LBB916_91:                             ;   in Loop: Header=BB916_6 Depth=1
	global_load_b64 v[22:23], v[20:21], off offset:1536
	s_wait_loadcnt 0x0
	v_cmp_neq_f32_e32 vcc_lo, 0, v22
	v_cmp_neq_f32_e64 s0, 0, v23
	s_or_b32 s0, vcc_lo, s0
	s_wait_alu 0xfffe
	v_cndmask_b32_e64 v8, 0, 1, s0
	s_or_b32 exec_lo, exec_lo, s1
	s_delay_alu instid0(SALU_CYCLE_1)
	s_mov_b32 s1, exec_lo
	v_cmpx_gt_u32_e64 s48, v52
	s_cbranch_execz .LBB916_15
.LBB916_92:                             ;   in Loop: Header=BB916_6 Depth=1
	global_load_b64 v[22:23], v[20:21], off offset:1792
	s_wait_loadcnt 0x0
	v_cmp_neq_f32_e32 vcc_lo, 0, v22
	v_cmp_neq_f32_e64 s0, 0, v23
	s_or_b32 s0, vcc_lo, s0
	s_wait_alu 0xfffe
	v_cndmask_b32_e64 v9, 0, 1, s0
	s_or_b32 exec_lo, exec_lo, s1
	s_delay_alu instid0(SALU_CYCLE_1)
	s_mov_b32 s1, exec_lo
	v_cmpx_gt_u32_e64 s48, v53
	s_cbranch_execz .LBB916_16
.LBB916_93:                             ;   in Loop: Header=BB916_6 Depth=1
	global_load_b64 v[22:23], v[20:21], off offset:2048
	s_wait_loadcnt 0x0
	v_cmp_neq_f32_e32 vcc_lo, 0, v22
	v_cmp_neq_f32_e64 s0, 0, v23
	s_or_b32 s0, vcc_lo, s0
	s_wait_alu 0xfffe
	v_cndmask_b32_e64 v10, 0, 1, s0
	s_or_b32 exec_lo, exec_lo, s1
	s_delay_alu instid0(SALU_CYCLE_1)
	s_mov_b32 s1, exec_lo
	v_cmpx_gt_u32_e64 s48, v54
	s_cbranch_execz .LBB916_17
.LBB916_94:                             ;   in Loop: Header=BB916_6 Depth=1
	global_load_b64 v[22:23], v[20:21], off offset:2304
	s_wait_loadcnt 0x0
	v_cmp_neq_f32_e32 vcc_lo, 0, v22
	v_cmp_neq_f32_e64 s0, 0, v23
	s_or_b32 s0, vcc_lo, s0
	s_wait_alu 0xfffe
	v_cndmask_b32_e64 v11, 0, 1, s0
	s_or_b32 exec_lo, exec_lo, s1
	s_delay_alu instid0(SALU_CYCLE_1)
	s_mov_b32 s1, exec_lo
	v_cmpx_gt_u32_e64 s48, v55
	s_cbranch_execz .LBB916_18
.LBB916_95:                             ;   in Loop: Header=BB916_6 Depth=1
	global_load_b64 v[22:23], v[20:21], off offset:2560
	s_wait_loadcnt 0x0
	v_cmp_neq_f32_e32 vcc_lo, 0, v22
	v_cmp_neq_f32_e64 s0, 0, v23
	s_or_b32 s0, vcc_lo, s0
	s_wait_alu 0xfffe
	v_cndmask_b32_e64 v12, 0, 1, s0
	s_or_b32 exec_lo, exec_lo, s1
	s_delay_alu instid0(SALU_CYCLE_1)
	s_mov_b32 s1, exec_lo
	v_cmpx_gt_u32_e64 s48, v56
	s_cbranch_execz .LBB916_19
.LBB916_96:                             ;   in Loop: Header=BB916_6 Depth=1
	global_load_b64 v[22:23], v[20:21], off offset:2816
	s_wait_loadcnt 0x0
	v_cmp_neq_f32_e32 vcc_lo, 0, v22
	v_cmp_neq_f32_e64 s0, 0, v23
	s_or_b32 s0, vcc_lo, s0
	s_wait_alu 0xfffe
	v_cndmask_b32_e64 v13, 0, 1, s0
	s_or_b32 exec_lo, exec_lo, s1
	s_delay_alu instid0(SALU_CYCLE_1)
	s_mov_b32 s1, exec_lo
	v_cmpx_gt_u32_e64 s48, v57
	s_cbranch_execz .LBB916_20
.LBB916_97:                             ;   in Loop: Header=BB916_6 Depth=1
	global_load_b64 v[22:23], v[20:21], off offset:3072
	s_wait_loadcnt 0x0
	v_cmp_neq_f32_e32 vcc_lo, 0, v22
	v_cmp_neq_f32_e64 s0, 0, v23
	s_or_b32 s0, vcc_lo, s0
	s_wait_alu 0xfffe
	v_cndmask_b32_e64 v14, 0, 1, s0
	s_or_b32 exec_lo, exec_lo, s1
	s_delay_alu instid0(SALU_CYCLE_1)
	s_mov_b32 s1, exec_lo
	v_cmpx_gt_u32_e64 s48, v58
	s_cbranch_execz .LBB916_21
.LBB916_98:                             ;   in Loop: Header=BB916_6 Depth=1
	global_load_b64 v[22:23], v[20:21], off offset:3328
	s_wait_loadcnt 0x0
	v_cmp_neq_f32_e32 vcc_lo, 0, v22
	v_cmp_neq_f32_e64 s0, 0, v23
	s_or_b32 s0, vcc_lo, s0
	s_wait_alu 0xfffe
	v_cndmask_b32_e64 v15, 0, 1, s0
	s_or_b32 exec_lo, exec_lo, s1
	s_delay_alu instid0(SALU_CYCLE_1)
	s_mov_b32 s1, exec_lo
	v_cmpx_gt_u32_e64 s48, v59
	s_cbranch_execz .LBB916_22
.LBB916_99:                             ;   in Loop: Header=BB916_6 Depth=1
	global_load_b64 v[22:23], v[20:21], off offset:3584
	s_wait_loadcnt 0x0
	v_cmp_neq_f32_e32 vcc_lo, 0, v22
	v_cmp_neq_f32_e64 s0, 0, v23
	s_or_b32 s0, vcc_lo, s0
	s_wait_alu 0xfffe
	v_cndmask_b32_e64 v16, 0, 1, s0
	s_or_b32 exec_lo, exec_lo, s1
	s_delay_alu instid0(SALU_CYCLE_1)
	s_mov_b32 s1, exec_lo
	v_cmpx_gt_u32_e64 s48, v60
	s_cbranch_execnz .LBB916_23
	s_branch .LBB916_24
.LBB916_100:
	s_nop 0
	s_sendmsg sendmsg(MSG_DEALLOC_VGPRS)
	s_endpgm
	.section	.rodata,"a",@progbits
	.p2align	6, 0x0
	.amdhsa_kernel _ZN2at6native12_GLOBAL__N_111flag_kernelILi512ELi16EN3c107complexIfEEEEvPKT1_PlPKllli
		.amdhsa_group_segment_fixed_size 33796
		.amdhsa_private_segment_fixed_size 0
		.amdhsa_kernarg_size 304
		.amdhsa_user_sgpr_count 2
		.amdhsa_user_sgpr_dispatch_ptr 0
		.amdhsa_user_sgpr_queue_ptr 0
		.amdhsa_user_sgpr_kernarg_segment_ptr 1
		.amdhsa_user_sgpr_dispatch_id 0
		.amdhsa_user_sgpr_private_segment_size 0
		.amdhsa_wavefront_size32 1
		.amdhsa_uses_dynamic_stack 0
		.amdhsa_enable_private_segment 0
		.amdhsa_system_sgpr_workgroup_id_x 1
		.amdhsa_system_sgpr_workgroup_id_y 0
		.amdhsa_system_sgpr_workgroup_id_z 0
		.amdhsa_system_sgpr_workgroup_info 0
		.amdhsa_system_vgpr_workitem_id 0
		.amdhsa_next_free_vgpr 100
		.amdhsa_next_free_sgpr 53
		.amdhsa_reserve_vcc 1
		.amdhsa_float_round_mode_32 0
		.amdhsa_float_round_mode_16_64 0
		.amdhsa_float_denorm_mode_32 3
		.amdhsa_float_denorm_mode_16_64 3
		.amdhsa_fp16_overflow 0
		.amdhsa_workgroup_processor_mode 1
		.amdhsa_memory_ordered 1
		.amdhsa_forward_progress 1
		.amdhsa_inst_pref_size 60
		.amdhsa_round_robin_scheduling 0
		.amdhsa_exception_fp_ieee_invalid_op 0
		.amdhsa_exception_fp_denorm_src 0
		.amdhsa_exception_fp_ieee_div_zero 0
		.amdhsa_exception_fp_ieee_overflow 0
		.amdhsa_exception_fp_ieee_underflow 0
		.amdhsa_exception_fp_ieee_inexact 0
		.amdhsa_exception_int_div_zero 0
	.end_amdhsa_kernel
	.section	.text._ZN2at6native12_GLOBAL__N_111flag_kernelILi512ELi16EN3c107complexIfEEEEvPKT1_PlPKllli,"axG",@progbits,_ZN2at6native12_GLOBAL__N_111flag_kernelILi512ELi16EN3c107complexIfEEEEvPKT1_PlPKllli,comdat
.Lfunc_end916:
	.size	_ZN2at6native12_GLOBAL__N_111flag_kernelILi512ELi16EN3c107complexIfEEEEvPKT1_PlPKllli, .Lfunc_end916-_ZN2at6native12_GLOBAL__N_111flag_kernelILi512ELi16EN3c107complexIfEEEEvPKT1_PlPKllli
                                        ; -- End function
	.set _ZN2at6native12_GLOBAL__N_111flag_kernelILi512ELi16EN3c107complexIfEEEEvPKT1_PlPKllli.num_vgpr, 100
	.set _ZN2at6native12_GLOBAL__N_111flag_kernelILi512ELi16EN3c107complexIfEEEEvPKT1_PlPKllli.num_agpr, 0
	.set _ZN2at6native12_GLOBAL__N_111flag_kernelILi512ELi16EN3c107complexIfEEEEvPKT1_PlPKllli.numbered_sgpr, 53
	.set _ZN2at6native12_GLOBAL__N_111flag_kernelILi512ELi16EN3c107complexIfEEEEvPKT1_PlPKllli.num_named_barrier, 0
	.set _ZN2at6native12_GLOBAL__N_111flag_kernelILi512ELi16EN3c107complexIfEEEEvPKT1_PlPKllli.private_seg_size, 0
	.set _ZN2at6native12_GLOBAL__N_111flag_kernelILi512ELi16EN3c107complexIfEEEEvPKT1_PlPKllli.uses_vcc, 1
	.set _ZN2at6native12_GLOBAL__N_111flag_kernelILi512ELi16EN3c107complexIfEEEEvPKT1_PlPKllli.uses_flat_scratch, 0
	.set _ZN2at6native12_GLOBAL__N_111flag_kernelILi512ELi16EN3c107complexIfEEEEvPKT1_PlPKllli.has_dyn_sized_stack, 0
	.set _ZN2at6native12_GLOBAL__N_111flag_kernelILi512ELi16EN3c107complexIfEEEEvPKT1_PlPKllli.has_recursion, 0
	.set _ZN2at6native12_GLOBAL__N_111flag_kernelILi512ELi16EN3c107complexIfEEEEvPKT1_PlPKllli.has_indirect_call, 0
	.section	.AMDGPU.csdata,"",@progbits
; Kernel info:
; codeLenInByte = 7596
; TotalNumSgprs: 55
; NumVgprs: 100
; ScratchSize: 0
; MemoryBound: 0
; FloatMode: 240
; IeeeMode: 1
; LDSByteSize: 33796 bytes/workgroup (compile time only)
; SGPRBlocks: 0
; VGPRBlocks: 12
; NumSGPRsForWavesPerEU: 55
; NumVGPRsForWavesPerEU: 100
; Occupancy: 12
; WaveLimiterHint : 1
; COMPUTE_PGM_RSRC2:SCRATCH_EN: 0
; COMPUTE_PGM_RSRC2:USER_SGPR: 2
; COMPUTE_PGM_RSRC2:TRAP_HANDLER: 0
; COMPUTE_PGM_RSRC2:TGID_X_EN: 1
; COMPUTE_PGM_RSRC2:TGID_Y_EN: 0
; COMPUTE_PGM_RSRC2:TGID_Z_EN: 0
; COMPUTE_PGM_RSRC2:TIDIG_COMP_CNT: 0
	.section	.text._ZN2at4cuda3cub15calc_block_sumsILi512ELi16ELb1EN3c107complexINS3_4HalfEEEiEEvPKT2_PT3_li,"axG",@progbits,_ZN2at4cuda3cub15calc_block_sumsILi512ELi16ELb1EN3c107complexINS3_4HalfEEEiEEvPKT2_PT3_li,comdat
	.protected	_ZN2at4cuda3cub15calc_block_sumsILi512ELi16ELb1EN3c107complexINS3_4HalfEEEiEEvPKT2_PT3_li ; -- Begin function _ZN2at4cuda3cub15calc_block_sumsILi512ELi16ELb1EN3c107complexINS3_4HalfEEEiEEvPKT2_PT3_li
	.globl	_ZN2at4cuda3cub15calc_block_sumsILi512ELi16ELb1EN3c107complexINS3_4HalfEEEiEEvPKT2_PT3_li
	.p2align	8
	.type	_ZN2at4cuda3cub15calc_block_sumsILi512ELi16ELb1EN3c107complexINS3_4HalfEEEiEEvPKT2_PT3_li,@function
_ZN2at4cuda3cub15calc_block_sumsILi512ELi16ELb1EN3c107complexINS3_4HalfEEEiEEvPKT2_PT3_li: ; @_ZN2at4cuda3cub15calc_block_sumsILi512ELi16ELb1EN3c107complexINS3_4HalfEEEiEEvPKT2_PT3_li
; %bb.0:
	s_load_b96 s[8:10], s[0:1], 0x10
	s_mov_b32 s2, ttmp9
	s_mov_b32 s3, 0
	s_wait_kmcnt 0x0
	s_lshl_b32 s4, s10, 13
	s_delay_alu instid0(SALU_CYCLE_1) | instskip(NEXT) | instid1(SALU_CYCLE_1)
	s_ashr_i32 s5, s4, 31
	s_mul_u64 s[12:13], s[4:5], s[2:3]
	s_delay_alu instid0(SALU_CYCLE_1) | instskip(NEXT) | instid1(SALU_CYCLE_1)
	s_sub_nc_u64 s[8:9], s[8:9], s[12:13]
	v_cmp_lt_i64_e64 s4, s[8:9], 1
	s_and_b32 vcc_lo, exec_lo, s4
	s_cbranch_vccnz .LBB917_58
; %bb.1:
	s_load_b128 s[4:7], s[0:1], 0x0
	s_mov_b32 s0, -1
	s_cmp_gt_i32 s10, 0
	s_mov_b32 s1, -1
	s_cbranch_scc1 .LBB917_3
; %bb.2:
	s_mov_b32 s1, 0
.LBB917_3:
	v_mov_b32_e32 v20, 0
	s_and_not1_b32 vcc_lo, exec_lo, s1
	s_cbranch_vccnz .LBB917_56
; %bb.4:
	v_lshrrev_b32_e32 v1, 3, v0
	s_lshl_b64 s[12:13], s[12:13], 2
	v_dual_mov_b32 v20, 0 :: v_dual_add_nc_u32 v21, 0x200, v0
	s_wait_kmcnt 0x0
	s_add_nc_u64 s[4:5], s[4:5], s[12:13]
	v_and_b32_e32 v36, 0x7c, v1
	v_lshlrev_b32_e32 v1, 2, v0
	v_or_b32_e32 v22, 0x400, v0
	v_add_nc_u32_e32 v23, 0x600, v0
	v_or_b32_e32 v24, 0x800, v0
	v_add_nc_u32_e32 v25, 0xa00, v0
	v_add_co_u32 v2, s1, s4, v1
	s_delay_alu instid0(VALU_DEP_1) | instskip(SKIP_1) | instid1(VALU_DEP_3)
	v_add_co_ci_u32_e64 v3, null, s5, 0, s1
	v_or_b32_e32 v26, 0xc00, v0
	v_add_co_u32 v18, vcc_lo, 0x7800, v2
	v_add_nc_u32_e32 v27, 0xe00, v0
	v_or_b32_e32 v28, 0x1000, v0
	v_add_nc_u32_e32 v29, 0x1200, v0
	v_or_b32_e32 v30, 0x1400, v0
	;; [unrolled: 2-line block ×4, first 2 shown]
	v_add_nc_u32_e32 v35, 0x1e00, v0
	v_cmp_gt_u32_e64 s0, 32, v0
	v_mov_b32_e32 v1, 0
	v_add_co_ci_u32_e64 v19, null, 0, v3, vcc_lo
	v_mbcnt_lo_u32_b32 v37, -1, 0
	s_movk_i32 s4, 0xe000
	s_mov_b32 s5, -1
	s_branch .LBB917_6
.LBB917_5:                              ;   in Loop: Header=BB917_6 Depth=1
	v_add_nc_u32_e32 v20, v2, v20
	s_and_not1_b32 vcc_lo, exec_lo, s11
	s_wait_alu 0xfffe
	s_cbranch_vccz .LBB917_52
.LBB917_6:                              ; =>This Inner Loop Header: Depth=1
	v_cmp_gt_i64_e64 s1, 0x2000, s[8:9]
                                        ; implicit-def: $vgpr2
	s_and_b32 vcc_lo, exec_lo, s1
	s_mov_b32 s1, -1
	s_wait_alu 0xfffe
	s_cbranch_vccz .LBB917_29
; %bb.7:                                ;   in Loop: Header=BB917_6 Depth=1
	v_mov_b32_e32 v16, v1
	v_dual_mov_b32 v2, v1 :: v_dual_mov_b32 v3, v1
	v_dual_mov_b32 v4, v1 :: v_dual_mov_b32 v5, v1
	v_dual_mov_b32 v6, v1 :: v_dual_mov_b32 v7, v1
	v_dual_mov_b32 v8, v1 :: v_dual_mov_b32 v9, v1
	v_dual_mov_b32 v10, v1 :: v_dual_mov_b32 v11, v1
	v_dual_mov_b32 v12, v1 :: v_dual_mov_b32 v13, v1
	v_dual_mov_b32 v14, v1 :: v_dual_mov_b32 v15, v1
	v_mov_b32_e32 v17, v16
	s_delay_alu instid0(VALU_DEP_2) | instskip(NEXT) | instid1(VALU_DEP_3)
	v_mov_b32_e32 v16, v15
	v_mov_b32_e32 v15, v14
	;; [unrolled: 1-line block ×15, first 2 shown]
	s_mov_b32 s1, exec_lo
	v_cmpx_gt_u32_e64 s8, v0
	s_cbranch_execnz .LBB917_37
; %bb.8:                                ;   in Loop: Header=BB917_6 Depth=1
	s_wait_alu 0xfffe
	s_or_b32 exec_lo, exec_lo, s1
	s_delay_alu instid0(SALU_CYCLE_1)
	s_mov_b32 s1, exec_lo
	v_cmpx_gt_u32_e64 s8, v21
	s_cbranch_execnz .LBB917_38
.LBB917_9:                              ;   in Loop: Header=BB917_6 Depth=1
	s_wait_alu 0xfffe
	s_or_b32 exec_lo, exec_lo, s1
	s_delay_alu instid0(SALU_CYCLE_1)
	s_mov_b32 s1, exec_lo
	v_cmpx_gt_u32_e64 s8, v22
	s_cbranch_execnz .LBB917_39
.LBB917_10:                             ;   in Loop: Header=BB917_6 Depth=1
	s_wait_alu 0xfffe
	s_or_b32 exec_lo, exec_lo, s1
	s_delay_alu instid0(SALU_CYCLE_1)
	s_mov_b32 s1, exec_lo
	v_cmpx_gt_u32_e64 s8, v23
	s_cbranch_execnz .LBB917_40
.LBB917_11:                             ;   in Loop: Header=BB917_6 Depth=1
	s_wait_alu 0xfffe
	s_or_b32 exec_lo, exec_lo, s1
	s_delay_alu instid0(SALU_CYCLE_1)
	s_mov_b32 s1, exec_lo
	v_cmpx_gt_u32_e64 s8, v24
	s_cbranch_execnz .LBB917_41
.LBB917_12:                             ;   in Loop: Header=BB917_6 Depth=1
	s_wait_alu 0xfffe
	s_or_b32 exec_lo, exec_lo, s1
	s_delay_alu instid0(SALU_CYCLE_1)
	s_mov_b32 s1, exec_lo
	v_cmpx_gt_u32_e64 s8, v25
	s_cbranch_execnz .LBB917_42
.LBB917_13:                             ;   in Loop: Header=BB917_6 Depth=1
	s_wait_alu 0xfffe
	s_or_b32 exec_lo, exec_lo, s1
	s_delay_alu instid0(SALU_CYCLE_1)
	s_mov_b32 s1, exec_lo
	v_cmpx_gt_u32_e64 s8, v26
	s_cbranch_execnz .LBB917_43
.LBB917_14:                             ;   in Loop: Header=BB917_6 Depth=1
	s_wait_alu 0xfffe
	s_or_b32 exec_lo, exec_lo, s1
	s_delay_alu instid0(SALU_CYCLE_1)
	s_mov_b32 s1, exec_lo
	v_cmpx_gt_u32_e64 s8, v27
	s_cbranch_execnz .LBB917_44
.LBB917_15:                             ;   in Loop: Header=BB917_6 Depth=1
	s_wait_alu 0xfffe
	s_or_b32 exec_lo, exec_lo, s1
	s_delay_alu instid0(SALU_CYCLE_1)
	s_mov_b32 s1, exec_lo
	v_cmpx_gt_u32_e64 s8, v28
	s_cbranch_execnz .LBB917_45
.LBB917_16:                             ;   in Loop: Header=BB917_6 Depth=1
	s_wait_alu 0xfffe
	s_or_b32 exec_lo, exec_lo, s1
	s_delay_alu instid0(SALU_CYCLE_1)
	s_mov_b32 s1, exec_lo
	v_cmpx_gt_u32_e64 s8, v29
	s_cbranch_execnz .LBB917_46
.LBB917_17:                             ;   in Loop: Header=BB917_6 Depth=1
	s_wait_alu 0xfffe
	s_or_b32 exec_lo, exec_lo, s1
	s_delay_alu instid0(SALU_CYCLE_1)
	s_mov_b32 s1, exec_lo
	v_cmpx_gt_u32_e64 s8, v30
	s_cbranch_execnz .LBB917_47
.LBB917_18:                             ;   in Loop: Header=BB917_6 Depth=1
	s_wait_alu 0xfffe
	s_or_b32 exec_lo, exec_lo, s1
	s_delay_alu instid0(SALU_CYCLE_1)
	s_mov_b32 s1, exec_lo
	v_cmpx_gt_u32_e64 s8, v31
	s_cbranch_execnz .LBB917_48
.LBB917_19:                             ;   in Loop: Header=BB917_6 Depth=1
	s_wait_alu 0xfffe
	s_or_b32 exec_lo, exec_lo, s1
	s_delay_alu instid0(SALU_CYCLE_1)
	s_mov_b32 s1, exec_lo
	v_cmpx_gt_u32_e64 s8, v32
	s_cbranch_execnz .LBB917_49
.LBB917_20:                             ;   in Loop: Header=BB917_6 Depth=1
	s_wait_alu 0xfffe
	s_or_b32 exec_lo, exec_lo, s1
	s_delay_alu instid0(SALU_CYCLE_1)
	s_mov_b32 s1, exec_lo
	v_cmpx_gt_u32_e64 s8, v33
	s_cbranch_execnz .LBB917_50
.LBB917_21:                             ;   in Loop: Header=BB917_6 Depth=1
	s_wait_alu 0xfffe
	s_or_b32 exec_lo, exec_lo, s1
	s_delay_alu instid0(SALU_CYCLE_1)
	s_mov_b32 s1, exec_lo
	v_cmpx_gt_u32_e64 s8, v34
	s_cbranch_execnz .LBB917_51
.LBB917_22:                             ;   in Loop: Header=BB917_6 Depth=1
	s_wait_alu 0xfffe
	s_or_b32 exec_lo, exec_lo, s1
	s_delay_alu instid0(SALU_CYCLE_1)
	s_mov_b32 s1, exec_lo
	v_cmpx_gt_u32_e64 s8, v35
	s_cbranch_execz .LBB917_24
.LBB917_23:                             ;   in Loop: Header=BB917_6 Depth=1
	global_load_b32 v17, v[18:19], off
	s_wait_loadcnt 0x0
	v_and_b32_e32 v17, 0x7fff7fff, v17
	s_delay_alu instid0(VALU_DEP_1)
	v_cmp_ne_u32_e32 vcc_lo, 0, v17
	s_wait_alu 0xfffd
	v_cndmask_b32_e64 v17, 0, 1, vcc_lo
.LBB917_24:                             ;   in Loop: Header=BB917_6 Depth=1
	s_wait_alu 0xfffe
	s_or_b32 exec_lo, exec_lo, s1
	v_add_nc_u32_e32 v2, v3, v2
	s_mov_b32 s1, exec_lo
	s_barrier_signal -1
	s_barrier_wait -1
	s_delay_alu instid0(VALU_DEP_1) | instskip(SKIP_2) | instid1(VALU_DEP_1)
	v_add3_u32 v2, v2, v4, v5
	global_inv scope:SCOPE_SE
	v_add3_u32 v2, v2, v6, v7
	v_add3_u32 v2, v2, v8, v9
	s_delay_alu instid0(VALU_DEP_1) | instskip(NEXT) | instid1(VALU_DEP_1)
	v_add3_u32 v2, v2, v10, v11
	v_add3_u32 v2, v2, v12, v13
	s_delay_alu instid0(VALU_DEP_1) | instskip(NEXT) | instid1(VALU_DEP_1)
	;; [unrolled: 3-line block ×3, first 2 shown]
	v_mov_b32_dpp v3, v2 quad_perm:[1,0,3,2] row_mask:0xf bank_mask:0xf
	v_add_nc_u32_e32 v2, v2, v3
	s_delay_alu instid0(VALU_DEP_1) | instskip(NEXT) | instid1(VALU_DEP_1)
	v_mov_b32_dpp v3, v2 quad_perm:[2,3,0,1] row_mask:0xf bank_mask:0xf
	v_add_nc_u32_e32 v2, v2, v3
	s_delay_alu instid0(VALU_DEP_1) | instskip(NEXT) | instid1(VALU_DEP_1)
	v_mov_b32_dpp v3, v2 row_ror:4 row_mask:0xf bank_mask:0xf
	v_add_nc_u32_e32 v2, v2, v3
	s_delay_alu instid0(VALU_DEP_1) | instskip(NEXT) | instid1(VALU_DEP_1)
	v_mov_b32_dpp v3, v2 row_ror:8 row_mask:0xf bank_mask:0xf
	v_add_nc_u32_e32 v2, v2, v3
	ds_swizzle_b32 v3, v2 offset:swizzle(BROADCAST,32,15)
	s_wait_dscnt 0x0
	v_add_nc_u32_e32 v2, v2, v3
	ds_bpermute_b32 v2, v1, v2 offset:124
	v_cmpx_eq_u32_e32 0, v37
	s_cbranch_execz .LBB917_26
; %bb.25:                               ;   in Loop: Header=BB917_6 Depth=1
	s_wait_dscnt 0x0
	ds_store_b32 v36, v2
.LBB917_26:                             ;   in Loop: Header=BB917_6 Depth=1
	s_wait_alu 0xfffe
	s_or_b32 exec_lo, exec_lo, s1
	s_wait_loadcnt_dscnt 0x0
	s_barrier_signal -1
	s_barrier_wait -1
	global_inv scope:SCOPE_SE
	s_and_saveexec_b32 s1, s0
	s_cbranch_execz .LBB917_28
; %bb.27:                               ;   in Loop: Header=BB917_6 Depth=1
	v_and_b32_e32 v2, 15, v37
	s_delay_alu instid0(VALU_DEP_1)
	v_lshlrev_b32_e32 v3, 2, v2
	v_cmp_ne_u32_e32 vcc_lo, 15, v2
	ds_load_b32 v3, v3
	s_wait_alu 0xfffd
	v_add_co_ci_u32_e64 v4, null, 0, v37, vcc_lo
	v_cmp_gt_u32_e32 vcc_lo, 14, v2
	s_delay_alu instid0(VALU_DEP_2) | instskip(SKIP_3) | instid1(VALU_DEP_2)
	v_lshlrev_b32_e32 v4, 2, v4
	s_wait_alu 0xfffd
	v_cndmask_b32_e64 v5, 0, 2, vcc_lo
	v_cmp_gt_u32_e32 vcc_lo, 12, v2
	v_add_lshl_u32 v5, v5, v37, 2
	s_wait_alu 0xfffd
	v_cndmask_b32_e64 v2, 0, 4, vcc_lo
	s_delay_alu instid0(VALU_DEP_1)
	v_add_lshl_u32 v2, v2, v37, 2
	s_wait_dscnt 0x0
	ds_bpermute_b32 v4, v4, v3
	s_wait_dscnt 0x0
	v_add_nc_u32_e32 v3, v4, v3
	ds_bpermute_b32 v4, v5, v3
	s_wait_dscnt 0x0
	v_add_nc_u32_e32 v3, v4, v3
	v_lshlrev_b32_e32 v4, 2, v37
	ds_bpermute_b32 v2, v2, v3
	s_wait_dscnt 0x0
	v_add_nc_u32_e32 v2, v2, v3
	v_or_b32_e32 v3, 32, v4
	ds_bpermute_b32 v3, v3, v2
	s_wait_dscnt 0x0
	v_add_nc_u32_e32 v2, v3, v2
.LBB917_28:                             ;   in Loop: Header=BB917_6 Depth=1
	s_wait_alu 0xfffe
	s_or_b32 exec_lo, exec_lo, s1
	s_mov_b32 s1, 0
.LBB917_29:                             ;   in Loop: Header=BB917_6 Depth=1
	s_wait_alu 0xfffe
	s_and_b32 vcc_lo, exec_lo, s1
	s_wait_alu 0xfffe
	s_cbranch_vccz .LBB917_35
; %bb.30:                               ;   in Loop: Header=BB917_6 Depth=1
	s_clause 0xf
	global_load_b32 v2, v[18:19], off offset:-30720
	global_load_b32 v3, v[18:19], off offset:-28672
	;; [unrolled: 1-line block ×15, first 2 shown]
	global_load_b32 v17, v[18:19], off
	s_mov_b32 s1, exec_lo
	s_wait_loadcnt 0x0
	s_barrier_signal -1
	s_barrier_wait -1
	global_inv scope:SCOPE_SE
	v_and_b32_e32 v2, 0x7fff7fff, v2
	v_and_b32_e32 v3, 0x7fff7fff, v3
	;; [unrolled: 1-line block ×5, first 2 shown]
	v_cmp_ne_u32_e32 vcc_lo, 0, v2
	v_and_b32_e32 v8, 0x7fff7fff, v8
	v_and_b32_e32 v7, 0x7fff7fff, v7
	;; [unrolled: 1-line block ×4, first 2 shown]
	s_wait_alu 0xfffd
	v_cndmask_b32_e64 v2, 0, 1, vcc_lo
	v_cmp_ne_u32_e32 vcc_lo, 0, v4
	v_and_b32_e32 v12, 0x7fff7fff, v12
	v_and_b32_e32 v11, 0x7fff7fff, v11
	;; [unrolled: 1-line block ×4, first 2 shown]
	s_wait_alu 0xfffd
	v_cndmask_b32_e64 v4, 0, 1, vcc_lo
	v_cmp_ne_u32_e32 vcc_lo, 0, v3
	v_and_b32_e32 v16, 0x7fff7fff, v16
	v_and_b32_e32 v15, 0x7fff7fff, v15
	s_wait_alu 0xfffd
	v_add_co_ci_u32_e64 v2, null, 0, v2, vcc_lo
	v_cmp_ne_u32_e32 vcc_lo, 0, v6
	s_wait_alu 0xfffd
	v_cndmask_b32_e64 v3, 0, 1, vcc_lo
	v_cmp_ne_u32_e32 vcc_lo, 0, v5
	v_and_b32_e32 v5, 0x7fff7fff, v17
	s_wait_alu 0xfffd
	v_add_co_ci_u32_e64 v2, null, v2, v4, vcc_lo
	v_cmp_ne_u32_e32 vcc_lo, 0, v8
	s_wait_alu 0xfffd
	v_cndmask_b32_e64 v4, 0, 1, vcc_lo
	v_cmp_ne_u32_e32 vcc_lo, 0, v7
	s_wait_alu 0xfffd
	v_add_co_ci_u32_e64 v2, null, v2, v3, vcc_lo
	v_cmp_ne_u32_e32 vcc_lo, 0, v10
	s_wait_alu 0xfffd
	v_cndmask_b32_e64 v3, 0, 1, vcc_lo
	v_cmp_ne_u32_e32 vcc_lo, 0, v9
	;; [unrolled: 6-line block ×5, first 2 shown]
	s_wait_alu 0xfffd
	v_add_co_ci_u32_e64 v2, null, v2, v3, vcc_lo
	v_cmp_ne_u32_e32 vcc_lo, 0, v5
	s_wait_alu 0xfffd
	s_delay_alu instid0(VALU_DEP_2) | instskip(NEXT) | instid1(VALU_DEP_1)
	v_add_co_ci_u32_e64 v2, null, v2, v4, vcc_lo
	v_mov_b32_dpp v3, v2 quad_perm:[1,0,3,2] row_mask:0xf bank_mask:0xf
	s_delay_alu instid0(VALU_DEP_1) | instskip(NEXT) | instid1(VALU_DEP_1)
	v_add_nc_u32_e32 v2, v3, v2
	v_mov_b32_dpp v3, v2 quad_perm:[2,3,0,1] row_mask:0xf bank_mask:0xf
	s_delay_alu instid0(VALU_DEP_1) | instskip(NEXT) | instid1(VALU_DEP_1)
	v_add_nc_u32_e32 v2, v2, v3
	v_mov_b32_dpp v3, v2 row_ror:4 row_mask:0xf bank_mask:0xf
	s_delay_alu instid0(VALU_DEP_1) | instskip(NEXT) | instid1(VALU_DEP_1)
	v_add_nc_u32_e32 v2, v2, v3
	v_mov_b32_dpp v3, v2 row_ror:8 row_mask:0xf bank_mask:0xf
	s_delay_alu instid0(VALU_DEP_1)
	v_add_nc_u32_e32 v2, v2, v3
	ds_swizzle_b32 v3, v2 offset:swizzle(BROADCAST,32,15)
	s_wait_dscnt 0x0
	v_add_nc_u32_e32 v2, v2, v3
	ds_bpermute_b32 v2, v1, v2 offset:124
	v_cmpx_eq_u32_e32 0, v37
	s_cbranch_execz .LBB917_32
; %bb.31:                               ;   in Loop: Header=BB917_6 Depth=1
	s_wait_dscnt 0x0
	ds_store_b32 v36, v2
.LBB917_32:                             ;   in Loop: Header=BB917_6 Depth=1
	s_wait_alu 0xfffe
	s_or_b32 exec_lo, exec_lo, s1
	s_wait_loadcnt_dscnt 0x0
	s_barrier_signal -1
	s_barrier_wait -1
	global_inv scope:SCOPE_SE
	s_and_saveexec_b32 s1, s0
	s_cbranch_execz .LBB917_34
; %bb.33:                               ;   in Loop: Header=BB917_6 Depth=1
	v_and_b32_e32 v2, 15, v37
	s_delay_alu instid0(VALU_DEP_1)
	v_lshlrev_b32_e32 v3, 2, v2
	v_cmp_ne_u32_e32 vcc_lo, 15, v2
	ds_load_b32 v3, v3
	s_wait_alu 0xfffd
	v_add_co_ci_u32_e64 v4, null, 0, v37, vcc_lo
	v_cmp_gt_u32_e32 vcc_lo, 14, v2
	s_delay_alu instid0(VALU_DEP_2) | instskip(SKIP_3) | instid1(VALU_DEP_2)
	v_lshlrev_b32_e32 v4, 2, v4
	s_wait_alu 0xfffd
	v_cndmask_b32_e64 v5, 0, 2, vcc_lo
	v_cmp_gt_u32_e32 vcc_lo, 12, v2
	v_add_lshl_u32 v5, v5, v37, 2
	s_wait_alu 0xfffd
	v_cndmask_b32_e64 v2, 0, 4, vcc_lo
	s_delay_alu instid0(VALU_DEP_1)
	v_add_lshl_u32 v2, v2, v37, 2
	s_wait_dscnt 0x0
	ds_bpermute_b32 v4, v4, v3
	s_wait_dscnt 0x0
	v_add_nc_u32_e32 v3, v4, v3
	ds_bpermute_b32 v4, v5, v3
	s_wait_dscnt 0x0
	v_add_nc_u32_e32 v3, v4, v3
	v_lshlrev_b32_e32 v4, 2, v37
	ds_bpermute_b32 v2, v2, v3
	s_wait_dscnt 0x0
	v_add_nc_u32_e32 v2, v2, v3
	v_or_b32_e32 v3, 32, v4
	ds_bpermute_b32 v3, v3, v2
	s_wait_dscnt 0x0
	v_add_nc_u32_e32 v2, v3, v2
.LBB917_34:                             ;   in Loop: Header=BB917_6 Depth=1
	s_wait_alu 0xfffe
	s_or_b32 exec_lo, exec_lo, s1
.LBB917_35:                             ;   in Loop: Header=BB917_6 Depth=1
	v_cmp_lt_i64_e64 s11, 0x2000, s[8:9]
	s_mov_b32 s1, -1
	s_and_b32 vcc_lo, exec_lo, s11
	s_mov_b32 s11, -1
	s_wait_alu 0xfffe
	s_cbranch_vccz .LBB917_5
; %bb.36:                               ;   in Loop: Header=BB917_6 Depth=1
	v_add_co_u32 v18, vcc_lo, 0x8000, v18
	s_add_co_i32 s10, s10, -1
	s_wait_alu 0xfffd
	v_add_co_ci_u32_e64 v19, null, 0, v19, vcc_lo
	s_cmp_eq_u32 s10, 0
	s_add_nc_u64 s[8:9], s[8:9], s[4:5]
	s_mov_b32 s1, 0
	s_cselect_b32 s11, -1, 0
	s_wait_loadcnt 0x0
	s_barrier_signal -1
	s_barrier_wait -1
	global_inv scope:SCOPE_SE
	s_branch .LBB917_5
.LBB917_37:                             ;   in Loop: Header=BB917_6 Depth=1
	global_load_b32 v2, v[18:19], off offset:-30720
	v_dual_mov_b32 v3, v1 :: v_dual_mov_b32 v4, v1
	v_dual_mov_b32 v5, v1 :: v_dual_mov_b32 v6, v1
	;; [unrolled: 1-line block ×7, first 2 shown]
	s_wait_loadcnt 0x0
	v_dual_mov_b32 v9, v1 :: v_dual_and_b32 v2, 0x7fff7fff, v2
	s_delay_alu instid0(VALU_DEP_1) | instskip(SKIP_2) | instid1(VALU_DEP_1)
	v_cmp_ne_u32_e32 vcc_lo, 0, v2
	s_wait_alu 0xfffd
	v_cndmask_b32_e64 v2, 0, 1, vcc_lo
	v_and_b32_e32 v2, 0xffff, v2
	s_wait_alu 0xfffe
	s_or_b32 exec_lo, exec_lo, s1
	s_delay_alu instid0(SALU_CYCLE_1)
	s_mov_b32 s1, exec_lo
	v_cmpx_gt_u32_e64 s8, v21
	s_cbranch_execz .LBB917_9
.LBB917_38:                             ;   in Loop: Header=BB917_6 Depth=1
	global_load_b32 v3, v[18:19], off offset:-28672
	s_wait_loadcnt 0x0
	v_and_b32_e32 v3, 0x7fff7fff, v3
	s_delay_alu instid0(VALU_DEP_1) | instskip(SKIP_4) | instid1(SALU_CYCLE_1)
	v_cmp_ne_u32_e32 vcc_lo, 0, v3
	s_wait_alu 0xfffd
	v_cndmask_b32_e64 v3, 0, 1, vcc_lo
	s_wait_alu 0xfffe
	s_or_b32 exec_lo, exec_lo, s1
	s_mov_b32 s1, exec_lo
	v_cmpx_gt_u32_e64 s8, v22
	s_cbranch_execz .LBB917_10
.LBB917_39:                             ;   in Loop: Header=BB917_6 Depth=1
	global_load_b32 v4, v[18:19], off offset:-26624
	s_wait_loadcnt 0x0
	v_and_b32_e32 v4, 0x7fff7fff, v4
	s_delay_alu instid0(VALU_DEP_1) | instskip(SKIP_4) | instid1(SALU_CYCLE_1)
	v_cmp_ne_u32_e32 vcc_lo, 0, v4
	s_wait_alu 0xfffd
	v_cndmask_b32_e64 v4, 0, 1, vcc_lo
	s_wait_alu 0xfffe
	s_or_b32 exec_lo, exec_lo, s1
	s_mov_b32 s1, exec_lo
	v_cmpx_gt_u32_e64 s8, v23
	s_cbranch_execz .LBB917_11
.LBB917_40:                             ;   in Loop: Header=BB917_6 Depth=1
	global_load_b32 v5, v[18:19], off offset:-24576
	s_wait_loadcnt 0x0
	v_and_b32_e32 v5, 0x7fff7fff, v5
	s_delay_alu instid0(VALU_DEP_1) | instskip(SKIP_4) | instid1(SALU_CYCLE_1)
	v_cmp_ne_u32_e32 vcc_lo, 0, v5
	s_wait_alu 0xfffd
	v_cndmask_b32_e64 v5, 0, 1, vcc_lo
	s_wait_alu 0xfffe
	s_or_b32 exec_lo, exec_lo, s1
	s_mov_b32 s1, exec_lo
	v_cmpx_gt_u32_e64 s8, v24
	s_cbranch_execz .LBB917_12
.LBB917_41:                             ;   in Loop: Header=BB917_6 Depth=1
	global_load_b32 v6, v[18:19], off offset:-22528
	s_wait_loadcnt 0x0
	v_and_b32_e32 v6, 0x7fff7fff, v6
	s_delay_alu instid0(VALU_DEP_1) | instskip(SKIP_4) | instid1(SALU_CYCLE_1)
	v_cmp_ne_u32_e32 vcc_lo, 0, v6
	s_wait_alu 0xfffd
	v_cndmask_b32_e64 v6, 0, 1, vcc_lo
	s_wait_alu 0xfffe
	s_or_b32 exec_lo, exec_lo, s1
	s_mov_b32 s1, exec_lo
	v_cmpx_gt_u32_e64 s8, v25
	s_cbranch_execz .LBB917_13
.LBB917_42:                             ;   in Loop: Header=BB917_6 Depth=1
	global_load_b32 v7, v[18:19], off offset:-20480
	s_wait_loadcnt 0x0
	v_and_b32_e32 v7, 0x7fff7fff, v7
	s_delay_alu instid0(VALU_DEP_1) | instskip(SKIP_4) | instid1(SALU_CYCLE_1)
	v_cmp_ne_u32_e32 vcc_lo, 0, v7
	s_wait_alu 0xfffd
	v_cndmask_b32_e64 v7, 0, 1, vcc_lo
	s_wait_alu 0xfffe
	s_or_b32 exec_lo, exec_lo, s1
	s_mov_b32 s1, exec_lo
	v_cmpx_gt_u32_e64 s8, v26
	s_cbranch_execz .LBB917_14
.LBB917_43:                             ;   in Loop: Header=BB917_6 Depth=1
	global_load_b32 v8, v[18:19], off offset:-18432
	s_wait_loadcnt 0x0
	v_and_b32_e32 v8, 0x7fff7fff, v8
	s_delay_alu instid0(VALU_DEP_1) | instskip(SKIP_4) | instid1(SALU_CYCLE_1)
	v_cmp_ne_u32_e32 vcc_lo, 0, v8
	s_wait_alu 0xfffd
	v_cndmask_b32_e64 v8, 0, 1, vcc_lo
	s_wait_alu 0xfffe
	s_or_b32 exec_lo, exec_lo, s1
	s_mov_b32 s1, exec_lo
	v_cmpx_gt_u32_e64 s8, v27
	s_cbranch_execz .LBB917_15
.LBB917_44:                             ;   in Loop: Header=BB917_6 Depth=1
	global_load_b32 v9, v[18:19], off offset:-16384
	s_wait_loadcnt 0x0
	v_and_b32_e32 v9, 0x7fff7fff, v9
	s_delay_alu instid0(VALU_DEP_1) | instskip(SKIP_4) | instid1(SALU_CYCLE_1)
	v_cmp_ne_u32_e32 vcc_lo, 0, v9
	s_wait_alu 0xfffd
	v_cndmask_b32_e64 v9, 0, 1, vcc_lo
	s_wait_alu 0xfffe
	s_or_b32 exec_lo, exec_lo, s1
	s_mov_b32 s1, exec_lo
	v_cmpx_gt_u32_e64 s8, v28
	s_cbranch_execz .LBB917_16
.LBB917_45:                             ;   in Loop: Header=BB917_6 Depth=1
	global_load_b32 v10, v[18:19], off offset:-14336
	s_wait_loadcnt 0x0
	v_and_b32_e32 v10, 0x7fff7fff, v10
	s_delay_alu instid0(VALU_DEP_1) | instskip(SKIP_4) | instid1(SALU_CYCLE_1)
	v_cmp_ne_u32_e32 vcc_lo, 0, v10
	s_wait_alu 0xfffd
	v_cndmask_b32_e64 v10, 0, 1, vcc_lo
	s_wait_alu 0xfffe
	s_or_b32 exec_lo, exec_lo, s1
	s_mov_b32 s1, exec_lo
	v_cmpx_gt_u32_e64 s8, v29
	s_cbranch_execz .LBB917_17
.LBB917_46:                             ;   in Loop: Header=BB917_6 Depth=1
	global_load_b32 v11, v[18:19], off offset:-12288
	s_wait_loadcnt 0x0
	v_and_b32_e32 v11, 0x7fff7fff, v11
	s_delay_alu instid0(VALU_DEP_1) | instskip(SKIP_4) | instid1(SALU_CYCLE_1)
	v_cmp_ne_u32_e32 vcc_lo, 0, v11
	s_wait_alu 0xfffd
	v_cndmask_b32_e64 v11, 0, 1, vcc_lo
	s_wait_alu 0xfffe
	s_or_b32 exec_lo, exec_lo, s1
	s_mov_b32 s1, exec_lo
	v_cmpx_gt_u32_e64 s8, v30
	s_cbranch_execz .LBB917_18
.LBB917_47:                             ;   in Loop: Header=BB917_6 Depth=1
	global_load_b32 v12, v[18:19], off offset:-10240
	s_wait_loadcnt 0x0
	v_and_b32_e32 v12, 0x7fff7fff, v12
	s_delay_alu instid0(VALU_DEP_1) | instskip(SKIP_4) | instid1(SALU_CYCLE_1)
	v_cmp_ne_u32_e32 vcc_lo, 0, v12
	s_wait_alu 0xfffd
	v_cndmask_b32_e64 v12, 0, 1, vcc_lo
	s_wait_alu 0xfffe
	s_or_b32 exec_lo, exec_lo, s1
	s_mov_b32 s1, exec_lo
	v_cmpx_gt_u32_e64 s8, v31
	s_cbranch_execz .LBB917_19
.LBB917_48:                             ;   in Loop: Header=BB917_6 Depth=1
	global_load_b32 v13, v[18:19], off offset:-8192
	s_wait_loadcnt 0x0
	v_and_b32_e32 v13, 0x7fff7fff, v13
	s_delay_alu instid0(VALU_DEP_1) | instskip(SKIP_4) | instid1(SALU_CYCLE_1)
	v_cmp_ne_u32_e32 vcc_lo, 0, v13
	s_wait_alu 0xfffd
	v_cndmask_b32_e64 v13, 0, 1, vcc_lo
	s_wait_alu 0xfffe
	s_or_b32 exec_lo, exec_lo, s1
	s_mov_b32 s1, exec_lo
	v_cmpx_gt_u32_e64 s8, v32
	s_cbranch_execz .LBB917_20
.LBB917_49:                             ;   in Loop: Header=BB917_6 Depth=1
	global_load_b32 v14, v[18:19], off offset:-6144
	s_wait_loadcnt 0x0
	v_and_b32_e32 v14, 0x7fff7fff, v14
	s_delay_alu instid0(VALU_DEP_1) | instskip(SKIP_4) | instid1(SALU_CYCLE_1)
	v_cmp_ne_u32_e32 vcc_lo, 0, v14
	s_wait_alu 0xfffd
	v_cndmask_b32_e64 v14, 0, 1, vcc_lo
	s_wait_alu 0xfffe
	s_or_b32 exec_lo, exec_lo, s1
	s_mov_b32 s1, exec_lo
	v_cmpx_gt_u32_e64 s8, v33
	s_cbranch_execz .LBB917_21
.LBB917_50:                             ;   in Loop: Header=BB917_6 Depth=1
	global_load_b32 v15, v[18:19], off offset:-4096
	s_wait_loadcnt 0x0
	v_and_b32_e32 v15, 0x7fff7fff, v15
	s_delay_alu instid0(VALU_DEP_1) | instskip(SKIP_4) | instid1(SALU_CYCLE_1)
	v_cmp_ne_u32_e32 vcc_lo, 0, v15
	s_wait_alu 0xfffd
	v_cndmask_b32_e64 v15, 0, 1, vcc_lo
	s_wait_alu 0xfffe
	s_or_b32 exec_lo, exec_lo, s1
	s_mov_b32 s1, exec_lo
	v_cmpx_gt_u32_e64 s8, v34
	s_cbranch_execz .LBB917_22
.LBB917_51:                             ;   in Loop: Header=BB917_6 Depth=1
	global_load_b32 v16, v[18:19], off offset:-2048
	s_wait_loadcnt 0x0
	v_and_b32_e32 v16, 0x7fff7fff, v16
	s_delay_alu instid0(VALU_DEP_1) | instskip(SKIP_4) | instid1(SALU_CYCLE_1)
	v_cmp_ne_u32_e32 vcc_lo, 0, v16
	s_wait_alu 0xfffd
	v_cndmask_b32_e64 v16, 0, 1, vcc_lo
	s_wait_alu 0xfffe
	s_or_b32 exec_lo, exec_lo, s1
	s_mov_b32 s1, exec_lo
	v_cmpx_gt_u32_e64 s8, v35
	s_cbranch_execnz .LBB917_23
	s_branch .LBB917_24
.LBB917_52:
	s_and_b32 vcc_lo, exec_lo, s1
	s_mov_b32 s0, -1
	s_wait_alu 0xfffe
	s_cbranch_vccz .LBB917_56
; %bb.53:
	s_mov_b32 s0, 0
	s_mov_b32 s1, exec_lo
	v_cmpx_eq_u32_e32 0, v0
	s_cbranch_execz .LBB917_55
; %bb.54:
	v_mov_b32_e32 v0, 0
	s_lshl_b64 s[4:5], s[2:3], 2
	s_wait_alu 0xfffe
	s_add_nc_u64 s[4:5], s[6:7], s[4:5]
	global_store_b32 v0, v20, s[4:5]
.LBB917_55:
	s_wait_alu 0xfffe
	s_or_b32 exec_lo, exec_lo, s1
.LBB917_56:
	v_cmp_eq_u32_e32 vcc_lo, 0, v0
	s_and_b32 s0, vcc_lo, s0
	s_wait_alu 0xfffe
	s_and_saveexec_b32 s1, s0
	s_cbranch_execz .LBB917_58
; %bb.57:
	v_mov_b32_e32 v0, 0
	s_lshl_b64 s[0:1], s[2:3], 2
	s_wait_kmcnt 0x0
	s_wait_alu 0xfffe
	s_add_nc_u64 s[0:1], s[6:7], s[0:1]
	global_store_b32 v0, v20, s[0:1]
.LBB917_58:
	s_endpgm
	.section	.rodata,"a",@progbits
	.p2align	6, 0x0
	.amdhsa_kernel _ZN2at4cuda3cub15calc_block_sumsILi512ELi16ELb1EN3c107complexINS3_4HalfEEEiEEvPKT2_PT3_li
		.amdhsa_group_segment_fixed_size 64
		.amdhsa_private_segment_fixed_size 0
		.amdhsa_kernarg_size 28
		.amdhsa_user_sgpr_count 2
		.amdhsa_user_sgpr_dispatch_ptr 0
		.amdhsa_user_sgpr_queue_ptr 0
		.amdhsa_user_sgpr_kernarg_segment_ptr 1
		.amdhsa_user_sgpr_dispatch_id 0
		.amdhsa_user_sgpr_private_segment_size 0
		.amdhsa_wavefront_size32 1
		.amdhsa_uses_dynamic_stack 0
		.amdhsa_enable_private_segment 0
		.amdhsa_system_sgpr_workgroup_id_x 1
		.amdhsa_system_sgpr_workgroup_id_y 0
		.amdhsa_system_sgpr_workgroup_id_z 0
		.amdhsa_system_sgpr_workgroup_info 0
		.amdhsa_system_vgpr_workitem_id 0
		.amdhsa_next_free_vgpr 38
		.amdhsa_next_free_sgpr 14
		.amdhsa_reserve_vcc 1
		.amdhsa_float_round_mode_32 0
		.amdhsa_float_round_mode_16_64 0
		.amdhsa_float_denorm_mode_32 3
		.amdhsa_float_denorm_mode_16_64 3
		.amdhsa_fp16_overflow 0
		.amdhsa_workgroup_processor_mode 1
		.amdhsa_memory_ordered 1
		.amdhsa_forward_progress 1
		.amdhsa_inst_pref_size 29
		.amdhsa_round_robin_scheduling 0
		.amdhsa_exception_fp_ieee_invalid_op 0
		.amdhsa_exception_fp_denorm_src 0
		.amdhsa_exception_fp_ieee_div_zero 0
		.amdhsa_exception_fp_ieee_overflow 0
		.amdhsa_exception_fp_ieee_underflow 0
		.amdhsa_exception_fp_ieee_inexact 0
		.amdhsa_exception_int_div_zero 0
	.end_amdhsa_kernel
	.section	.text._ZN2at4cuda3cub15calc_block_sumsILi512ELi16ELb1EN3c107complexINS3_4HalfEEEiEEvPKT2_PT3_li,"axG",@progbits,_ZN2at4cuda3cub15calc_block_sumsILi512ELi16ELb1EN3c107complexINS3_4HalfEEEiEEvPKT2_PT3_li,comdat
.Lfunc_end917:
	.size	_ZN2at4cuda3cub15calc_block_sumsILi512ELi16ELb1EN3c107complexINS3_4HalfEEEiEEvPKT2_PT3_li, .Lfunc_end917-_ZN2at4cuda3cub15calc_block_sumsILi512ELi16ELb1EN3c107complexINS3_4HalfEEEiEEvPKT2_PT3_li
                                        ; -- End function
	.set _ZN2at4cuda3cub15calc_block_sumsILi512ELi16ELb1EN3c107complexINS3_4HalfEEEiEEvPKT2_PT3_li.num_vgpr, 38
	.set _ZN2at4cuda3cub15calc_block_sumsILi512ELi16ELb1EN3c107complexINS3_4HalfEEEiEEvPKT2_PT3_li.num_agpr, 0
	.set _ZN2at4cuda3cub15calc_block_sumsILi512ELi16ELb1EN3c107complexINS3_4HalfEEEiEEvPKT2_PT3_li.numbered_sgpr, 14
	.set _ZN2at4cuda3cub15calc_block_sumsILi512ELi16ELb1EN3c107complexINS3_4HalfEEEiEEvPKT2_PT3_li.num_named_barrier, 0
	.set _ZN2at4cuda3cub15calc_block_sumsILi512ELi16ELb1EN3c107complexINS3_4HalfEEEiEEvPKT2_PT3_li.private_seg_size, 0
	.set _ZN2at4cuda3cub15calc_block_sumsILi512ELi16ELb1EN3c107complexINS3_4HalfEEEiEEvPKT2_PT3_li.uses_vcc, 1
	.set _ZN2at4cuda3cub15calc_block_sumsILi512ELi16ELb1EN3c107complexINS3_4HalfEEEiEEvPKT2_PT3_li.uses_flat_scratch, 0
	.set _ZN2at4cuda3cub15calc_block_sumsILi512ELi16ELb1EN3c107complexINS3_4HalfEEEiEEvPKT2_PT3_li.has_dyn_sized_stack, 0
	.set _ZN2at4cuda3cub15calc_block_sumsILi512ELi16ELb1EN3c107complexINS3_4HalfEEEiEEvPKT2_PT3_li.has_recursion, 0
	.set _ZN2at4cuda3cub15calc_block_sumsILi512ELi16ELb1EN3c107complexINS3_4HalfEEEiEEvPKT2_PT3_li.has_indirect_call, 0
	.section	.AMDGPU.csdata,"",@progbits
; Kernel info:
; codeLenInByte = 3692
; TotalNumSgprs: 16
; NumVgprs: 38
; ScratchSize: 0
; MemoryBound: 0
; FloatMode: 240
; IeeeMode: 1
; LDSByteSize: 64 bytes/workgroup (compile time only)
; SGPRBlocks: 0
; VGPRBlocks: 4
; NumSGPRsForWavesPerEU: 16
; NumVGPRsForWavesPerEU: 38
; Occupancy: 16
; WaveLimiterHint : 1
; COMPUTE_PGM_RSRC2:SCRATCH_EN: 0
; COMPUTE_PGM_RSRC2:USER_SGPR: 2
; COMPUTE_PGM_RSRC2:TRAP_HANDLER: 0
; COMPUTE_PGM_RSRC2:TGID_X_EN: 1
; COMPUTE_PGM_RSRC2:TGID_Y_EN: 0
; COMPUTE_PGM_RSRC2:TGID_Z_EN: 0
; COMPUTE_PGM_RSRC2:TIDIG_COMP_CNT: 0
	.section	.text._ZN2at6native12_GLOBAL__N_111flag_kernelILi512ELi16EN3c107complexINS3_4HalfEEEEEvPKT1_PlPKllli,"axG",@progbits,_ZN2at6native12_GLOBAL__N_111flag_kernelILi512ELi16EN3c107complexINS3_4HalfEEEEEvPKT1_PlPKllli,comdat
	.globl	_ZN2at6native12_GLOBAL__N_111flag_kernelILi512ELi16EN3c107complexINS3_4HalfEEEEEvPKT1_PlPKllli ; -- Begin function _ZN2at6native12_GLOBAL__N_111flag_kernelILi512ELi16EN3c107complexINS3_4HalfEEEEEvPKT1_PlPKllli
	.p2align	8
	.type	_ZN2at6native12_GLOBAL__N_111flag_kernelILi512ELi16EN3c107complexINS3_4HalfEEEEEvPKT1_PlPKllli,@function
_ZN2at6native12_GLOBAL__N_111flag_kernelILi512ELi16EN3c107complexINS3_4HalfEEEEEvPKT1_PlPKllli: ; @_ZN2at6native12_GLOBAL__N_111flag_kernelILi512ELi16EN3c107complexINS3_4HalfEEEEEvPKT1_PlPKllli
; %bb.0:
	s_clause 0x1
	s_load_b32 s26, s[0:1], 0x28
	s_load_b256 s[12:19], s[0:1], 0x0
	s_mov_b32 s2, ttmp9
	s_mov_b32 s3, 0
	s_wait_kmcnt 0x0
	s_lshl_b32 s4, s26, 13
	s_delay_alu instid0(SALU_CYCLE_1) | instskip(NEXT) | instid1(SALU_CYCLE_1)
	s_ashr_i32 s5, s4, 31
	s_mul_u64 s[22:23], s[4:5], s[2:3]
	s_delay_alu instid0(SALU_CYCLE_1)
	v_cmp_le_i64_e64 s2, s[18:19], s[22:23]
	s_and_b32 vcc_lo, exec_lo, s2
	s_cbranch_vccnz .LBB918_100
; %bb.1:
	s_load_b64 s[2:3], s[0:1], 0x20
	s_cmp_eq_u32 ttmp9, 0
	s_cbranch_scc1 .LBB918_3
; %bb.2:
	s_add_co_i32 s4, ttmp9, -1
	s_mov_b32 s5, 0
	s_delay_alu instid0(SALU_CYCLE_1) | instskip(NEXT) | instid1(SALU_CYCLE_1)
	s_lshl_b64 s[4:5], s[4:5], 3
	s_add_nc_u64 s[4:5], s[16:17], s[4:5]
	s_load_b64 s[4:5], s[4:5], 0x0
	s_cmp_lt_i32 s26, 1
	s_cbranch_scc0 .LBB918_4
	s_branch .LBB918_100
.LBB918_3:
	s_mov_b64 s[4:5], 0
	s_cmp_lt_i32 s26, 1
	s_cbranch_scc1 .LBB918_100
.LBB918_4:
	v_mbcnt_lo_u32_b32 v2, -1, 0
	v_lshlrev_b32_e32 v1, 4, v0
	s_wait_kmcnt 0x0
	s_sub_nc_u64 s[16:17], s[2:3], s[4:5]
	s_lshl_b64 s[24:25], s[4:5], 3
	v_add_nc_u32_e32 v8, 0x200, v0
	v_and_b32_e32 v4, 15, v2
	v_and_b32_e32 v6, 0x3e00, v1
	;; [unrolled: 1-line block ×3, first 2 shown]
	v_or_b32_e32 v9, 0x800, v0
	v_add_nc_u32_e32 v10, 0xa00, v0
	v_lshlrev_b32_e32 v25, 2, v0
	v_or_b32_e32 v41, v2, v6
	v_cmp_eq_u32_e64 s6, 0, v1
	v_mov_b32_e32 v1, 0
	v_cmp_eq_u32_e64 s2, 0, v4
	v_cmp_lt_u32_e64 s3, 1, v4
	v_cmp_lt_u32_e64 s4, 3, v4
	;; [unrolled: 1-line block ×3, first 2 shown]
	v_sub_co_u32 v4, s8, v2, 1
	v_lshrrev_b32_e32 v9, 3, v9
	v_lshrrev_b32_e32 v10, 3, v10
	v_or_b32_e32 v46, 32, v41
	s_delay_alu instid0(VALU_DEP_4)
	v_cmp_gt_i32_e32 vcc_lo, 0, v4
	v_and_b32_e32 v3, 0x3e0, v0
	v_or_b32_e32 v47, 64, v41
	v_or_b32_e32 v48, 0x60, v41
	;; [unrolled: 1-line block ×3, first 2 shown]
	v_cndmask_b32_e32 v4, v4, v2, vcc_lo
	v_min_u32_e32 v5, 0x1e0, v3
	v_or_b32_e32 v50, 0xa0, v41
	v_or_b32_e32 v51, 0xc0, v41
	;; [unrolled: 1-line block ×3, first 2 shown]
	v_lshlrev_b32_e32 v27, 2, v4
	v_or_b32_e32 v5, 31, v5
	v_lshrrev_b32_e32 v4, 3, v8
	v_add_nc_u32_e32 v8, 0x600, v0
	v_or_b32_e32 v53, 0x100, v41
	v_or_b32_e32 v54, 0x120, v41
	v_cmp_eq_u32_e64 s7, v0, v5
	v_lshlrev_b32_e32 v5, 1, v0
	v_and_b32_e32 v4, 0xfc, v4
	v_lshrrev_b32_e32 v8, 3, v8
	v_or_b32_e32 v55, 0x140, v41
	v_or_b32_e32 v56, 0x160, v41
	v_and_b32_e32 v5, 0x7fc, v5
	v_add_nc_u32_e32 v30, v25, v4
	v_or_b32_e32 v57, 0x180, v41
	v_or_b32_e32 v58, 0x1a0, v41
	;; [unrolled: 1-line block ×3, first 2 shown]
	v_lshl_add_u32 v28, v0, 6, v5
	v_or_b32_e32 v5, 0x400, v0
	v_or_b32_e32 v60, 0x1e0, v41
	v_lshrrev_b32_e32 v7, 5, v0
	v_or_b32_e32 v3, v2, v3
	s_lshl_b64 s[20:21], s[22:23], 2
	v_lshrrev_b32_e32 v5, 3, v5
	v_lshlrev_b32_e32 v2, 2, v2
	v_cmp_gt_u32_e64 s9, 16, v0
	v_cmp_lt_u32_e64 s10, 31, v0
	v_cmp_eq_u32_e64 s11, 0, v0
	v_and_b32_e32 v4, 0xfc, v5
	v_and_b32_e32 v5, 0x1fc, v8
	;; [unrolled: 1-line block ×4, first 2 shown]
	v_or_b32_e32 v10, 0xc00, v0
	v_add_nc_u32_e32 v31, v25, v4
	v_add_nc_u32_e32 v32, v25, v5
	;; [unrolled: 1-line block ×4, first 2 shown]
	v_lshrrev_b32_e32 v4, 3, v10
	v_add_nc_u32_e32 v5, 0xe00, v0
	v_or_b32_e32 v8, 0x1000, v0
	v_add_nc_u32_e32 v9, 0x1200, v0
	v_or_b32_e32 v10, 0x1400, v0
	v_and_b32_e32 v4, 0x1fc, v4
	v_lshrrev_b32_e32 v5, 3, v5
	v_lshrrev_b32_e32 v8, 3, v8
	;; [unrolled: 1-line block ×4, first 2 shown]
	v_add_nc_u32_e32 v35, v25, v4
	v_and_b32_e32 v4, 0x3fc, v5
	v_and_b32_e32 v5, 0x27c, v8
	;; [unrolled: 1-line block ×4, first 2 shown]
	v_add_nc_u32_e32 v10, 0x1600, v0
	v_add_nc_u32_e32 v36, v25, v4
	;; [unrolled: 1-line block ×3, first 2 shown]
	v_or_b32_e32 v5, 0x1800, v0
	v_add_nc_u32_e32 v38, v25, v8
	v_lshrrev_b32_e32 v4, 3, v10
	v_add_nc_u32_e32 v39, v25, v9
	v_add_nc_u32_e32 v8, 0x1a00, v0
	v_or_b32_e32 v9, 0x1c00, v0
	v_lshrrev_b32_e32 v5, 3, v5
	v_and_b32_e32 v4, 0x3fc, v4
	v_add_nc_u32_e32 v10, 0x1e00, v0
	v_lshrrev_b32_e32 v8, 3, v8
	v_lshrrev_b32_e32 v9, 3, v9
	v_lshlrev_b32_e32 v24, 2, v7
	v_add_nc_u32_e32 v40, v25, v4
	v_and_b32_e32 v4, 0x37c, v5
	v_lshrrev_b32_e32 v10, 3, v10
	v_and_b32_e32 v5, 0x3fc, v8
	v_and_b32_e32 v8, 0x3fc, v9
	v_add_nc_u32_e32 v26, -4, v24
	v_add_nc_u32_e32 v42, v25, v4
	v_lshrrev_b32_e32 v4, 3, v46
	v_and_b32_e32 v9, 0x7fc, v10
	v_add_nc_u32_e32 v43, v25, v5
	v_add_nc_u32_e32 v44, v25, v8
	v_lshrrev_b32_e32 v5, 3, v6
	v_lshlrev_b32_e32 v6, 2, v41
	v_and_b32_e32 v4, 0x7c4, v4
	v_lshrrev_b32_e32 v8, 3, v47
	v_add_nc_u32_e32 v45, v25, v9
	v_lshrrev_b32_e32 v9, 3, v50
	v_add_nc_u32_e32 v61, v5, v6
	v_add_nc_u32_e32 v62, v4, v6
	v_and_b32_e32 v4, 0x7c8, v8
	v_lshrrev_b32_e32 v5, 3, v48
	v_lshrrev_b32_e32 v8, 3, v49
	;; [unrolled: 1-line block ×3, first 2 shown]
	v_add_nc_u32_e32 v29, v24, v25
	v_add_nc_u32_e32 v63, v4, v6
	v_and_b32_e32 v4, 0x7cc, v5
	v_and_b32_e32 v5, 0x7d0, v8
	;; [unrolled: 1-line block ×4, first 2 shown]
	v_lshrrev_b32_e32 v10, 3, v52
	v_add_nc_u32_e32 v64, v4, v6
	v_add_nc_u32_e32 v65, v5, v6
	;; [unrolled: 1-line block ×4, first 2 shown]
	v_and_b32_e32 v4, 0x7dc, v10
	v_lshrrev_b32_e32 v5, 3, v53
	v_lshrrev_b32_e32 v8, 3, v54
	;; [unrolled: 1-line block ×4, first 2 shown]
	v_add_nc_u32_e32 v68, v4, v6
	v_and_b32_e32 v4, 0x7e0, v5
	v_and_b32_e32 v5, 0x7e4, v8
	;; [unrolled: 1-line block ×4, first 2 shown]
	v_lshrrev_b32_e32 v10, 3, v57
	v_add_nc_u32_e32 v69, v4, v6
	v_add_nc_u32_e32 v70, v5, v6
	v_lshrrev_b32_e32 v5, 3, v58
	v_add_nc_u32_e32 v71, v8, v6
	v_and_b32_e32 v4, 0x7f0, v10
	v_add_nc_u32_e32 v72, v9, v6
	v_lshrrev_b32_e32 v8, 3, v59
	v_lshrrev_b32_e32 v9, 3, v60
	s_add_nc_u64 s[14:15], s[14:15], s[24:25]
	v_add_nc_u32_e32 v73, v4, v6
	v_and_b32_e32 v4, 0x7f4, v5
	v_and_b32_e32 v5, 0x7f8, v8
	;; [unrolled: 1-line block ×3, first 2 shown]
	v_lshlrev_b32_e32 v9, 4, v3
	v_bfe_u32 v3, v3, 1, 27
	v_add_nc_u32_e32 v74, v4, v6
	v_lshlrev_b32_e32 v4, 11, v7
	v_add_nc_u32_e32 v75, v5, v6
	v_add_nc_u32_e32 v76, v8, v6
	v_add_lshl_u32 v77, v3, v9, 2
	s_add_nc_u64 s[0:1], s[0:1], 48
	v_add_co_u32 v3, s20, s20, v4
	s_wait_alu 0xf1ff
	v_add_co_ci_u32_e64 v4, null, s21, 0, s20
	v_add_co_u32 v18, s20, s22, v0
	s_delay_alu instid0(VALU_DEP_3) | instskip(SKIP_1) | instid1(VALU_DEP_3)
	v_add_co_u32 v0, vcc_lo, v3, v2
	s_wait_alu 0xfffd
	v_add_co_ci_u32_e64 v2, null, 0, v4, vcc_lo
	s_wait_alu 0xf1ff
	v_add_co_ci_u32_e64 v19, null, s23, 0, s20
	v_add_co_u32 v20, vcc_lo, s12, v0
	s_wait_alu 0xfffd
	v_add_co_ci_u32_e64 v21, null, s13, v2, vcc_lo
	s_movk_i32 s20, 0xe000
	s_mov_b32 s21, -1
	s_sub_nc_u64 s[12:13], s[18:19], s[22:23]
	s_branch .LBB918_6
.LBB918_5:                              ;   in Loop: Header=BB918_6 Depth=1
	v_add_co_u32 v18, vcc_lo, 0x2000, v18
	s_wait_alu 0xfffd
	v_add_co_ci_u32_e64 v19, null, 0, v19, vcc_lo
	v_add_co_u32 v20, vcc_lo, 0x8000, v20
	s_add_co_i32 s26, s26, -1
	s_lshl_b64 s[18:19], s[18:19], 3
	s_wait_alu 0xfffd
	v_add_co_ci_u32_e64 v21, null, 0, v21, vcc_lo
	s_cmp_eq_u32 s26, 0
	s_add_nc_u64 s[12:13], s[12:13], s[20:21]
	s_wait_alu 0xfffe
	s_add_nc_u64 s[14:15], s[14:15], s[18:19]
	s_cselect_b32 s18, -1, 0
	s_wait_loadcnt 0x0
	s_wait_storecnt 0x0
	s_barrier_signal -1
	s_barrier_wait -1
	global_inv scope:SCOPE_SE
	s_wait_alu 0xfffe
	s_and_not1_b32 vcc_lo, exec_lo, s18
	s_wait_alu 0xfffe
	s_cbranch_vccz .LBB918_100
.LBB918_6:                              ; =>This Inner Loop Header: Depth=1
	s_wait_alu 0xfffe
	v_cmp_gt_i64_e64 s18, 0x2000, s[12:13]
                                        ; implicit-def: $vgpr3
                                        ; implicit-def: $vgpr5
                                        ; implicit-def: $vgpr13
                                        ; implicit-def: $vgpr17
                                        ; implicit-def: $vgpr15
                                        ; implicit-def: $vgpr11
                                        ; implicit-def: $vgpr9
                                        ; implicit-def: $vgpr7
	s_and_b32 vcc_lo, exec_lo, s18
	s_mov_b32 s18, -1
	s_wait_alu 0xfffe
	s_cbranch_vccz .LBB918_25
; %bb.7:                                ;   in Loop: Header=BB918_6 Depth=1
	v_dual_mov_b32 v14, v1 :: v_dual_mov_b32 v15, v1
	v_dual_mov_b32 v2, v1 :: v_dual_mov_b32 v3, v1
	;; [unrolled: 1-line block ×7, first 2 shown]
	v_mov_b32_e32 v17, v15
	s_delay_alu instid0(VALU_DEP_2) | instskip(NEXT) | instid1(VALU_DEP_3)
	v_dual_mov_b32 v16, v14 :: v_dual_mov_b32 v15, v13
	v_mov_b32_e32 v14, v12
	v_mov_b32_e32 v13, v11
	;; [unrolled: 1-line block ×14, first 2 shown]
	s_mov_b32 s18, exec_lo
	v_cmpx_gt_u32_e64 s12, v41
	s_cbranch_execnz .LBB918_85
; %bb.8:                                ;   in Loop: Header=BB918_6 Depth=1
	s_wait_alu 0xfffe
	s_or_b32 exec_lo, exec_lo, s18
	s_delay_alu instid0(SALU_CYCLE_1)
	s_mov_b32 s18, exec_lo
	v_cmpx_gt_u32_e64 s12, v46
	s_cbranch_execnz .LBB918_86
.LBB918_9:                              ;   in Loop: Header=BB918_6 Depth=1
	s_wait_alu 0xfffe
	s_or_b32 exec_lo, exec_lo, s18
	s_delay_alu instid0(SALU_CYCLE_1)
	s_mov_b32 s18, exec_lo
	v_cmpx_gt_u32_e64 s12, v47
	s_cbranch_execnz .LBB918_87
.LBB918_10:                             ;   in Loop: Header=BB918_6 Depth=1
	s_wait_alu 0xfffe
	s_or_b32 exec_lo, exec_lo, s18
	s_delay_alu instid0(SALU_CYCLE_1)
	s_mov_b32 s18, exec_lo
	v_cmpx_gt_u32_e64 s12, v48
	s_cbranch_execnz .LBB918_88
.LBB918_11:                             ;   in Loop: Header=BB918_6 Depth=1
	s_wait_alu 0xfffe
	s_or_b32 exec_lo, exec_lo, s18
	s_delay_alu instid0(SALU_CYCLE_1)
	s_mov_b32 s18, exec_lo
	v_cmpx_gt_u32_e64 s12, v49
	s_cbranch_execnz .LBB918_89
.LBB918_12:                             ;   in Loop: Header=BB918_6 Depth=1
	s_wait_alu 0xfffe
	s_or_b32 exec_lo, exec_lo, s18
	s_delay_alu instid0(SALU_CYCLE_1)
	s_mov_b32 s18, exec_lo
	v_cmpx_gt_u32_e64 s12, v50
	s_cbranch_execnz .LBB918_90
.LBB918_13:                             ;   in Loop: Header=BB918_6 Depth=1
	s_wait_alu 0xfffe
	s_or_b32 exec_lo, exec_lo, s18
	s_delay_alu instid0(SALU_CYCLE_1)
	s_mov_b32 s18, exec_lo
	v_cmpx_gt_u32_e64 s12, v51
	s_cbranch_execnz .LBB918_91
.LBB918_14:                             ;   in Loop: Header=BB918_6 Depth=1
	s_wait_alu 0xfffe
	s_or_b32 exec_lo, exec_lo, s18
	s_delay_alu instid0(SALU_CYCLE_1)
	s_mov_b32 s18, exec_lo
	v_cmpx_gt_u32_e64 s12, v52
	s_cbranch_execnz .LBB918_92
.LBB918_15:                             ;   in Loop: Header=BB918_6 Depth=1
	s_wait_alu 0xfffe
	s_or_b32 exec_lo, exec_lo, s18
	s_delay_alu instid0(SALU_CYCLE_1)
	s_mov_b32 s18, exec_lo
	v_cmpx_gt_u32_e64 s12, v53
	s_cbranch_execnz .LBB918_93
.LBB918_16:                             ;   in Loop: Header=BB918_6 Depth=1
	s_wait_alu 0xfffe
	s_or_b32 exec_lo, exec_lo, s18
	s_delay_alu instid0(SALU_CYCLE_1)
	s_mov_b32 s18, exec_lo
	v_cmpx_gt_u32_e64 s12, v54
	s_cbranch_execnz .LBB918_94
.LBB918_17:                             ;   in Loop: Header=BB918_6 Depth=1
	s_wait_alu 0xfffe
	s_or_b32 exec_lo, exec_lo, s18
	s_delay_alu instid0(SALU_CYCLE_1)
	s_mov_b32 s18, exec_lo
	v_cmpx_gt_u32_e64 s12, v55
	s_cbranch_execnz .LBB918_95
.LBB918_18:                             ;   in Loop: Header=BB918_6 Depth=1
	s_wait_alu 0xfffe
	s_or_b32 exec_lo, exec_lo, s18
	s_delay_alu instid0(SALU_CYCLE_1)
	s_mov_b32 s18, exec_lo
	v_cmpx_gt_u32_e64 s12, v56
	s_cbranch_execnz .LBB918_96
.LBB918_19:                             ;   in Loop: Header=BB918_6 Depth=1
	s_wait_alu 0xfffe
	s_or_b32 exec_lo, exec_lo, s18
	s_delay_alu instid0(SALU_CYCLE_1)
	s_mov_b32 s18, exec_lo
	v_cmpx_gt_u32_e64 s12, v57
	s_cbranch_execnz .LBB918_97
.LBB918_20:                             ;   in Loop: Header=BB918_6 Depth=1
	s_wait_alu 0xfffe
	s_or_b32 exec_lo, exec_lo, s18
	s_delay_alu instid0(SALU_CYCLE_1)
	s_mov_b32 s18, exec_lo
	v_cmpx_gt_u32_e64 s12, v58
	s_cbranch_execnz .LBB918_98
.LBB918_21:                             ;   in Loop: Header=BB918_6 Depth=1
	s_wait_alu 0xfffe
	s_or_b32 exec_lo, exec_lo, s18
	s_delay_alu instid0(SALU_CYCLE_1)
	s_mov_b32 s18, exec_lo
	v_cmpx_gt_u32_e64 s12, v59
	s_cbranch_execnz .LBB918_99
.LBB918_22:                             ;   in Loop: Header=BB918_6 Depth=1
	s_wait_alu 0xfffe
	s_or_b32 exec_lo, exec_lo, s18
	s_delay_alu instid0(SALU_CYCLE_1)
	s_mov_b32 s18, exec_lo
	v_cmpx_gt_u32_e64 s12, v60
	s_cbranch_execz .LBB918_24
.LBB918_23:                             ;   in Loop: Header=BB918_6 Depth=1
	global_load_b32 v2, v[20:21], off offset:1920
	s_wait_loadcnt 0x0
	v_lshrrev_b32_e32 v17, 16, v2
	s_delay_alu instid0(VALU_DEP_1) | instskip(NEXT) | instid1(VALU_DEP_1)
	v_or_b32_e32 v2, v2, v17
	v_and_b32_e32 v2, 0x7fff, v2
	s_delay_alu instid0(VALU_DEP_1)
	v_cmp_ne_u16_e32 vcc_lo, 0, v2
	s_wait_alu 0xfffd
	v_cndmask_b32_e64 v17, 0, 1, vcc_lo
.LBB918_24:                             ;   in Loop: Header=BB918_6 Depth=1
	s_wait_alu 0xfffe
	s_or_b32 exec_lo, exec_lo, s18
	ds_store_b32 v61, v0
	ds_store_b32 v62, v3 offset:128
	ds_store_b32 v63, v4 offset:256
	ds_store_b32 v64, v5 offset:384
	ds_store_b32 v65, v6 offset:512
	ds_store_b32 v66, v7 offset:640
	ds_store_b32 v67, v8 offset:768
	ds_store_b32 v68, v9 offset:896
	ds_store_b32 v69, v10 offset:1024
	ds_store_b32 v70, v11 offset:1152
	ds_store_b32 v71, v12 offset:1280
	ds_store_b32 v72, v13 offset:1408
	ds_store_b32 v73, v14 offset:1536
	ds_store_b32 v74, v15 offset:1664
	ds_store_b32 v75, v16 offset:1792
	ds_store_b32 v76, v17 offset:1920
	; wave barrier
	ds_load_2addr_b32 v[6:7], v77 offset1:1
	ds_load_2addr_b32 v[8:9], v77 offset0:2 offset1:3
	ds_load_2addr_b32 v[10:11], v77 offset0:4 offset1:5
	;; [unrolled: 1-line block ×7, first 2 shown]
	s_mov_b32 s18, 0
.LBB918_25:                             ;   in Loop: Header=BB918_6 Depth=1
	s_wait_alu 0xfffe
	s_and_b32 vcc_lo, exec_lo, s18
	s_wait_alu 0xfffe
	s_cbranch_vccz .LBB918_27
; %bb.26:                               ;   in Loop: Header=BB918_6 Depth=1
	global_load_b32 v0, v[20:21], off
	s_wait_dscnt 0x0
	s_clause 0xe
	global_load_b32 v2, v[20:21], off offset:128
	global_load_b32 v3, v[20:21], off offset:256
	;; [unrolled: 1-line block ×15, first 2 shown]
	s_wait_loadcnt 0xf
	v_lshrrev_b32_e32 v17, 16, v0
	s_wait_loadcnt 0xe
	v_lshrrev_b32_e32 v22, 16, v2
	;; [unrolled: 2-line block ×5, first 2 shown]
	v_or_b32_e32 v0, v0, v17
	v_or_b32_e32 v2, v2, v22
	;; [unrolled: 1-line block ×4, first 2 shown]
	s_wait_loadcnt 0xa
	v_lshrrev_b32_e32 v80, 16, v6
	v_and_b32_e32 v0, 0x7fff, v0
	v_and_b32_e32 v2, 0x7fff, v2
	;; [unrolled: 1-line block ×3, first 2 shown]
	v_or_b32_e32 v5, v5, v79
	v_and_b32_e32 v4, 0x7fff, v4
	v_cmp_ne_u16_e32 vcc_lo, 0, v0
	s_wait_loadcnt 0x9
	v_lshrrev_b32_e32 v81, 16, v7
	v_or_b32_e32 v6, v6, v80
	v_and_b32_e32 v5, 0x7fff, v5
	s_wait_loadcnt 0x8
	v_lshrrev_b32_e32 v82, 16, v8
	s_wait_alu 0xfffd
	v_cndmask_b32_e64 v0, 0, 1, vcc_lo
	v_cmp_ne_u16_e32 vcc_lo, 0, v2
	v_or_b32_e32 v7, v7, v81
	v_and_b32_e32 v6, 0x7fff, v6
	s_wait_loadcnt 0x7
	v_lshrrev_b32_e32 v83, 16, v9
	v_or_b32_e32 v8, v8, v82
	s_wait_alu 0xfffd
	v_cndmask_b32_e64 v2, 0, 1, vcc_lo
	v_cmp_ne_u16_e32 vcc_lo, 0, v3
	v_and_b32_e32 v7, 0x7fff, v7
	s_wait_loadcnt 0x6
	v_lshrrev_b32_e32 v84, 16, v10
	v_or_b32_e32 v9, v9, v83
	v_and_b32_e32 v8, 0x7fff, v8
	s_wait_alu 0xfffd
	v_cndmask_b32_e64 v3, 0, 1, vcc_lo
	v_cmp_ne_u16_e32 vcc_lo, 0, v4
	s_wait_loadcnt 0x5
	v_lshrrev_b32_e32 v85, 16, v11
	v_or_b32_e32 v10, v10, v84
	v_and_b32_e32 v9, 0x7fff, v9
	s_wait_loadcnt 0x4
	v_lshrrev_b32_e32 v86, 16, v12
	s_wait_alu 0xfffd
	v_cndmask_b32_e64 v4, 0, 1, vcc_lo
	v_cmp_ne_u16_e32 vcc_lo, 0, v5
	v_or_b32_e32 v11, v11, v85
	v_and_b32_e32 v10, 0x7fff, v10
	s_wait_loadcnt 0x3
	v_lshrrev_b32_e32 v87, 16, v13
	v_or_b32_e32 v12, v12, v86
	s_wait_alu 0xfffd
	v_cndmask_b32_e64 v5, 0, 1, vcc_lo
	v_cmp_ne_u16_e32 vcc_lo, 0, v6
	v_and_b32_e32 v11, 0x7fff, v11
	s_wait_loadcnt 0x2
	v_lshrrev_b32_e32 v88, 16, v14
	v_or_b32_e32 v13, v13, v87
	v_and_b32_e32 v12, 0x7fff, v12
	s_wait_alu 0xfffd
	v_cndmask_b32_e64 v6, 0, 1, vcc_lo
	v_cmp_ne_u16_e32 vcc_lo, 0, v7
	s_wait_loadcnt 0x1
	v_lshrrev_b32_e32 v89, 16, v15
	v_or_b32_e32 v14, v14, v88
	v_and_b32_e32 v13, 0x7fff, v13
	s_wait_loadcnt 0x0
	v_lshrrev_b32_e32 v90, 16, v16
	s_wait_alu 0xfffd
	v_cndmask_b32_e64 v7, 0, 1, vcc_lo
	v_cmp_ne_u16_e32 vcc_lo, 0, v8
	v_or_b32_e32 v15, v15, v89
	v_and_b32_e32 v14, 0x7fff, v14
	v_or_b32_e32 v16, v16, v90
	s_wait_alu 0xfffd
	v_cndmask_b32_e64 v8, 0, 1, vcc_lo
	v_cmp_ne_u16_e32 vcc_lo, 0, v9
	v_and_b32_e32 v15, 0x7fff, v15
	v_and_b32_e32 v16, 0x7fff, v16
	s_wait_alu 0xfffd
	v_cndmask_b32_e64 v9, 0, 1, vcc_lo
	v_cmp_ne_u16_e32 vcc_lo, 0, v10
	s_wait_alu 0xfffd
	v_cndmask_b32_e64 v10, 0, 1, vcc_lo
	v_cmp_ne_u16_e32 vcc_lo, 0, v11
	;; [unrolled: 3-line block ×7, first 2 shown]
	s_wait_alu 0xfffd
	v_cndmask_b32_e64 v16, 0, 1, vcc_lo
	ds_store_b32 v61, v0
	ds_store_b32 v62, v2 offset:128
	ds_store_b32 v63, v3 offset:256
	;; [unrolled: 1-line block ×15, first 2 shown]
	; wave barrier
	ds_load_2addr_b32 v[6:7], v77 offset1:1
	ds_load_2addr_b32 v[8:9], v77 offset0:2 offset1:3
	ds_load_2addr_b32 v[10:11], v77 offset0:4 offset1:5
	;; [unrolled: 1-line block ×7, first 2 shown]
.LBB918_27:                             ;   in Loop: Header=BB918_6 Depth=1
	s_wait_dscnt 0x7
	v_add_nc_u32_e32 v0, v7, v6
	s_wait_dscnt 0x0
	s_barrier_signal -1
	s_barrier_wait -1
	global_inv scope:SCOPE_SE
	v_add3_u32 v0, v0, v8, v9
	s_delay_alu instid0(VALU_DEP_1) | instskip(NEXT) | instid1(VALU_DEP_1)
	v_add3_u32 v0, v0, v10, v11
	v_add3_u32 v0, v0, v14, v15
	s_delay_alu instid0(VALU_DEP_1) | instskip(NEXT) | instid1(VALU_DEP_1)
	v_add3_u32 v0, v0, v16, v17
	;; [unrolled: 3-line block ×3, first 2 shown]
	v_add3_u32 v0, v0, v2, v3
	s_delay_alu instid0(VALU_DEP_1) | instskip(NEXT) | instid1(VALU_DEP_1)
	v_mov_b32_dpp v22, v0 row_shr:1 row_mask:0xf bank_mask:0xf
	v_cndmask_b32_e64 v22, v22, 0, s2
	s_delay_alu instid0(VALU_DEP_1) | instskip(NEXT) | instid1(VALU_DEP_1)
	v_add_nc_u32_e32 v0, v0, v22
	v_mov_b32_dpp v22, v0 row_shr:2 row_mask:0xf bank_mask:0xf
	s_delay_alu instid0(VALU_DEP_1) | instskip(NEXT) | instid1(VALU_DEP_1)
	v_cndmask_b32_e64 v22, 0, v22, s3
	v_add_nc_u32_e32 v0, v0, v22
	s_delay_alu instid0(VALU_DEP_1) | instskip(NEXT) | instid1(VALU_DEP_1)
	v_mov_b32_dpp v22, v0 row_shr:4 row_mask:0xf bank_mask:0xf
	v_cndmask_b32_e64 v22, 0, v22, s4
	s_delay_alu instid0(VALU_DEP_1) | instskip(NEXT) | instid1(VALU_DEP_1)
	v_add_nc_u32_e32 v0, v0, v22
	v_mov_b32_dpp v22, v0 row_shr:8 row_mask:0xf bank_mask:0xf
	s_delay_alu instid0(VALU_DEP_1) | instskip(NEXT) | instid1(VALU_DEP_1)
	v_cndmask_b32_e64 v22, 0, v22, s5
	v_add_nc_u32_e32 v0, v0, v22
	ds_swizzle_b32 v22, v0 offset:swizzle(BROADCAST,32,15)
	s_wait_dscnt 0x0
	v_cndmask_b32_e64 v22, v22, 0, s6
	s_delay_alu instid0(VALU_DEP_1)
	v_add_nc_u32_e32 v0, v0, v22
	s_and_saveexec_b32 s18, s7
; %bb.28:                               ;   in Loop: Header=BB918_6 Depth=1
	ds_store_b32 v24, v0
; %bb.29:                               ;   in Loop: Header=BB918_6 Depth=1
	s_wait_alu 0xfffe
	s_or_b32 exec_lo, exec_lo, s18
	s_wait_loadcnt_dscnt 0x0
	s_barrier_signal -1
	s_barrier_wait -1
	global_inv scope:SCOPE_SE
	s_and_saveexec_b32 s18, s9
	s_cbranch_execz .LBB918_31
; %bb.30:                               ;   in Loop: Header=BB918_6 Depth=1
	ds_load_b32 v22, v25
	s_wait_dscnt 0x0
	v_mov_b32_dpp v23, v22 row_shr:1 row_mask:0xf bank_mask:0xf
	s_delay_alu instid0(VALU_DEP_1) | instskip(NEXT) | instid1(VALU_DEP_1)
	v_cndmask_b32_e64 v23, v23, 0, s2
	v_add_nc_u32_e32 v22, v23, v22
	s_delay_alu instid0(VALU_DEP_1) | instskip(NEXT) | instid1(VALU_DEP_1)
	v_mov_b32_dpp v23, v22 row_shr:2 row_mask:0xf bank_mask:0xf
	v_cndmask_b32_e64 v23, 0, v23, s3
	s_delay_alu instid0(VALU_DEP_1) | instskip(NEXT) | instid1(VALU_DEP_1)
	v_add_nc_u32_e32 v22, v22, v23
	v_mov_b32_dpp v23, v22 row_shr:4 row_mask:0xf bank_mask:0xf
	s_delay_alu instid0(VALU_DEP_1) | instskip(NEXT) | instid1(VALU_DEP_1)
	v_cndmask_b32_e64 v23, 0, v23, s4
	v_add_nc_u32_e32 v22, v22, v23
	s_delay_alu instid0(VALU_DEP_1) | instskip(NEXT) | instid1(VALU_DEP_1)
	v_mov_b32_dpp v23, v22 row_shr:8 row_mask:0xf bank_mask:0xf
	v_cndmask_b32_e64 v23, 0, v23, s5
	s_delay_alu instid0(VALU_DEP_1)
	v_add_nc_u32_e32 v22, v22, v23
	ds_store_b32 v25, v22
.LBB918_31:                             ;   in Loop: Header=BB918_6 Depth=1
	s_wait_alu 0xfffe
	s_or_b32 exec_lo, exec_lo, s18
	v_mov_b32_e32 v22, 0
	s_wait_loadcnt_dscnt 0x0
	s_barrier_signal -1
	s_barrier_wait -1
	global_inv scope:SCOPE_SE
	s_and_saveexec_b32 s18, s10
; %bb.32:                               ;   in Loop: Header=BB918_6 Depth=1
	ds_load_b32 v22, v26
; %bb.33:                               ;   in Loop: Header=BB918_6 Depth=1
	s_wait_alu 0xfffe
	s_or_b32 exec_lo, exec_lo, s18
	s_wait_dscnt 0x0
	v_add_nc_u32_e32 v0, v22, v0
	ds_bpermute_b32 v0, v27, v0
	s_and_saveexec_b32 s18, s11
	s_cbranch_execz .LBB918_35
; %bb.34:                               ;   in Loop: Header=BB918_6 Depth=1
	ds_load_b32 v23, v1 offset:60
	s_wait_dscnt 0x0
	ds_store_b32 v1, v23 offset:33792
.LBB918_35:                             ;   in Loop: Header=BB918_6 Depth=1
	s_wait_alu 0xfffe
	s_or_b32 exec_lo, exec_lo, s18
	s_wait_dscnt 0x0
	v_cndmask_b32_e64 v0, v0, v22, s8
	s_wait_loadcnt 0x0
	s_barrier_signal -1
	s_barrier_wait -1
	global_inv scope:SCOPE_SE
	v_cndmask_b32_e64 v22, v0, 0, s11
	ds_store_2addr_b32 v28, v6, v7 offset1:1
	ds_store_2addr_b32 v28, v8, v9 offset0:2 offset1:3
	ds_store_2addr_b32 v28, v10, v11 offset0:4 offset1:5
	;; [unrolled: 1-line block ×7, first 2 shown]
	s_wait_loadcnt_dscnt 0x0
	s_barrier_signal -1
	v_add_nc_u32_e32 v23, v22, v6
	s_barrier_wait -1
	global_inv scope:SCOPE_SE
	s_mov_b32 s18, exec_lo
	v_add_nc_u32_e32 v91, v23, v7
	s_delay_alu instid0(VALU_DEP_1) | instskip(NEXT) | instid1(VALU_DEP_1)
	v_add_nc_u32_e32 v92, v91, v8
	v_add_nc_u32_e32 v93, v92, v9
	s_delay_alu instid0(VALU_DEP_1) | instskip(NEXT) | instid1(VALU_DEP_1)
	v_add_nc_u32_e32 v94, v93, v10
	;; [unrolled: 3-line block ×4, first 2 shown]
	v_add_nc_u32_e32 v6, v98, v17
	ds_load_b32 v99, v29
	ds_load_b32 v17, v30 offset:2048
	ds_load_b32 v90, v31 offset:4096
	;; [unrolled: 1-line block ×15, first 2 shown]
	s_wait_loadcnt_dscnt 0x0
	s_barrier_signal -1
	v_add_nc_u32_e32 v3, v6, v12
	s_barrier_wait -1
	global_inv scope:SCOPE_SE
	v_add_nc_u32_e32 v7, v3, v13
	s_delay_alu instid0(VALU_DEP_1) | instskip(NEXT) | instid1(VALU_DEP_1)
	v_add_nc_u32_e32 v4, v7, v4
	v_add_nc_u32_e32 v5, v4, v5
	s_delay_alu instid0(VALU_DEP_1)
	v_add_nc_u32_e32 v2, v5, v2
	ds_store_2addr_b32 v28, v22, v23 offset1:1
	ds_store_2addr_b32 v28, v91, v92 offset0:2 offset1:3
	ds_store_2addr_b32 v28, v93, v94 offset0:4 offset1:5
	;; [unrolled: 1-line block ×7, first 2 shown]
	s_wait_loadcnt_dscnt 0x0
	s_barrier_signal -1
	s_barrier_wait -1
	global_inv scope:SCOPE_SE
	ds_load_b32 v16, v30 offset:2048
	ds_load_b32 v15, v31 offset:4096
	;; [unrolled: 1-line block ×15, first 2 shown]
	v_cmpx_ne_u32_e32 0, v99
	s_cbranch_execz .LBB918_38
; %bb.36:                               ;   in Loop: Header=BB918_6 Depth=1
	ds_load_b32 v22, v29
	s_wait_dscnt 0x0
	v_ashrrev_i32_e32 v23, 31, v22
	s_delay_alu instid0(VALU_DEP_1)
	v_cmp_gt_i64_e32 vcc_lo, s[16:17], v[22:23]
	s_and_b32 exec_lo, exec_lo, vcc_lo
	s_cbranch_execz .LBB918_38
; %bb.37:                               ;   in Loop: Header=BB918_6 Depth=1
	v_lshlrev_b64_e32 v[22:23], 3, v[22:23]
	s_delay_alu instid0(VALU_DEP_1) | instskip(SKIP_1) | instid1(VALU_DEP_2)
	v_add_co_u32 v22, vcc_lo, s14, v22
	s_wait_alu 0xfffd
	v_add_co_ci_u32_e64 v23, null, s15, v23, vcc_lo
	global_store_b64 v[22:23], v[18:19], off
.LBB918_38:                             ;   in Loop: Header=BB918_6 Depth=1
	s_wait_alu 0xfffe
	s_or_b32 exec_lo, exec_lo, s18
	s_delay_alu instid0(SALU_CYCLE_1)
	s_mov_b32 s18, exec_lo
	v_cmpx_ne_u32_e32 0, v17
	s_cbranch_execz .LBB918_41
; %bb.39:                               ;   in Loop: Header=BB918_6 Depth=1
	s_wait_dscnt 0xe
	v_ashrrev_i32_e32 v17, 31, v16
	s_delay_alu instid0(VALU_DEP_1)
	v_cmp_gt_i64_e32 vcc_lo, s[16:17], v[16:17]
	s_and_b32 exec_lo, exec_lo, vcc_lo
	s_cbranch_execz .LBB918_41
; %bb.40:                               ;   in Loop: Header=BB918_6 Depth=1
	s_load_b32 s19, s[0:1], 0xc
	v_lshlrev_b64_e32 v[16:17], 3, v[16:17]
	s_wait_kmcnt 0x0
	s_and_b32 s19, s19, 0xffff
	s_wait_alu 0xfffe
	v_add_co_u32 v22, vcc_lo, v18, s19
	s_wait_alu 0xfffd
	v_add_co_ci_u32_e64 v23, null, 0, v19, vcc_lo
	v_add_co_u32 v16, vcc_lo, s14, v16
	s_wait_alu 0xfffd
	v_add_co_ci_u32_e64 v17, null, s15, v17, vcc_lo
	global_store_b64 v[16:17], v[22:23], off
.LBB918_41:                             ;   in Loop: Header=BB918_6 Depth=1
	s_wait_alu 0xfffe
	s_or_b32 exec_lo, exec_lo, s18
	s_delay_alu instid0(SALU_CYCLE_1)
	s_mov_b32 s18, exec_lo
	v_cmpx_ne_u32_e32 0, v90
	s_cbranch_execz .LBB918_44
; %bb.42:                               ;   in Loop: Header=BB918_6 Depth=1
	s_wait_dscnt 0xd
	v_ashrrev_i32_e32 v16, 31, v15
	s_delay_alu instid0(VALU_DEP_1)
	v_cmp_gt_i64_e32 vcc_lo, s[16:17], v[15:16]
	s_and_b32 exec_lo, exec_lo, vcc_lo
	s_cbranch_execz .LBB918_44
; %bb.43:                               ;   in Loop: Header=BB918_6 Depth=1
	s_load_b32 s19, s[0:1], 0xc
	v_lshlrev_b64_e32 v[15:16], 3, v[15:16]
	s_wait_kmcnt 0x0
	s_and_b32 s19, s19, 0xffff
	s_wait_alu 0xfffe
	s_lshl_b32 s19, s19, 1
	s_wait_alu 0xfffe
	v_add_co_u32 v22, vcc_lo, v18, s19
	s_wait_alu 0xfffd
	v_add_co_ci_u32_e64 v23, null, 0, v19, vcc_lo
	v_add_co_u32 v15, vcc_lo, s14, v15
	s_wait_alu 0xfffd
	v_add_co_ci_u32_e64 v16, null, s15, v16, vcc_lo
	global_store_b64 v[15:16], v[22:23], off
.LBB918_44:                             ;   in Loop: Header=BB918_6 Depth=1
	s_wait_alu 0xfffe
	s_or_b32 exec_lo, exec_lo, s18
	s_delay_alu instid0(SALU_CYCLE_1)
	s_mov_b32 s18, exec_lo
	v_cmpx_ne_u32_e32 0, v89
	s_cbranch_execz .LBB918_47
; %bb.45:                               ;   in Loop: Header=BB918_6 Depth=1
	s_wait_dscnt 0xc
	v_ashrrev_i32_e32 v15, 31, v14
	s_delay_alu instid0(VALU_DEP_1)
	v_cmp_gt_i64_e32 vcc_lo, s[16:17], v[14:15]
	s_and_b32 exec_lo, exec_lo, vcc_lo
	s_cbranch_execz .LBB918_47
; %bb.46:                               ;   in Loop: Header=BB918_6 Depth=1
	s_load_b32 s19, s[0:1], 0xc
	v_lshlrev_b64_e32 v[14:15], 3, v[14:15]
	s_wait_kmcnt 0x0
	s_and_b32 s19, s19, 0xffff
	s_wait_alu 0xfffe
	s_mul_i32 s19, s19, 3
	s_wait_alu 0xfffe
	v_add_co_u32 v16, vcc_lo, v18, s19
	s_wait_alu 0xfffd
	v_add_co_ci_u32_e64 v17, null, 0, v19, vcc_lo
	v_add_co_u32 v14, vcc_lo, s14, v14
	s_wait_alu 0xfffd
	v_add_co_ci_u32_e64 v15, null, s15, v15, vcc_lo
	global_store_b64 v[14:15], v[16:17], off
.LBB918_47:                             ;   in Loop: Header=BB918_6 Depth=1
	s_wait_alu 0xfffe
	s_or_b32 exec_lo, exec_lo, s18
	s_delay_alu instid0(SALU_CYCLE_1)
	s_mov_b32 s18, exec_lo
	v_cmpx_ne_u32_e32 0, v88
	s_cbranch_execz .LBB918_50
; %bb.48:                               ;   in Loop: Header=BB918_6 Depth=1
	s_wait_dscnt 0xb
	v_ashrrev_i32_e32 v14, 31, v13
	s_delay_alu instid0(VALU_DEP_1)
	v_cmp_gt_i64_e32 vcc_lo, s[16:17], v[13:14]
	s_and_b32 exec_lo, exec_lo, vcc_lo
	s_cbranch_execz .LBB918_50
; %bb.49:                               ;   in Loop: Header=BB918_6 Depth=1
	s_load_b32 s19, s[0:1], 0xc
	v_lshlrev_b64_e32 v[13:14], 3, v[13:14]
	s_wait_kmcnt 0x0
	s_and_b32 s19, s19, 0xffff
	s_wait_alu 0xfffe
	s_lshl_b32 s19, s19, 2
	s_wait_alu 0xfffe
	v_add_co_u32 v15, vcc_lo, v18, s19
	s_wait_alu 0xfffd
	v_add_co_ci_u32_e64 v16, null, 0, v19, vcc_lo
	v_add_co_u32 v13, vcc_lo, s14, v13
	s_wait_alu 0xfffd
	v_add_co_ci_u32_e64 v14, null, s15, v14, vcc_lo
	global_store_b64 v[13:14], v[15:16], off
.LBB918_50:                             ;   in Loop: Header=BB918_6 Depth=1
	s_wait_alu 0xfffe
	s_or_b32 exec_lo, exec_lo, s18
	s_delay_alu instid0(SALU_CYCLE_1)
	s_mov_b32 s18, exec_lo
	v_cmpx_ne_u32_e32 0, v87
	s_cbranch_execz .LBB918_53
; %bb.51:                               ;   in Loop: Header=BB918_6 Depth=1
	s_wait_dscnt 0xa
	v_ashrrev_i32_e32 v13, 31, v12
	s_delay_alu instid0(VALU_DEP_1)
	v_cmp_gt_i64_e32 vcc_lo, s[16:17], v[12:13]
	s_and_b32 exec_lo, exec_lo, vcc_lo
	s_cbranch_execz .LBB918_53
; %bb.52:                               ;   in Loop: Header=BB918_6 Depth=1
	s_load_b32 s19, s[0:1], 0xc
	v_lshlrev_b64_e32 v[12:13], 3, v[12:13]
	s_wait_kmcnt 0x0
	s_and_b32 s19, s19, 0xffff
	s_wait_alu 0xfffe
	s_mul_i32 s19, s19, 5
	s_wait_alu 0xfffe
	v_add_co_u32 v14, vcc_lo, v18, s19
	s_wait_alu 0xfffd
	v_add_co_ci_u32_e64 v15, null, 0, v19, vcc_lo
	v_add_co_u32 v12, vcc_lo, s14, v12
	s_wait_alu 0xfffd
	v_add_co_ci_u32_e64 v13, null, s15, v13, vcc_lo
	global_store_b64 v[12:13], v[14:15], off
.LBB918_53:                             ;   in Loop: Header=BB918_6 Depth=1
	s_wait_alu 0xfffe
	s_or_b32 exec_lo, exec_lo, s18
	s_delay_alu instid0(SALU_CYCLE_1)
	s_mov_b32 s18, exec_lo
	v_cmpx_ne_u32_e32 0, v86
	s_cbranch_execz .LBB918_56
; %bb.54:                               ;   in Loop: Header=BB918_6 Depth=1
	s_wait_dscnt 0x9
	v_ashrrev_i32_e32 v12, 31, v11
	s_delay_alu instid0(VALU_DEP_1)
	v_cmp_gt_i64_e32 vcc_lo, s[16:17], v[11:12]
	s_and_b32 exec_lo, exec_lo, vcc_lo
	s_cbranch_execz .LBB918_56
; %bb.55:                               ;   in Loop: Header=BB918_6 Depth=1
	s_load_b32 s19, s[0:1], 0xc
	v_lshlrev_b64_e32 v[11:12], 3, v[11:12]
	s_wait_kmcnt 0x0
	s_and_b32 s19, s19, 0xffff
	s_wait_alu 0xfffe
	s_mul_i32 s19, s19, 6
	s_wait_alu 0xfffe
	v_add_co_u32 v13, vcc_lo, v18, s19
	s_wait_alu 0xfffd
	v_add_co_ci_u32_e64 v14, null, 0, v19, vcc_lo
	v_add_co_u32 v11, vcc_lo, s14, v11
	s_wait_alu 0xfffd
	v_add_co_ci_u32_e64 v12, null, s15, v12, vcc_lo
	global_store_b64 v[11:12], v[13:14], off
.LBB918_56:                             ;   in Loop: Header=BB918_6 Depth=1
	;; [unrolled: 29-line block ×3, first 2 shown]
	s_wait_alu 0xfffe
	s_or_b32 exec_lo, exec_lo, s18
	s_delay_alu instid0(SALU_CYCLE_1)
	s_mov_b32 s18, exec_lo
	v_cmpx_ne_u32_e32 0, v84
	s_cbranch_execz .LBB918_62
; %bb.60:                               ;   in Loop: Header=BB918_6 Depth=1
	s_wait_dscnt 0x7
	v_ashrrev_i32_e32 v10, 31, v9
	s_delay_alu instid0(VALU_DEP_1)
	v_cmp_gt_i64_e32 vcc_lo, s[16:17], v[9:10]
	s_and_b32 exec_lo, exec_lo, vcc_lo
	s_cbranch_execz .LBB918_62
; %bb.61:                               ;   in Loop: Header=BB918_6 Depth=1
	s_load_b32 s19, s[0:1], 0xc
	v_lshlrev_b64_e32 v[9:10], 3, v[9:10]
	s_wait_kmcnt 0x0
	s_and_b32 s19, s19, 0xffff
	s_wait_alu 0xfffe
	s_lshl_b32 s19, s19, 3
	s_wait_alu 0xfffe
	v_add_co_u32 v11, vcc_lo, v18, s19
	s_wait_alu 0xfffd
	v_add_co_ci_u32_e64 v12, null, 0, v19, vcc_lo
	v_add_co_u32 v9, vcc_lo, s14, v9
	s_wait_alu 0xfffd
	v_add_co_ci_u32_e64 v10, null, s15, v10, vcc_lo
	global_store_b64 v[9:10], v[11:12], off
.LBB918_62:                             ;   in Loop: Header=BB918_6 Depth=1
	s_wait_alu 0xfffe
	s_or_b32 exec_lo, exec_lo, s18
	s_delay_alu instid0(SALU_CYCLE_1)
	s_mov_b32 s18, exec_lo
	v_cmpx_ne_u32_e32 0, v83
	s_cbranch_execz .LBB918_65
; %bb.63:                               ;   in Loop: Header=BB918_6 Depth=1
	s_wait_dscnt 0x6
	v_ashrrev_i32_e32 v9, 31, v8
	s_delay_alu instid0(VALU_DEP_1)
	v_cmp_gt_i64_e32 vcc_lo, s[16:17], v[8:9]
	s_and_b32 exec_lo, exec_lo, vcc_lo
	s_cbranch_execz .LBB918_65
; %bb.64:                               ;   in Loop: Header=BB918_6 Depth=1
	s_load_b32 s19, s[0:1], 0xc
	v_lshlrev_b64_e32 v[8:9], 3, v[8:9]
	s_wait_kmcnt 0x0
	s_and_b32 s19, s19, 0xffff
	s_wait_alu 0xfffe
	s_mul_i32 s19, s19, 9
	s_wait_alu 0xfffe
	v_add_co_u32 v10, vcc_lo, v18, s19
	s_wait_alu 0xfffd
	v_add_co_ci_u32_e64 v11, null, 0, v19, vcc_lo
	v_add_co_u32 v8, vcc_lo, s14, v8
	s_wait_alu 0xfffd
	v_add_co_ci_u32_e64 v9, null, s15, v9, vcc_lo
	global_store_b64 v[8:9], v[10:11], off
.LBB918_65:                             ;   in Loop: Header=BB918_6 Depth=1
	s_wait_alu 0xfffe
	s_or_b32 exec_lo, exec_lo, s18
	s_delay_alu instid0(SALU_CYCLE_1)
	s_mov_b32 s18, exec_lo
	v_cmpx_ne_u32_e32 0, v82
	s_cbranch_execz .LBB918_68
; %bb.66:                               ;   in Loop: Header=BB918_6 Depth=1
	s_wait_dscnt 0x5
	v_ashrrev_i32_e32 v8, 31, v7
	s_delay_alu instid0(VALU_DEP_1)
	v_cmp_gt_i64_e32 vcc_lo, s[16:17], v[7:8]
	s_and_b32 exec_lo, exec_lo, vcc_lo
	s_cbranch_execz .LBB918_68
; %bb.67:                               ;   in Loop: Header=BB918_6 Depth=1
	s_load_b32 s19, s[0:1], 0xc
	v_lshlrev_b64_e32 v[7:8], 3, v[7:8]
	s_wait_kmcnt 0x0
	s_and_b32 s19, s19, 0xffff
	s_wait_alu 0xfffe
	s_mul_i32 s19, s19, 10
	s_wait_alu 0xfffe
	v_add_co_u32 v9, vcc_lo, v18, s19
	s_wait_alu 0xfffd
	v_add_co_ci_u32_e64 v10, null, 0, v19, vcc_lo
	v_add_co_u32 v7, vcc_lo, s14, v7
	s_wait_alu 0xfffd
	v_add_co_ci_u32_e64 v8, null, s15, v8, vcc_lo
	global_store_b64 v[7:8], v[9:10], off
.LBB918_68:                             ;   in Loop: Header=BB918_6 Depth=1
	;; [unrolled: 29-line block ×7, first 2 shown]
	s_wait_alu 0xfffe
	s_or_b32 exec_lo, exec_lo, s18
	ds_load_b32 v0, v1 offset:33792
	v_cmp_lt_i64_e64 s22, 0x2000, s[12:13]
	s_wait_dscnt 0x0
	v_readfirstlane_b32 s18, v0
	s_ashr_i32 s19, s18, 31
	s_wait_alu 0xfffe
	s_sub_nc_u64 s[16:17], s[16:17], s[18:19]
	s_wait_alu 0xfffe
	v_cmp_gt_i64_e64 s23, s[16:17], 0
	s_and_b32 s22, s22, s23
	s_wait_alu 0xfffe
	s_and_not1_b32 vcc_lo, exec_lo, s22
	s_wait_alu 0xfffe
	s_cbranch_vccz .LBB918_5
; %bb.84:
                                        ; implicit-def: $sgpr12_sgpr13
                                        ; implicit-def: $sgpr14_sgpr15
                                        ; implicit-def: $vgpr18_vgpr19
                                        ; implicit-def: $sgpr26
                                        ; implicit-def: $vgpr20_vgpr21
	s_branch .LBB918_100
.LBB918_85:                             ;   in Loop: Header=BB918_6 Depth=1
	global_load_b32 v0, v[20:21], off
	v_dual_mov_b32 v14, v1 :: v_dual_mov_b32 v15, v1
	v_dual_mov_b32 v2, v1 :: v_dual_mov_b32 v3, v1
	;; [unrolled: 1-line block ×6, first 2 shown]
	v_mov_b32_e32 v13, v1
	s_wait_loadcnt 0x0
	v_lshrrev_b32_e32 v12, 16, v0
	s_delay_alu instid0(VALU_DEP_1) | instskip(SKIP_1) | instid1(VALU_DEP_2)
	v_or_b32_e32 v0, v0, v12
	v_mov_b32_e32 v12, v1
	v_and_b32_e32 v0, 0x7fff, v0
	v_mov_b32_e32 v17, v15
	v_dual_mov_b32 v16, v14 :: v_dual_mov_b32 v15, v13
	s_delay_alu instid0(VALU_DEP_4) | instskip(NEXT) | instid1(VALU_DEP_4)
	v_mov_b32_e32 v14, v12
	v_cmp_ne_u16_e32 vcc_lo, 0, v0
	v_mov_b32_e32 v13, v11
	v_mov_b32_e32 v12, v10
	;; [unrolled: 1-line block ×12, first 2 shown]
	s_wait_alu 0xfffd
	v_cndmask_b32_e64 v0, 0, 1, vcc_lo
	s_wait_alu 0xfffe
	s_or_b32 exec_lo, exec_lo, s18
	s_delay_alu instid0(SALU_CYCLE_1)
	s_mov_b32 s18, exec_lo
	v_cmpx_gt_u32_e64 s12, v46
	s_cbranch_execz .LBB918_9
.LBB918_86:                             ;   in Loop: Header=BB918_6 Depth=1
	global_load_b32 v2, v[20:21], off offset:128
	s_wait_loadcnt 0x0
	v_lshrrev_b32_e32 v3, 16, v2
	s_delay_alu instid0(VALU_DEP_1) | instskip(NEXT) | instid1(VALU_DEP_1)
	v_or_b32_e32 v2, v2, v3
	v_and_b32_e32 v2, 0x7fff, v2
	s_delay_alu instid0(VALU_DEP_1) | instskip(SKIP_4) | instid1(SALU_CYCLE_1)
	v_cmp_ne_u16_e32 vcc_lo, 0, v2
	s_wait_alu 0xfffd
	v_cndmask_b32_e64 v3, 0, 1, vcc_lo
	s_wait_alu 0xfffe
	s_or_b32 exec_lo, exec_lo, s18
	s_mov_b32 s18, exec_lo
	v_cmpx_gt_u32_e64 s12, v47
	s_cbranch_execz .LBB918_10
.LBB918_87:                             ;   in Loop: Header=BB918_6 Depth=1
	global_load_b32 v2, v[20:21], off offset:256
	s_wait_loadcnt 0x0
	v_lshrrev_b32_e32 v4, 16, v2
	s_delay_alu instid0(VALU_DEP_1) | instskip(NEXT) | instid1(VALU_DEP_1)
	v_or_b32_e32 v2, v2, v4
	v_and_b32_e32 v2, 0x7fff, v2
	s_delay_alu instid0(VALU_DEP_1) | instskip(SKIP_4) | instid1(SALU_CYCLE_1)
	v_cmp_ne_u16_e32 vcc_lo, 0, v2
	s_wait_alu 0xfffd
	v_cndmask_b32_e64 v4, 0, 1, vcc_lo
	s_wait_alu 0xfffe
	s_or_b32 exec_lo, exec_lo, s18
	s_mov_b32 s18, exec_lo
	v_cmpx_gt_u32_e64 s12, v48
	s_cbranch_execz .LBB918_11
.LBB918_88:                             ;   in Loop: Header=BB918_6 Depth=1
	global_load_b32 v2, v[20:21], off offset:384
	s_wait_loadcnt 0x0
	v_lshrrev_b32_e32 v5, 16, v2
	s_delay_alu instid0(VALU_DEP_1) | instskip(NEXT) | instid1(VALU_DEP_1)
	v_or_b32_e32 v2, v2, v5
	v_and_b32_e32 v2, 0x7fff, v2
	s_delay_alu instid0(VALU_DEP_1) | instskip(SKIP_4) | instid1(SALU_CYCLE_1)
	v_cmp_ne_u16_e32 vcc_lo, 0, v2
	s_wait_alu 0xfffd
	v_cndmask_b32_e64 v5, 0, 1, vcc_lo
	s_wait_alu 0xfffe
	s_or_b32 exec_lo, exec_lo, s18
	s_mov_b32 s18, exec_lo
	v_cmpx_gt_u32_e64 s12, v49
	s_cbranch_execz .LBB918_12
.LBB918_89:                             ;   in Loop: Header=BB918_6 Depth=1
	global_load_b32 v2, v[20:21], off offset:512
	s_wait_loadcnt 0x0
	v_lshrrev_b32_e32 v6, 16, v2
	s_delay_alu instid0(VALU_DEP_1) | instskip(NEXT) | instid1(VALU_DEP_1)
	v_or_b32_e32 v2, v2, v6
	v_and_b32_e32 v2, 0x7fff, v2
	s_delay_alu instid0(VALU_DEP_1) | instskip(SKIP_4) | instid1(SALU_CYCLE_1)
	v_cmp_ne_u16_e32 vcc_lo, 0, v2
	s_wait_alu 0xfffd
	v_cndmask_b32_e64 v6, 0, 1, vcc_lo
	s_wait_alu 0xfffe
	s_or_b32 exec_lo, exec_lo, s18
	s_mov_b32 s18, exec_lo
	v_cmpx_gt_u32_e64 s12, v50
	s_cbranch_execz .LBB918_13
.LBB918_90:                             ;   in Loop: Header=BB918_6 Depth=1
	global_load_b32 v2, v[20:21], off offset:640
	s_wait_loadcnt 0x0
	v_lshrrev_b32_e32 v7, 16, v2
	s_delay_alu instid0(VALU_DEP_1) | instskip(NEXT) | instid1(VALU_DEP_1)
	v_or_b32_e32 v2, v2, v7
	v_and_b32_e32 v2, 0x7fff, v2
	s_delay_alu instid0(VALU_DEP_1) | instskip(SKIP_4) | instid1(SALU_CYCLE_1)
	v_cmp_ne_u16_e32 vcc_lo, 0, v2
	s_wait_alu 0xfffd
	v_cndmask_b32_e64 v7, 0, 1, vcc_lo
	s_wait_alu 0xfffe
	s_or_b32 exec_lo, exec_lo, s18
	s_mov_b32 s18, exec_lo
	v_cmpx_gt_u32_e64 s12, v51
	s_cbranch_execz .LBB918_14
.LBB918_91:                             ;   in Loop: Header=BB918_6 Depth=1
	global_load_b32 v2, v[20:21], off offset:768
	s_wait_loadcnt 0x0
	v_lshrrev_b32_e32 v8, 16, v2
	s_delay_alu instid0(VALU_DEP_1) | instskip(NEXT) | instid1(VALU_DEP_1)
	v_or_b32_e32 v2, v2, v8
	v_and_b32_e32 v2, 0x7fff, v2
	s_delay_alu instid0(VALU_DEP_1) | instskip(SKIP_4) | instid1(SALU_CYCLE_1)
	v_cmp_ne_u16_e32 vcc_lo, 0, v2
	s_wait_alu 0xfffd
	v_cndmask_b32_e64 v8, 0, 1, vcc_lo
	s_wait_alu 0xfffe
	s_or_b32 exec_lo, exec_lo, s18
	s_mov_b32 s18, exec_lo
	v_cmpx_gt_u32_e64 s12, v52
	s_cbranch_execz .LBB918_15
.LBB918_92:                             ;   in Loop: Header=BB918_6 Depth=1
	global_load_b32 v2, v[20:21], off offset:896
	s_wait_loadcnt 0x0
	v_lshrrev_b32_e32 v9, 16, v2
	s_delay_alu instid0(VALU_DEP_1) | instskip(NEXT) | instid1(VALU_DEP_1)
	v_or_b32_e32 v2, v2, v9
	v_and_b32_e32 v2, 0x7fff, v2
	s_delay_alu instid0(VALU_DEP_1) | instskip(SKIP_4) | instid1(SALU_CYCLE_1)
	v_cmp_ne_u16_e32 vcc_lo, 0, v2
	s_wait_alu 0xfffd
	v_cndmask_b32_e64 v9, 0, 1, vcc_lo
	s_wait_alu 0xfffe
	s_or_b32 exec_lo, exec_lo, s18
	s_mov_b32 s18, exec_lo
	v_cmpx_gt_u32_e64 s12, v53
	s_cbranch_execz .LBB918_16
.LBB918_93:                             ;   in Loop: Header=BB918_6 Depth=1
	global_load_b32 v2, v[20:21], off offset:1024
	s_wait_loadcnt 0x0
	v_lshrrev_b32_e32 v10, 16, v2
	s_delay_alu instid0(VALU_DEP_1) | instskip(NEXT) | instid1(VALU_DEP_1)
	v_or_b32_e32 v2, v2, v10
	v_and_b32_e32 v2, 0x7fff, v2
	s_delay_alu instid0(VALU_DEP_1) | instskip(SKIP_4) | instid1(SALU_CYCLE_1)
	v_cmp_ne_u16_e32 vcc_lo, 0, v2
	s_wait_alu 0xfffd
	v_cndmask_b32_e64 v10, 0, 1, vcc_lo
	s_wait_alu 0xfffe
	s_or_b32 exec_lo, exec_lo, s18
	s_mov_b32 s18, exec_lo
	v_cmpx_gt_u32_e64 s12, v54
	s_cbranch_execz .LBB918_17
.LBB918_94:                             ;   in Loop: Header=BB918_6 Depth=1
	global_load_b32 v2, v[20:21], off offset:1152
	s_wait_loadcnt 0x0
	v_lshrrev_b32_e32 v11, 16, v2
	s_delay_alu instid0(VALU_DEP_1) | instskip(NEXT) | instid1(VALU_DEP_1)
	v_or_b32_e32 v2, v2, v11
	v_and_b32_e32 v2, 0x7fff, v2
	s_delay_alu instid0(VALU_DEP_1) | instskip(SKIP_4) | instid1(SALU_CYCLE_1)
	v_cmp_ne_u16_e32 vcc_lo, 0, v2
	s_wait_alu 0xfffd
	v_cndmask_b32_e64 v11, 0, 1, vcc_lo
	s_wait_alu 0xfffe
	s_or_b32 exec_lo, exec_lo, s18
	s_mov_b32 s18, exec_lo
	v_cmpx_gt_u32_e64 s12, v55
	s_cbranch_execz .LBB918_18
.LBB918_95:                             ;   in Loop: Header=BB918_6 Depth=1
	global_load_b32 v2, v[20:21], off offset:1280
	s_wait_loadcnt 0x0
	v_lshrrev_b32_e32 v12, 16, v2
	s_delay_alu instid0(VALU_DEP_1) | instskip(NEXT) | instid1(VALU_DEP_1)
	v_or_b32_e32 v2, v2, v12
	v_and_b32_e32 v2, 0x7fff, v2
	s_delay_alu instid0(VALU_DEP_1) | instskip(SKIP_4) | instid1(SALU_CYCLE_1)
	v_cmp_ne_u16_e32 vcc_lo, 0, v2
	s_wait_alu 0xfffd
	v_cndmask_b32_e64 v12, 0, 1, vcc_lo
	s_wait_alu 0xfffe
	s_or_b32 exec_lo, exec_lo, s18
	s_mov_b32 s18, exec_lo
	v_cmpx_gt_u32_e64 s12, v56
	s_cbranch_execz .LBB918_19
.LBB918_96:                             ;   in Loop: Header=BB918_6 Depth=1
	global_load_b32 v2, v[20:21], off offset:1408
	s_wait_loadcnt 0x0
	v_lshrrev_b32_e32 v13, 16, v2
	s_delay_alu instid0(VALU_DEP_1) | instskip(NEXT) | instid1(VALU_DEP_1)
	v_or_b32_e32 v2, v2, v13
	v_and_b32_e32 v2, 0x7fff, v2
	s_delay_alu instid0(VALU_DEP_1) | instskip(SKIP_4) | instid1(SALU_CYCLE_1)
	v_cmp_ne_u16_e32 vcc_lo, 0, v2
	s_wait_alu 0xfffd
	v_cndmask_b32_e64 v13, 0, 1, vcc_lo
	s_wait_alu 0xfffe
	s_or_b32 exec_lo, exec_lo, s18
	s_mov_b32 s18, exec_lo
	v_cmpx_gt_u32_e64 s12, v57
	s_cbranch_execz .LBB918_20
.LBB918_97:                             ;   in Loop: Header=BB918_6 Depth=1
	global_load_b32 v2, v[20:21], off offset:1536
	s_wait_loadcnt 0x0
	v_lshrrev_b32_e32 v14, 16, v2
	s_delay_alu instid0(VALU_DEP_1) | instskip(NEXT) | instid1(VALU_DEP_1)
	v_or_b32_e32 v2, v2, v14
	v_and_b32_e32 v2, 0x7fff, v2
	s_delay_alu instid0(VALU_DEP_1) | instskip(SKIP_4) | instid1(SALU_CYCLE_1)
	v_cmp_ne_u16_e32 vcc_lo, 0, v2
	s_wait_alu 0xfffd
	v_cndmask_b32_e64 v14, 0, 1, vcc_lo
	s_wait_alu 0xfffe
	s_or_b32 exec_lo, exec_lo, s18
	s_mov_b32 s18, exec_lo
	v_cmpx_gt_u32_e64 s12, v58
	s_cbranch_execz .LBB918_21
.LBB918_98:                             ;   in Loop: Header=BB918_6 Depth=1
	global_load_b32 v2, v[20:21], off offset:1664
	s_wait_loadcnt 0x0
	v_lshrrev_b32_e32 v15, 16, v2
	s_delay_alu instid0(VALU_DEP_1) | instskip(NEXT) | instid1(VALU_DEP_1)
	v_or_b32_e32 v2, v2, v15
	v_and_b32_e32 v2, 0x7fff, v2
	s_delay_alu instid0(VALU_DEP_1) | instskip(SKIP_4) | instid1(SALU_CYCLE_1)
	v_cmp_ne_u16_e32 vcc_lo, 0, v2
	s_wait_alu 0xfffd
	v_cndmask_b32_e64 v15, 0, 1, vcc_lo
	s_wait_alu 0xfffe
	s_or_b32 exec_lo, exec_lo, s18
	s_mov_b32 s18, exec_lo
	v_cmpx_gt_u32_e64 s12, v59
	s_cbranch_execz .LBB918_22
.LBB918_99:                             ;   in Loop: Header=BB918_6 Depth=1
	global_load_b32 v2, v[20:21], off offset:1792
	s_wait_loadcnt 0x0
	v_lshrrev_b32_e32 v16, 16, v2
	s_delay_alu instid0(VALU_DEP_1) | instskip(NEXT) | instid1(VALU_DEP_1)
	v_or_b32_e32 v2, v2, v16
	v_and_b32_e32 v2, 0x7fff, v2
	s_delay_alu instid0(VALU_DEP_1) | instskip(SKIP_4) | instid1(SALU_CYCLE_1)
	v_cmp_ne_u16_e32 vcc_lo, 0, v2
	s_wait_alu 0xfffd
	v_cndmask_b32_e64 v16, 0, 1, vcc_lo
	s_wait_alu 0xfffe
	s_or_b32 exec_lo, exec_lo, s18
	s_mov_b32 s18, exec_lo
	v_cmpx_gt_u32_e64 s12, v60
	s_cbranch_execnz .LBB918_23
	s_branch .LBB918_24
.LBB918_100:
	s_nop 0
	s_sendmsg sendmsg(MSG_DEALLOC_VGPRS)
	s_endpgm
	.section	.rodata,"a",@progbits
	.p2align	6, 0x0
	.amdhsa_kernel _ZN2at6native12_GLOBAL__N_111flag_kernelILi512ELi16EN3c107complexINS3_4HalfEEEEEvPKT1_PlPKllli
		.amdhsa_group_segment_fixed_size 33796
		.amdhsa_private_segment_fixed_size 0
		.amdhsa_kernarg_size 304
		.amdhsa_user_sgpr_count 2
		.amdhsa_user_sgpr_dispatch_ptr 0
		.amdhsa_user_sgpr_queue_ptr 0
		.amdhsa_user_sgpr_kernarg_segment_ptr 1
		.amdhsa_user_sgpr_dispatch_id 0
		.amdhsa_user_sgpr_private_segment_size 0
		.amdhsa_wavefront_size32 1
		.amdhsa_uses_dynamic_stack 0
		.amdhsa_enable_private_segment 0
		.amdhsa_system_sgpr_workgroup_id_x 1
		.amdhsa_system_sgpr_workgroup_id_y 0
		.amdhsa_system_sgpr_workgroup_id_z 0
		.amdhsa_system_sgpr_workgroup_info 0
		.amdhsa_system_vgpr_workitem_id 0
		.amdhsa_next_free_vgpr 100
		.amdhsa_next_free_sgpr 27
		.amdhsa_reserve_vcc 1
		.amdhsa_float_round_mode_32 0
		.amdhsa_float_round_mode_16_64 0
		.amdhsa_float_denorm_mode_32 3
		.amdhsa_float_denorm_mode_16_64 3
		.amdhsa_fp16_overflow 0
		.amdhsa_workgroup_processor_mode 1
		.amdhsa_memory_ordered 1
		.amdhsa_forward_progress 1
		.amdhsa_inst_pref_size 61
		.amdhsa_round_robin_scheduling 0
		.amdhsa_exception_fp_ieee_invalid_op 0
		.amdhsa_exception_fp_denorm_src 0
		.amdhsa_exception_fp_ieee_div_zero 0
		.amdhsa_exception_fp_ieee_overflow 0
		.amdhsa_exception_fp_ieee_underflow 0
		.amdhsa_exception_fp_ieee_inexact 0
		.amdhsa_exception_int_div_zero 0
	.end_amdhsa_kernel
	.section	.text._ZN2at6native12_GLOBAL__N_111flag_kernelILi512ELi16EN3c107complexINS3_4HalfEEEEEvPKT1_PlPKllli,"axG",@progbits,_ZN2at6native12_GLOBAL__N_111flag_kernelILi512ELi16EN3c107complexINS3_4HalfEEEEEvPKT1_PlPKllli,comdat
.Lfunc_end918:
	.size	_ZN2at6native12_GLOBAL__N_111flag_kernelILi512ELi16EN3c107complexINS3_4HalfEEEEEvPKT1_PlPKllli, .Lfunc_end918-_ZN2at6native12_GLOBAL__N_111flag_kernelILi512ELi16EN3c107complexINS3_4HalfEEEEEvPKT1_PlPKllli
                                        ; -- End function
	.set _ZN2at6native12_GLOBAL__N_111flag_kernelILi512ELi16EN3c107complexINS3_4HalfEEEEEvPKT1_PlPKllli.num_vgpr, 100
	.set _ZN2at6native12_GLOBAL__N_111flag_kernelILi512ELi16EN3c107complexINS3_4HalfEEEEEvPKT1_PlPKllli.num_agpr, 0
	.set _ZN2at6native12_GLOBAL__N_111flag_kernelILi512ELi16EN3c107complexINS3_4HalfEEEEEvPKT1_PlPKllli.numbered_sgpr, 27
	.set _ZN2at6native12_GLOBAL__N_111flag_kernelILi512ELi16EN3c107complexINS3_4HalfEEEEEvPKT1_PlPKllli.num_named_barrier, 0
	.set _ZN2at6native12_GLOBAL__N_111flag_kernelILi512ELi16EN3c107complexINS3_4HalfEEEEEvPKT1_PlPKllli.private_seg_size, 0
	.set _ZN2at6native12_GLOBAL__N_111flag_kernelILi512ELi16EN3c107complexINS3_4HalfEEEEEvPKT1_PlPKllli.uses_vcc, 1
	.set _ZN2at6native12_GLOBAL__N_111flag_kernelILi512ELi16EN3c107complexINS3_4HalfEEEEEvPKT1_PlPKllli.uses_flat_scratch, 0
	.set _ZN2at6native12_GLOBAL__N_111flag_kernelILi512ELi16EN3c107complexINS3_4HalfEEEEEvPKT1_PlPKllli.has_dyn_sized_stack, 0
	.set _ZN2at6native12_GLOBAL__N_111flag_kernelILi512ELi16EN3c107complexINS3_4HalfEEEEEvPKT1_PlPKllli.has_recursion, 0
	.set _ZN2at6native12_GLOBAL__N_111flag_kernelILi512ELi16EN3c107complexINS3_4HalfEEEEEvPKT1_PlPKllli.has_indirect_call, 0
	.section	.AMDGPU.csdata,"",@progbits
; Kernel info:
; codeLenInByte = 7800
; TotalNumSgprs: 29
; NumVgprs: 100
; ScratchSize: 0
; MemoryBound: 0
; FloatMode: 240
; IeeeMode: 1
; LDSByteSize: 33796 bytes/workgroup (compile time only)
; SGPRBlocks: 0
; VGPRBlocks: 12
; NumSGPRsForWavesPerEU: 29
; NumVGPRsForWavesPerEU: 100
; Occupancy: 12
; WaveLimiterHint : 1
; COMPUTE_PGM_RSRC2:SCRATCH_EN: 0
; COMPUTE_PGM_RSRC2:USER_SGPR: 2
; COMPUTE_PGM_RSRC2:TRAP_HANDLER: 0
; COMPUTE_PGM_RSRC2:TGID_X_EN: 1
; COMPUTE_PGM_RSRC2:TGID_Y_EN: 0
; COMPUTE_PGM_RSRC2:TGID_Z_EN: 0
; COMPUTE_PGM_RSRC2:TIDIG_COMP_CNT: 0
	.section	.text._ZN2at4cuda3cub15calc_block_sumsILi512ELi16ELb1EbiEEvPKT2_PT3_li,"axG",@progbits,_ZN2at4cuda3cub15calc_block_sumsILi512ELi16ELb1EbiEEvPKT2_PT3_li,comdat
	.protected	_ZN2at4cuda3cub15calc_block_sumsILi512ELi16ELb1EbiEEvPKT2_PT3_li ; -- Begin function _ZN2at4cuda3cub15calc_block_sumsILi512ELi16ELb1EbiEEvPKT2_PT3_li
	.globl	_ZN2at4cuda3cub15calc_block_sumsILi512ELi16ELb1EbiEEvPKT2_PT3_li
	.p2align	8
	.type	_ZN2at4cuda3cub15calc_block_sumsILi512ELi16ELb1EbiEEvPKT2_PT3_li,@function
_ZN2at4cuda3cub15calc_block_sumsILi512ELi16ELb1EbiEEvPKT2_PT3_li: ; @_ZN2at4cuda3cub15calc_block_sumsILi512ELi16ELb1EbiEEvPKT2_PT3_li
; %bb.0:
	s_load_b96 s[8:10], s[0:1], 0x10
	s_mov_b32 s2, ttmp9
	s_mov_b32 s3, 0
	s_wait_kmcnt 0x0
	s_lshl_b32 s4, s10, 13
	s_delay_alu instid0(SALU_CYCLE_1) | instskip(NEXT) | instid1(SALU_CYCLE_1)
	s_ashr_i32 s5, s4, 31
	s_mul_u64 s[14:15], s[4:5], s[2:3]
	s_delay_alu instid0(SALU_CYCLE_1) | instskip(NEXT) | instid1(SALU_CYCLE_1)
	s_sub_nc_u64 s[8:9], s[8:9], s[14:15]
	v_cmp_lt_i64_e64 s4, s[8:9], 1
	s_and_b32 vcc_lo, exec_lo, s4
	s_cbranch_vccnz .LBB919_58
; %bb.1:
	s_load_b128 s[4:7], s[0:1], 0x0
	s_mov_b32 s0, -1
	s_cmp_gt_i32 s10, 0
	s_mov_b32 s1, -1
	s_cbranch_scc1 .LBB919_3
; %bb.2:
	s_mov_b32 s1, 0
.LBB919_3:
	v_mov_b32_e32 v18, 0
	s_and_not1_b32 vcc_lo, exec_lo, s1
	s_cbranch_vccnz .LBB919_56
; %bb.4:
	v_lshrrev_b32_e32 v2, 3, v0
	v_mov_b32_e32 v1, 0
	v_dual_mov_b32 v18, 0 :: v_dual_add_nc_u32 v19, 0x200, v0
	v_or_b32_e32 v20, 0x400, v0
	v_add_nc_u32_e32 v21, 0x600, v0
	v_or_b32_e32 v22, 0x800, v0
	v_add_nc_u32_e32 v23, 0xa00, v0
	;; [unrolled: 2-line block ×7, first 2 shown]
	v_and_b32_e32 v34, 0x7c, v2
	v_cmp_gt_u32_e64 s0, 32, v0
	v_mbcnt_lo_u32_b32 v35, -1, 0
	s_movk_i32 s12, 0xe000
	s_mov_b32 s13, -1
	s_wait_kmcnt 0x0
	s_add_nc_u64 s[4:5], s[4:5], s[14:15]
	s_branch .LBB919_6
.LBB919_5:                              ;   in Loop: Header=BB919_6 Depth=1
	v_add_nc_u32_e32 v18, v2, v18
	s_wait_alu 0xfffe
	s_and_not1_b32 vcc_lo, exec_lo, s11
	s_wait_alu 0xfffe
	s_cbranch_vccz .LBB919_52
.LBB919_6:                              ; =>This Inner Loop Header: Depth=1
	v_cmp_gt_i64_e64 s1, 0x2000, s[8:9]
                                        ; implicit-def: $vgpr2
	s_and_b32 vcc_lo, exec_lo, s1
	s_mov_b32 s1, -1
	s_wait_alu 0xfffe
	s_cbranch_vccz .LBB919_29
; %bb.7:                                ;   in Loop: Header=BB919_6 Depth=1
	v_mov_b32_e32 v16, v1
	v_dual_mov_b32 v2, v1 :: v_dual_mov_b32 v3, v1
	v_dual_mov_b32 v4, v1 :: v_dual_mov_b32 v5, v1
	;; [unrolled: 1-line block ×7, first 2 shown]
	v_mov_b32_e32 v17, v16
	s_delay_alu instid0(VALU_DEP_2) | instskip(NEXT) | instid1(VALU_DEP_3)
	v_mov_b32_e32 v16, v15
	v_mov_b32_e32 v15, v14
	;; [unrolled: 1-line block ×15, first 2 shown]
	s_mov_b32 s1, exec_lo
	v_cmpx_gt_u32_e64 s8, v0
	s_cbranch_execnz .LBB919_37
; %bb.8:                                ;   in Loop: Header=BB919_6 Depth=1
	s_wait_alu 0xfffe
	s_or_b32 exec_lo, exec_lo, s1
	s_delay_alu instid0(SALU_CYCLE_1)
	s_mov_b32 s1, exec_lo
	v_cmpx_gt_u32_e64 s8, v19
	s_cbranch_execnz .LBB919_38
.LBB919_9:                              ;   in Loop: Header=BB919_6 Depth=1
	s_wait_alu 0xfffe
	s_or_b32 exec_lo, exec_lo, s1
	s_delay_alu instid0(SALU_CYCLE_1)
	s_mov_b32 s1, exec_lo
	v_cmpx_gt_u32_e64 s8, v20
	s_cbranch_execnz .LBB919_39
.LBB919_10:                             ;   in Loop: Header=BB919_6 Depth=1
	s_wait_alu 0xfffe
	s_or_b32 exec_lo, exec_lo, s1
	s_delay_alu instid0(SALU_CYCLE_1)
	s_mov_b32 s1, exec_lo
	v_cmpx_gt_u32_e64 s8, v21
	s_cbranch_execnz .LBB919_40
.LBB919_11:                             ;   in Loop: Header=BB919_6 Depth=1
	s_wait_alu 0xfffe
	s_or_b32 exec_lo, exec_lo, s1
	s_delay_alu instid0(SALU_CYCLE_1)
	s_mov_b32 s1, exec_lo
	v_cmpx_gt_u32_e64 s8, v22
	s_cbranch_execnz .LBB919_41
.LBB919_12:                             ;   in Loop: Header=BB919_6 Depth=1
	s_wait_alu 0xfffe
	s_or_b32 exec_lo, exec_lo, s1
	s_delay_alu instid0(SALU_CYCLE_1)
	s_mov_b32 s1, exec_lo
	v_cmpx_gt_u32_e64 s8, v23
	s_cbranch_execnz .LBB919_42
.LBB919_13:                             ;   in Loop: Header=BB919_6 Depth=1
	s_wait_alu 0xfffe
	s_or_b32 exec_lo, exec_lo, s1
	s_delay_alu instid0(SALU_CYCLE_1)
	s_mov_b32 s1, exec_lo
	v_cmpx_gt_u32_e64 s8, v24
	s_cbranch_execnz .LBB919_43
.LBB919_14:                             ;   in Loop: Header=BB919_6 Depth=1
	s_wait_alu 0xfffe
	s_or_b32 exec_lo, exec_lo, s1
	s_delay_alu instid0(SALU_CYCLE_1)
	s_mov_b32 s1, exec_lo
	v_cmpx_gt_u32_e64 s8, v25
	s_cbranch_execnz .LBB919_44
.LBB919_15:                             ;   in Loop: Header=BB919_6 Depth=1
	s_wait_alu 0xfffe
	s_or_b32 exec_lo, exec_lo, s1
	s_delay_alu instid0(SALU_CYCLE_1)
	s_mov_b32 s1, exec_lo
	v_cmpx_gt_u32_e64 s8, v26
	s_cbranch_execnz .LBB919_45
.LBB919_16:                             ;   in Loop: Header=BB919_6 Depth=1
	s_wait_alu 0xfffe
	s_or_b32 exec_lo, exec_lo, s1
	s_delay_alu instid0(SALU_CYCLE_1)
	s_mov_b32 s1, exec_lo
	v_cmpx_gt_u32_e64 s8, v27
	s_cbranch_execnz .LBB919_46
.LBB919_17:                             ;   in Loop: Header=BB919_6 Depth=1
	s_wait_alu 0xfffe
	s_or_b32 exec_lo, exec_lo, s1
	s_delay_alu instid0(SALU_CYCLE_1)
	s_mov_b32 s1, exec_lo
	v_cmpx_gt_u32_e64 s8, v28
	s_cbranch_execnz .LBB919_47
.LBB919_18:                             ;   in Loop: Header=BB919_6 Depth=1
	s_wait_alu 0xfffe
	s_or_b32 exec_lo, exec_lo, s1
	s_delay_alu instid0(SALU_CYCLE_1)
	s_mov_b32 s1, exec_lo
	v_cmpx_gt_u32_e64 s8, v29
	s_cbranch_execnz .LBB919_48
.LBB919_19:                             ;   in Loop: Header=BB919_6 Depth=1
	s_wait_alu 0xfffe
	s_or_b32 exec_lo, exec_lo, s1
	s_delay_alu instid0(SALU_CYCLE_1)
	s_mov_b32 s1, exec_lo
	v_cmpx_gt_u32_e64 s8, v30
	s_cbranch_execnz .LBB919_49
.LBB919_20:                             ;   in Loop: Header=BB919_6 Depth=1
	s_wait_alu 0xfffe
	s_or_b32 exec_lo, exec_lo, s1
	s_delay_alu instid0(SALU_CYCLE_1)
	s_mov_b32 s1, exec_lo
	v_cmpx_gt_u32_e64 s8, v31
	s_cbranch_execnz .LBB919_50
.LBB919_21:                             ;   in Loop: Header=BB919_6 Depth=1
	s_wait_alu 0xfffe
	s_or_b32 exec_lo, exec_lo, s1
	s_delay_alu instid0(SALU_CYCLE_1)
	s_mov_b32 s1, exec_lo
	v_cmpx_gt_u32_e64 s8, v32
	s_cbranch_execnz .LBB919_51
.LBB919_22:                             ;   in Loop: Header=BB919_6 Depth=1
	s_wait_alu 0xfffe
	s_or_b32 exec_lo, exec_lo, s1
	s_delay_alu instid0(SALU_CYCLE_1)
	s_mov_b32 s1, exec_lo
	v_cmpx_gt_u32_e64 s8, v33
	s_cbranch_execz .LBB919_24
.LBB919_23:                             ;   in Loop: Header=BB919_6 Depth=1
	v_add_co_u32 v36, s11, s4, v0
	s_wait_alu 0xf1ff
	v_add_co_ci_u32_e64 v37, null, s5, 0, s11
	global_load_u8 v17, v[36:37], off offset:7680
.LBB919_24:                             ;   in Loop: Header=BB919_6 Depth=1
	s_wait_alu 0xfffe
	s_or_b32 exec_lo, exec_lo, s1
	s_wait_loadcnt 0x0
	v_add_nc_u32_e32 v2, v3, v2
	s_mov_b32 s1, exec_lo
	s_barrier_signal -1
	s_barrier_wait -1
	s_delay_alu instid0(VALU_DEP_1) | instskip(SKIP_2) | instid1(VALU_DEP_1)
	v_add3_u32 v2, v2, v4, v5
	global_inv scope:SCOPE_SE
	v_add3_u32 v2, v2, v6, v7
	v_add3_u32 v2, v2, v8, v9
	s_delay_alu instid0(VALU_DEP_1) | instskip(NEXT) | instid1(VALU_DEP_1)
	v_add3_u32 v2, v2, v10, v11
	v_add3_u32 v2, v2, v12, v13
	s_delay_alu instid0(VALU_DEP_1) | instskip(NEXT) | instid1(VALU_DEP_1)
	;; [unrolled: 3-line block ×3, first 2 shown]
	v_mov_b32_dpp v3, v2 quad_perm:[1,0,3,2] row_mask:0xf bank_mask:0xf
	v_add_nc_u32_e32 v2, v2, v3
	s_delay_alu instid0(VALU_DEP_1) | instskip(NEXT) | instid1(VALU_DEP_1)
	v_mov_b32_dpp v3, v2 quad_perm:[2,3,0,1] row_mask:0xf bank_mask:0xf
	v_add_nc_u32_e32 v2, v2, v3
	s_delay_alu instid0(VALU_DEP_1) | instskip(NEXT) | instid1(VALU_DEP_1)
	v_mov_b32_dpp v3, v2 row_ror:4 row_mask:0xf bank_mask:0xf
	v_add_nc_u32_e32 v2, v2, v3
	s_delay_alu instid0(VALU_DEP_1) | instskip(NEXT) | instid1(VALU_DEP_1)
	v_mov_b32_dpp v3, v2 row_ror:8 row_mask:0xf bank_mask:0xf
	v_add_nc_u32_e32 v2, v2, v3
	ds_swizzle_b32 v3, v2 offset:swizzle(BROADCAST,32,15)
	s_wait_dscnt 0x0
	v_add_nc_u32_e32 v2, v2, v3
	ds_bpermute_b32 v2, v1, v2 offset:124
	v_cmpx_eq_u32_e32 0, v35
	s_cbranch_execz .LBB919_26
; %bb.25:                               ;   in Loop: Header=BB919_6 Depth=1
	s_wait_dscnt 0x0
	ds_store_b32 v34, v2
.LBB919_26:                             ;   in Loop: Header=BB919_6 Depth=1
	s_wait_alu 0xfffe
	s_or_b32 exec_lo, exec_lo, s1
	s_wait_loadcnt_dscnt 0x0
	s_barrier_signal -1
	s_barrier_wait -1
	global_inv scope:SCOPE_SE
	s_and_saveexec_b32 s1, s0
	s_cbranch_execz .LBB919_28
; %bb.27:                               ;   in Loop: Header=BB919_6 Depth=1
	v_and_b32_e32 v2, 15, v35
	s_delay_alu instid0(VALU_DEP_1)
	v_lshlrev_b32_e32 v3, 2, v2
	v_cmp_ne_u32_e32 vcc_lo, 15, v2
	ds_load_b32 v3, v3
	s_wait_alu 0xfffd
	v_add_co_ci_u32_e64 v4, null, 0, v35, vcc_lo
	v_cmp_gt_u32_e32 vcc_lo, 14, v2
	s_delay_alu instid0(VALU_DEP_2) | instskip(SKIP_3) | instid1(VALU_DEP_2)
	v_lshlrev_b32_e32 v4, 2, v4
	s_wait_alu 0xfffd
	v_cndmask_b32_e64 v5, 0, 2, vcc_lo
	v_cmp_gt_u32_e32 vcc_lo, 12, v2
	v_add_lshl_u32 v5, v5, v35, 2
	s_wait_alu 0xfffd
	v_cndmask_b32_e64 v2, 0, 4, vcc_lo
	s_delay_alu instid0(VALU_DEP_1)
	v_add_lshl_u32 v2, v2, v35, 2
	s_wait_dscnt 0x0
	ds_bpermute_b32 v4, v4, v3
	s_wait_dscnt 0x0
	v_add_nc_u32_e32 v3, v4, v3
	ds_bpermute_b32 v4, v5, v3
	s_wait_dscnt 0x0
	v_add_nc_u32_e32 v3, v4, v3
	v_lshlrev_b32_e32 v4, 2, v35
	ds_bpermute_b32 v2, v2, v3
	s_wait_dscnt 0x0
	v_add_nc_u32_e32 v2, v2, v3
	v_or_b32_e32 v3, 32, v4
	ds_bpermute_b32 v3, v3, v2
	s_wait_dscnt 0x0
	v_add_nc_u32_e32 v2, v3, v2
.LBB919_28:                             ;   in Loop: Header=BB919_6 Depth=1
	s_wait_alu 0xfffe
	s_or_b32 exec_lo, exec_lo, s1
	s_mov_b32 s1, 0
.LBB919_29:                             ;   in Loop: Header=BB919_6 Depth=1
	s_wait_alu 0xfffe
	s_and_b32 vcc_lo, exec_lo, s1
	s_wait_alu 0xfffe
	s_cbranch_vccz .LBB919_35
; %bb.30:                               ;   in Loop: Header=BB919_6 Depth=1
	v_add_co_u32 v2, s1, s4, v0
	s_wait_alu 0xf1ff
	v_add_co_ci_u32_e64 v3, null, s5, 0, s1
	s_mov_b32 s1, exec_lo
	s_clause 0xf
	global_load_u8 v4, v[2:3], off
	global_load_u8 v5, v[2:3], off offset:512
	global_load_u8 v6, v[2:3], off offset:1024
	;; [unrolled: 1-line block ×15, first 2 shown]
	s_wait_loadcnt 0x0
	s_barrier_signal -1
	s_barrier_wait -1
	global_inv scope:SCOPE_SE
	v_add_nc_u16 v3, v5, v4
	s_delay_alu instid0(VALU_DEP_1) | instskip(NEXT) | instid1(VALU_DEP_1)
	v_add_nc_u16 v3, v3, v6
	v_add_nc_u16 v3, v3, v7
	s_delay_alu instid0(VALU_DEP_1) | instskip(NEXT) | instid1(VALU_DEP_1)
	v_add_nc_u16 v3, v3, v8
	;; [unrolled: 3-line block ×3, first 2 shown]
	v_and_b32_e32 v3, 0xff, v3
	s_delay_alu instid0(VALU_DEP_1) | instskip(NEXT) | instid1(VALU_DEP_1)
	v_add_nc_u32_e32 v3, v3, v11
	v_add3_u32 v3, v3, v12, v13
	s_delay_alu instid0(VALU_DEP_1) | instskip(NEXT) | instid1(VALU_DEP_1)
	v_add3_u32 v3, v3, v14, v15
	v_add3_u32 v3, v3, v16, v17
	s_delay_alu instid0(VALU_DEP_1) | instskip(NEXT) | instid1(VALU_DEP_1)
	v_add3_u32 v2, v3, v36, v2
	v_mov_b32_dpp v3, v2 quad_perm:[1,0,3,2] row_mask:0xf bank_mask:0xf
	s_delay_alu instid0(VALU_DEP_1) | instskip(NEXT) | instid1(VALU_DEP_1)
	v_add_nc_u32_e32 v2, v3, v2
	v_mov_b32_dpp v3, v2 quad_perm:[2,3,0,1] row_mask:0xf bank_mask:0xf
	s_delay_alu instid0(VALU_DEP_1) | instskip(NEXT) | instid1(VALU_DEP_1)
	v_add_nc_u32_e32 v2, v2, v3
	v_mov_b32_dpp v3, v2 row_ror:4 row_mask:0xf bank_mask:0xf
	s_delay_alu instid0(VALU_DEP_1) | instskip(NEXT) | instid1(VALU_DEP_1)
	v_add_nc_u32_e32 v2, v2, v3
	v_mov_b32_dpp v3, v2 row_ror:8 row_mask:0xf bank_mask:0xf
	s_delay_alu instid0(VALU_DEP_1)
	v_add_nc_u32_e32 v2, v2, v3
	ds_swizzle_b32 v3, v2 offset:swizzle(BROADCAST,32,15)
	s_wait_dscnt 0x0
	v_add_nc_u32_e32 v2, v2, v3
	ds_bpermute_b32 v2, v1, v2 offset:124
	v_cmpx_eq_u32_e32 0, v35
	s_cbranch_execz .LBB919_32
; %bb.31:                               ;   in Loop: Header=BB919_6 Depth=1
	s_wait_dscnt 0x0
	ds_store_b32 v34, v2
.LBB919_32:                             ;   in Loop: Header=BB919_6 Depth=1
	s_wait_alu 0xfffe
	s_or_b32 exec_lo, exec_lo, s1
	s_wait_loadcnt_dscnt 0x0
	s_barrier_signal -1
	s_barrier_wait -1
	global_inv scope:SCOPE_SE
	s_and_saveexec_b32 s1, s0
	s_cbranch_execz .LBB919_34
; %bb.33:                               ;   in Loop: Header=BB919_6 Depth=1
	v_and_b32_e32 v2, 15, v35
	s_delay_alu instid0(VALU_DEP_1)
	v_lshlrev_b32_e32 v3, 2, v2
	v_cmp_ne_u32_e32 vcc_lo, 15, v2
	ds_load_b32 v3, v3
	s_wait_alu 0xfffd
	v_add_co_ci_u32_e64 v4, null, 0, v35, vcc_lo
	v_cmp_gt_u32_e32 vcc_lo, 14, v2
	s_delay_alu instid0(VALU_DEP_2) | instskip(SKIP_3) | instid1(VALU_DEP_2)
	v_lshlrev_b32_e32 v4, 2, v4
	s_wait_alu 0xfffd
	v_cndmask_b32_e64 v5, 0, 2, vcc_lo
	v_cmp_gt_u32_e32 vcc_lo, 12, v2
	v_add_lshl_u32 v5, v5, v35, 2
	s_wait_alu 0xfffd
	v_cndmask_b32_e64 v2, 0, 4, vcc_lo
	s_delay_alu instid0(VALU_DEP_1)
	v_add_lshl_u32 v2, v2, v35, 2
	s_wait_dscnt 0x0
	ds_bpermute_b32 v4, v4, v3
	s_wait_dscnt 0x0
	v_add_nc_u32_e32 v3, v4, v3
	ds_bpermute_b32 v4, v5, v3
	s_wait_dscnt 0x0
	v_add_nc_u32_e32 v3, v4, v3
	v_lshlrev_b32_e32 v4, 2, v35
	ds_bpermute_b32 v2, v2, v3
	s_wait_dscnt 0x0
	v_add_nc_u32_e32 v2, v2, v3
	v_or_b32_e32 v3, 32, v4
	ds_bpermute_b32 v3, v3, v2
	s_wait_dscnt 0x0
	v_add_nc_u32_e32 v2, v3, v2
.LBB919_34:                             ;   in Loop: Header=BB919_6 Depth=1
	s_wait_alu 0xfffe
	s_or_b32 exec_lo, exec_lo, s1
.LBB919_35:                             ;   in Loop: Header=BB919_6 Depth=1
	v_cmp_lt_i64_e64 s11, 0x2000, s[8:9]
	s_mov_b32 s1, -1
	s_and_b32 vcc_lo, exec_lo, s11
	s_mov_b32 s11, -1
	s_wait_alu 0xfffe
	s_cbranch_vccz .LBB919_5
; %bb.36:                               ;   in Loop: Header=BB919_6 Depth=1
	s_add_co_i32 s10, s10, -1
	s_add_nc_u64 s[4:5], s[4:5], 0x2000
	s_wait_alu 0xfffe
	s_cmp_eq_u32 s10, 0
	s_add_nc_u64 s[8:9], s[8:9], s[12:13]
	s_mov_b32 s1, 0
	s_cselect_b32 s11, -1, 0
	s_wait_loadcnt 0x0
	s_barrier_signal -1
	s_barrier_wait -1
	global_inv scope:SCOPE_SE
	s_branch .LBB919_5
.LBB919_37:                             ;   in Loop: Header=BB919_6 Depth=1
	v_add_co_u32 v3, s11, s4, v0
	s_wait_alu 0xf1ff
	v_add_co_ci_u32_e64 v4, null, s5, 0, s11
	v_mov_b32_e32 v2, v1
	v_dual_mov_b32 v6, v1 :: v_dual_mov_b32 v7, v1
	v_dual_mov_b32 v5, v1 :: v_dual_mov_b32 v8, v1
	v_mov_b32_e32 v9, v1
	global_load_d16_u8 v2, v[3:4], off
	v_dual_mov_b32 v3, v1 :: v_dual_mov_b32 v4, v1
	v_dual_mov_b32 v10, v1 :: v_dual_mov_b32 v11, v1
	;; [unrolled: 1-line block ×5, first 2 shown]
	s_wait_alu 0xfffe
	s_or_b32 exec_lo, exec_lo, s1
	s_delay_alu instid0(SALU_CYCLE_1)
	s_mov_b32 s1, exec_lo
	v_cmpx_gt_u32_e64 s8, v19
	s_cbranch_execz .LBB919_9
.LBB919_38:                             ;   in Loop: Header=BB919_6 Depth=1
	v_add_co_u32 v36, s11, s4, v0
	s_wait_alu 0xf1ff
	v_add_co_ci_u32_e64 v37, null, s5, 0, s11
	global_load_u8 v3, v[36:37], off offset:512
	s_wait_alu 0xfffe
	s_or_b32 exec_lo, exec_lo, s1
	s_delay_alu instid0(SALU_CYCLE_1)
	s_mov_b32 s1, exec_lo
	v_cmpx_gt_u32_e64 s8, v20
	s_cbranch_execz .LBB919_10
.LBB919_39:                             ;   in Loop: Header=BB919_6 Depth=1
	v_add_co_u32 v36, s11, s4, v0
	s_wait_alu 0xf1ff
	v_add_co_ci_u32_e64 v37, null, s5, 0, s11
	global_load_u8 v4, v[36:37], off offset:1024
	s_wait_alu 0xfffe
	s_or_b32 exec_lo, exec_lo, s1
	s_delay_alu instid0(SALU_CYCLE_1)
	s_mov_b32 s1, exec_lo
	v_cmpx_gt_u32_e64 s8, v21
	s_cbranch_execz .LBB919_11
.LBB919_40:                             ;   in Loop: Header=BB919_6 Depth=1
	v_add_co_u32 v36, s11, s4, v0
	s_wait_alu 0xf1ff
	v_add_co_ci_u32_e64 v37, null, s5, 0, s11
	global_load_u8 v5, v[36:37], off offset:1536
	s_wait_alu 0xfffe
	s_or_b32 exec_lo, exec_lo, s1
	s_delay_alu instid0(SALU_CYCLE_1)
	s_mov_b32 s1, exec_lo
	v_cmpx_gt_u32_e64 s8, v22
	s_cbranch_execz .LBB919_12
.LBB919_41:                             ;   in Loop: Header=BB919_6 Depth=1
	v_add_co_u32 v36, s11, s4, v0
	s_wait_alu 0xf1ff
	v_add_co_ci_u32_e64 v37, null, s5, 0, s11
	global_load_u8 v6, v[36:37], off offset:2048
	s_wait_alu 0xfffe
	s_or_b32 exec_lo, exec_lo, s1
	s_delay_alu instid0(SALU_CYCLE_1)
	s_mov_b32 s1, exec_lo
	v_cmpx_gt_u32_e64 s8, v23
	s_cbranch_execz .LBB919_13
.LBB919_42:                             ;   in Loop: Header=BB919_6 Depth=1
	v_add_co_u32 v36, s11, s4, v0
	s_wait_alu 0xf1ff
	v_add_co_ci_u32_e64 v37, null, s5, 0, s11
	global_load_u8 v7, v[36:37], off offset:2560
	s_wait_alu 0xfffe
	s_or_b32 exec_lo, exec_lo, s1
	s_delay_alu instid0(SALU_CYCLE_1)
	s_mov_b32 s1, exec_lo
	v_cmpx_gt_u32_e64 s8, v24
	s_cbranch_execz .LBB919_14
.LBB919_43:                             ;   in Loop: Header=BB919_6 Depth=1
	v_add_co_u32 v36, s11, s4, v0
	s_wait_alu 0xf1ff
	v_add_co_ci_u32_e64 v37, null, s5, 0, s11
	global_load_u8 v8, v[36:37], off offset:3072
	s_wait_alu 0xfffe
	s_or_b32 exec_lo, exec_lo, s1
	s_delay_alu instid0(SALU_CYCLE_1)
	s_mov_b32 s1, exec_lo
	v_cmpx_gt_u32_e64 s8, v25
	s_cbranch_execz .LBB919_15
.LBB919_44:                             ;   in Loop: Header=BB919_6 Depth=1
	v_add_co_u32 v36, s11, s4, v0
	s_wait_alu 0xf1ff
	v_add_co_ci_u32_e64 v37, null, s5, 0, s11
	global_load_u8 v9, v[36:37], off offset:3584
	s_wait_alu 0xfffe
	s_or_b32 exec_lo, exec_lo, s1
	s_delay_alu instid0(SALU_CYCLE_1)
	s_mov_b32 s1, exec_lo
	v_cmpx_gt_u32_e64 s8, v26
	s_cbranch_execz .LBB919_16
.LBB919_45:                             ;   in Loop: Header=BB919_6 Depth=1
	v_add_co_u32 v36, s11, s4, v0
	s_wait_alu 0xf1ff
	v_add_co_ci_u32_e64 v37, null, s5, 0, s11
	global_load_u8 v10, v[36:37], off offset:4096
	s_wait_alu 0xfffe
	s_or_b32 exec_lo, exec_lo, s1
	s_delay_alu instid0(SALU_CYCLE_1)
	s_mov_b32 s1, exec_lo
	v_cmpx_gt_u32_e64 s8, v27
	s_cbranch_execz .LBB919_17
.LBB919_46:                             ;   in Loop: Header=BB919_6 Depth=1
	v_add_co_u32 v36, s11, s4, v0
	s_wait_alu 0xf1ff
	v_add_co_ci_u32_e64 v37, null, s5, 0, s11
	global_load_u8 v11, v[36:37], off offset:4608
	s_wait_alu 0xfffe
	s_or_b32 exec_lo, exec_lo, s1
	s_delay_alu instid0(SALU_CYCLE_1)
	s_mov_b32 s1, exec_lo
	v_cmpx_gt_u32_e64 s8, v28
	s_cbranch_execz .LBB919_18
.LBB919_47:                             ;   in Loop: Header=BB919_6 Depth=1
	v_add_co_u32 v36, s11, s4, v0
	s_wait_alu 0xf1ff
	v_add_co_ci_u32_e64 v37, null, s5, 0, s11
	global_load_u8 v12, v[36:37], off offset:5120
	s_wait_alu 0xfffe
	s_or_b32 exec_lo, exec_lo, s1
	s_delay_alu instid0(SALU_CYCLE_1)
	s_mov_b32 s1, exec_lo
	v_cmpx_gt_u32_e64 s8, v29
	s_cbranch_execz .LBB919_19
.LBB919_48:                             ;   in Loop: Header=BB919_6 Depth=1
	v_add_co_u32 v36, s11, s4, v0
	s_wait_alu 0xf1ff
	v_add_co_ci_u32_e64 v37, null, s5, 0, s11
	global_load_u8 v13, v[36:37], off offset:5632
	s_wait_alu 0xfffe
	s_or_b32 exec_lo, exec_lo, s1
	s_delay_alu instid0(SALU_CYCLE_1)
	s_mov_b32 s1, exec_lo
	v_cmpx_gt_u32_e64 s8, v30
	s_cbranch_execz .LBB919_20
.LBB919_49:                             ;   in Loop: Header=BB919_6 Depth=1
	v_add_co_u32 v36, s11, s4, v0
	s_wait_alu 0xf1ff
	v_add_co_ci_u32_e64 v37, null, s5, 0, s11
	global_load_u8 v14, v[36:37], off offset:6144
	s_wait_alu 0xfffe
	s_or_b32 exec_lo, exec_lo, s1
	s_delay_alu instid0(SALU_CYCLE_1)
	s_mov_b32 s1, exec_lo
	v_cmpx_gt_u32_e64 s8, v31
	s_cbranch_execz .LBB919_21
.LBB919_50:                             ;   in Loop: Header=BB919_6 Depth=1
	v_add_co_u32 v36, s11, s4, v0
	s_wait_alu 0xf1ff
	v_add_co_ci_u32_e64 v37, null, s5, 0, s11
	global_load_u8 v15, v[36:37], off offset:6656
	s_wait_alu 0xfffe
	s_or_b32 exec_lo, exec_lo, s1
	s_delay_alu instid0(SALU_CYCLE_1)
	s_mov_b32 s1, exec_lo
	v_cmpx_gt_u32_e64 s8, v32
	s_cbranch_execz .LBB919_22
.LBB919_51:                             ;   in Loop: Header=BB919_6 Depth=1
	v_add_co_u32 v36, s11, s4, v0
	s_wait_alu 0xf1ff
	v_add_co_ci_u32_e64 v37, null, s5, 0, s11
	global_load_u8 v16, v[36:37], off offset:7168
	s_wait_alu 0xfffe
	s_or_b32 exec_lo, exec_lo, s1
	s_delay_alu instid0(SALU_CYCLE_1)
	s_mov_b32 s1, exec_lo
	v_cmpx_gt_u32_e64 s8, v33
	s_cbranch_execnz .LBB919_23
	s_branch .LBB919_24
.LBB919_52:
	s_and_b32 vcc_lo, exec_lo, s1
	s_mov_b32 s0, -1
	s_wait_alu 0xfffe
	s_cbranch_vccz .LBB919_56
; %bb.53:
	s_mov_b32 s0, 0
	s_mov_b32 s1, exec_lo
	v_cmpx_eq_u32_e32 0, v0
	s_cbranch_execz .LBB919_55
; %bb.54:
	v_mov_b32_e32 v0, 0
	s_lshl_b64 s[4:5], s[2:3], 2
	s_wait_alu 0xfffe
	s_add_nc_u64 s[4:5], s[6:7], s[4:5]
	global_store_b32 v0, v18, s[4:5]
.LBB919_55:
	s_wait_alu 0xfffe
	s_or_b32 exec_lo, exec_lo, s1
.LBB919_56:
	v_cmp_eq_u32_e32 vcc_lo, 0, v0
	s_and_b32 s0, vcc_lo, s0
	s_wait_alu 0xfffe
	s_and_saveexec_b32 s1, s0
	s_cbranch_execz .LBB919_58
; %bb.57:
	v_mov_b32_e32 v0, 0
	s_lshl_b64 s[0:1], s[2:3], 2
	s_wait_kmcnt 0x0
	s_wait_alu 0xfffe
	s_add_nc_u64 s[0:1], s[6:7], s[0:1]
	global_store_b32 v0, v18, s[0:1]
.LBB919_58:
	s_endpgm
	.section	.rodata,"a",@progbits
	.p2align	6, 0x0
	.amdhsa_kernel _ZN2at4cuda3cub15calc_block_sumsILi512ELi16ELb1EbiEEvPKT2_PT3_li
		.amdhsa_group_segment_fixed_size 64
		.amdhsa_private_segment_fixed_size 0
		.amdhsa_kernarg_size 28
		.amdhsa_user_sgpr_count 2
		.amdhsa_user_sgpr_dispatch_ptr 0
		.amdhsa_user_sgpr_queue_ptr 0
		.amdhsa_user_sgpr_kernarg_segment_ptr 1
		.amdhsa_user_sgpr_dispatch_id 0
		.amdhsa_user_sgpr_private_segment_size 0
		.amdhsa_wavefront_size32 1
		.amdhsa_uses_dynamic_stack 0
		.amdhsa_enable_private_segment 0
		.amdhsa_system_sgpr_workgroup_id_x 1
		.amdhsa_system_sgpr_workgroup_id_y 0
		.amdhsa_system_sgpr_workgroup_id_z 0
		.amdhsa_system_sgpr_workgroup_info 0
		.amdhsa_system_vgpr_workitem_id 0
		.amdhsa_next_free_vgpr 38
		.amdhsa_next_free_sgpr 16
		.amdhsa_reserve_vcc 1
		.amdhsa_float_round_mode_32 0
		.amdhsa_float_round_mode_16_64 0
		.amdhsa_float_denorm_mode_32 3
		.amdhsa_float_denorm_mode_16_64 3
		.amdhsa_fp16_overflow 0
		.amdhsa_workgroup_processor_mode 1
		.amdhsa_memory_ordered 1
		.amdhsa_forward_progress 1
		.amdhsa_inst_pref_size 26
		.amdhsa_round_robin_scheduling 0
		.amdhsa_exception_fp_ieee_invalid_op 0
		.amdhsa_exception_fp_denorm_src 0
		.amdhsa_exception_fp_ieee_div_zero 0
		.amdhsa_exception_fp_ieee_overflow 0
		.amdhsa_exception_fp_ieee_underflow 0
		.amdhsa_exception_fp_ieee_inexact 0
		.amdhsa_exception_int_div_zero 0
	.end_amdhsa_kernel
	.section	.text._ZN2at4cuda3cub15calc_block_sumsILi512ELi16ELb1EbiEEvPKT2_PT3_li,"axG",@progbits,_ZN2at4cuda3cub15calc_block_sumsILi512ELi16ELb1EbiEEvPKT2_PT3_li,comdat
.Lfunc_end919:
	.size	_ZN2at4cuda3cub15calc_block_sumsILi512ELi16ELb1EbiEEvPKT2_PT3_li, .Lfunc_end919-_ZN2at4cuda3cub15calc_block_sumsILi512ELi16ELb1EbiEEvPKT2_PT3_li
                                        ; -- End function
	.set _ZN2at4cuda3cub15calc_block_sumsILi512ELi16ELb1EbiEEvPKT2_PT3_li.num_vgpr, 38
	.set _ZN2at4cuda3cub15calc_block_sumsILi512ELi16ELb1EbiEEvPKT2_PT3_li.num_agpr, 0
	.set _ZN2at4cuda3cub15calc_block_sumsILi512ELi16ELb1EbiEEvPKT2_PT3_li.numbered_sgpr, 16
	.set _ZN2at4cuda3cub15calc_block_sumsILi512ELi16ELb1EbiEEvPKT2_PT3_li.num_named_barrier, 0
	.set _ZN2at4cuda3cub15calc_block_sumsILi512ELi16ELb1EbiEEvPKT2_PT3_li.private_seg_size, 0
	.set _ZN2at4cuda3cub15calc_block_sumsILi512ELi16ELb1EbiEEvPKT2_PT3_li.uses_vcc, 1
	.set _ZN2at4cuda3cub15calc_block_sumsILi512ELi16ELb1EbiEEvPKT2_PT3_li.uses_flat_scratch, 0
	.set _ZN2at4cuda3cub15calc_block_sumsILi512ELi16ELb1EbiEEvPKT2_PT3_li.has_dyn_sized_stack, 0
	.set _ZN2at4cuda3cub15calc_block_sumsILi512ELi16ELb1EbiEEvPKT2_PT3_li.has_recursion, 0
	.set _ZN2at4cuda3cub15calc_block_sumsILi512ELi16ELb1EbiEEvPKT2_PT3_li.has_indirect_call, 0
	.section	.AMDGPU.csdata,"",@progbits
; Kernel info:
; codeLenInByte = 3248
; TotalNumSgprs: 18
; NumVgprs: 38
; ScratchSize: 0
; MemoryBound: 0
; FloatMode: 240
; IeeeMode: 1
; LDSByteSize: 64 bytes/workgroup (compile time only)
; SGPRBlocks: 0
; VGPRBlocks: 4
; NumSGPRsForWavesPerEU: 18
; NumVGPRsForWavesPerEU: 38
; Occupancy: 16
; WaveLimiterHint : 1
; COMPUTE_PGM_RSRC2:SCRATCH_EN: 0
; COMPUTE_PGM_RSRC2:USER_SGPR: 2
; COMPUTE_PGM_RSRC2:TRAP_HANDLER: 0
; COMPUTE_PGM_RSRC2:TGID_X_EN: 1
; COMPUTE_PGM_RSRC2:TGID_Y_EN: 0
; COMPUTE_PGM_RSRC2:TGID_Z_EN: 0
; COMPUTE_PGM_RSRC2:TIDIG_COMP_CNT: 0
	.section	.text._ZN2at6native12_GLOBAL__N_111flag_kernelILi512ELi16EbEEvPKT1_PlPKllli,"axG",@progbits,_ZN2at6native12_GLOBAL__N_111flag_kernelILi512ELi16EbEEvPKT1_PlPKllli,comdat
	.globl	_ZN2at6native12_GLOBAL__N_111flag_kernelILi512ELi16EbEEvPKT1_PlPKllli ; -- Begin function _ZN2at6native12_GLOBAL__N_111flag_kernelILi512ELi16EbEEvPKT1_PlPKllli
	.p2align	8
	.type	_ZN2at6native12_GLOBAL__N_111flag_kernelILi512ELi16EbEEvPKT1_PlPKllli,@function
_ZN2at6native12_GLOBAL__N_111flag_kernelILi512ELi16EbEEvPKT1_PlPKllli: ; @_ZN2at6native12_GLOBAL__N_111flag_kernelILi512ELi16EbEEvPKT1_PlPKllli
; %bb.0:
	s_clause 0x1
	s_load_b32 s26, s[0:1], 0x28
	s_load_b256 s[12:19], s[0:1], 0x0
	s_mov_b32 s2, ttmp9
	s_mov_b32 s3, 0
	s_wait_kmcnt 0x0
	s_lshl_b32 s4, s26, 13
	s_delay_alu instid0(SALU_CYCLE_1) | instskip(NEXT) | instid1(SALU_CYCLE_1)
	s_ashr_i32 s5, s4, 31
	s_mul_u64 s[20:21], s[4:5], s[2:3]
	s_delay_alu instid0(SALU_CYCLE_1)
	v_cmp_le_i64_e64 s2, s[18:19], s[20:21]
	s_and_b32 vcc_lo, exec_lo, s2
	s_cbranch_vccnz .LBB920_100
; %bb.1:
	s_load_b64 s[2:3], s[0:1], 0x20
	s_cmp_eq_u32 ttmp9, 0
	s_cbranch_scc1 .LBB920_3
; %bb.2:
	s_add_co_i32 s4, ttmp9, -1
	s_mov_b32 s5, 0
	s_delay_alu instid0(SALU_CYCLE_1) | instskip(NEXT) | instid1(SALU_CYCLE_1)
	s_lshl_b64 s[4:5], s[4:5], 3
	s_add_nc_u64 s[4:5], s[16:17], s[4:5]
	s_load_b64 s[4:5], s[4:5], 0x0
	s_cmp_lt_i32 s26, 1
	s_cbranch_scc0 .LBB920_4
	s_branch .LBB920_100
.LBB920_3:
	s_mov_b64 s[4:5], 0
	s_cmp_lt_i32 s26, 1
	s_cbranch_scc1 .LBB920_100
.LBB920_4:
	v_mbcnt_lo_u32_b32 v2, -1, 0
	v_lshlrev_b32_e32 v1, 4, v0
	s_wait_kmcnt 0x0
	s_sub_nc_u64 s[16:17], s[2:3], s[4:5]
	s_lshl_b64 s[24:25], s[4:5], 3
	v_lshrrev_b32_e32 v7, 3, v0
	v_and_b32_e32 v4, 15, v2
	v_and_b32_e32 v6, 0x3e00, v1
	;; [unrolled: 1-line block ×3, first 2 shown]
	v_or_b32_e32 v8, 0x800, v0
	v_and_b32_e32 v21, 0x7c, v7
	v_add_nc_u32_e32 v7, 0x200, v0
	v_add_nc_u32_e32 v9, 0xa00, v0
	v_cmp_eq_u32_e64 s6, 0, v1
	v_mov_b32_e32 v1, 0
	v_cmp_eq_u32_e64 s2, 0, v4
	v_cmp_lt_u32_e64 s3, 1, v4
	v_cmp_lt_u32_e64 s4, 3, v4
	;; [unrolled: 1-line block ×3, first 2 shown]
	v_sub_co_u32 v4, s8, v2, 1
	v_lshlrev_b32_e32 v22, 2, v0
	v_lshrrev_b32_e32 v8, 3, v8
	v_lshrrev_b32_e32 v9, 3, v9
	s_delay_alu instid0(VALU_DEP_4)
	v_cmp_gt_i32_e32 vcc_lo, 0, v4
	v_and_b32_e32 v3, 0x3e0, v0
	v_or_b32_e32 v38, v2, v6
	v_cmp_gt_u32_e64 s9, 16, v0
	v_cmp_lt_u32_e64 s10, 31, v0
	v_cndmask_b32_e32 v4, v4, v2, vcc_lo
	v_min_u32_e32 v5, 0x1e0, v3
	v_or_b32_e32 v43, 32, v38
	v_or_b32_e32 v44, 64, v38
	;; [unrolled: 1-line block ×3, first 2 shown]
	v_lshlrev_b32_e32 v24, 2, v4
	v_or_b32_e32 v5, 31, v5
	v_lshrrev_b32_e32 v4, 3, v7
	v_add_nc_u32_e32 v7, 0x600, v0
	v_or_b32_e32 v46, 0x80, v38
	v_or_b32_e32 v47, 0xa0, v38
	v_cmp_eq_u32_e64 s7, v0, v5
	v_lshlrev_b32_e32 v5, 1, v0
	v_and_b32_e32 v4, 0xfc, v4
	v_lshrrev_b32_e32 v7, 3, v7
	v_or_b32_e32 v48, 0xc0, v38
	v_or_b32_e32 v49, 0xe0, v38
	v_and_b32_e32 v5, 0x7fc, v5
	v_add_nc_u32_e32 v27, v22, v4
	v_or_b32_e32 v50, 0x100, v38
	v_or_b32_e32 v51, 0x120, v38
	;; [unrolled: 1-line block ×3, first 2 shown]
	v_lshl_add_u32 v25, v0, 6, v5
	v_or_b32_e32 v5, 0x400, v0
	v_or_b32_e32 v53, 0x160, v38
	;; [unrolled: 1-line block ×5, first 2 shown]
	v_lshrrev_b32_e32 v5, 3, v5
	v_or_b32_e32 v57, 0x1e0, v38
	v_or_b32_e32 v2, v2, v3
	v_add_co_u32 v75, s12, s12, v38
	s_delay_alu instid0(VALU_DEP_4)
	v_and_b32_e32 v4, 0xfc, v5
	v_and_b32_e32 v5, 0x1fc, v7
	;; [unrolled: 1-line block ×4, first 2 shown]
	v_or_b32_e32 v9, 0xc00, v0
	v_add_nc_u32_e32 v28, v22, v4
	v_add_nc_u32_e32 v29, v22, v5
	;; [unrolled: 1-line block ×4, first 2 shown]
	v_lshrrev_b32_e32 v4, 3, v9
	v_add_nc_u32_e32 v5, 0xe00, v0
	v_or_b32_e32 v7, 0x1000, v0
	v_add_nc_u32_e32 v8, 0x1200, v0
	v_or_b32_e32 v9, 0x1400, v0
	v_and_b32_e32 v4, 0x1fc, v4
	v_lshrrev_b32_e32 v5, 3, v5
	v_lshrrev_b32_e32 v7, 3, v7
	v_lshrrev_b32_e32 v8, 3, v8
	v_lshrrev_b32_e32 v9, 3, v9
	v_add_nc_u32_e32 v32, v22, v4
	v_and_b32_e32 v4, 0x3fc, v5
	v_and_b32_e32 v5, 0x27c, v7
	;; [unrolled: 1-line block ×4, first 2 shown]
	v_add_nc_u32_e32 v9, 0x1600, v0
	v_add_nc_u32_e32 v33, v22, v4
	v_add_nc_u32_e32 v34, v22, v5
	v_or_b32_e32 v5, 0x1800, v0
	v_add_nc_u32_e32 v35, v22, v7
	v_lshrrev_b32_e32 v4, 3, v9
	v_add_nc_u32_e32 v7, 0x1a00, v0
	v_add_nc_u32_e32 v36, v22, v8
	v_lshrrev_b32_e32 v5, 3, v5
	v_or_b32_e32 v8, 0x1c00, v0
	v_and_b32_e32 v4, 0x3fc, v4
	v_add_nc_u32_e32 v9, 0x1e00, v0
	v_lshrrev_b32_e32 v7, 3, v7
	v_add_nc_u32_e32 v23, -4, v21
	v_lshrrev_b32_e32 v8, 3, v8
	v_add_nc_u32_e32 v37, v22, v4
	v_and_b32_e32 v4, 0x37c, v5
	v_lshrrev_b32_e32 v9, 3, v9
	v_and_b32_e32 v5, 0x3fc, v7
	v_and_b32_e32 v7, 0x3fc, v8
	v_cmp_eq_u32_e64 s11, 0, v0
	v_add_nc_u32_e32 v39, v22, v4
	v_lshrrev_b32_e32 v4, 3, v43
	v_and_b32_e32 v8, 0x7fc, v9
	v_add_nc_u32_e32 v40, v22, v5
	v_lshrrev_b32_e32 v5, 3, v6
	v_lshlrev_b32_e32 v6, 2, v38
	v_and_b32_e32 v4, 0x7c4, v4
	v_add_nc_u32_e32 v41, v22, v7
	v_add_nc_u32_e32 v42, v22, v8
	v_lshrrev_b32_e32 v7, 3, v46
	v_add_nc_u32_e32 v58, v5, v6
	v_add_nc_u32_e32 v59, v4, v6
	v_lshrrev_b32_e32 v4, 3, v44
	v_lshrrev_b32_e32 v5, 3, v45
	;; [unrolled: 1-line block ×3, first 2 shown]
	v_and_b32_e32 v7, 0x7d0, v7
	v_lshrrev_b32_e32 v9, 3, v48
	v_and_b32_e32 v4, 0x7c8, v4
	v_and_b32_e32 v5, 0x7cc, v5
	;; [unrolled: 1-line block ×3, first 2 shown]
	v_add_nc_u32_e32 v62, v7, v6
	v_lshrrev_b32_e32 v7, 3, v51
	v_add_nc_u32_e32 v60, v4, v6
	v_add_nc_u32_e32 v61, v5, v6
	;; [unrolled: 1-line block ×3, first 2 shown]
	v_lshrrev_b32_e32 v4, 3, v49
	v_lshrrev_b32_e32 v5, 3, v50
	v_lshrrev_b32_e32 v8, 3, v52
	v_and_b32_e32 v9, 0x7d8, v9
	v_and_b32_e32 v7, 0x7e4, v7
	;; [unrolled: 1-line block ×5, first 2 shown]
	v_add_nc_u32_e32 v64, v9, v6
	v_lshrrev_b32_e32 v9, 3, v53
	v_add_nc_u32_e32 v65, v4, v6
	v_add_nc_u32_e32 v66, v5, v6
	;; [unrolled: 1-line block ×4, first 2 shown]
	v_lshrrev_b32_e32 v4, 3, v54
	v_lshrrev_b32_e32 v5, 3, v55
	;; [unrolled: 1-line block ×4, first 2 shown]
	v_and_b32_e32 v9, 0x7ec, v9
	v_and_b32_e32 v3, 0x7f0, v4
	;; [unrolled: 1-line block ×5, first 2 shown]
	v_lshlrev_b32_e32 v8, 4, v2
	v_bfe_u32 v2, v2, 1, 27
	v_add_nc_u32_e32 v26, v21, v22
	v_add_nc_u32_e32 v69, v9, v6
	;; [unrolled: 1-line block ×6, first 2 shown]
	v_add_lshl_u32 v74, v2, v8, 2
	s_wait_alu 0xf1ff
	v_add_co_ci_u32_e64 v76, null, s13, 0, s12
	s_movk_i32 s22, 0xe000
	s_mov_b32 s23, -1
	s_sub_nc_u64 s[12:13], s[18:19], s[20:21]
	s_add_nc_u64 s[14:15], s[14:15], s[24:25]
	s_add_nc_u64 s[0:1], s[0:1], 48
	s_branch .LBB920_6
.LBB920_5:                              ;   in Loop: Header=BB920_6 Depth=1
	s_and_not1_b32 vcc_lo, exec_lo, s24
	s_wait_alu 0xfffe
	s_cbranch_vccz .LBB920_100
.LBB920_6:                              ; =>This Inner Loop Header: Depth=1
	s_wait_alu 0xfffe
	v_cmp_gt_i64_e64 s18, 0x2000, s[12:13]
                                        ; implicit-def: $vgpr3
                                        ; implicit-def: $vgpr5
                                        ; implicit-def: $vgpr13
                                        ; implicit-def: $vgpr17
                                        ; implicit-def: $vgpr15
                                        ; implicit-def: $vgpr11
                                        ; implicit-def: $vgpr9
                                        ; implicit-def: $vgpr7
	s_and_b32 vcc_lo, exec_lo, s18
	s_mov_b32 s18, -1
	s_wait_alu 0xfffe
	s_cbranch_vccz .LBB920_25
; %bb.7:                                ;   in Loop: Header=BB920_6 Depth=1
	v_dual_mov_b32 v14, v1 :: v_dual_mov_b32 v15, v1
	v_dual_mov_b32 v2, v1 :: v_dual_mov_b32 v3, v1
	;; [unrolled: 1-line block ×7, first 2 shown]
	v_add_co_u32 v18, vcc_lo, v75, s20
	v_mov_b32_e32 v17, v15
	s_delay_alu instid0(VALU_DEP_3) | instskip(NEXT) | instid1(VALU_DEP_4)
	v_dual_mov_b32 v16, v14 :: v_dual_mov_b32 v15, v13
	v_mov_b32_e32 v14, v12
	v_mov_b32_e32 v13, v11
	;; [unrolled: 1-line block ×13, first 2 shown]
	s_wait_alu 0xfffd
	v_add_co_ci_u32_e64 v19, null, s21, v76, vcc_lo
	v_mov_b32_e32 v2, 0
	s_mov_b32 s18, exec_lo
	v_cmpx_gt_u32_e64 s12, v38
	s_cbranch_execnz .LBB920_85
; %bb.8:                                ;   in Loop: Header=BB920_6 Depth=1
	s_wait_alu 0xfffe
	s_or_b32 exec_lo, exec_lo, s18
	s_delay_alu instid0(SALU_CYCLE_1)
	s_mov_b32 s18, exec_lo
	v_cmpx_gt_u32_e64 s12, v43
	s_cbranch_execnz .LBB920_86
.LBB920_9:                              ;   in Loop: Header=BB920_6 Depth=1
	s_wait_alu 0xfffe
	s_or_b32 exec_lo, exec_lo, s18
	s_delay_alu instid0(SALU_CYCLE_1)
	s_mov_b32 s18, exec_lo
	v_cmpx_gt_u32_e64 s12, v44
	s_cbranch_execnz .LBB920_87
.LBB920_10:                             ;   in Loop: Header=BB920_6 Depth=1
	s_wait_alu 0xfffe
	s_or_b32 exec_lo, exec_lo, s18
	s_delay_alu instid0(SALU_CYCLE_1)
	s_mov_b32 s18, exec_lo
	v_cmpx_gt_u32_e64 s12, v45
	s_cbranch_execnz .LBB920_88
.LBB920_11:                             ;   in Loop: Header=BB920_6 Depth=1
	s_wait_alu 0xfffe
	s_or_b32 exec_lo, exec_lo, s18
	s_delay_alu instid0(SALU_CYCLE_1)
	s_mov_b32 s18, exec_lo
	v_cmpx_gt_u32_e64 s12, v46
	s_cbranch_execnz .LBB920_89
.LBB920_12:                             ;   in Loop: Header=BB920_6 Depth=1
	s_wait_alu 0xfffe
	s_or_b32 exec_lo, exec_lo, s18
	s_delay_alu instid0(SALU_CYCLE_1)
	s_mov_b32 s18, exec_lo
	v_cmpx_gt_u32_e64 s12, v47
	s_cbranch_execnz .LBB920_90
.LBB920_13:                             ;   in Loop: Header=BB920_6 Depth=1
	s_wait_alu 0xfffe
	s_or_b32 exec_lo, exec_lo, s18
	s_delay_alu instid0(SALU_CYCLE_1)
	s_mov_b32 s18, exec_lo
	v_cmpx_gt_u32_e64 s12, v48
	s_cbranch_execnz .LBB920_91
.LBB920_14:                             ;   in Loop: Header=BB920_6 Depth=1
	s_wait_alu 0xfffe
	s_or_b32 exec_lo, exec_lo, s18
	s_delay_alu instid0(SALU_CYCLE_1)
	s_mov_b32 s18, exec_lo
	v_cmpx_gt_u32_e64 s12, v49
	s_cbranch_execnz .LBB920_92
.LBB920_15:                             ;   in Loop: Header=BB920_6 Depth=1
	s_wait_alu 0xfffe
	s_or_b32 exec_lo, exec_lo, s18
	s_delay_alu instid0(SALU_CYCLE_1)
	s_mov_b32 s18, exec_lo
	v_cmpx_gt_u32_e64 s12, v50
	s_cbranch_execnz .LBB920_93
.LBB920_16:                             ;   in Loop: Header=BB920_6 Depth=1
	s_wait_alu 0xfffe
	s_or_b32 exec_lo, exec_lo, s18
	s_delay_alu instid0(SALU_CYCLE_1)
	s_mov_b32 s18, exec_lo
	v_cmpx_gt_u32_e64 s12, v51
	s_cbranch_execnz .LBB920_94
.LBB920_17:                             ;   in Loop: Header=BB920_6 Depth=1
	s_wait_alu 0xfffe
	s_or_b32 exec_lo, exec_lo, s18
	s_delay_alu instid0(SALU_CYCLE_1)
	s_mov_b32 s18, exec_lo
	v_cmpx_gt_u32_e64 s12, v52
	s_cbranch_execnz .LBB920_95
.LBB920_18:                             ;   in Loop: Header=BB920_6 Depth=1
	s_wait_alu 0xfffe
	s_or_b32 exec_lo, exec_lo, s18
	s_delay_alu instid0(SALU_CYCLE_1)
	s_mov_b32 s18, exec_lo
	v_cmpx_gt_u32_e64 s12, v53
	s_cbranch_execnz .LBB920_96
.LBB920_19:                             ;   in Loop: Header=BB920_6 Depth=1
	s_wait_alu 0xfffe
	s_or_b32 exec_lo, exec_lo, s18
	s_delay_alu instid0(SALU_CYCLE_1)
	s_mov_b32 s18, exec_lo
	v_cmpx_gt_u32_e64 s12, v54
	s_cbranch_execnz .LBB920_97
.LBB920_20:                             ;   in Loop: Header=BB920_6 Depth=1
	s_wait_alu 0xfffe
	s_or_b32 exec_lo, exec_lo, s18
	s_delay_alu instid0(SALU_CYCLE_1)
	s_mov_b32 s18, exec_lo
	v_cmpx_gt_u32_e64 s12, v55
	s_cbranch_execnz .LBB920_98
.LBB920_21:                             ;   in Loop: Header=BB920_6 Depth=1
	s_wait_alu 0xfffe
	s_or_b32 exec_lo, exec_lo, s18
	s_delay_alu instid0(SALU_CYCLE_1)
	s_mov_b32 s18, exec_lo
	v_cmpx_gt_u32_e64 s12, v56
	s_cbranch_execnz .LBB920_99
.LBB920_22:                             ;   in Loop: Header=BB920_6 Depth=1
	s_wait_alu 0xfffe
	s_or_b32 exec_lo, exec_lo, s18
	s_delay_alu instid0(SALU_CYCLE_1)
	s_mov_b32 s18, exec_lo
	v_cmpx_gt_u32_e64 s12, v57
	s_cbranch_execz .LBB920_24
.LBB920_23:                             ;   in Loop: Header=BB920_6 Depth=1
	global_load_u8 v17, v[18:19], off offset:480
.LBB920_24:                             ;   in Loop: Header=BB920_6 Depth=1
	s_wait_alu 0xfffe
	s_or_b32 exec_lo, exec_lo, s18
	ds_store_b32 v58, v2
	s_wait_loadcnt 0x0
	ds_store_b32 v59, v3 offset:128
	ds_store_b32 v60, v4 offset:256
	;; [unrolled: 1-line block ×15, first 2 shown]
	; wave barrier
	ds_load_2addr_b32 v[6:7], v74 offset1:1
	ds_load_2addr_b32 v[8:9], v74 offset0:2 offset1:3
	ds_load_2addr_b32 v[10:11], v74 offset0:4 offset1:5
	;; [unrolled: 1-line block ×7, first 2 shown]
	s_mov_b32 s18, 0
.LBB920_25:                             ;   in Loop: Header=BB920_6 Depth=1
	s_wait_alu 0xfffe
	s_and_b32 vcc_lo, exec_lo, s18
	s_wait_alu 0xfffe
	s_cbranch_vccz .LBB920_27
; %bb.26:                               ;   in Loop: Header=BB920_6 Depth=1
	s_wait_dscnt 0x0
	v_add_co_u32 v2, vcc_lo, v75, s20
	s_wait_alu 0xfffd
	v_add_co_ci_u32_e64 v3, null, s21, v76, vcc_lo
	s_clause 0xf
	global_load_u8 v4, v[2:3], off
	global_load_u8 v5, v[2:3], off offset:32
	global_load_u8 v6, v[2:3], off offset:64
	global_load_u8 v7, v[2:3], off offset:96
	global_load_u8 v8, v[2:3], off offset:128
	global_load_u8 v9, v[2:3], off offset:160
	global_load_u8 v10, v[2:3], off offset:192
	global_load_u8 v11, v[2:3], off offset:224
	global_load_u8 v12, v[2:3], off offset:256
	global_load_u8 v13, v[2:3], off offset:288
	global_load_u8 v14, v[2:3], off offset:320
	global_load_u8 v15, v[2:3], off offset:352
	global_load_u8 v16, v[2:3], off offset:384
	global_load_u8 v17, v[2:3], off offset:416
	global_load_u8 v18, v[2:3], off offset:448
	global_load_u8 v2, v[2:3], off offset:480
	s_wait_loadcnt 0xf
	ds_store_b32 v58, v4
	s_wait_loadcnt 0xe
	ds_store_b32 v59, v5 offset:128
	s_wait_loadcnt 0xd
	ds_store_b32 v60, v6 offset:256
	;; [unrolled: 2-line block ×15, first 2 shown]
	; wave barrier
	ds_load_2addr_b32 v[6:7], v74 offset1:1
	ds_load_2addr_b32 v[8:9], v74 offset0:2 offset1:3
	ds_load_2addr_b32 v[10:11], v74 offset0:4 offset1:5
	;; [unrolled: 1-line block ×7, first 2 shown]
.LBB920_27:                             ;   in Loop: Header=BB920_6 Depth=1
	s_wait_dscnt 0x7
	v_add_nc_u32_e32 v18, v7, v6
	s_wait_dscnt 0x0
	s_barrier_signal -1
	s_barrier_wait -1
	global_inv scope:SCOPE_SE
	v_add3_u32 v18, v18, v8, v9
	s_delay_alu instid0(VALU_DEP_1) | instskip(NEXT) | instid1(VALU_DEP_1)
	v_add3_u32 v18, v18, v10, v11
	v_add3_u32 v18, v18, v14, v15
	s_delay_alu instid0(VALU_DEP_1) | instskip(NEXT) | instid1(VALU_DEP_1)
	v_add3_u32 v18, v18, v16, v17
	;; [unrolled: 3-line block ×3, first 2 shown]
	v_add3_u32 v18, v18, v2, v3
	s_delay_alu instid0(VALU_DEP_1) | instskip(NEXT) | instid1(VALU_DEP_1)
	v_mov_b32_dpp v19, v18 row_shr:1 row_mask:0xf bank_mask:0xf
	v_cndmask_b32_e64 v19, v19, 0, s2
	s_delay_alu instid0(VALU_DEP_1) | instskip(NEXT) | instid1(VALU_DEP_1)
	v_add_nc_u32_e32 v18, v18, v19
	v_mov_b32_dpp v19, v18 row_shr:2 row_mask:0xf bank_mask:0xf
	s_delay_alu instid0(VALU_DEP_1) | instskip(NEXT) | instid1(VALU_DEP_1)
	v_cndmask_b32_e64 v19, 0, v19, s3
	v_add_nc_u32_e32 v18, v18, v19
	s_delay_alu instid0(VALU_DEP_1) | instskip(NEXT) | instid1(VALU_DEP_1)
	v_mov_b32_dpp v19, v18 row_shr:4 row_mask:0xf bank_mask:0xf
	v_cndmask_b32_e64 v19, 0, v19, s4
	s_delay_alu instid0(VALU_DEP_1) | instskip(NEXT) | instid1(VALU_DEP_1)
	v_add_nc_u32_e32 v18, v18, v19
	v_mov_b32_dpp v19, v18 row_shr:8 row_mask:0xf bank_mask:0xf
	s_delay_alu instid0(VALU_DEP_1) | instskip(NEXT) | instid1(VALU_DEP_1)
	v_cndmask_b32_e64 v19, 0, v19, s5
	v_add_nc_u32_e32 v18, v18, v19
	ds_swizzle_b32 v19, v18 offset:swizzle(BROADCAST,32,15)
	s_wait_dscnt 0x0
	v_cndmask_b32_e64 v19, v19, 0, s6
	s_delay_alu instid0(VALU_DEP_1)
	v_add_nc_u32_e32 v18, v18, v19
	s_and_saveexec_b32 s18, s7
; %bb.28:                               ;   in Loop: Header=BB920_6 Depth=1
	ds_store_b32 v21, v18
; %bb.29:                               ;   in Loop: Header=BB920_6 Depth=1
	s_wait_alu 0xfffe
	s_or_b32 exec_lo, exec_lo, s18
	s_wait_loadcnt_dscnt 0x0
	s_barrier_signal -1
	s_barrier_wait -1
	global_inv scope:SCOPE_SE
	s_and_saveexec_b32 s18, s9
	s_cbranch_execz .LBB920_31
; %bb.30:                               ;   in Loop: Header=BB920_6 Depth=1
	ds_load_b32 v19, v22
	s_wait_dscnt 0x0
	v_mov_b32_dpp v20, v19 row_shr:1 row_mask:0xf bank_mask:0xf
	s_delay_alu instid0(VALU_DEP_1) | instskip(NEXT) | instid1(VALU_DEP_1)
	v_cndmask_b32_e64 v20, v20, 0, s2
	v_add_nc_u32_e32 v19, v20, v19
	s_delay_alu instid0(VALU_DEP_1) | instskip(NEXT) | instid1(VALU_DEP_1)
	v_mov_b32_dpp v20, v19 row_shr:2 row_mask:0xf bank_mask:0xf
	v_cndmask_b32_e64 v20, 0, v20, s3
	s_delay_alu instid0(VALU_DEP_1) | instskip(NEXT) | instid1(VALU_DEP_1)
	v_add_nc_u32_e32 v19, v19, v20
	v_mov_b32_dpp v20, v19 row_shr:4 row_mask:0xf bank_mask:0xf
	s_delay_alu instid0(VALU_DEP_1) | instskip(NEXT) | instid1(VALU_DEP_1)
	v_cndmask_b32_e64 v20, 0, v20, s4
	v_add_nc_u32_e32 v19, v19, v20
	s_delay_alu instid0(VALU_DEP_1) | instskip(NEXT) | instid1(VALU_DEP_1)
	v_mov_b32_dpp v20, v19 row_shr:8 row_mask:0xf bank_mask:0xf
	v_cndmask_b32_e64 v20, 0, v20, s5
	s_delay_alu instid0(VALU_DEP_1)
	v_add_nc_u32_e32 v19, v19, v20
	ds_store_b32 v22, v19
.LBB920_31:                             ;   in Loop: Header=BB920_6 Depth=1
	s_wait_alu 0xfffe
	s_or_b32 exec_lo, exec_lo, s18
	v_mov_b32_e32 v19, 0
	s_wait_loadcnt_dscnt 0x0
	s_barrier_signal -1
	s_barrier_wait -1
	global_inv scope:SCOPE_SE
	s_and_saveexec_b32 s18, s10
; %bb.32:                               ;   in Loop: Header=BB920_6 Depth=1
	ds_load_b32 v19, v23
; %bb.33:                               ;   in Loop: Header=BB920_6 Depth=1
	s_wait_alu 0xfffe
	s_or_b32 exec_lo, exec_lo, s18
	s_wait_dscnt 0x0
	v_add_nc_u32_e32 v18, v19, v18
	ds_bpermute_b32 v18, v24, v18
	s_and_saveexec_b32 s18, s11
	s_cbranch_execz .LBB920_35
; %bb.34:                               ;   in Loop: Header=BB920_6 Depth=1
	ds_load_b32 v20, v1 offset:60
	s_wait_dscnt 0x0
	ds_store_b32 v1, v20 offset:33792
.LBB920_35:                             ;   in Loop: Header=BB920_6 Depth=1
	s_wait_alu 0xfffe
	s_or_b32 exec_lo, exec_lo, s18
	s_wait_dscnt 0x0
	v_cndmask_b32_e64 v18, v18, v19, s8
	s_wait_loadcnt 0x0
	s_barrier_signal -1
	s_barrier_wait -1
	global_inv scope:SCOPE_SE
	v_cndmask_b32_e64 v18, v18, 0, s11
	ds_store_2addr_b32 v25, v6, v7 offset1:1
	ds_store_2addr_b32 v25, v8, v9 offset0:2 offset1:3
	ds_store_2addr_b32 v25, v10, v11 offset0:4 offset1:5
	;; [unrolled: 1-line block ×7, first 2 shown]
	s_wait_loadcnt_dscnt 0x0
	s_barrier_signal -1
	v_add_nc_u32_e32 v19, v18, v6
	s_barrier_wait -1
	global_inv scope:SCOPE_SE
	ds_load_b32 v99, v26
	ds_load_b32 v91, v27 offset:2048
	ds_load_b32 v90, v28 offset:4096
	;; [unrolled: 1-line block ×15, first 2 shown]
	v_add_nc_u32_e32 v20, v19, v7
	s_wait_loadcnt_dscnt 0x0
	s_barrier_signal -1
	s_barrier_wait -1
	global_inv scope:SCOPE_SE
	v_add_nc_u32_e32 v92, v20, v8
	s_delay_alu instid0(VALU_DEP_1) | instskip(NEXT) | instid1(VALU_DEP_1)
	v_add_nc_u32_e32 v93, v92, v9
	v_add_nc_u32_e32 v94, v93, v10
	s_delay_alu instid0(VALU_DEP_1) | instskip(NEXT) | instid1(VALU_DEP_1)
	v_add_nc_u32_e32 v95, v94, v11
	;; [unrolled: 3-line block ×6, first 2 shown]
	v_add_nc_u32_e32 v2, v5, v2
	ds_store_2addr_b32 v25, v18, v19 offset1:1
	ds_store_2addr_b32 v25, v20, v92 offset0:2 offset1:3
	ds_store_2addr_b32 v25, v93, v94 offset0:4 offset1:5
	;; [unrolled: 1-line block ×7, first 2 shown]
	s_wait_loadcnt_dscnt 0x0
	s_barrier_signal -1
	s_barrier_wait -1
	global_inv scope:SCOPE_SE
	ds_load_b32 v18, v27 offset:2048
	ds_load_b32 v17, v28 offset:4096
	;; [unrolled: 1-line block ×15, first 2 shown]
	v_add_co_u32 v2, s18, v0, s20
	s_wait_alu 0xf1ff
	v_add_co_ci_u32_e64 v3, null, 0, s21, s18
	s_mov_b32 s18, exec_lo
	v_cmpx_ne_u32_e32 0, v99
	s_cbranch_execz .LBB920_38
; %bb.36:                               ;   in Loop: Header=BB920_6 Depth=1
	ds_load_b32 v19, v26
	s_wait_dscnt 0x0
	v_ashrrev_i32_e32 v20, 31, v19
	s_delay_alu instid0(VALU_DEP_1)
	v_cmp_gt_i64_e32 vcc_lo, s[16:17], v[19:20]
	s_and_b32 exec_lo, exec_lo, vcc_lo
	s_cbranch_execz .LBB920_38
; %bb.37:                               ;   in Loop: Header=BB920_6 Depth=1
	v_lshlrev_b64_e32 v[19:20], 3, v[19:20]
	s_delay_alu instid0(VALU_DEP_1) | instskip(SKIP_1) | instid1(VALU_DEP_2)
	v_add_co_u32 v19, vcc_lo, s14, v19
	s_wait_alu 0xfffd
	v_add_co_ci_u32_e64 v20, null, s15, v20, vcc_lo
	global_store_b64 v[19:20], v[2:3], off
.LBB920_38:                             ;   in Loop: Header=BB920_6 Depth=1
	s_wait_alu 0xfffe
	s_or_b32 exec_lo, exec_lo, s18
	s_delay_alu instid0(SALU_CYCLE_1)
	s_mov_b32 s18, exec_lo
	v_cmpx_ne_u32_e32 0, v91
	s_cbranch_execz .LBB920_41
; %bb.39:                               ;   in Loop: Header=BB920_6 Depth=1
	s_wait_dscnt 0xe
	v_ashrrev_i32_e32 v19, 31, v18
	s_delay_alu instid0(VALU_DEP_1)
	v_cmp_gt_i64_e32 vcc_lo, s[16:17], v[18:19]
	s_and_b32 exec_lo, exec_lo, vcc_lo
	s_cbranch_execz .LBB920_41
; %bb.40:                               ;   in Loop: Header=BB920_6 Depth=1
	s_load_b32 s19, s[0:1], 0xc
	v_lshlrev_b64_e32 v[18:19], 3, v[18:19]
	s_wait_kmcnt 0x0
	s_and_b32 s19, s19, 0xffff
	s_wait_alu 0xfffe
	v_add_co_u32 v91, vcc_lo, v2, s19
	s_wait_alu 0xfffd
	v_add_co_ci_u32_e64 v92, null, 0, v3, vcc_lo
	v_add_co_u32 v18, vcc_lo, s14, v18
	s_wait_alu 0xfffd
	v_add_co_ci_u32_e64 v19, null, s15, v19, vcc_lo
	global_store_b64 v[18:19], v[91:92], off
.LBB920_41:                             ;   in Loop: Header=BB920_6 Depth=1
	s_wait_alu 0xfffe
	s_or_b32 exec_lo, exec_lo, s18
	s_delay_alu instid0(SALU_CYCLE_1)
	s_mov_b32 s18, exec_lo
	v_cmpx_ne_u32_e32 0, v90
	s_cbranch_execz .LBB920_44
; %bb.42:                               ;   in Loop: Header=BB920_6 Depth=1
	s_wait_dscnt 0xd
	v_ashrrev_i32_e32 v18, 31, v17
	s_delay_alu instid0(VALU_DEP_1)
	v_cmp_gt_i64_e32 vcc_lo, s[16:17], v[17:18]
	s_and_b32 exec_lo, exec_lo, vcc_lo
	s_cbranch_execz .LBB920_44
; %bb.43:                               ;   in Loop: Header=BB920_6 Depth=1
	s_load_b32 s19, s[0:1], 0xc
	v_lshlrev_b64_e32 v[17:18], 3, v[17:18]
	s_wait_kmcnt 0x0
	s_and_b32 s19, s19, 0xffff
	s_wait_alu 0xfffe
	s_lshl_b32 s19, s19, 1
	s_wait_alu 0xfffe
	v_add_co_u32 v19, vcc_lo, v2, s19
	s_wait_alu 0xfffd
	v_add_co_ci_u32_e64 v20, null, 0, v3, vcc_lo
	v_add_co_u32 v17, vcc_lo, s14, v17
	s_wait_alu 0xfffd
	v_add_co_ci_u32_e64 v18, null, s15, v18, vcc_lo
	global_store_b64 v[17:18], v[19:20], off
.LBB920_44:                             ;   in Loop: Header=BB920_6 Depth=1
	s_wait_alu 0xfffe
	s_or_b32 exec_lo, exec_lo, s18
	s_delay_alu instid0(SALU_CYCLE_1)
	s_mov_b32 s18, exec_lo
	v_cmpx_ne_u32_e32 0, v89
	s_cbranch_execz .LBB920_47
; %bb.45:                               ;   in Loop: Header=BB920_6 Depth=1
	s_wait_dscnt 0xc
	v_ashrrev_i32_e32 v17, 31, v16
	s_delay_alu instid0(VALU_DEP_1)
	v_cmp_gt_i64_e32 vcc_lo, s[16:17], v[16:17]
	s_and_b32 exec_lo, exec_lo, vcc_lo
	s_cbranch_execz .LBB920_47
; %bb.46:                               ;   in Loop: Header=BB920_6 Depth=1
	s_load_b32 s19, s[0:1], 0xc
	v_lshlrev_b64_e32 v[16:17], 3, v[16:17]
	s_wait_kmcnt 0x0
	s_and_b32 s19, s19, 0xffff
	s_wait_alu 0xfffe
	s_mul_i32 s19, s19, 3
	s_wait_alu 0xfffe
	v_add_co_u32 v18, vcc_lo, v2, s19
	s_wait_alu 0xfffd
	v_add_co_ci_u32_e64 v19, null, 0, v3, vcc_lo
	v_add_co_u32 v16, vcc_lo, s14, v16
	s_wait_alu 0xfffd
	v_add_co_ci_u32_e64 v17, null, s15, v17, vcc_lo
	global_store_b64 v[16:17], v[18:19], off
.LBB920_47:                             ;   in Loop: Header=BB920_6 Depth=1
	s_wait_alu 0xfffe
	s_or_b32 exec_lo, exec_lo, s18
	s_delay_alu instid0(SALU_CYCLE_1)
	s_mov_b32 s18, exec_lo
	v_cmpx_ne_u32_e32 0, v88
	s_cbranch_execz .LBB920_50
; %bb.48:                               ;   in Loop: Header=BB920_6 Depth=1
	s_wait_dscnt 0xb
	v_ashrrev_i32_e32 v16, 31, v15
	s_delay_alu instid0(VALU_DEP_1)
	v_cmp_gt_i64_e32 vcc_lo, s[16:17], v[15:16]
	s_and_b32 exec_lo, exec_lo, vcc_lo
	s_cbranch_execz .LBB920_50
; %bb.49:                               ;   in Loop: Header=BB920_6 Depth=1
	s_load_b32 s19, s[0:1], 0xc
	v_lshlrev_b64_e32 v[15:16], 3, v[15:16]
	s_wait_kmcnt 0x0
	s_and_b32 s19, s19, 0xffff
	s_wait_alu 0xfffe
	s_lshl_b32 s19, s19, 2
	s_wait_alu 0xfffe
	v_add_co_u32 v17, vcc_lo, v2, s19
	s_wait_alu 0xfffd
	v_add_co_ci_u32_e64 v18, null, 0, v3, vcc_lo
	v_add_co_u32 v15, vcc_lo, s14, v15
	s_wait_alu 0xfffd
	v_add_co_ci_u32_e64 v16, null, s15, v16, vcc_lo
	global_store_b64 v[15:16], v[17:18], off
.LBB920_50:                             ;   in Loop: Header=BB920_6 Depth=1
	s_wait_alu 0xfffe
	s_or_b32 exec_lo, exec_lo, s18
	s_delay_alu instid0(SALU_CYCLE_1)
	s_mov_b32 s18, exec_lo
	v_cmpx_ne_u32_e32 0, v87
	s_cbranch_execz .LBB920_53
; %bb.51:                               ;   in Loop: Header=BB920_6 Depth=1
	s_wait_dscnt 0xa
	v_ashrrev_i32_e32 v15, 31, v14
	s_delay_alu instid0(VALU_DEP_1)
	v_cmp_gt_i64_e32 vcc_lo, s[16:17], v[14:15]
	s_and_b32 exec_lo, exec_lo, vcc_lo
	s_cbranch_execz .LBB920_53
; %bb.52:                               ;   in Loop: Header=BB920_6 Depth=1
	s_load_b32 s19, s[0:1], 0xc
	v_lshlrev_b64_e32 v[14:15], 3, v[14:15]
	s_wait_kmcnt 0x0
	s_and_b32 s19, s19, 0xffff
	s_wait_alu 0xfffe
	s_mul_i32 s19, s19, 5
	s_wait_alu 0xfffe
	v_add_co_u32 v16, vcc_lo, v2, s19
	s_wait_alu 0xfffd
	v_add_co_ci_u32_e64 v17, null, 0, v3, vcc_lo
	v_add_co_u32 v14, vcc_lo, s14, v14
	s_wait_alu 0xfffd
	v_add_co_ci_u32_e64 v15, null, s15, v15, vcc_lo
	global_store_b64 v[14:15], v[16:17], off
.LBB920_53:                             ;   in Loop: Header=BB920_6 Depth=1
	s_wait_alu 0xfffe
	s_or_b32 exec_lo, exec_lo, s18
	s_delay_alu instid0(SALU_CYCLE_1)
	s_mov_b32 s18, exec_lo
	v_cmpx_ne_u32_e32 0, v86
	s_cbranch_execz .LBB920_56
; %bb.54:                               ;   in Loop: Header=BB920_6 Depth=1
	s_wait_dscnt 0x9
	v_ashrrev_i32_e32 v14, 31, v13
	s_delay_alu instid0(VALU_DEP_1)
	v_cmp_gt_i64_e32 vcc_lo, s[16:17], v[13:14]
	s_and_b32 exec_lo, exec_lo, vcc_lo
	s_cbranch_execz .LBB920_56
; %bb.55:                               ;   in Loop: Header=BB920_6 Depth=1
	s_load_b32 s19, s[0:1], 0xc
	v_lshlrev_b64_e32 v[13:14], 3, v[13:14]
	s_wait_kmcnt 0x0
	s_and_b32 s19, s19, 0xffff
	s_wait_alu 0xfffe
	s_mul_i32 s19, s19, 6
	s_wait_alu 0xfffe
	v_add_co_u32 v15, vcc_lo, v2, s19
	s_wait_alu 0xfffd
	v_add_co_ci_u32_e64 v16, null, 0, v3, vcc_lo
	v_add_co_u32 v13, vcc_lo, s14, v13
	s_wait_alu 0xfffd
	v_add_co_ci_u32_e64 v14, null, s15, v14, vcc_lo
	global_store_b64 v[13:14], v[15:16], off
.LBB920_56:                             ;   in Loop: Header=BB920_6 Depth=1
	;; [unrolled: 29-line block ×3, first 2 shown]
	s_wait_alu 0xfffe
	s_or_b32 exec_lo, exec_lo, s18
	s_delay_alu instid0(SALU_CYCLE_1)
	s_mov_b32 s18, exec_lo
	v_cmpx_ne_u32_e32 0, v84
	s_cbranch_execz .LBB920_62
; %bb.60:                               ;   in Loop: Header=BB920_6 Depth=1
	s_wait_dscnt 0x7
	v_ashrrev_i32_e32 v12, 31, v11
	s_delay_alu instid0(VALU_DEP_1)
	v_cmp_gt_i64_e32 vcc_lo, s[16:17], v[11:12]
	s_and_b32 exec_lo, exec_lo, vcc_lo
	s_cbranch_execz .LBB920_62
; %bb.61:                               ;   in Loop: Header=BB920_6 Depth=1
	s_load_b32 s19, s[0:1], 0xc
	v_lshlrev_b64_e32 v[11:12], 3, v[11:12]
	s_wait_kmcnt 0x0
	s_and_b32 s19, s19, 0xffff
	s_wait_alu 0xfffe
	s_lshl_b32 s19, s19, 3
	s_wait_alu 0xfffe
	v_add_co_u32 v13, vcc_lo, v2, s19
	s_wait_alu 0xfffd
	v_add_co_ci_u32_e64 v14, null, 0, v3, vcc_lo
	v_add_co_u32 v11, vcc_lo, s14, v11
	s_wait_alu 0xfffd
	v_add_co_ci_u32_e64 v12, null, s15, v12, vcc_lo
	global_store_b64 v[11:12], v[13:14], off
.LBB920_62:                             ;   in Loop: Header=BB920_6 Depth=1
	s_wait_alu 0xfffe
	s_or_b32 exec_lo, exec_lo, s18
	s_delay_alu instid0(SALU_CYCLE_1)
	s_mov_b32 s18, exec_lo
	v_cmpx_ne_u32_e32 0, v83
	s_cbranch_execz .LBB920_65
; %bb.63:                               ;   in Loop: Header=BB920_6 Depth=1
	s_wait_dscnt 0x6
	v_ashrrev_i32_e32 v11, 31, v10
	s_delay_alu instid0(VALU_DEP_1)
	v_cmp_gt_i64_e32 vcc_lo, s[16:17], v[10:11]
	s_and_b32 exec_lo, exec_lo, vcc_lo
	s_cbranch_execz .LBB920_65
; %bb.64:                               ;   in Loop: Header=BB920_6 Depth=1
	s_load_b32 s19, s[0:1], 0xc
	v_lshlrev_b64_e32 v[10:11], 3, v[10:11]
	s_wait_kmcnt 0x0
	s_and_b32 s19, s19, 0xffff
	s_wait_alu 0xfffe
	s_mul_i32 s19, s19, 9
	s_wait_alu 0xfffe
	v_add_co_u32 v12, vcc_lo, v2, s19
	s_wait_alu 0xfffd
	v_add_co_ci_u32_e64 v13, null, 0, v3, vcc_lo
	v_add_co_u32 v10, vcc_lo, s14, v10
	s_wait_alu 0xfffd
	v_add_co_ci_u32_e64 v11, null, s15, v11, vcc_lo
	global_store_b64 v[10:11], v[12:13], off
.LBB920_65:                             ;   in Loop: Header=BB920_6 Depth=1
	s_wait_alu 0xfffe
	s_or_b32 exec_lo, exec_lo, s18
	s_delay_alu instid0(SALU_CYCLE_1)
	s_mov_b32 s18, exec_lo
	v_cmpx_ne_u32_e32 0, v82
	s_cbranch_execz .LBB920_68
; %bb.66:                               ;   in Loop: Header=BB920_6 Depth=1
	s_wait_dscnt 0x5
	v_ashrrev_i32_e32 v10, 31, v9
	s_delay_alu instid0(VALU_DEP_1)
	v_cmp_gt_i64_e32 vcc_lo, s[16:17], v[9:10]
	s_and_b32 exec_lo, exec_lo, vcc_lo
	s_cbranch_execz .LBB920_68
; %bb.67:                               ;   in Loop: Header=BB920_6 Depth=1
	s_load_b32 s19, s[0:1], 0xc
	v_lshlrev_b64_e32 v[9:10], 3, v[9:10]
	s_wait_kmcnt 0x0
	s_and_b32 s19, s19, 0xffff
	s_wait_alu 0xfffe
	s_mul_i32 s19, s19, 10
	s_wait_alu 0xfffe
	v_add_co_u32 v11, vcc_lo, v2, s19
	s_wait_alu 0xfffd
	v_add_co_ci_u32_e64 v12, null, 0, v3, vcc_lo
	v_add_co_u32 v9, vcc_lo, s14, v9
	s_wait_alu 0xfffd
	v_add_co_ci_u32_e64 v10, null, s15, v10, vcc_lo
	global_store_b64 v[9:10], v[11:12], off
.LBB920_68:                             ;   in Loop: Header=BB920_6 Depth=1
	;; [unrolled: 29-line block ×7, first 2 shown]
	s_wait_alu 0xfffe
	s_or_b32 exec_lo, exec_lo, s18
	ds_load_b32 v2, v1 offset:33792
	v_cmp_lt_i64_e64 s24, 0x2000, s[12:13]
	s_wait_dscnt 0x0
	v_readfirstlane_b32 s18, v2
	s_ashr_i32 s19, s18, 31
	s_wait_alu 0xfffe
	s_sub_nc_u64 s[16:17], s[16:17], s[18:19]
	s_wait_alu 0xfffe
	v_cmp_gt_i64_e64 s25, s[16:17], 0
	s_and_b32 s24, s24, s25
	s_delay_alu instid0(SALU_CYCLE_1)
	s_and_not1_b32 vcc_lo, exec_lo, s24
	s_mov_b32 s24, -1
	s_wait_alu 0xfffe
	s_cbranch_vccnz .LBB920_5
; %bb.84:                               ;   in Loop: Header=BB920_6 Depth=1
	s_add_co_i32 s26, s26, -1
	s_lshl_b64 s[18:19], s[18:19], 3
	s_cmp_eq_u32 s26, 0
	s_add_nc_u64 s[12:13], s[12:13], s[22:23]
	s_wait_alu 0xfffe
	s_add_nc_u64 s[14:15], s[14:15], s[18:19]
	s_add_nc_u64 s[20:21], s[20:21], 0x2000
	s_cselect_b32 s24, -1, 0
	s_wait_loadcnt 0x0
	s_wait_storecnt 0x0
	s_barrier_signal -1
	s_barrier_wait -1
	global_inv scope:SCOPE_SE
	s_branch .LBB920_5
.LBB920_85:                             ;   in Loop: Header=BB920_6 Depth=1
	global_load_u8 v20, v[18:19], off
	v_dual_mov_b32 v14, v1 :: v_dual_mov_b32 v15, v1
	v_dual_mov_b32 v2, v1 :: v_dual_mov_b32 v3, v1
	;; [unrolled: 1-line block ×7, first 2 shown]
	v_mov_b32_e32 v17, v15
	s_delay_alu instid0(VALU_DEP_2) | instskip(NEXT) | instid1(VALU_DEP_3)
	v_dual_mov_b32 v16, v14 :: v_dual_mov_b32 v15, v13
	v_mov_b32_e32 v14, v12
	v_mov_b32_e32 v13, v11
	;; [unrolled: 1-line block ×13, first 2 shown]
	s_wait_loadcnt 0x0
	v_and_b32_e32 v2, 0xffff, v20
	s_wait_alu 0xfffe
	s_or_b32 exec_lo, exec_lo, s18
	s_delay_alu instid0(SALU_CYCLE_1)
	s_mov_b32 s18, exec_lo
	v_cmpx_gt_u32_e64 s12, v43
	s_cbranch_execz .LBB920_9
.LBB920_86:                             ;   in Loop: Header=BB920_6 Depth=1
	global_load_u8 v3, v[18:19], off offset:32
	s_wait_alu 0xfffe
	s_or_b32 exec_lo, exec_lo, s18
	s_delay_alu instid0(SALU_CYCLE_1)
	s_mov_b32 s18, exec_lo
	v_cmpx_gt_u32_e64 s12, v44
	s_cbranch_execz .LBB920_10
.LBB920_87:                             ;   in Loop: Header=BB920_6 Depth=1
	global_load_u8 v4, v[18:19], off offset:64
	s_wait_alu 0xfffe
	s_or_b32 exec_lo, exec_lo, s18
	s_delay_alu instid0(SALU_CYCLE_1)
	s_mov_b32 s18, exec_lo
	v_cmpx_gt_u32_e64 s12, v45
	s_cbranch_execz .LBB920_11
.LBB920_88:                             ;   in Loop: Header=BB920_6 Depth=1
	global_load_u8 v5, v[18:19], off offset:96
	s_wait_alu 0xfffe
	s_or_b32 exec_lo, exec_lo, s18
	s_delay_alu instid0(SALU_CYCLE_1)
	s_mov_b32 s18, exec_lo
	v_cmpx_gt_u32_e64 s12, v46
	s_cbranch_execz .LBB920_12
.LBB920_89:                             ;   in Loop: Header=BB920_6 Depth=1
	global_load_u8 v6, v[18:19], off offset:128
	s_wait_alu 0xfffe
	s_or_b32 exec_lo, exec_lo, s18
	s_delay_alu instid0(SALU_CYCLE_1)
	s_mov_b32 s18, exec_lo
	v_cmpx_gt_u32_e64 s12, v47
	s_cbranch_execz .LBB920_13
.LBB920_90:                             ;   in Loop: Header=BB920_6 Depth=1
	global_load_u8 v7, v[18:19], off offset:160
	s_wait_alu 0xfffe
	s_or_b32 exec_lo, exec_lo, s18
	s_delay_alu instid0(SALU_CYCLE_1)
	s_mov_b32 s18, exec_lo
	v_cmpx_gt_u32_e64 s12, v48
	s_cbranch_execz .LBB920_14
.LBB920_91:                             ;   in Loop: Header=BB920_6 Depth=1
	global_load_u8 v8, v[18:19], off offset:192
	s_wait_alu 0xfffe
	s_or_b32 exec_lo, exec_lo, s18
	s_delay_alu instid0(SALU_CYCLE_1)
	s_mov_b32 s18, exec_lo
	v_cmpx_gt_u32_e64 s12, v49
	s_cbranch_execz .LBB920_15
.LBB920_92:                             ;   in Loop: Header=BB920_6 Depth=1
	global_load_u8 v9, v[18:19], off offset:224
	s_wait_alu 0xfffe
	s_or_b32 exec_lo, exec_lo, s18
	s_delay_alu instid0(SALU_CYCLE_1)
	s_mov_b32 s18, exec_lo
	v_cmpx_gt_u32_e64 s12, v50
	s_cbranch_execz .LBB920_16
.LBB920_93:                             ;   in Loop: Header=BB920_6 Depth=1
	global_load_u8 v10, v[18:19], off offset:256
	s_wait_alu 0xfffe
	s_or_b32 exec_lo, exec_lo, s18
	s_delay_alu instid0(SALU_CYCLE_1)
	s_mov_b32 s18, exec_lo
	v_cmpx_gt_u32_e64 s12, v51
	s_cbranch_execz .LBB920_17
.LBB920_94:                             ;   in Loop: Header=BB920_6 Depth=1
	global_load_u8 v11, v[18:19], off offset:288
	s_wait_alu 0xfffe
	s_or_b32 exec_lo, exec_lo, s18
	s_delay_alu instid0(SALU_CYCLE_1)
	s_mov_b32 s18, exec_lo
	v_cmpx_gt_u32_e64 s12, v52
	s_cbranch_execz .LBB920_18
.LBB920_95:                             ;   in Loop: Header=BB920_6 Depth=1
	global_load_u8 v12, v[18:19], off offset:320
	s_wait_alu 0xfffe
	s_or_b32 exec_lo, exec_lo, s18
	s_delay_alu instid0(SALU_CYCLE_1)
	s_mov_b32 s18, exec_lo
	v_cmpx_gt_u32_e64 s12, v53
	s_cbranch_execz .LBB920_19
.LBB920_96:                             ;   in Loop: Header=BB920_6 Depth=1
	global_load_u8 v13, v[18:19], off offset:352
	s_wait_alu 0xfffe
	s_or_b32 exec_lo, exec_lo, s18
	s_delay_alu instid0(SALU_CYCLE_1)
	s_mov_b32 s18, exec_lo
	v_cmpx_gt_u32_e64 s12, v54
	s_cbranch_execz .LBB920_20
.LBB920_97:                             ;   in Loop: Header=BB920_6 Depth=1
	global_load_u8 v14, v[18:19], off offset:384
	s_wait_alu 0xfffe
	s_or_b32 exec_lo, exec_lo, s18
	s_delay_alu instid0(SALU_CYCLE_1)
	s_mov_b32 s18, exec_lo
	v_cmpx_gt_u32_e64 s12, v55
	s_cbranch_execz .LBB920_21
.LBB920_98:                             ;   in Loop: Header=BB920_6 Depth=1
	global_load_u8 v15, v[18:19], off offset:416
	s_wait_alu 0xfffe
	s_or_b32 exec_lo, exec_lo, s18
	s_delay_alu instid0(SALU_CYCLE_1)
	s_mov_b32 s18, exec_lo
	v_cmpx_gt_u32_e64 s12, v56
	s_cbranch_execz .LBB920_22
.LBB920_99:                             ;   in Loop: Header=BB920_6 Depth=1
	global_load_u8 v16, v[18:19], off offset:448
	s_wait_alu 0xfffe
	s_or_b32 exec_lo, exec_lo, s18
	s_delay_alu instid0(SALU_CYCLE_1)
	s_mov_b32 s18, exec_lo
	v_cmpx_gt_u32_e64 s12, v57
	s_cbranch_execnz .LBB920_23
	s_branch .LBB920_24
.LBB920_100:
	s_nop 0
	s_sendmsg sendmsg(MSG_DEALLOC_VGPRS)
	s_endpgm
	.section	.rodata,"a",@progbits
	.p2align	6, 0x0
	.amdhsa_kernel _ZN2at6native12_GLOBAL__N_111flag_kernelILi512ELi16EbEEvPKT1_PlPKllli
		.amdhsa_group_segment_fixed_size 33796
		.amdhsa_private_segment_fixed_size 0
		.amdhsa_kernarg_size 304
		.amdhsa_user_sgpr_count 2
		.amdhsa_user_sgpr_dispatch_ptr 0
		.amdhsa_user_sgpr_queue_ptr 0
		.amdhsa_user_sgpr_kernarg_segment_ptr 1
		.amdhsa_user_sgpr_dispatch_id 0
		.amdhsa_user_sgpr_private_segment_size 0
		.amdhsa_wavefront_size32 1
		.amdhsa_uses_dynamic_stack 0
		.amdhsa_enable_private_segment 0
		.amdhsa_system_sgpr_workgroup_id_x 1
		.amdhsa_system_sgpr_workgroup_id_y 0
		.amdhsa_system_sgpr_workgroup_id_z 0
		.amdhsa_system_sgpr_workgroup_info 0
		.amdhsa_system_vgpr_workitem_id 0
		.amdhsa_next_free_vgpr 100
		.amdhsa_next_free_sgpr 27
		.amdhsa_reserve_vcc 1
		.amdhsa_float_round_mode_32 0
		.amdhsa_float_round_mode_16_64 0
		.amdhsa_float_denorm_mode_32 3
		.amdhsa_float_denorm_mode_16_64 3
		.amdhsa_fp16_overflow 0
		.amdhsa_workgroup_processor_mode 1
		.amdhsa_memory_ordered 1
		.amdhsa_forward_progress 1
		.amdhsa_inst_pref_size 52
		.amdhsa_round_robin_scheduling 0
		.amdhsa_exception_fp_ieee_invalid_op 0
		.amdhsa_exception_fp_denorm_src 0
		.amdhsa_exception_fp_ieee_div_zero 0
		.amdhsa_exception_fp_ieee_overflow 0
		.amdhsa_exception_fp_ieee_underflow 0
		.amdhsa_exception_fp_ieee_inexact 0
		.amdhsa_exception_int_div_zero 0
	.end_amdhsa_kernel
	.section	.text._ZN2at6native12_GLOBAL__N_111flag_kernelILi512ELi16EbEEvPKT1_PlPKllli,"axG",@progbits,_ZN2at6native12_GLOBAL__N_111flag_kernelILi512ELi16EbEEvPKT1_PlPKllli,comdat
.Lfunc_end920:
	.size	_ZN2at6native12_GLOBAL__N_111flag_kernelILi512ELi16EbEEvPKT1_PlPKllli, .Lfunc_end920-_ZN2at6native12_GLOBAL__N_111flag_kernelILi512ELi16EbEEvPKT1_PlPKllli
                                        ; -- End function
	.set _ZN2at6native12_GLOBAL__N_111flag_kernelILi512ELi16EbEEvPKT1_PlPKllli.num_vgpr, 100
	.set _ZN2at6native12_GLOBAL__N_111flag_kernelILi512ELi16EbEEvPKT1_PlPKllli.num_agpr, 0
	.set _ZN2at6native12_GLOBAL__N_111flag_kernelILi512ELi16EbEEvPKT1_PlPKllli.numbered_sgpr, 27
	.set _ZN2at6native12_GLOBAL__N_111flag_kernelILi512ELi16EbEEvPKT1_PlPKllli.num_named_barrier, 0
	.set _ZN2at6native12_GLOBAL__N_111flag_kernelILi512ELi16EbEEvPKT1_PlPKllli.private_seg_size, 0
	.set _ZN2at6native12_GLOBAL__N_111flag_kernelILi512ELi16EbEEvPKT1_PlPKllli.uses_vcc, 1
	.set _ZN2at6native12_GLOBAL__N_111flag_kernelILi512ELi16EbEEvPKT1_PlPKllli.uses_flat_scratch, 0
	.set _ZN2at6native12_GLOBAL__N_111flag_kernelILi512ELi16EbEEvPKT1_PlPKllli.has_dyn_sized_stack, 0
	.set _ZN2at6native12_GLOBAL__N_111flag_kernelILi512ELi16EbEEvPKT1_PlPKllli.has_recursion, 0
	.set _ZN2at6native12_GLOBAL__N_111flag_kernelILi512ELi16EbEEvPKT1_PlPKllli.has_indirect_call, 0
	.section	.AMDGPU.csdata,"",@progbits
; Kernel info:
; codeLenInByte = 6612
; TotalNumSgprs: 29
; NumVgprs: 100
; ScratchSize: 0
; MemoryBound: 0
; FloatMode: 240
; IeeeMode: 1
; LDSByteSize: 33796 bytes/workgroup (compile time only)
; SGPRBlocks: 0
; VGPRBlocks: 12
; NumSGPRsForWavesPerEU: 29
; NumVGPRsForWavesPerEU: 100
; Occupancy: 12
; WaveLimiterHint : 0
; COMPUTE_PGM_RSRC2:SCRATCH_EN: 0
; COMPUTE_PGM_RSRC2:USER_SGPR: 2
; COMPUTE_PGM_RSRC2:TRAP_HANDLER: 0
; COMPUTE_PGM_RSRC2:TGID_X_EN: 1
; COMPUTE_PGM_RSRC2:TGID_Y_EN: 0
; COMPUTE_PGM_RSRC2:TGID_Z_EN: 0
; COMPUTE_PGM_RSRC2:TIDIG_COMP_CNT: 0
	.section	.text._ZN2at4cuda3cub15calc_block_sumsILi512ELi16ELb1EN3c108BFloat16EiEEvPKT2_PT3_li,"axG",@progbits,_ZN2at4cuda3cub15calc_block_sumsILi512ELi16ELb1EN3c108BFloat16EiEEvPKT2_PT3_li,comdat
	.protected	_ZN2at4cuda3cub15calc_block_sumsILi512ELi16ELb1EN3c108BFloat16EiEEvPKT2_PT3_li ; -- Begin function _ZN2at4cuda3cub15calc_block_sumsILi512ELi16ELb1EN3c108BFloat16EiEEvPKT2_PT3_li
	.globl	_ZN2at4cuda3cub15calc_block_sumsILi512ELi16ELb1EN3c108BFloat16EiEEvPKT2_PT3_li
	.p2align	8
	.type	_ZN2at4cuda3cub15calc_block_sumsILi512ELi16ELb1EN3c108BFloat16EiEEvPKT2_PT3_li,@function
_ZN2at4cuda3cub15calc_block_sumsILi512ELi16ELb1EN3c108BFloat16EiEEvPKT2_PT3_li: ; @_ZN2at4cuda3cub15calc_block_sumsILi512ELi16ELb1EN3c108BFloat16EiEEvPKT2_PT3_li
; %bb.0:
	s_load_b96 s[8:10], s[0:1], 0x10
	s_mov_b32 s2, ttmp9
	s_mov_b32 s3, 0
	s_wait_kmcnt 0x0
	s_lshl_b32 s4, s10, 13
	s_delay_alu instid0(SALU_CYCLE_1) | instskip(NEXT) | instid1(SALU_CYCLE_1)
	s_ashr_i32 s5, s4, 31
	s_mul_u64 s[12:13], s[4:5], s[2:3]
	s_delay_alu instid0(SALU_CYCLE_1) | instskip(NEXT) | instid1(SALU_CYCLE_1)
	s_sub_nc_u64 s[8:9], s[8:9], s[12:13]
	v_cmp_lt_i64_e64 s4, s[8:9], 1
	s_and_b32 vcc_lo, exec_lo, s4
	s_cbranch_vccnz .LBB921_58
; %bb.1:
	s_load_b128 s[4:7], s[0:1], 0x0
	s_mov_b32 s0, -1
	s_cmp_gt_i32 s10, 0
	s_mov_b32 s1, -1
	s_cbranch_scc1 .LBB921_3
; %bb.2:
	s_mov_b32 s1, 0
.LBB921_3:
	v_mov_b32_e32 v20, 0
	s_and_not1_b32 vcc_lo, exec_lo, s1
	s_cbranch_vccnz .LBB921_56
; %bb.4:
	v_lshrrev_b32_e32 v1, 3, v0
	s_lshl_b64 s[12:13], s[12:13], 1
	v_dual_mov_b32 v20, 0 :: v_dual_add_nc_u32 v21, 0x200, v0
	s_wait_kmcnt 0x0
	s_add_nc_u64 s[4:5], s[4:5], s[12:13]
	v_and_b32_e32 v36, 0x7c, v1
	v_lshlrev_b32_e32 v1, 1, v0
	v_or_b32_e32 v22, 0x400, v0
	v_add_nc_u32_e32 v23, 0x600, v0
	v_or_b32_e32 v24, 0x800, v0
	v_add_nc_u32_e32 v25, 0xa00, v0
	v_add_co_u32 v2, s1, s4, v1
	s_delay_alu instid0(VALU_DEP_1) | instskip(SKIP_1) | instid1(VALU_DEP_3)
	v_add_co_ci_u32_e64 v3, null, s5, 0, s1
	v_or_b32_e32 v26, 0xc00, v0
	v_add_co_u32 v18, vcc_lo, 0x3c00, v2
	v_add_nc_u32_e32 v27, 0xe00, v0
	v_or_b32_e32 v28, 0x1000, v0
	v_add_nc_u32_e32 v29, 0x1200, v0
	v_or_b32_e32 v30, 0x1400, v0
	;; [unrolled: 2-line block ×4, first 2 shown]
	v_add_nc_u32_e32 v35, 0x1e00, v0
	v_cmp_gt_u32_e64 s0, 32, v0
	v_mov_b32_e32 v1, 0
	v_add_co_ci_u32_e64 v19, null, 0, v3, vcc_lo
	v_mbcnt_lo_u32_b32 v37, -1, 0
	s_movk_i32 s4, 0xe000
	s_mov_b32 s5, -1
	s_branch .LBB921_6
.LBB921_5:                              ;   in Loop: Header=BB921_6 Depth=1
	v_add_nc_u32_e32 v20, v2, v20
	s_and_not1_b32 vcc_lo, exec_lo, s11
	s_wait_alu 0xfffe
	s_cbranch_vccz .LBB921_52
.LBB921_6:                              ; =>This Inner Loop Header: Depth=1
	v_cmp_gt_i64_e64 s1, 0x2000, s[8:9]
                                        ; implicit-def: $vgpr2
	s_and_b32 vcc_lo, exec_lo, s1
	s_mov_b32 s1, -1
	s_wait_alu 0xfffe
	s_cbranch_vccz .LBB921_29
; %bb.7:                                ;   in Loop: Header=BB921_6 Depth=1
	v_mov_b32_e32 v16, v1
	v_dual_mov_b32 v2, v1 :: v_dual_mov_b32 v3, v1
	v_dual_mov_b32 v4, v1 :: v_dual_mov_b32 v5, v1
	;; [unrolled: 1-line block ×7, first 2 shown]
	v_mov_b32_e32 v17, v16
	s_delay_alu instid0(VALU_DEP_2) | instskip(NEXT) | instid1(VALU_DEP_3)
	v_mov_b32_e32 v16, v15
	v_mov_b32_e32 v15, v14
	;; [unrolled: 1-line block ×15, first 2 shown]
	s_mov_b32 s1, exec_lo
	v_cmpx_gt_u32_e64 s8, v0
	s_cbranch_execnz .LBB921_37
; %bb.8:                                ;   in Loop: Header=BB921_6 Depth=1
	s_wait_alu 0xfffe
	s_or_b32 exec_lo, exec_lo, s1
	s_delay_alu instid0(SALU_CYCLE_1)
	s_mov_b32 s1, exec_lo
	v_cmpx_gt_u32_e64 s8, v21
	s_cbranch_execnz .LBB921_38
.LBB921_9:                              ;   in Loop: Header=BB921_6 Depth=1
	s_wait_alu 0xfffe
	s_or_b32 exec_lo, exec_lo, s1
	s_delay_alu instid0(SALU_CYCLE_1)
	s_mov_b32 s1, exec_lo
	v_cmpx_gt_u32_e64 s8, v22
	s_cbranch_execnz .LBB921_39
.LBB921_10:                             ;   in Loop: Header=BB921_6 Depth=1
	s_wait_alu 0xfffe
	s_or_b32 exec_lo, exec_lo, s1
	s_delay_alu instid0(SALU_CYCLE_1)
	s_mov_b32 s1, exec_lo
	v_cmpx_gt_u32_e64 s8, v23
	s_cbranch_execnz .LBB921_40
.LBB921_11:                             ;   in Loop: Header=BB921_6 Depth=1
	s_wait_alu 0xfffe
	s_or_b32 exec_lo, exec_lo, s1
	s_delay_alu instid0(SALU_CYCLE_1)
	s_mov_b32 s1, exec_lo
	v_cmpx_gt_u32_e64 s8, v24
	s_cbranch_execnz .LBB921_41
.LBB921_12:                             ;   in Loop: Header=BB921_6 Depth=1
	s_wait_alu 0xfffe
	s_or_b32 exec_lo, exec_lo, s1
	s_delay_alu instid0(SALU_CYCLE_1)
	s_mov_b32 s1, exec_lo
	v_cmpx_gt_u32_e64 s8, v25
	s_cbranch_execnz .LBB921_42
.LBB921_13:                             ;   in Loop: Header=BB921_6 Depth=1
	s_wait_alu 0xfffe
	s_or_b32 exec_lo, exec_lo, s1
	s_delay_alu instid0(SALU_CYCLE_1)
	s_mov_b32 s1, exec_lo
	v_cmpx_gt_u32_e64 s8, v26
	s_cbranch_execnz .LBB921_43
.LBB921_14:                             ;   in Loop: Header=BB921_6 Depth=1
	s_wait_alu 0xfffe
	s_or_b32 exec_lo, exec_lo, s1
	s_delay_alu instid0(SALU_CYCLE_1)
	s_mov_b32 s1, exec_lo
	v_cmpx_gt_u32_e64 s8, v27
	s_cbranch_execnz .LBB921_44
.LBB921_15:                             ;   in Loop: Header=BB921_6 Depth=1
	s_wait_alu 0xfffe
	s_or_b32 exec_lo, exec_lo, s1
	s_delay_alu instid0(SALU_CYCLE_1)
	s_mov_b32 s1, exec_lo
	v_cmpx_gt_u32_e64 s8, v28
	s_cbranch_execnz .LBB921_45
.LBB921_16:                             ;   in Loop: Header=BB921_6 Depth=1
	s_wait_alu 0xfffe
	s_or_b32 exec_lo, exec_lo, s1
	s_delay_alu instid0(SALU_CYCLE_1)
	s_mov_b32 s1, exec_lo
	v_cmpx_gt_u32_e64 s8, v29
	s_cbranch_execnz .LBB921_46
.LBB921_17:                             ;   in Loop: Header=BB921_6 Depth=1
	s_wait_alu 0xfffe
	s_or_b32 exec_lo, exec_lo, s1
	s_delay_alu instid0(SALU_CYCLE_1)
	s_mov_b32 s1, exec_lo
	v_cmpx_gt_u32_e64 s8, v30
	s_cbranch_execnz .LBB921_47
.LBB921_18:                             ;   in Loop: Header=BB921_6 Depth=1
	s_wait_alu 0xfffe
	s_or_b32 exec_lo, exec_lo, s1
	s_delay_alu instid0(SALU_CYCLE_1)
	s_mov_b32 s1, exec_lo
	v_cmpx_gt_u32_e64 s8, v31
	s_cbranch_execnz .LBB921_48
.LBB921_19:                             ;   in Loop: Header=BB921_6 Depth=1
	s_wait_alu 0xfffe
	s_or_b32 exec_lo, exec_lo, s1
	s_delay_alu instid0(SALU_CYCLE_1)
	s_mov_b32 s1, exec_lo
	v_cmpx_gt_u32_e64 s8, v32
	s_cbranch_execnz .LBB921_49
.LBB921_20:                             ;   in Loop: Header=BB921_6 Depth=1
	s_wait_alu 0xfffe
	s_or_b32 exec_lo, exec_lo, s1
	s_delay_alu instid0(SALU_CYCLE_1)
	s_mov_b32 s1, exec_lo
	v_cmpx_gt_u32_e64 s8, v33
	s_cbranch_execnz .LBB921_50
.LBB921_21:                             ;   in Loop: Header=BB921_6 Depth=1
	s_wait_alu 0xfffe
	s_or_b32 exec_lo, exec_lo, s1
	s_delay_alu instid0(SALU_CYCLE_1)
	s_mov_b32 s1, exec_lo
	v_cmpx_gt_u32_e64 s8, v34
	s_cbranch_execnz .LBB921_51
.LBB921_22:                             ;   in Loop: Header=BB921_6 Depth=1
	s_wait_alu 0xfffe
	s_or_b32 exec_lo, exec_lo, s1
	s_delay_alu instid0(SALU_CYCLE_1)
	s_mov_b32 s1, exec_lo
	v_cmpx_gt_u32_e64 s8, v35
	s_cbranch_execz .LBB921_24
.LBB921_23:                             ;   in Loop: Header=BB921_6 Depth=1
	global_load_u16 v17, v[18:19], off
	s_wait_loadcnt 0x0
	v_and_b32_e32 v17, 0x7fff, v17
	s_delay_alu instid0(VALU_DEP_1)
	v_cmp_ne_u16_e32 vcc_lo, 0, v17
	s_wait_alu 0xfffd
	v_cndmask_b32_e64 v17, 0, 1, vcc_lo
.LBB921_24:                             ;   in Loop: Header=BB921_6 Depth=1
	s_wait_alu 0xfffe
	s_or_b32 exec_lo, exec_lo, s1
	v_add_nc_u32_e32 v2, v3, v2
	s_mov_b32 s1, exec_lo
	s_barrier_signal -1
	s_barrier_wait -1
	s_delay_alu instid0(VALU_DEP_1) | instskip(SKIP_2) | instid1(VALU_DEP_1)
	v_add3_u32 v2, v2, v4, v5
	global_inv scope:SCOPE_SE
	v_add3_u32 v2, v2, v6, v7
	v_add3_u32 v2, v2, v8, v9
	s_delay_alu instid0(VALU_DEP_1) | instskip(NEXT) | instid1(VALU_DEP_1)
	v_add3_u32 v2, v2, v10, v11
	v_add3_u32 v2, v2, v12, v13
	s_delay_alu instid0(VALU_DEP_1) | instskip(NEXT) | instid1(VALU_DEP_1)
	;; [unrolled: 3-line block ×3, first 2 shown]
	v_mov_b32_dpp v3, v2 quad_perm:[1,0,3,2] row_mask:0xf bank_mask:0xf
	v_add_nc_u32_e32 v2, v2, v3
	s_delay_alu instid0(VALU_DEP_1) | instskip(NEXT) | instid1(VALU_DEP_1)
	v_mov_b32_dpp v3, v2 quad_perm:[2,3,0,1] row_mask:0xf bank_mask:0xf
	v_add_nc_u32_e32 v2, v2, v3
	s_delay_alu instid0(VALU_DEP_1) | instskip(NEXT) | instid1(VALU_DEP_1)
	v_mov_b32_dpp v3, v2 row_ror:4 row_mask:0xf bank_mask:0xf
	v_add_nc_u32_e32 v2, v2, v3
	s_delay_alu instid0(VALU_DEP_1) | instskip(NEXT) | instid1(VALU_DEP_1)
	v_mov_b32_dpp v3, v2 row_ror:8 row_mask:0xf bank_mask:0xf
	v_add_nc_u32_e32 v2, v2, v3
	ds_swizzle_b32 v3, v2 offset:swizzle(BROADCAST,32,15)
	s_wait_dscnt 0x0
	v_add_nc_u32_e32 v2, v2, v3
	ds_bpermute_b32 v2, v1, v2 offset:124
	v_cmpx_eq_u32_e32 0, v37
	s_cbranch_execz .LBB921_26
; %bb.25:                               ;   in Loop: Header=BB921_6 Depth=1
	s_wait_dscnt 0x0
	ds_store_b32 v36, v2
.LBB921_26:                             ;   in Loop: Header=BB921_6 Depth=1
	s_wait_alu 0xfffe
	s_or_b32 exec_lo, exec_lo, s1
	s_wait_loadcnt_dscnt 0x0
	s_barrier_signal -1
	s_barrier_wait -1
	global_inv scope:SCOPE_SE
	s_and_saveexec_b32 s1, s0
	s_cbranch_execz .LBB921_28
; %bb.27:                               ;   in Loop: Header=BB921_6 Depth=1
	v_and_b32_e32 v2, 15, v37
	s_delay_alu instid0(VALU_DEP_1)
	v_lshlrev_b32_e32 v3, 2, v2
	v_cmp_ne_u32_e32 vcc_lo, 15, v2
	ds_load_b32 v3, v3
	s_wait_alu 0xfffd
	v_add_co_ci_u32_e64 v4, null, 0, v37, vcc_lo
	v_cmp_gt_u32_e32 vcc_lo, 14, v2
	s_delay_alu instid0(VALU_DEP_2) | instskip(SKIP_3) | instid1(VALU_DEP_2)
	v_lshlrev_b32_e32 v4, 2, v4
	s_wait_alu 0xfffd
	v_cndmask_b32_e64 v5, 0, 2, vcc_lo
	v_cmp_gt_u32_e32 vcc_lo, 12, v2
	v_add_lshl_u32 v5, v5, v37, 2
	s_wait_alu 0xfffd
	v_cndmask_b32_e64 v2, 0, 4, vcc_lo
	s_delay_alu instid0(VALU_DEP_1)
	v_add_lshl_u32 v2, v2, v37, 2
	s_wait_dscnt 0x0
	ds_bpermute_b32 v4, v4, v3
	s_wait_dscnt 0x0
	v_add_nc_u32_e32 v3, v4, v3
	ds_bpermute_b32 v4, v5, v3
	s_wait_dscnt 0x0
	v_add_nc_u32_e32 v3, v4, v3
	v_lshlrev_b32_e32 v4, 2, v37
	ds_bpermute_b32 v2, v2, v3
	s_wait_dscnt 0x0
	v_add_nc_u32_e32 v2, v2, v3
	v_or_b32_e32 v3, 32, v4
	ds_bpermute_b32 v3, v3, v2
	s_wait_dscnt 0x0
	v_add_nc_u32_e32 v2, v3, v2
.LBB921_28:                             ;   in Loop: Header=BB921_6 Depth=1
	s_wait_alu 0xfffe
	s_or_b32 exec_lo, exec_lo, s1
	s_mov_b32 s1, 0
.LBB921_29:                             ;   in Loop: Header=BB921_6 Depth=1
	s_wait_alu 0xfffe
	s_and_b32 vcc_lo, exec_lo, s1
	s_wait_alu 0xfffe
	s_cbranch_vccz .LBB921_35
; %bb.30:                               ;   in Loop: Header=BB921_6 Depth=1
	s_clause 0xf
	global_load_u16 v2, v[18:19], off offset:-15360
	global_load_u16 v3, v[18:19], off offset:-14336
	;; [unrolled: 1-line block ×15, first 2 shown]
	global_load_u16 v17, v[18:19], off
	s_mov_b32 s1, exec_lo
	s_wait_loadcnt 0x0
	s_barrier_signal -1
	s_barrier_wait -1
	global_inv scope:SCOPE_SE
	v_and_b32_e32 v2, 0x7fff, v2
	v_and_b32_e32 v3, 0x7fff, v3
	;; [unrolled: 1-line block ×5, first 2 shown]
	v_cmp_ne_u16_e32 vcc_lo, 0, v2
	v_and_b32_e32 v8, 0x7fff, v8
	v_and_b32_e32 v7, 0x7fff, v7
	;; [unrolled: 1-line block ×4, first 2 shown]
	s_wait_alu 0xfffd
	v_cndmask_b32_e64 v2, 0, 1, vcc_lo
	v_cmp_ne_u16_e32 vcc_lo, 0, v4
	v_and_b32_e32 v12, 0x7fff, v12
	v_and_b32_e32 v11, 0x7fff, v11
	;; [unrolled: 1-line block ×4, first 2 shown]
	s_wait_alu 0xfffd
	v_cndmask_b32_e64 v4, 0, 1, vcc_lo
	v_cmp_ne_u16_e32 vcc_lo, 0, v3
	v_and_b32_e32 v16, 0x7fff, v16
	v_and_b32_e32 v15, 0x7fff, v15
	s_wait_alu 0xfffd
	v_add_co_ci_u32_e64 v2, null, 0, v2, vcc_lo
	v_cmp_ne_u16_e32 vcc_lo, 0, v6
	s_wait_alu 0xfffd
	v_cndmask_b32_e64 v3, 0, 1, vcc_lo
	v_cmp_ne_u16_e32 vcc_lo, 0, v5
	v_and_b32_e32 v5, 0x7fff, v17
	s_wait_alu 0xfffd
	v_add_co_ci_u32_e64 v2, null, v2, v4, vcc_lo
	v_cmp_ne_u16_e32 vcc_lo, 0, v8
	s_wait_alu 0xfffd
	v_cndmask_b32_e64 v4, 0, 1, vcc_lo
	v_cmp_ne_u16_e32 vcc_lo, 0, v7
	s_wait_alu 0xfffd
	v_add_co_ci_u32_e64 v2, null, v2, v3, vcc_lo
	v_cmp_ne_u16_e32 vcc_lo, 0, v10
	s_wait_alu 0xfffd
	v_cndmask_b32_e64 v3, 0, 1, vcc_lo
	v_cmp_ne_u16_e32 vcc_lo, 0, v9
	;; [unrolled: 6-line block ×5, first 2 shown]
	s_wait_alu 0xfffd
	v_add_co_ci_u32_e64 v2, null, v2, v3, vcc_lo
	v_cmp_ne_u16_e32 vcc_lo, 0, v5
	s_wait_alu 0xfffd
	s_delay_alu instid0(VALU_DEP_2) | instskip(NEXT) | instid1(VALU_DEP_1)
	v_add_co_ci_u32_e64 v2, null, v2, v4, vcc_lo
	v_mov_b32_dpp v3, v2 quad_perm:[1,0,3,2] row_mask:0xf bank_mask:0xf
	s_delay_alu instid0(VALU_DEP_1) | instskip(NEXT) | instid1(VALU_DEP_1)
	v_add_nc_u32_e32 v2, v3, v2
	v_mov_b32_dpp v3, v2 quad_perm:[2,3,0,1] row_mask:0xf bank_mask:0xf
	s_delay_alu instid0(VALU_DEP_1) | instskip(NEXT) | instid1(VALU_DEP_1)
	v_add_nc_u32_e32 v2, v2, v3
	v_mov_b32_dpp v3, v2 row_ror:4 row_mask:0xf bank_mask:0xf
	s_delay_alu instid0(VALU_DEP_1) | instskip(NEXT) | instid1(VALU_DEP_1)
	v_add_nc_u32_e32 v2, v2, v3
	v_mov_b32_dpp v3, v2 row_ror:8 row_mask:0xf bank_mask:0xf
	s_delay_alu instid0(VALU_DEP_1)
	v_add_nc_u32_e32 v2, v2, v3
	ds_swizzle_b32 v3, v2 offset:swizzle(BROADCAST,32,15)
	s_wait_dscnt 0x0
	v_add_nc_u32_e32 v2, v2, v3
	ds_bpermute_b32 v2, v1, v2 offset:124
	v_cmpx_eq_u32_e32 0, v37
	s_cbranch_execz .LBB921_32
; %bb.31:                               ;   in Loop: Header=BB921_6 Depth=1
	s_wait_dscnt 0x0
	ds_store_b32 v36, v2
.LBB921_32:                             ;   in Loop: Header=BB921_6 Depth=1
	s_wait_alu 0xfffe
	s_or_b32 exec_lo, exec_lo, s1
	s_wait_loadcnt_dscnt 0x0
	s_barrier_signal -1
	s_barrier_wait -1
	global_inv scope:SCOPE_SE
	s_and_saveexec_b32 s1, s0
	s_cbranch_execz .LBB921_34
; %bb.33:                               ;   in Loop: Header=BB921_6 Depth=1
	v_and_b32_e32 v2, 15, v37
	s_delay_alu instid0(VALU_DEP_1)
	v_lshlrev_b32_e32 v3, 2, v2
	v_cmp_ne_u32_e32 vcc_lo, 15, v2
	ds_load_b32 v3, v3
	s_wait_alu 0xfffd
	v_add_co_ci_u32_e64 v4, null, 0, v37, vcc_lo
	v_cmp_gt_u32_e32 vcc_lo, 14, v2
	s_delay_alu instid0(VALU_DEP_2) | instskip(SKIP_3) | instid1(VALU_DEP_2)
	v_lshlrev_b32_e32 v4, 2, v4
	s_wait_alu 0xfffd
	v_cndmask_b32_e64 v5, 0, 2, vcc_lo
	v_cmp_gt_u32_e32 vcc_lo, 12, v2
	v_add_lshl_u32 v5, v5, v37, 2
	s_wait_alu 0xfffd
	v_cndmask_b32_e64 v2, 0, 4, vcc_lo
	s_delay_alu instid0(VALU_DEP_1)
	v_add_lshl_u32 v2, v2, v37, 2
	s_wait_dscnt 0x0
	ds_bpermute_b32 v4, v4, v3
	s_wait_dscnt 0x0
	v_add_nc_u32_e32 v3, v4, v3
	ds_bpermute_b32 v4, v5, v3
	s_wait_dscnt 0x0
	v_add_nc_u32_e32 v3, v4, v3
	v_lshlrev_b32_e32 v4, 2, v37
	ds_bpermute_b32 v2, v2, v3
	s_wait_dscnt 0x0
	v_add_nc_u32_e32 v2, v2, v3
	v_or_b32_e32 v3, 32, v4
	ds_bpermute_b32 v3, v3, v2
	s_wait_dscnt 0x0
	v_add_nc_u32_e32 v2, v3, v2
.LBB921_34:                             ;   in Loop: Header=BB921_6 Depth=1
	s_wait_alu 0xfffe
	s_or_b32 exec_lo, exec_lo, s1
.LBB921_35:                             ;   in Loop: Header=BB921_6 Depth=1
	v_cmp_lt_i64_e64 s11, 0x2000, s[8:9]
	s_mov_b32 s1, -1
	s_and_b32 vcc_lo, exec_lo, s11
	s_mov_b32 s11, -1
	s_wait_alu 0xfffe
	s_cbranch_vccz .LBB921_5
; %bb.36:                               ;   in Loop: Header=BB921_6 Depth=1
	v_add_co_u32 v18, vcc_lo, 0x4000, v18
	s_add_co_i32 s10, s10, -1
	s_wait_alu 0xfffd
	v_add_co_ci_u32_e64 v19, null, 0, v19, vcc_lo
	s_cmp_eq_u32 s10, 0
	s_add_nc_u64 s[8:9], s[8:9], s[4:5]
	s_mov_b32 s1, 0
	s_cselect_b32 s11, -1, 0
	s_wait_loadcnt 0x0
	s_barrier_signal -1
	s_barrier_wait -1
	global_inv scope:SCOPE_SE
	s_branch .LBB921_5
.LBB921_37:                             ;   in Loop: Header=BB921_6 Depth=1
	global_load_u16 v2, v[18:19], off offset:-15360
	v_dual_mov_b32 v3, v1 :: v_dual_mov_b32 v4, v1
	v_dual_mov_b32 v5, v1 :: v_dual_mov_b32 v6, v1
	;; [unrolled: 1-line block ×7, first 2 shown]
	s_wait_loadcnt 0x0
	v_dual_mov_b32 v9, v1 :: v_dual_and_b32 v2, 0x7fff, v2
	s_delay_alu instid0(VALU_DEP_1) | instskip(SKIP_2) | instid1(VALU_DEP_1)
	v_cmp_ne_u16_e32 vcc_lo, 0, v2
	s_wait_alu 0xfffd
	v_cndmask_b32_e64 v2, 0, 1, vcc_lo
	v_and_b32_e32 v2, 0xffff, v2
	s_wait_alu 0xfffe
	s_or_b32 exec_lo, exec_lo, s1
	s_delay_alu instid0(SALU_CYCLE_1)
	s_mov_b32 s1, exec_lo
	v_cmpx_gt_u32_e64 s8, v21
	s_cbranch_execz .LBB921_9
.LBB921_38:                             ;   in Loop: Header=BB921_6 Depth=1
	global_load_u16 v3, v[18:19], off offset:-14336
	s_wait_loadcnt 0x0
	v_and_b32_e32 v3, 0x7fff, v3
	s_delay_alu instid0(VALU_DEP_1) | instskip(SKIP_4) | instid1(SALU_CYCLE_1)
	v_cmp_ne_u16_e32 vcc_lo, 0, v3
	s_wait_alu 0xfffd
	v_cndmask_b32_e64 v3, 0, 1, vcc_lo
	s_wait_alu 0xfffe
	s_or_b32 exec_lo, exec_lo, s1
	s_mov_b32 s1, exec_lo
	v_cmpx_gt_u32_e64 s8, v22
	s_cbranch_execz .LBB921_10
.LBB921_39:                             ;   in Loop: Header=BB921_6 Depth=1
	global_load_u16 v4, v[18:19], off offset:-13312
	s_wait_loadcnt 0x0
	v_and_b32_e32 v4, 0x7fff, v4
	s_delay_alu instid0(VALU_DEP_1) | instskip(SKIP_4) | instid1(SALU_CYCLE_1)
	v_cmp_ne_u16_e32 vcc_lo, 0, v4
	s_wait_alu 0xfffd
	v_cndmask_b32_e64 v4, 0, 1, vcc_lo
	s_wait_alu 0xfffe
	s_or_b32 exec_lo, exec_lo, s1
	s_mov_b32 s1, exec_lo
	v_cmpx_gt_u32_e64 s8, v23
	s_cbranch_execz .LBB921_11
.LBB921_40:                             ;   in Loop: Header=BB921_6 Depth=1
	global_load_u16 v5, v[18:19], off offset:-12288
	s_wait_loadcnt 0x0
	v_and_b32_e32 v5, 0x7fff, v5
	s_delay_alu instid0(VALU_DEP_1) | instskip(SKIP_4) | instid1(SALU_CYCLE_1)
	v_cmp_ne_u16_e32 vcc_lo, 0, v5
	s_wait_alu 0xfffd
	v_cndmask_b32_e64 v5, 0, 1, vcc_lo
	s_wait_alu 0xfffe
	s_or_b32 exec_lo, exec_lo, s1
	s_mov_b32 s1, exec_lo
	v_cmpx_gt_u32_e64 s8, v24
	s_cbranch_execz .LBB921_12
.LBB921_41:                             ;   in Loop: Header=BB921_6 Depth=1
	global_load_u16 v6, v[18:19], off offset:-11264
	s_wait_loadcnt 0x0
	v_and_b32_e32 v6, 0x7fff, v6
	s_delay_alu instid0(VALU_DEP_1) | instskip(SKIP_4) | instid1(SALU_CYCLE_1)
	v_cmp_ne_u16_e32 vcc_lo, 0, v6
	s_wait_alu 0xfffd
	v_cndmask_b32_e64 v6, 0, 1, vcc_lo
	s_wait_alu 0xfffe
	s_or_b32 exec_lo, exec_lo, s1
	s_mov_b32 s1, exec_lo
	v_cmpx_gt_u32_e64 s8, v25
	s_cbranch_execz .LBB921_13
.LBB921_42:                             ;   in Loop: Header=BB921_6 Depth=1
	global_load_u16 v7, v[18:19], off offset:-10240
	s_wait_loadcnt 0x0
	v_and_b32_e32 v7, 0x7fff, v7
	s_delay_alu instid0(VALU_DEP_1) | instskip(SKIP_4) | instid1(SALU_CYCLE_1)
	v_cmp_ne_u16_e32 vcc_lo, 0, v7
	s_wait_alu 0xfffd
	v_cndmask_b32_e64 v7, 0, 1, vcc_lo
	s_wait_alu 0xfffe
	s_or_b32 exec_lo, exec_lo, s1
	s_mov_b32 s1, exec_lo
	v_cmpx_gt_u32_e64 s8, v26
	s_cbranch_execz .LBB921_14
.LBB921_43:                             ;   in Loop: Header=BB921_6 Depth=1
	global_load_u16 v8, v[18:19], off offset:-9216
	s_wait_loadcnt 0x0
	v_and_b32_e32 v8, 0x7fff, v8
	s_delay_alu instid0(VALU_DEP_1) | instskip(SKIP_4) | instid1(SALU_CYCLE_1)
	v_cmp_ne_u16_e32 vcc_lo, 0, v8
	s_wait_alu 0xfffd
	v_cndmask_b32_e64 v8, 0, 1, vcc_lo
	s_wait_alu 0xfffe
	s_or_b32 exec_lo, exec_lo, s1
	s_mov_b32 s1, exec_lo
	v_cmpx_gt_u32_e64 s8, v27
	s_cbranch_execz .LBB921_15
.LBB921_44:                             ;   in Loop: Header=BB921_6 Depth=1
	global_load_u16 v9, v[18:19], off offset:-8192
	s_wait_loadcnt 0x0
	v_and_b32_e32 v9, 0x7fff, v9
	s_delay_alu instid0(VALU_DEP_1) | instskip(SKIP_4) | instid1(SALU_CYCLE_1)
	v_cmp_ne_u16_e32 vcc_lo, 0, v9
	s_wait_alu 0xfffd
	v_cndmask_b32_e64 v9, 0, 1, vcc_lo
	s_wait_alu 0xfffe
	s_or_b32 exec_lo, exec_lo, s1
	s_mov_b32 s1, exec_lo
	v_cmpx_gt_u32_e64 s8, v28
	s_cbranch_execz .LBB921_16
.LBB921_45:                             ;   in Loop: Header=BB921_6 Depth=1
	global_load_u16 v10, v[18:19], off offset:-7168
	s_wait_loadcnt 0x0
	v_and_b32_e32 v10, 0x7fff, v10
	s_delay_alu instid0(VALU_DEP_1) | instskip(SKIP_4) | instid1(SALU_CYCLE_1)
	v_cmp_ne_u16_e32 vcc_lo, 0, v10
	s_wait_alu 0xfffd
	v_cndmask_b32_e64 v10, 0, 1, vcc_lo
	s_wait_alu 0xfffe
	s_or_b32 exec_lo, exec_lo, s1
	s_mov_b32 s1, exec_lo
	v_cmpx_gt_u32_e64 s8, v29
	s_cbranch_execz .LBB921_17
.LBB921_46:                             ;   in Loop: Header=BB921_6 Depth=1
	global_load_u16 v11, v[18:19], off offset:-6144
	s_wait_loadcnt 0x0
	v_and_b32_e32 v11, 0x7fff, v11
	s_delay_alu instid0(VALU_DEP_1) | instskip(SKIP_4) | instid1(SALU_CYCLE_1)
	v_cmp_ne_u16_e32 vcc_lo, 0, v11
	s_wait_alu 0xfffd
	v_cndmask_b32_e64 v11, 0, 1, vcc_lo
	s_wait_alu 0xfffe
	s_or_b32 exec_lo, exec_lo, s1
	s_mov_b32 s1, exec_lo
	v_cmpx_gt_u32_e64 s8, v30
	s_cbranch_execz .LBB921_18
.LBB921_47:                             ;   in Loop: Header=BB921_6 Depth=1
	global_load_u16 v12, v[18:19], off offset:-5120
	s_wait_loadcnt 0x0
	v_and_b32_e32 v12, 0x7fff, v12
	s_delay_alu instid0(VALU_DEP_1) | instskip(SKIP_4) | instid1(SALU_CYCLE_1)
	v_cmp_ne_u16_e32 vcc_lo, 0, v12
	s_wait_alu 0xfffd
	v_cndmask_b32_e64 v12, 0, 1, vcc_lo
	s_wait_alu 0xfffe
	s_or_b32 exec_lo, exec_lo, s1
	s_mov_b32 s1, exec_lo
	v_cmpx_gt_u32_e64 s8, v31
	s_cbranch_execz .LBB921_19
.LBB921_48:                             ;   in Loop: Header=BB921_6 Depth=1
	global_load_u16 v13, v[18:19], off offset:-4096
	s_wait_loadcnt 0x0
	v_and_b32_e32 v13, 0x7fff, v13
	s_delay_alu instid0(VALU_DEP_1) | instskip(SKIP_4) | instid1(SALU_CYCLE_1)
	v_cmp_ne_u16_e32 vcc_lo, 0, v13
	s_wait_alu 0xfffd
	v_cndmask_b32_e64 v13, 0, 1, vcc_lo
	s_wait_alu 0xfffe
	s_or_b32 exec_lo, exec_lo, s1
	s_mov_b32 s1, exec_lo
	v_cmpx_gt_u32_e64 s8, v32
	s_cbranch_execz .LBB921_20
.LBB921_49:                             ;   in Loop: Header=BB921_6 Depth=1
	global_load_u16 v14, v[18:19], off offset:-3072
	s_wait_loadcnt 0x0
	v_and_b32_e32 v14, 0x7fff, v14
	s_delay_alu instid0(VALU_DEP_1) | instskip(SKIP_4) | instid1(SALU_CYCLE_1)
	v_cmp_ne_u16_e32 vcc_lo, 0, v14
	s_wait_alu 0xfffd
	v_cndmask_b32_e64 v14, 0, 1, vcc_lo
	s_wait_alu 0xfffe
	s_or_b32 exec_lo, exec_lo, s1
	s_mov_b32 s1, exec_lo
	v_cmpx_gt_u32_e64 s8, v33
	s_cbranch_execz .LBB921_21
.LBB921_50:                             ;   in Loop: Header=BB921_6 Depth=1
	global_load_u16 v15, v[18:19], off offset:-2048
	s_wait_loadcnt 0x0
	v_and_b32_e32 v15, 0x7fff, v15
	s_delay_alu instid0(VALU_DEP_1) | instskip(SKIP_4) | instid1(SALU_CYCLE_1)
	v_cmp_ne_u16_e32 vcc_lo, 0, v15
	s_wait_alu 0xfffd
	v_cndmask_b32_e64 v15, 0, 1, vcc_lo
	s_wait_alu 0xfffe
	s_or_b32 exec_lo, exec_lo, s1
	s_mov_b32 s1, exec_lo
	v_cmpx_gt_u32_e64 s8, v34
	s_cbranch_execz .LBB921_22
.LBB921_51:                             ;   in Loop: Header=BB921_6 Depth=1
	global_load_u16 v16, v[18:19], off offset:-1024
	s_wait_loadcnt 0x0
	v_and_b32_e32 v16, 0x7fff, v16
	s_delay_alu instid0(VALU_DEP_1) | instskip(SKIP_4) | instid1(SALU_CYCLE_1)
	v_cmp_ne_u16_e32 vcc_lo, 0, v16
	s_wait_alu 0xfffd
	v_cndmask_b32_e64 v16, 0, 1, vcc_lo
	s_wait_alu 0xfffe
	s_or_b32 exec_lo, exec_lo, s1
	s_mov_b32 s1, exec_lo
	v_cmpx_gt_u32_e64 s8, v35
	s_cbranch_execnz .LBB921_23
	s_branch .LBB921_24
.LBB921_52:
	s_and_b32 vcc_lo, exec_lo, s1
	s_mov_b32 s0, -1
	s_wait_alu 0xfffe
	s_cbranch_vccz .LBB921_56
; %bb.53:
	s_mov_b32 s0, 0
	s_mov_b32 s1, exec_lo
	v_cmpx_eq_u32_e32 0, v0
	s_cbranch_execz .LBB921_55
; %bb.54:
	v_mov_b32_e32 v0, 0
	s_lshl_b64 s[4:5], s[2:3], 2
	s_wait_alu 0xfffe
	s_add_nc_u64 s[4:5], s[6:7], s[4:5]
	global_store_b32 v0, v20, s[4:5]
.LBB921_55:
	s_wait_alu 0xfffe
	s_or_b32 exec_lo, exec_lo, s1
.LBB921_56:
	v_cmp_eq_u32_e32 vcc_lo, 0, v0
	s_and_b32 s0, vcc_lo, s0
	s_wait_alu 0xfffe
	s_and_saveexec_b32 s1, s0
	s_cbranch_execz .LBB921_58
; %bb.57:
	v_mov_b32_e32 v0, 0
	s_lshl_b64 s[0:1], s[2:3], 2
	s_wait_kmcnt 0x0
	s_wait_alu 0xfffe
	s_add_nc_u64 s[0:1], s[6:7], s[0:1]
	global_store_b32 v0, v20, s[0:1]
.LBB921_58:
	s_endpgm
	.section	.rodata,"a",@progbits
	.p2align	6, 0x0
	.amdhsa_kernel _ZN2at4cuda3cub15calc_block_sumsILi512ELi16ELb1EN3c108BFloat16EiEEvPKT2_PT3_li
		.amdhsa_group_segment_fixed_size 64
		.amdhsa_private_segment_fixed_size 0
		.amdhsa_kernarg_size 28
		.amdhsa_user_sgpr_count 2
		.amdhsa_user_sgpr_dispatch_ptr 0
		.amdhsa_user_sgpr_queue_ptr 0
		.amdhsa_user_sgpr_kernarg_segment_ptr 1
		.amdhsa_user_sgpr_dispatch_id 0
		.amdhsa_user_sgpr_private_segment_size 0
		.amdhsa_wavefront_size32 1
		.amdhsa_uses_dynamic_stack 0
		.amdhsa_enable_private_segment 0
		.amdhsa_system_sgpr_workgroup_id_x 1
		.amdhsa_system_sgpr_workgroup_id_y 0
		.amdhsa_system_sgpr_workgroup_id_z 0
		.amdhsa_system_sgpr_workgroup_info 0
		.amdhsa_system_vgpr_workitem_id 0
		.amdhsa_next_free_vgpr 38
		.amdhsa_next_free_sgpr 14
		.amdhsa_reserve_vcc 1
		.amdhsa_float_round_mode_32 0
		.amdhsa_float_round_mode_16_64 0
		.amdhsa_float_denorm_mode_32 3
		.amdhsa_float_denorm_mode_16_64 3
		.amdhsa_fp16_overflow 0
		.amdhsa_workgroup_processor_mode 1
		.amdhsa_memory_ordered 1
		.amdhsa_forward_progress 1
		.amdhsa_inst_pref_size 29
		.amdhsa_round_robin_scheduling 0
		.amdhsa_exception_fp_ieee_invalid_op 0
		.amdhsa_exception_fp_denorm_src 0
		.amdhsa_exception_fp_ieee_div_zero 0
		.amdhsa_exception_fp_ieee_overflow 0
		.amdhsa_exception_fp_ieee_underflow 0
		.amdhsa_exception_fp_ieee_inexact 0
		.amdhsa_exception_int_div_zero 0
	.end_amdhsa_kernel
	.section	.text._ZN2at4cuda3cub15calc_block_sumsILi512ELi16ELb1EN3c108BFloat16EiEEvPKT2_PT3_li,"axG",@progbits,_ZN2at4cuda3cub15calc_block_sumsILi512ELi16ELb1EN3c108BFloat16EiEEvPKT2_PT3_li,comdat
.Lfunc_end921:
	.size	_ZN2at4cuda3cub15calc_block_sumsILi512ELi16ELb1EN3c108BFloat16EiEEvPKT2_PT3_li, .Lfunc_end921-_ZN2at4cuda3cub15calc_block_sumsILi512ELi16ELb1EN3c108BFloat16EiEEvPKT2_PT3_li
                                        ; -- End function
	.set _ZN2at4cuda3cub15calc_block_sumsILi512ELi16ELb1EN3c108BFloat16EiEEvPKT2_PT3_li.num_vgpr, 38
	.set _ZN2at4cuda3cub15calc_block_sumsILi512ELi16ELb1EN3c108BFloat16EiEEvPKT2_PT3_li.num_agpr, 0
	.set _ZN2at4cuda3cub15calc_block_sumsILi512ELi16ELb1EN3c108BFloat16EiEEvPKT2_PT3_li.numbered_sgpr, 14
	.set _ZN2at4cuda3cub15calc_block_sumsILi512ELi16ELb1EN3c108BFloat16EiEEvPKT2_PT3_li.num_named_barrier, 0
	.set _ZN2at4cuda3cub15calc_block_sumsILi512ELi16ELb1EN3c108BFloat16EiEEvPKT2_PT3_li.private_seg_size, 0
	.set _ZN2at4cuda3cub15calc_block_sumsILi512ELi16ELb1EN3c108BFloat16EiEEvPKT2_PT3_li.uses_vcc, 1
	.set _ZN2at4cuda3cub15calc_block_sumsILi512ELi16ELb1EN3c108BFloat16EiEEvPKT2_PT3_li.uses_flat_scratch, 0
	.set _ZN2at4cuda3cub15calc_block_sumsILi512ELi16ELb1EN3c108BFloat16EiEEvPKT2_PT3_li.has_dyn_sized_stack, 0
	.set _ZN2at4cuda3cub15calc_block_sumsILi512ELi16ELb1EN3c108BFloat16EiEEvPKT2_PT3_li.has_recursion, 0
	.set _ZN2at4cuda3cub15calc_block_sumsILi512ELi16ELb1EN3c108BFloat16EiEEvPKT2_PT3_li.has_indirect_call, 0
	.section	.AMDGPU.csdata,"",@progbits
; Kernel info:
; codeLenInByte = 3692
; TotalNumSgprs: 16
; NumVgprs: 38
; ScratchSize: 0
; MemoryBound: 0
; FloatMode: 240
; IeeeMode: 1
; LDSByteSize: 64 bytes/workgroup (compile time only)
; SGPRBlocks: 0
; VGPRBlocks: 4
; NumSGPRsForWavesPerEU: 16
; NumVGPRsForWavesPerEU: 38
; Occupancy: 16
; WaveLimiterHint : 1
; COMPUTE_PGM_RSRC2:SCRATCH_EN: 0
; COMPUTE_PGM_RSRC2:USER_SGPR: 2
; COMPUTE_PGM_RSRC2:TRAP_HANDLER: 0
; COMPUTE_PGM_RSRC2:TGID_X_EN: 1
; COMPUTE_PGM_RSRC2:TGID_Y_EN: 0
; COMPUTE_PGM_RSRC2:TGID_Z_EN: 0
; COMPUTE_PGM_RSRC2:TIDIG_COMP_CNT: 0
	.section	.text._ZN2at6native12_GLOBAL__N_111flag_kernelILi512ELi16EN3c108BFloat16EEEvPKT1_PlPKllli,"axG",@progbits,_ZN2at6native12_GLOBAL__N_111flag_kernelILi512ELi16EN3c108BFloat16EEEvPKT1_PlPKllli,comdat
	.globl	_ZN2at6native12_GLOBAL__N_111flag_kernelILi512ELi16EN3c108BFloat16EEEvPKT1_PlPKllli ; -- Begin function _ZN2at6native12_GLOBAL__N_111flag_kernelILi512ELi16EN3c108BFloat16EEEvPKT1_PlPKllli
	.p2align	8
	.type	_ZN2at6native12_GLOBAL__N_111flag_kernelILi512ELi16EN3c108BFloat16EEEvPKT1_PlPKllli,@function
_ZN2at6native12_GLOBAL__N_111flag_kernelILi512ELi16EN3c108BFloat16EEEvPKT1_PlPKllli: ; @_ZN2at6native12_GLOBAL__N_111flag_kernelILi512ELi16EN3c108BFloat16EEEvPKT1_PlPKllli
; %bb.0:
	s_clause 0x1
	s_load_b32 s26, s[0:1], 0x28
	s_load_b256 s[12:19], s[0:1], 0x0
	s_mov_b32 s2, ttmp9
	s_mov_b32 s3, 0
	s_wait_kmcnt 0x0
	s_lshl_b32 s4, s26, 13
	s_delay_alu instid0(SALU_CYCLE_1) | instskip(NEXT) | instid1(SALU_CYCLE_1)
	s_ashr_i32 s5, s4, 31
	s_mul_u64 s[22:23], s[4:5], s[2:3]
	s_delay_alu instid0(SALU_CYCLE_1)
	v_cmp_le_i64_e64 s2, s[18:19], s[22:23]
	s_and_b32 vcc_lo, exec_lo, s2
	s_cbranch_vccnz .LBB922_100
; %bb.1:
	s_load_b64 s[2:3], s[0:1], 0x20
	s_cmp_eq_u32 ttmp9, 0
	s_cbranch_scc1 .LBB922_3
; %bb.2:
	s_add_co_i32 s4, ttmp9, -1
	s_mov_b32 s5, 0
	s_delay_alu instid0(SALU_CYCLE_1) | instskip(NEXT) | instid1(SALU_CYCLE_1)
	s_lshl_b64 s[4:5], s[4:5], 3
	s_add_nc_u64 s[4:5], s[16:17], s[4:5]
	s_load_b64 s[4:5], s[4:5], 0x0
	s_cmp_lt_i32 s26, 1
	s_cbranch_scc0 .LBB922_4
	s_branch .LBB922_100
.LBB922_3:
	s_mov_b64 s[4:5], 0
	s_cmp_lt_i32 s26, 1
	s_cbranch_scc1 .LBB922_100
.LBB922_4:
	v_mbcnt_lo_u32_b32 v2, -1, 0
	v_lshlrev_b32_e32 v1, 4, v0
	s_wait_kmcnt 0x0
	s_sub_nc_u64 s[16:17], s[2:3], s[4:5]
	s_lshl_b64 s[24:25], s[4:5], 3
	v_add_nc_u32_e32 v8, 0x200, v0
	v_and_b32_e32 v4, 15, v2
	v_and_b32_e32 v6, 0x3e00, v1
	;; [unrolled: 1-line block ×3, first 2 shown]
	v_or_b32_e32 v9, 0x800, v0
	v_add_nc_u32_e32 v10, 0xa00, v0
	v_lshlrev_b32_e32 v25, 2, v0
	v_or_b32_e32 v41, v2, v6
	v_cmp_eq_u32_e64 s6, 0, v1
	v_mov_b32_e32 v1, 0
	v_cmp_eq_u32_e64 s2, 0, v4
	v_cmp_lt_u32_e64 s3, 1, v4
	v_cmp_lt_u32_e64 s4, 3, v4
	;; [unrolled: 1-line block ×3, first 2 shown]
	v_sub_co_u32 v4, s8, v2, 1
	v_lshrrev_b32_e32 v9, 3, v9
	v_lshrrev_b32_e32 v10, 3, v10
	v_or_b32_e32 v46, 32, v41
	s_delay_alu instid0(VALU_DEP_4)
	v_cmp_gt_i32_e32 vcc_lo, 0, v4
	v_and_b32_e32 v3, 0x3e0, v0
	v_or_b32_e32 v47, 64, v41
	v_or_b32_e32 v48, 0x60, v41
	;; [unrolled: 1-line block ×3, first 2 shown]
	v_cndmask_b32_e32 v4, v4, v2, vcc_lo
	v_min_u32_e32 v5, 0x1e0, v3
	v_or_b32_e32 v50, 0xa0, v41
	v_or_b32_e32 v51, 0xc0, v41
	;; [unrolled: 1-line block ×3, first 2 shown]
	v_lshlrev_b32_e32 v27, 2, v4
	v_or_b32_e32 v5, 31, v5
	v_lshrrev_b32_e32 v4, 3, v8
	v_add_nc_u32_e32 v8, 0x600, v0
	v_or_b32_e32 v53, 0x100, v41
	v_or_b32_e32 v54, 0x120, v41
	v_cmp_eq_u32_e64 s7, v0, v5
	v_lshlrev_b32_e32 v5, 1, v0
	v_and_b32_e32 v4, 0xfc, v4
	v_lshrrev_b32_e32 v8, 3, v8
	v_or_b32_e32 v55, 0x140, v41
	v_or_b32_e32 v56, 0x160, v41
	v_and_b32_e32 v5, 0x7fc, v5
	v_add_nc_u32_e32 v30, v25, v4
	v_or_b32_e32 v57, 0x180, v41
	v_or_b32_e32 v58, 0x1a0, v41
	;; [unrolled: 1-line block ×3, first 2 shown]
	v_lshl_add_u32 v28, v0, 6, v5
	v_or_b32_e32 v5, 0x400, v0
	v_or_b32_e32 v60, 0x1e0, v41
	v_lshrrev_b32_e32 v7, 5, v0
	v_or_b32_e32 v3, v2, v3
	s_lshl_b64 s[20:21], s[22:23], 1
	v_lshrrev_b32_e32 v5, 3, v5
	v_lshlrev_b32_e32 v2, 1, v2
	v_cmp_gt_u32_e64 s9, 16, v0
	v_cmp_lt_u32_e64 s10, 31, v0
	v_cmp_eq_u32_e64 s11, 0, v0
	v_and_b32_e32 v4, 0xfc, v5
	v_and_b32_e32 v5, 0x1fc, v8
	;; [unrolled: 1-line block ×4, first 2 shown]
	v_or_b32_e32 v10, 0xc00, v0
	v_add_nc_u32_e32 v31, v25, v4
	v_add_nc_u32_e32 v32, v25, v5
	;; [unrolled: 1-line block ×4, first 2 shown]
	v_lshrrev_b32_e32 v4, 3, v10
	v_add_nc_u32_e32 v5, 0xe00, v0
	v_or_b32_e32 v8, 0x1000, v0
	v_add_nc_u32_e32 v9, 0x1200, v0
	v_or_b32_e32 v10, 0x1400, v0
	v_and_b32_e32 v4, 0x1fc, v4
	v_lshrrev_b32_e32 v5, 3, v5
	v_lshrrev_b32_e32 v8, 3, v8
	;; [unrolled: 1-line block ×4, first 2 shown]
	v_add_nc_u32_e32 v35, v25, v4
	v_and_b32_e32 v4, 0x3fc, v5
	v_and_b32_e32 v5, 0x27c, v8
	;; [unrolled: 1-line block ×4, first 2 shown]
	v_add_nc_u32_e32 v10, 0x1600, v0
	v_add_nc_u32_e32 v36, v25, v4
	;; [unrolled: 1-line block ×3, first 2 shown]
	v_or_b32_e32 v5, 0x1800, v0
	v_add_nc_u32_e32 v38, v25, v8
	v_lshrrev_b32_e32 v4, 3, v10
	v_add_nc_u32_e32 v39, v25, v9
	v_add_nc_u32_e32 v8, 0x1a00, v0
	v_or_b32_e32 v9, 0x1c00, v0
	v_lshrrev_b32_e32 v5, 3, v5
	v_and_b32_e32 v4, 0x3fc, v4
	v_add_nc_u32_e32 v10, 0x1e00, v0
	v_lshrrev_b32_e32 v8, 3, v8
	v_lshrrev_b32_e32 v9, 3, v9
	v_lshlrev_b32_e32 v24, 2, v7
	v_add_nc_u32_e32 v40, v25, v4
	v_and_b32_e32 v4, 0x37c, v5
	v_lshrrev_b32_e32 v10, 3, v10
	v_and_b32_e32 v5, 0x3fc, v8
	v_and_b32_e32 v8, 0x3fc, v9
	v_add_nc_u32_e32 v26, -4, v24
	v_add_nc_u32_e32 v42, v25, v4
	v_lshrrev_b32_e32 v4, 3, v46
	v_and_b32_e32 v9, 0x7fc, v10
	v_add_nc_u32_e32 v43, v25, v5
	v_add_nc_u32_e32 v44, v25, v8
	v_lshrrev_b32_e32 v5, 3, v6
	v_lshlrev_b32_e32 v6, 2, v41
	v_and_b32_e32 v4, 0x7c4, v4
	v_lshrrev_b32_e32 v8, 3, v47
	v_add_nc_u32_e32 v45, v25, v9
	v_lshrrev_b32_e32 v9, 3, v50
	v_add_nc_u32_e32 v61, v5, v6
	v_add_nc_u32_e32 v62, v4, v6
	v_and_b32_e32 v4, 0x7c8, v8
	v_lshrrev_b32_e32 v5, 3, v48
	v_lshrrev_b32_e32 v8, 3, v49
	;; [unrolled: 1-line block ×3, first 2 shown]
	v_add_nc_u32_e32 v29, v24, v25
	v_add_nc_u32_e32 v63, v4, v6
	v_and_b32_e32 v4, 0x7cc, v5
	v_and_b32_e32 v5, 0x7d0, v8
	;; [unrolled: 1-line block ×4, first 2 shown]
	v_lshrrev_b32_e32 v10, 3, v52
	v_add_nc_u32_e32 v64, v4, v6
	v_add_nc_u32_e32 v65, v5, v6
	;; [unrolled: 1-line block ×4, first 2 shown]
	v_and_b32_e32 v4, 0x7dc, v10
	v_lshrrev_b32_e32 v5, 3, v53
	v_lshrrev_b32_e32 v8, 3, v54
	;; [unrolled: 1-line block ×4, first 2 shown]
	v_add_nc_u32_e32 v68, v4, v6
	v_and_b32_e32 v4, 0x7e0, v5
	v_and_b32_e32 v5, 0x7e4, v8
	;; [unrolled: 1-line block ×4, first 2 shown]
	v_lshrrev_b32_e32 v10, 3, v57
	v_add_nc_u32_e32 v69, v4, v6
	v_add_nc_u32_e32 v70, v5, v6
	v_lshrrev_b32_e32 v5, 3, v58
	v_add_nc_u32_e32 v71, v8, v6
	v_and_b32_e32 v4, 0x7f0, v10
	v_add_nc_u32_e32 v72, v9, v6
	v_lshrrev_b32_e32 v8, 3, v59
	v_lshrrev_b32_e32 v9, 3, v60
	s_add_nc_u64 s[14:15], s[14:15], s[24:25]
	v_add_nc_u32_e32 v73, v4, v6
	v_and_b32_e32 v4, 0x7f4, v5
	v_and_b32_e32 v5, 0x7f8, v8
	;; [unrolled: 1-line block ×3, first 2 shown]
	v_lshlrev_b32_e32 v9, 4, v3
	v_bfe_u32 v3, v3, 1, 27
	v_add_nc_u32_e32 v74, v4, v6
	v_lshlrev_b32_e32 v4, 10, v7
	v_add_nc_u32_e32 v75, v5, v6
	v_add_nc_u32_e32 v76, v8, v6
	v_add_lshl_u32 v77, v3, v9, 2
	s_add_nc_u64 s[0:1], s[0:1], 48
	v_add_co_u32 v3, s20, s20, v4
	s_wait_alu 0xf1ff
	v_add_co_ci_u32_e64 v4, null, s21, 0, s20
	v_add_co_u32 v18, s20, s22, v0
	s_delay_alu instid0(VALU_DEP_3) | instskip(SKIP_1) | instid1(VALU_DEP_3)
	v_add_co_u32 v0, vcc_lo, v3, v2
	s_wait_alu 0xfffd
	v_add_co_ci_u32_e64 v2, null, 0, v4, vcc_lo
	s_wait_alu 0xf1ff
	v_add_co_ci_u32_e64 v19, null, s23, 0, s20
	v_add_co_u32 v20, vcc_lo, s12, v0
	s_wait_alu 0xfffd
	v_add_co_ci_u32_e64 v21, null, s13, v2, vcc_lo
	s_movk_i32 s20, 0xe000
	s_mov_b32 s21, -1
	s_sub_nc_u64 s[12:13], s[18:19], s[22:23]
	s_branch .LBB922_6
.LBB922_5:                              ;   in Loop: Header=BB922_6 Depth=1
	v_add_co_u32 v18, vcc_lo, 0x2000, v18
	s_wait_alu 0xfffd
	v_add_co_ci_u32_e64 v19, null, 0, v19, vcc_lo
	v_add_co_u32 v20, vcc_lo, 0x4000, v20
	s_add_co_i32 s26, s26, -1
	s_lshl_b64 s[18:19], s[18:19], 3
	s_wait_alu 0xfffd
	v_add_co_ci_u32_e64 v21, null, 0, v21, vcc_lo
	s_cmp_eq_u32 s26, 0
	s_add_nc_u64 s[12:13], s[12:13], s[20:21]
	s_wait_alu 0xfffe
	s_add_nc_u64 s[14:15], s[14:15], s[18:19]
	s_cselect_b32 s18, -1, 0
	s_wait_loadcnt 0x0
	s_wait_storecnt 0x0
	s_barrier_signal -1
	s_barrier_wait -1
	global_inv scope:SCOPE_SE
	s_wait_alu 0xfffe
	s_and_not1_b32 vcc_lo, exec_lo, s18
	s_wait_alu 0xfffe
	s_cbranch_vccz .LBB922_100
.LBB922_6:                              ; =>This Inner Loop Header: Depth=1
	s_wait_alu 0xfffe
	v_cmp_gt_i64_e64 s18, 0x2000, s[12:13]
                                        ; implicit-def: $vgpr3
                                        ; implicit-def: $vgpr5
                                        ; implicit-def: $vgpr13
                                        ; implicit-def: $vgpr17
                                        ; implicit-def: $vgpr15
                                        ; implicit-def: $vgpr11
                                        ; implicit-def: $vgpr9
                                        ; implicit-def: $vgpr7
	s_and_b32 vcc_lo, exec_lo, s18
	s_mov_b32 s18, -1
	s_wait_alu 0xfffe
	s_cbranch_vccz .LBB922_25
; %bb.7:                                ;   in Loop: Header=BB922_6 Depth=1
	v_dual_mov_b32 v14, v1 :: v_dual_mov_b32 v15, v1
	v_dual_mov_b32 v2, v1 :: v_dual_mov_b32 v3, v1
	;; [unrolled: 1-line block ×7, first 2 shown]
	v_mov_b32_e32 v17, v15
	s_delay_alu instid0(VALU_DEP_2) | instskip(NEXT) | instid1(VALU_DEP_3)
	v_dual_mov_b32 v16, v14 :: v_dual_mov_b32 v15, v13
	v_mov_b32_e32 v14, v12
	v_mov_b32_e32 v13, v11
	;; [unrolled: 1-line block ×14, first 2 shown]
	s_mov_b32 s18, exec_lo
	v_cmpx_gt_u32_e64 s12, v41
	s_cbranch_execnz .LBB922_85
; %bb.8:                                ;   in Loop: Header=BB922_6 Depth=1
	s_wait_alu 0xfffe
	s_or_b32 exec_lo, exec_lo, s18
	s_delay_alu instid0(SALU_CYCLE_1)
	s_mov_b32 s18, exec_lo
	v_cmpx_gt_u32_e64 s12, v46
	s_cbranch_execnz .LBB922_86
.LBB922_9:                              ;   in Loop: Header=BB922_6 Depth=1
	s_wait_alu 0xfffe
	s_or_b32 exec_lo, exec_lo, s18
	s_delay_alu instid0(SALU_CYCLE_1)
	s_mov_b32 s18, exec_lo
	v_cmpx_gt_u32_e64 s12, v47
	s_cbranch_execnz .LBB922_87
.LBB922_10:                             ;   in Loop: Header=BB922_6 Depth=1
	s_wait_alu 0xfffe
	s_or_b32 exec_lo, exec_lo, s18
	s_delay_alu instid0(SALU_CYCLE_1)
	s_mov_b32 s18, exec_lo
	v_cmpx_gt_u32_e64 s12, v48
	s_cbranch_execnz .LBB922_88
.LBB922_11:                             ;   in Loop: Header=BB922_6 Depth=1
	s_wait_alu 0xfffe
	s_or_b32 exec_lo, exec_lo, s18
	s_delay_alu instid0(SALU_CYCLE_1)
	s_mov_b32 s18, exec_lo
	v_cmpx_gt_u32_e64 s12, v49
	s_cbranch_execnz .LBB922_89
.LBB922_12:                             ;   in Loop: Header=BB922_6 Depth=1
	s_wait_alu 0xfffe
	s_or_b32 exec_lo, exec_lo, s18
	s_delay_alu instid0(SALU_CYCLE_1)
	s_mov_b32 s18, exec_lo
	v_cmpx_gt_u32_e64 s12, v50
	s_cbranch_execnz .LBB922_90
.LBB922_13:                             ;   in Loop: Header=BB922_6 Depth=1
	s_wait_alu 0xfffe
	s_or_b32 exec_lo, exec_lo, s18
	s_delay_alu instid0(SALU_CYCLE_1)
	s_mov_b32 s18, exec_lo
	v_cmpx_gt_u32_e64 s12, v51
	s_cbranch_execnz .LBB922_91
.LBB922_14:                             ;   in Loop: Header=BB922_6 Depth=1
	s_wait_alu 0xfffe
	s_or_b32 exec_lo, exec_lo, s18
	s_delay_alu instid0(SALU_CYCLE_1)
	s_mov_b32 s18, exec_lo
	v_cmpx_gt_u32_e64 s12, v52
	s_cbranch_execnz .LBB922_92
.LBB922_15:                             ;   in Loop: Header=BB922_6 Depth=1
	s_wait_alu 0xfffe
	s_or_b32 exec_lo, exec_lo, s18
	s_delay_alu instid0(SALU_CYCLE_1)
	s_mov_b32 s18, exec_lo
	v_cmpx_gt_u32_e64 s12, v53
	s_cbranch_execnz .LBB922_93
.LBB922_16:                             ;   in Loop: Header=BB922_6 Depth=1
	s_wait_alu 0xfffe
	s_or_b32 exec_lo, exec_lo, s18
	s_delay_alu instid0(SALU_CYCLE_1)
	s_mov_b32 s18, exec_lo
	v_cmpx_gt_u32_e64 s12, v54
	s_cbranch_execnz .LBB922_94
.LBB922_17:                             ;   in Loop: Header=BB922_6 Depth=1
	s_wait_alu 0xfffe
	s_or_b32 exec_lo, exec_lo, s18
	s_delay_alu instid0(SALU_CYCLE_1)
	s_mov_b32 s18, exec_lo
	v_cmpx_gt_u32_e64 s12, v55
	s_cbranch_execnz .LBB922_95
.LBB922_18:                             ;   in Loop: Header=BB922_6 Depth=1
	s_wait_alu 0xfffe
	s_or_b32 exec_lo, exec_lo, s18
	s_delay_alu instid0(SALU_CYCLE_1)
	s_mov_b32 s18, exec_lo
	v_cmpx_gt_u32_e64 s12, v56
	s_cbranch_execnz .LBB922_96
.LBB922_19:                             ;   in Loop: Header=BB922_6 Depth=1
	s_wait_alu 0xfffe
	s_or_b32 exec_lo, exec_lo, s18
	s_delay_alu instid0(SALU_CYCLE_1)
	s_mov_b32 s18, exec_lo
	v_cmpx_gt_u32_e64 s12, v57
	s_cbranch_execnz .LBB922_97
.LBB922_20:                             ;   in Loop: Header=BB922_6 Depth=1
	s_wait_alu 0xfffe
	s_or_b32 exec_lo, exec_lo, s18
	s_delay_alu instid0(SALU_CYCLE_1)
	s_mov_b32 s18, exec_lo
	v_cmpx_gt_u32_e64 s12, v58
	s_cbranch_execnz .LBB922_98
.LBB922_21:                             ;   in Loop: Header=BB922_6 Depth=1
	s_wait_alu 0xfffe
	s_or_b32 exec_lo, exec_lo, s18
	s_delay_alu instid0(SALU_CYCLE_1)
	s_mov_b32 s18, exec_lo
	v_cmpx_gt_u32_e64 s12, v59
	s_cbranch_execnz .LBB922_99
.LBB922_22:                             ;   in Loop: Header=BB922_6 Depth=1
	s_wait_alu 0xfffe
	s_or_b32 exec_lo, exec_lo, s18
	s_delay_alu instid0(SALU_CYCLE_1)
	s_mov_b32 s18, exec_lo
	v_cmpx_gt_u32_e64 s12, v60
	s_cbranch_execz .LBB922_24
.LBB922_23:                             ;   in Loop: Header=BB922_6 Depth=1
	global_load_u16 v2, v[20:21], off offset:960
	s_wait_loadcnt 0x0
	v_and_b32_e32 v2, 0x7fff, v2
	s_delay_alu instid0(VALU_DEP_1)
	v_cmp_ne_u16_e32 vcc_lo, 0, v2
	s_wait_alu 0xfffd
	v_cndmask_b32_e64 v17, 0, 1, vcc_lo
.LBB922_24:                             ;   in Loop: Header=BB922_6 Depth=1
	s_wait_alu 0xfffe
	s_or_b32 exec_lo, exec_lo, s18
	ds_store_b32 v61, v0
	ds_store_b32 v62, v3 offset:128
	ds_store_b32 v63, v4 offset:256
	;; [unrolled: 1-line block ×15, first 2 shown]
	; wave barrier
	ds_load_2addr_b32 v[6:7], v77 offset1:1
	ds_load_2addr_b32 v[8:9], v77 offset0:2 offset1:3
	ds_load_2addr_b32 v[10:11], v77 offset0:4 offset1:5
	;; [unrolled: 1-line block ×7, first 2 shown]
	s_mov_b32 s18, 0
.LBB922_25:                             ;   in Loop: Header=BB922_6 Depth=1
	s_wait_alu 0xfffe
	s_and_b32 vcc_lo, exec_lo, s18
	s_wait_alu 0xfffe
	s_cbranch_vccz .LBB922_27
; %bb.26:                               ;   in Loop: Header=BB922_6 Depth=1
	global_load_u16 v0, v[20:21], off
	s_wait_dscnt 0x0
	s_clause 0xe
	global_load_u16 v2, v[20:21], off offset:64
	global_load_u16 v3, v[20:21], off offset:128
	;; [unrolled: 1-line block ×15, first 2 shown]
	s_wait_loadcnt 0xf
	v_and_b32_e32 v0, 0x7fff, v0
	s_wait_loadcnt 0xe
	v_and_b32_e32 v2, 0x7fff, v2
	s_wait_loadcnt 0xd
	v_and_b32_e32 v3, 0x7fff, v3
	s_wait_loadcnt 0xc
	v_and_b32_e32 v4, 0x7fff, v4
	s_wait_loadcnt 0xb
	v_and_b32_e32 v5, 0x7fff, v5
	v_cmp_ne_u16_e32 vcc_lo, 0, v0
	s_wait_loadcnt 0xa
	v_and_b32_e32 v6, 0x7fff, v6
	s_wait_loadcnt 0x9
	v_and_b32_e32 v7, 0x7fff, v7
	;; [unrolled: 2-line block ×4, first 2 shown]
	s_wait_alu 0xfffd
	v_cndmask_b32_e64 v0, 0, 1, vcc_lo
	v_cmp_ne_u16_e32 vcc_lo, 0, v2
	s_wait_loadcnt 0x6
	v_and_b32_e32 v10, 0x7fff, v10
	s_wait_loadcnt 0x5
	v_and_b32_e32 v11, 0x7fff, v11
	;; [unrolled: 2-line block ×4, first 2 shown]
	s_wait_alu 0xfffd
	v_cndmask_b32_e64 v2, 0, 1, vcc_lo
	v_cmp_ne_u16_e32 vcc_lo, 0, v3
	s_wait_loadcnt 0x2
	v_and_b32_e32 v14, 0x7fff, v14
	s_wait_loadcnt 0x1
	v_and_b32_e32 v15, 0x7fff, v15
	;; [unrolled: 2-line block ×3, first 2 shown]
	s_wait_alu 0xfffd
	v_cndmask_b32_e64 v3, 0, 1, vcc_lo
	v_cmp_ne_u16_e32 vcc_lo, 0, v4
	s_wait_alu 0xfffd
	v_cndmask_b32_e64 v4, 0, 1, vcc_lo
	v_cmp_ne_u16_e32 vcc_lo, 0, v5
	;; [unrolled: 3-line block ×13, first 2 shown]
	s_wait_alu 0xfffd
	v_cndmask_b32_e64 v16, 0, 1, vcc_lo
	ds_store_b32 v61, v0
	ds_store_b32 v62, v2 offset:128
	ds_store_b32 v63, v3 offset:256
	;; [unrolled: 1-line block ×15, first 2 shown]
	; wave barrier
	ds_load_2addr_b32 v[6:7], v77 offset1:1
	ds_load_2addr_b32 v[8:9], v77 offset0:2 offset1:3
	ds_load_2addr_b32 v[10:11], v77 offset0:4 offset1:5
	;; [unrolled: 1-line block ×7, first 2 shown]
.LBB922_27:                             ;   in Loop: Header=BB922_6 Depth=1
	s_wait_dscnt 0x7
	v_add_nc_u32_e32 v0, v7, v6
	s_wait_dscnt 0x0
	s_barrier_signal -1
	s_barrier_wait -1
	global_inv scope:SCOPE_SE
	v_add3_u32 v0, v0, v8, v9
	s_delay_alu instid0(VALU_DEP_1) | instskip(NEXT) | instid1(VALU_DEP_1)
	v_add3_u32 v0, v0, v10, v11
	v_add3_u32 v0, v0, v14, v15
	s_delay_alu instid0(VALU_DEP_1) | instskip(NEXT) | instid1(VALU_DEP_1)
	v_add3_u32 v0, v0, v16, v17
	;; [unrolled: 3-line block ×3, first 2 shown]
	v_add3_u32 v0, v0, v2, v3
	s_delay_alu instid0(VALU_DEP_1) | instskip(NEXT) | instid1(VALU_DEP_1)
	v_mov_b32_dpp v22, v0 row_shr:1 row_mask:0xf bank_mask:0xf
	v_cndmask_b32_e64 v22, v22, 0, s2
	s_delay_alu instid0(VALU_DEP_1) | instskip(NEXT) | instid1(VALU_DEP_1)
	v_add_nc_u32_e32 v0, v0, v22
	v_mov_b32_dpp v22, v0 row_shr:2 row_mask:0xf bank_mask:0xf
	s_delay_alu instid0(VALU_DEP_1) | instskip(NEXT) | instid1(VALU_DEP_1)
	v_cndmask_b32_e64 v22, 0, v22, s3
	v_add_nc_u32_e32 v0, v0, v22
	s_delay_alu instid0(VALU_DEP_1) | instskip(NEXT) | instid1(VALU_DEP_1)
	v_mov_b32_dpp v22, v0 row_shr:4 row_mask:0xf bank_mask:0xf
	v_cndmask_b32_e64 v22, 0, v22, s4
	s_delay_alu instid0(VALU_DEP_1) | instskip(NEXT) | instid1(VALU_DEP_1)
	v_add_nc_u32_e32 v0, v0, v22
	v_mov_b32_dpp v22, v0 row_shr:8 row_mask:0xf bank_mask:0xf
	s_delay_alu instid0(VALU_DEP_1) | instskip(NEXT) | instid1(VALU_DEP_1)
	v_cndmask_b32_e64 v22, 0, v22, s5
	v_add_nc_u32_e32 v0, v0, v22
	ds_swizzle_b32 v22, v0 offset:swizzle(BROADCAST,32,15)
	s_wait_dscnt 0x0
	v_cndmask_b32_e64 v22, v22, 0, s6
	s_delay_alu instid0(VALU_DEP_1)
	v_add_nc_u32_e32 v0, v0, v22
	s_and_saveexec_b32 s18, s7
; %bb.28:                               ;   in Loop: Header=BB922_6 Depth=1
	ds_store_b32 v24, v0
; %bb.29:                               ;   in Loop: Header=BB922_6 Depth=1
	s_wait_alu 0xfffe
	s_or_b32 exec_lo, exec_lo, s18
	s_wait_loadcnt_dscnt 0x0
	s_barrier_signal -1
	s_barrier_wait -1
	global_inv scope:SCOPE_SE
	s_and_saveexec_b32 s18, s9
	s_cbranch_execz .LBB922_31
; %bb.30:                               ;   in Loop: Header=BB922_6 Depth=1
	ds_load_b32 v22, v25
	s_wait_dscnt 0x0
	v_mov_b32_dpp v23, v22 row_shr:1 row_mask:0xf bank_mask:0xf
	s_delay_alu instid0(VALU_DEP_1) | instskip(NEXT) | instid1(VALU_DEP_1)
	v_cndmask_b32_e64 v23, v23, 0, s2
	v_add_nc_u32_e32 v22, v23, v22
	s_delay_alu instid0(VALU_DEP_1) | instskip(NEXT) | instid1(VALU_DEP_1)
	v_mov_b32_dpp v23, v22 row_shr:2 row_mask:0xf bank_mask:0xf
	v_cndmask_b32_e64 v23, 0, v23, s3
	s_delay_alu instid0(VALU_DEP_1) | instskip(NEXT) | instid1(VALU_DEP_1)
	v_add_nc_u32_e32 v22, v22, v23
	v_mov_b32_dpp v23, v22 row_shr:4 row_mask:0xf bank_mask:0xf
	s_delay_alu instid0(VALU_DEP_1) | instskip(NEXT) | instid1(VALU_DEP_1)
	v_cndmask_b32_e64 v23, 0, v23, s4
	v_add_nc_u32_e32 v22, v22, v23
	s_delay_alu instid0(VALU_DEP_1) | instskip(NEXT) | instid1(VALU_DEP_1)
	v_mov_b32_dpp v23, v22 row_shr:8 row_mask:0xf bank_mask:0xf
	v_cndmask_b32_e64 v23, 0, v23, s5
	s_delay_alu instid0(VALU_DEP_1)
	v_add_nc_u32_e32 v22, v22, v23
	ds_store_b32 v25, v22
.LBB922_31:                             ;   in Loop: Header=BB922_6 Depth=1
	s_wait_alu 0xfffe
	s_or_b32 exec_lo, exec_lo, s18
	v_mov_b32_e32 v22, 0
	s_wait_loadcnt_dscnt 0x0
	s_barrier_signal -1
	s_barrier_wait -1
	global_inv scope:SCOPE_SE
	s_and_saveexec_b32 s18, s10
; %bb.32:                               ;   in Loop: Header=BB922_6 Depth=1
	ds_load_b32 v22, v26
; %bb.33:                               ;   in Loop: Header=BB922_6 Depth=1
	s_wait_alu 0xfffe
	s_or_b32 exec_lo, exec_lo, s18
	s_wait_dscnt 0x0
	v_add_nc_u32_e32 v0, v22, v0
	ds_bpermute_b32 v0, v27, v0
	s_and_saveexec_b32 s18, s11
	s_cbranch_execz .LBB922_35
; %bb.34:                               ;   in Loop: Header=BB922_6 Depth=1
	ds_load_b32 v23, v1 offset:60
	s_wait_dscnt 0x0
	ds_store_b32 v1, v23 offset:33792
.LBB922_35:                             ;   in Loop: Header=BB922_6 Depth=1
	s_wait_alu 0xfffe
	s_or_b32 exec_lo, exec_lo, s18
	s_wait_dscnt 0x0
	v_cndmask_b32_e64 v0, v0, v22, s8
	s_wait_loadcnt 0x0
	s_barrier_signal -1
	s_barrier_wait -1
	global_inv scope:SCOPE_SE
	v_cndmask_b32_e64 v22, v0, 0, s11
	ds_store_2addr_b32 v28, v6, v7 offset1:1
	ds_store_2addr_b32 v28, v8, v9 offset0:2 offset1:3
	ds_store_2addr_b32 v28, v10, v11 offset0:4 offset1:5
	;; [unrolled: 1-line block ×7, first 2 shown]
	s_wait_loadcnt_dscnt 0x0
	s_barrier_signal -1
	v_add_nc_u32_e32 v23, v22, v6
	s_barrier_wait -1
	global_inv scope:SCOPE_SE
	s_mov_b32 s18, exec_lo
	v_add_nc_u32_e32 v91, v23, v7
	s_delay_alu instid0(VALU_DEP_1) | instskip(NEXT) | instid1(VALU_DEP_1)
	v_add_nc_u32_e32 v92, v91, v8
	v_add_nc_u32_e32 v93, v92, v9
	s_delay_alu instid0(VALU_DEP_1) | instskip(NEXT) | instid1(VALU_DEP_1)
	v_add_nc_u32_e32 v94, v93, v10
	v_add_nc_u32_e32 v95, v94, v11
	s_delay_alu instid0(VALU_DEP_1) | instskip(NEXT) | instid1(VALU_DEP_1)
	v_add_nc_u32_e32 v96, v95, v14
	v_add_nc_u32_e32 v97, v96, v15
	s_delay_alu instid0(VALU_DEP_1) | instskip(NEXT) | instid1(VALU_DEP_1)
	v_add_nc_u32_e32 v98, v97, v16
	v_add_nc_u32_e32 v6, v98, v17
	ds_load_b32 v99, v29
	ds_load_b32 v17, v30 offset:2048
	ds_load_b32 v90, v31 offset:4096
	;; [unrolled: 1-line block ×15, first 2 shown]
	s_wait_loadcnt_dscnt 0x0
	s_barrier_signal -1
	v_add_nc_u32_e32 v3, v6, v12
	s_barrier_wait -1
	global_inv scope:SCOPE_SE
	v_add_nc_u32_e32 v7, v3, v13
	s_delay_alu instid0(VALU_DEP_1) | instskip(NEXT) | instid1(VALU_DEP_1)
	v_add_nc_u32_e32 v4, v7, v4
	v_add_nc_u32_e32 v5, v4, v5
	s_delay_alu instid0(VALU_DEP_1)
	v_add_nc_u32_e32 v2, v5, v2
	ds_store_2addr_b32 v28, v22, v23 offset1:1
	ds_store_2addr_b32 v28, v91, v92 offset0:2 offset1:3
	ds_store_2addr_b32 v28, v93, v94 offset0:4 offset1:5
	;; [unrolled: 1-line block ×7, first 2 shown]
	s_wait_loadcnt_dscnt 0x0
	s_barrier_signal -1
	s_barrier_wait -1
	global_inv scope:SCOPE_SE
	ds_load_b32 v16, v30 offset:2048
	ds_load_b32 v15, v31 offset:4096
	;; [unrolled: 1-line block ×15, first 2 shown]
	v_cmpx_ne_u32_e32 0, v99
	s_cbranch_execz .LBB922_38
; %bb.36:                               ;   in Loop: Header=BB922_6 Depth=1
	ds_load_b32 v22, v29
	s_wait_dscnt 0x0
	v_ashrrev_i32_e32 v23, 31, v22
	s_delay_alu instid0(VALU_DEP_1)
	v_cmp_gt_i64_e32 vcc_lo, s[16:17], v[22:23]
	s_and_b32 exec_lo, exec_lo, vcc_lo
	s_cbranch_execz .LBB922_38
; %bb.37:                               ;   in Loop: Header=BB922_6 Depth=1
	v_lshlrev_b64_e32 v[22:23], 3, v[22:23]
	s_delay_alu instid0(VALU_DEP_1) | instskip(SKIP_1) | instid1(VALU_DEP_2)
	v_add_co_u32 v22, vcc_lo, s14, v22
	s_wait_alu 0xfffd
	v_add_co_ci_u32_e64 v23, null, s15, v23, vcc_lo
	global_store_b64 v[22:23], v[18:19], off
.LBB922_38:                             ;   in Loop: Header=BB922_6 Depth=1
	s_wait_alu 0xfffe
	s_or_b32 exec_lo, exec_lo, s18
	s_delay_alu instid0(SALU_CYCLE_1)
	s_mov_b32 s18, exec_lo
	v_cmpx_ne_u32_e32 0, v17
	s_cbranch_execz .LBB922_41
; %bb.39:                               ;   in Loop: Header=BB922_6 Depth=1
	s_wait_dscnt 0xe
	v_ashrrev_i32_e32 v17, 31, v16
	s_delay_alu instid0(VALU_DEP_1)
	v_cmp_gt_i64_e32 vcc_lo, s[16:17], v[16:17]
	s_and_b32 exec_lo, exec_lo, vcc_lo
	s_cbranch_execz .LBB922_41
; %bb.40:                               ;   in Loop: Header=BB922_6 Depth=1
	s_load_b32 s19, s[0:1], 0xc
	v_lshlrev_b64_e32 v[16:17], 3, v[16:17]
	s_wait_kmcnt 0x0
	s_and_b32 s19, s19, 0xffff
	s_wait_alu 0xfffe
	v_add_co_u32 v22, vcc_lo, v18, s19
	s_wait_alu 0xfffd
	v_add_co_ci_u32_e64 v23, null, 0, v19, vcc_lo
	v_add_co_u32 v16, vcc_lo, s14, v16
	s_wait_alu 0xfffd
	v_add_co_ci_u32_e64 v17, null, s15, v17, vcc_lo
	global_store_b64 v[16:17], v[22:23], off
.LBB922_41:                             ;   in Loop: Header=BB922_6 Depth=1
	s_wait_alu 0xfffe
	s_or_b32 exec_lo, exec_lo, s18
	s_delay_alu instid0(SALU_CYCLE_1)
	s_mov_b32 s18, exec_lo
	v_cmpx_ne_u32_e32 0, v90
	s_cbranch_execz .LBB922_44
; %bb.42:                               ;   in Loop: Header=BB922_6 Depth=1
	s_wait_dscnt 0xd
	v_ashrrev_i32_e32 v16, 31, v15
	s_delay_alu instid0(VALU_DEP_1)
	v_cmp_gt_i64_e32 vcc_lo, s[16:17], v[15:16]
	s_and_b32 exec_lo, exec_lo, vcc_lo
	s_cbranch_execz .LBB922_44
; %bb.43:                               ;   in Loop: Header=BB922_6 Depth=1
	s_load_b32 s19, s[0:1], 0xc
	v_lshlrev_b64_e32 v[15:16], 3, v[15:16]
	s_wait_kmcnt 0x0
	s_and_b32 s19, s19, 0xffff
	s_wait_alu 0xfffe
	s_lshl_b32 s19, s19, 1
	s_wait_alu 0xfffe
	v_add_co_u32 v22, vcc_lo, v18, s19
	s_wait_alu 0xfffd
	v_add_co_ci_u32_e64 v23, null, 0, v19, vcc_lo
	v_add_co_u32 v15, vcc_lo, s14, v15
	s_wait_alu 0xfffd
	v_add_co_ci_u32_e64 v16, null, s15, v16, vcc_lo
	global_store_b64 v[15:16], v[22:23], off
.LBB922_44:                             ;   in Loop: Header=BB922_6 Depth=1
	s_wait_alu 0xfffe
	s_or_b32 exec_lo, exec_lo, s18
	s_delay_alu instid0(SALU_CYCLE_1)
	s_mov_b32 s18, exec_lo
	v_cmpx_ne_u32_e32 0, v89
	s_cbranch_execz .LBB922_47
; %bb.45:                               ;   in Loop: Header=BB922_6 Depth=1
	s_wait_dscnt 0xc
	v_ashrrev_i32_e32 v15, 31, v14
	s_delay_alu instid0(VALU_DEP_1)
	v_cmp_gt_i64_e32 vcc_lo, s[16:17], v[14:15]
	s_and_b32 exec_lo, exec_lo, vcc_lo
	s_cbranch_execz .LBB922_47
; %bb.46:                               ;   in Loop: Header=BB922_6 Depth=1
	s_load_b32 s19, s[0:1], 0xc
	v_lshlrev_b64_e32 v[14:15], 3, v[14:15]
	s_wait_kmcnt 0x0
	s_and_b32 s19, s19, 0xffff
	s_wait_alu 0xfffe
	s_mul_i32 s19, s19, 3
	s_wait_alu 0xfffe
	v_add_co_u32 v16, vcc_lo, v18, s19
	s_wait_alu 0xfffd
	v_add_co_ci_u32_e64 v17, null, 0, v19, vcc_lo
	v_add_co_u32 v14, vcc_lo, s14, v14
	s_wait_alu 0xfffd
	v_add_co_ci_u32_e64 v15, null, s15, v15, vcc_lo
	global_store_b64 v[14:15], v[16:17], off
.LBB922_47:                             ;   in Loop: Header=BB922_6 Depth=1
	s_wait_alu 0xfffe
	s_or_b32 exec_lo, exec_lo, s18
	s_delay_alu instid0(SALU_CYCLE_1)
	s_mov_b32 s18, exec_lo
	v_cmpx_ne_u32_e32 0, v88
	s_cbranch_execz .LBB922_50
; %bb.48:                               ;   in Loop: Header=BB922_6 Depth=1
	s_wait_dscnt 0xb
	v_ashrrev_i32_e32 v14, 31, v13
	s_delay_alu instid0(VALU_DEP_1)
	v_cmp_gt_i64_e32 vcc_lo, s[16:17], v[13:14]
	s_and_b32 exec_lo, exec_lo, vcc_lo
	s_cbranch_execz .LBB922_50
; %bb.49:                               ;   in Loop: Header=BB922_6 Depth=1
	s_load_b32 s19, s[0:1], 0xc
	v_lshlrev_b64_e32 v[13:14], 3, v[13:14]
	s_wait_kmcnt 0x0
	s_and_b32 s19, s19, 0xffff
	s_wait_alu 0xfffe
	s_lshl_b32 s19, s19, 2
	s_wait_alu 0xfffe
	v_add_co_u32 v15, vcc_lo, v18, s19
	s_wait_alu 0xfffd
	v_add_co_ci_u32_e64 v16, null, 0, v19, vcc_lo
	v_add_co_u32 v13, vcc_lo, s14, v13
	s_wait_alu 0xfffd
	v_add_co_ci_u32_e64 v14, null, s15, v14, vcc_lo
	global_store_b64 v[13:14], v[15:16], off
.LBB922_50:                             ;   in Loop: Header=BB922_6 Depth=1
	s_wait_alu 0xfffe
	s_or_b32 exec_lo, exec_lo, s18
	s_delay_alu instid0(SALU_CYCLE_1)
	s_mov_b32 s18, exec_lo
	v_cmpx_ne_u32_e32 0, v87
	s_cbranch_execz .LBB922_53
; %bb.51:                               ;   in Loop: Header=BB922_6 Depth=1
	s_wait_dscnt 0xa
	v_ashrrev_i32_e32 v13, 31, v12
	s_delay_alu instid0(VALU_DEP_1)
	v_cmp_gt_i64_e32 vcc_lo, s[16:17], v[12:13]
	s_and_b32 exec_lo, exec_lo, vcc_lo
	s_cbranch_execz .LBB922_53
; %bb.52:                               ;   in Loop: Header=BB922_6 Depth=1
	s_load_b32 s19, s[0:1], 0xc
	v_lshlrev_b64_e32 v[12:13], 3, v[12:13]
	s_wait_kmcnt 0x0
	s_and_b32 s19, s19, 0xffff
	s_wait_alu 0xfffe
	s_mul_i32 s19, s19, 5
	s_wait_alu 0xfffe
	v_add_co_u32 v14, vcc_lo, v18, s19
	s_wait_alu 0xfffd
	v_add_co_ci_u32_e64 v15, null, 0, v19, vcc_lo
	v_add_co_u32 v12, vcc_lo, s14, v12
	s_wait_alu 0xfffd
	v_add_co_ci_u32_e64 v13, null, s15, v13, vcc_lo
	global_store_b64 v[12:13], v[14:15], off
.LBB922_53:                             ;   in Loop: Header=BB922_6 Depth=1
	s_wait_alu 0xfffe
	s_or_b32 exec_lo, exec_lo, s18
	s_delay_alu instid0(SALU_CYCLE_1)
	s_mov_b32 s18, exec_lo
	v_cmpx_ne_u32_e32 0, v86
	s_cbranch_execz .LBB922_56
; %bb.54:                               ;   in Loop: Header=BB922_6 Depth=1
	s_wait_dscnt 0x9
	v_ashrrev_i32_e32 v12, 31, v11
	s_delay_alu instid0(VALU_DEP_1)
	v_cmp_gt_i64_e32 vcc_lo, s[16:17], v[11:12]
	s_and_b32 exec_lo, exec_lo, vcc_lo
	s_cbranch_execz .LBB922_56
; %bb.55:                               ;   in Loop: Header=BB922_6 Depth=1
	s_load_b32 s19, s[0:1], 0xc
	v_lshlrev_b64_e32 v[11:12], 3, v[11:12]
	s_wait_kmcnt 0x0
	s_and_b32 s19, s19, 0xffff
	s_wait_alu 0xfffe
	s_mul_i32 s19, s19, 6
	s_wait_alu 0xfffe
	v_add_co_u32 v13, vcc_lo, v18, s19
	s_wait_alu 0xfffd
	v_add_co_ci_u32_e64 v14, null, 0, v19, vcc_lo
	v_add_co_u32 v11, vcc_lo, s14, v11
	s_wait_alu 0xfffd
	v_add_co_ci_u32_e64 v12, null, s15, v12, vcc_lo
	global_store_b64 v[11:12], v[13:14], off
.LBB922_56:                             ;   in Loop: Header=BB922_6 Depth=1
	;; [unrolled: 29-line block ×3, first 2 shown]
	s_wait_alu 0xfffe
	s_or_b32 exec_lo, exec_lo, s18
	s_delay_alu instid0(SALU_CYCLE_1)
	s_mov_b32 s18, exec_lo
	v_cmpx_ne_u32_e32 0, v84
	s_cbranch_execz .LBB922_62
; %bb.60:                               ;   in Loop: Header=BB922_6 Depth=1
	s_wait_dscnt 0x7
	v_ashrrev_i32_e32 v10, 31, v9
	s_delay_alu instid0(VALU_DEP_1)
	v_cmp_gt_i64_e32 vcc_lo, s[16:17], v[9:10]
	s_and_b32 exec_lo, exec_lo, vcc_lo
	s_cbranch_execz .LBB922_62
; %bb.61:                               ;   in Loop: Header=BB922_6 Depth=1
	s_load_b32 s19, s[0:1], 0xc
	v_lshlrev_b64_e32 v[9:10], 3, v[9:10]
	s_wait_kmcnt 0x0
	s_and_b32 s19, s19, 0xffff
	s_wait_alu 0xfffe
	s_lshl_b32 s19, s19, 3
	s_wait_alu 0xfffe
	v_add_co_u32 v11, vcc_lo, v18, s19
	s_wait_alu 0xfffd
	v_add_co_ci_u32_e64 v12, null, 0, v19, vcc_lo
	v_add_co_u32 v9, vcc_lo, s14, v9
	s_wait_alu 0xfffd
	v_add_co_ci_u32_e64 v10, null, s15, v10, vcc_lo
	global_store_b64 v[9:10], v[11:12], off
.LBB922_62:                             ;   in Loop: Header=BB922_6 Depth=1
	s_wait_alu 0xfffe
	s_or_b32 exec_lo, exec_lo, s18
	s_delay_alu instid0(SALU_CYCLE_1)
	s_mov_b32 s18, exec_lo
	v_cmpx_ne_u32_e32 0, v83
	s_cbranch_execz .LBB922_65
; %bb.63:                               ;   in Loop: Header=BB922_6 Depth=1
	s_wait_dscnt 0x6
	v_ashrrev_i32_e32 v9, 31, v8
	s_delay_alu instid0(VALU_DEP_1)
	v_cmp_gt_i64_e32 vcc_lo, s[16:17], v[8:9]
	s_and_b32 exec_lo, exec_lo, vcc_lo
	s_cbranch_execz .LBB922_65
; %bb.64:                               ;   in Loop: Header=BB922_6 Depth=1
	s_load_b32 s19, s[0:1], 0xc
	v_lshlrev_b64_e32 v[8:9], 3, v[8:9]
	s_wait_kmcnt 0x0
	s_and_b32 s19, s19, 0xffff
	s_wait_alu 0xfffe
	s_mul_i32 s19, s19, 9
	s_wait_alu 0xfffe
	v_add_co_u32 v10, vcc_lo, v18, s19
	s_wait_alu 0xfffd
	v_add_co_ci_u32_e64 v11, null, 0, v19, vcc_lo
	v_add_co_u32 v8, vcc_lo, s14, v8
	s_wait_alu 0xfffd
	v_add_co_ci_u32_e64 v9, null, s15, v9, vcc_lo
	global_store_b64 v[8:9], v[10:11], off
.LBB922_65:                             ;   in Loop: Header=BB922_6 Depth=1
	s_wait_alu 0xfffe
	s_or_b32 exec_lo, exec_lo, s18
	s_delay_alu instid0(SALU_CYCLE_1)
	s_mov_b32 s18, exec_lo
	v_cmpx_ne_u32_e32 0, v82
	s_cbranch_execz .LBB922_68
; %bb.66:                               ;   in Loop: Header=BB922_6 Depth=1
	s_wait_dscnt 0x5
	v_ashrrev_i32_e32 v8, 31, v7
	s_delay_alu instid0(VALU_DEP_1)
	v_cmp_gt_i64_e32 vcc_lo, s[16:17], v[7:8]
	s_and_b32 exec_lo, exec_lo, vcc_lo
	s_cbranch_execz .LBB922_68
; %bb.67:                               ;   in Loop: Header=BB922_6 Depth=1
	s_load_b32 s19, s[0:1], 0xc
	v_lshlrev_b64_e32 v[7:8], 3, v[7:8]
	s_wait_kmcnt 0x0
	s_and_b32 s19, s19, 0xffff
	s_wait_alu 0xfffe
	s_mul_i32 s19, s19, 10
	s_wait_alu 0xfffe
	v_add_co_u32 v9, vcc_lo, v18, s19
	s_wait_alu 0xfffd
	v_add_co_ci_u32_e64 v10, null, 0, v19, vcc_lo
	v_add_co_u32 v7, vcc_lo, s14, v7
	s_wait_alu 0xfffd
	v_add_co_ci_u32_e64 v8, null, s15, v8, vcc_lo
	global_store_b64 v[7:8], v[9:10], off
.LBB922_68:                             ;   in Loop: Header=BB922_6 Depth=1
	;; [unrolled: 29-line block ×7, first 2 shown]
	s_wait_alu 0xfffe
	s_or_b32 exec_lo, exec_lo, s18
	ds_load_b32 v0, v1 offset:33792
	v_cmp_lt_i64_e64 s22, 0x2000, s[12:13]
	s_wait_dscnt 0x0
	v_readfirstlane_b32 s18, v0
	s_ashr_i32 s19, s18, 31
	s_wait_alu 0xfffe
	s_sub_nc_u64 s[16:17], s[16:17], s[18:19]
	s_wait_alu 0xfffe
	v_cmp_gt_i64_e64 s23, s[16:17], 0
	s_and_b32 s22, s22, s23
	s_wait_alu 0xfffe
	s_and_not1_b32 vcc_lo, exec_lo, s22
	s_wait_alu 0xfffe
	s_cbranch_vccz .LBB922_5
; %bb.84:
                                        ; implicit-def: $sgpr12_sgpr13
                                        ; implicit-def: $sgpr14_sgpr15
                                        ; implicit-def: $vgpr18_vgpr19
                                        ; implicit-def: $sgpr26
                                        ; implicit-def: $vgpr20_vgpr21
	s_branch .LBB922_100
.LBB922_85:                             ;   in Loop: Header=BB922_6 Depth=1
	global_load_u16 v0, v[20:21], off
	v_dual_mov_b32 v14, v1 :: v_dual_mov_b32 v15, v1
	v_dual_mov_b32 v2, v1 :: v_dual_mov_b32 v3, v1
	;; [unrolled: 1-line block ×7, first 2 shown]
	s_wait_loadcnt 0x0
	v_and_b32_e32 v0, 0x7fff, v0
	v_mov_b32_e32 v17, v15
	s_delay_alu instid0(VALU_DEP_3) | instskip(SKIP_1) | instid1(VALU_DEP_4)
	v_dual_mov_b32 v16, v14 :: v_dual_mov_b32 v15, v13
	v_mov_b32_e32 v14, v12
	v_cmp_ne_u16_e32 vcc_lo, 0, v0
	v_mov_b32_e32 v13, v11
	v_mov_b32_e32 v12, v10
	;; [unrolled: 1-line block ×12, first 2 shown]
	s_wait_alu 0xfffd
	v_cndmask_b32_e64 v0, 0, 1, vcc_lo
	s_wait_alu 0xfffe
	s_or_b32 exec_lo, exec_lo, s18
	s_delay_alu instid0(SALU_CYCLE_1)
	s_mov_b32 s18, exec_lo
	v_cmpx_gt_u32_e64 s12, v46
	s_cbranch_execz .LBB922_9
.LBB922_86:                             ;   in Loop: Header=BB922_6 Depth=1
	global_load_u16 v2, v[20:21], off offset:64
	s_wait_loadcnt 0x0
	v_and_b32_e32 v2, 0x7fff, v2
	s_delay_alu instid0(VALU_DEP_1) | instskip(SKIP_4) | instid1(SALU_CYCLE_1)
	v_cmp_ne_u16_e32 vcc_lo, 0, v2
	s_wait_alu 0xfffd
	v_cndmask_b32_e64 v3, 0, 1, vcc_lo
	s_wait_alu 0xfffe
	s_or_b32 exec_lo, exec_lo, s18
	s_mov_b32 s18, exec_lo
	v_cmpx_gt_u32_e64 s12, v47
	s_cbranch_execz .LBB922_10
.LBB922_87:                             ;   in Loop: Header=BB922_6 Depth=1
	global_load_u16 v2, v[20:21], off offset:128
	s_wait_loadcnt 0x0
	v_and_b32_e32 v2, 0x7fff, v2
	s_delay_alu instid0(VALU_DEP_1) | instskip(SKIP_4) | instid1(SALU_CYCLE_1)
	v_cmp_ne_u16_e32 vcc_lo, 0, v2
	s_wait_alu 0xfffd
	v_cndmask_b32_e64 v4, 0, 1, vcc_lo
	s_wait_alu 0xfffe
	s_or_b32 exec_lo, exec_lo, s18
	s_mov_b32 s18, exec_lo
	v_cmpx_gt_u32_e64 s12, v48
	s_cbranch_execz .LBB922_11
.LBB922_88:                             ;   in Loop: Header=BB922_6 Depth=1
	global_load_u16 v2, v[20:21], off offset:192
	s_wait_loadcnt 0x0
	v_and_b32_e32 v2, 0x7fff, v2
	s_delay_alu instid0(VALU_DEP_1) | instskip(SKIP_4) | instid1(SALU_CYCLE_1)
	v_cmp_ne_u16_e32 vcc_lo, 0, v2
	s_wait_alu 0xfffd
	v_cndmask_b32_e64 v5, 0, 1, vcc_lo
	s_wait_alu 0xfffe
	s_or_b32 exec_lo, exec_lo, s18
	s_mov_b32 s18, exec_lo
	v_cmpx_gt_u32_e64 s12, v49
	s_cbranch_execz .LBB922_12
.LBB922_89:                             ;   in Loop: Header=BB922_6 Depth=1
	global_load_u16 v2, v[20:21], off offset:256
	s_wait_loadcnt 0x0
	v_and_b32_e32 v2, 0x7fff, v2
	s_delay_alu instid0(VALU_DEP_1) | instskip(SKIP_4) | instid1(SALU_CYCLE_1)
	v_cmp_ne_u16_e32 vcc_lo, 0, v2
	s_wait_alu 0xfffd
	v_cndmask_b32_e64 v6, 0, 1, vcc_lo
	s_wait_alu 0xfffe
	s_or_b32 exec_lo, exec_lo, s18
	s_mov_b32 s18, exec_lo
	v_cmpx_gt_u32_e64 s12, v50
	s_cbranch_execz .LBB922_13
.LBB922_90:                             ;   in Loop: Header=BB922_6 Depth=1
	global_load_u16 v2, v[20:21], off offset:320
	s_wait_loadcnt 0x0
	v_and_b32_e32 v2, 0x7fff, v2
	s_delay_alu instid0(VALU_DEP_1) | instskip(SKIP_4) | instid1(SALU_CYCLE_1)
	v_cmp_ne_u16_e32 vcc_lo, 0, v2
	s_wait_alu 0xfffd
	v_cndmask_b32_e64 v7, 0, 1, vcc_lo
	s_wait_alu 0xfffe
	s_or_b32 exec_lo, exec_lo, s18
	s_mov_b32 s18, exec_lo
	v_cmpx_gt_u32_e64 s12, v51
	s_cbranch_execz .LBB922_14
.LBB922_91:                             ;   in Loop: Header=BB922_6 Depth=1
	global_load_u16 v2, v[20:21], off offset:384
	s_wait_loadcnt 0x0
	v_and_b32_e32 v2, 0x7fff, v2
	s_delay_alu instid0(VALU_DEP_1) | instskip(SKIP_4) | instid1(SALU_CYCLE_1)
	v_cmp_ne_u16_e32 vcc_lo, 0, v2
	s_wait_alu 0xfffd
	v_cndmask_b32_e64 v8, 0, 1, vcc_lo
	s_wait_alu 0xfffe
	s_or_b32 exec_lo, exec_lo, s18
	s_mov_b32 s18, exec_lo
	v_cmpx_gt_u32_e64 s12, v52
	s_cbranch_execz .LBB922_15
.LBB922_92:                             ;   in Loop: Header=BB922_6 Depth=1
	global_load_u16 v2, v[20:21], off offset:448
	s_wait_loadcnt 0x0
	v_and_b32_e32 v2, 0x7fff, v2
	s_delay_alu instid0(VALU_DEP_1) | instskip(SKIP_4) | instid1(SALU_CYCLE_1)
	v_cmp_ne_u16_e32 vcc_lo, 0, v2
	s_wait_alu 0xfffd
	v_cndmask_b32_e64 v9, 0, 1, vcc_lo
	s_wait_alu 0xfffe
	s_or_b32 exec_lo, exec_lo, s18
	s_mov_b32 s18, exec_lo
	v_cmpx_gt_u32_e64 s12, v53
	s_cbranch_execz .LBB922_16
.LBB922_93:                             ;   in Loop: Header=BB922_6 Depth=1
	global_load_u16 v2, v[20:21], off offset:512
	s_wait_loadcnt 0x0
	v_and_b32_e32 v2, 0x7fff, v2
	s_delay_alu instid0(VALU_DEP_1) | instskip(SKIP_4) | instid1(SALU_CYCLE_1)
	v_cmp_ne_u16_e32 vcc_lo, 0, v2
	s_wait_alu 0xfffd
	v_cndmask_b32_e64 v10, 0, 1, vcc_lo
	s_wait_alu 0xfffe
	s_or_b32 exec_lo, exec_lo, s18
	s_mov_b32 s18, exec_lo
	v_cmpx_gt_u32_e64 s12, v54
	s_cbranch_execz .LBB922_17
.LBB922_94:                             ;   in Loop: Header=BB922_6 Depth=1
	global_load_u16 v2, v[20:21], off offset:576
	s_wait_loadcnt 0x0
	v_and_b32_e32 v2, 0x7fff, v2
	s_delay_alu instid0(VALU_DEP_1) | instskip(SKIP_4) | instid1(SALU_CYCLE_1)
	v_cmp_ne_u16_e32 vcc_lo, 0, v2
	s_wait_alu 0xfffd
	v_cndmask_b32_e64 v11, 0, 1, vcc_lo
	s_wait_alu 0xfffe
	s_or_b32 exec_lo, exec_lo, s18
	s_mov_b32 s18, exec_lo
	v_cmpx_gt_u32_e64 s12, v55
	s_cbranch_execz .LBB922_18
.LBB922_95:                             ;   in Loop: Header=BB922_6 Depth=1
	global_load_u16 v2, v[20:21], off offset:640
	s_wait_loadcnt 0x0
	v_and_b32_e32 v2, 0x7fff, v2
	s_delay_alu instid0(VALU_DEP_1) | instskip(SKIP_4) | instid1(SALU_CYCLE_1)
	v_cmp_ne_u16_e32 vcc_lo, 0, v2
	s_wait_alu 0xfffd
	v_cndmask_b32_e64 v12, 0, 1, vcc_lo
	s_wait_alu 0xfffe
	s_or_b32 exec_lo, exec_lo, s18
	s_mov_b32 s18, exec_lo
	v_cmpx_gt_u32_e64 s12, v56
	s_cbranch_execz .LBB922_19
.LBB922_96:                             ;   in Loop: Header=BB922_6 Depth=1
	global_load_u16 v2, v[20:21], off offset:704
	s_wait_loadcnt 0x0
	v_and_b32_e32 v2, 0x7fff, v2
	s_delay_alu instid0(VALU_DEP_1) | instskip(SKIP_4) | instid1(SALU_CYCLE_1)
	v_cmp_ne_u16_e32 vcc_lo, 0, v2
	s_wait_alu 0xfffd
	v_cndmask_b32_e64 v13, 0, 1, vcc_lo
	s_wait_alu 0xfffe
	s_or_b32 exec_lo, exec_lo, s18
	s_mov_b32 s18, exec_lo
	v_cmpx_gt_u32_e64 s12, v57
	s_cbranch_execz .LBB922_20
.LBB922_97:                             ;   in Loop: Header=BB922_6 Depth=1
	global_load_u16 v2, v[20:21], off offset:768
	s_wait_loadcnt 0x0
	v_and_b32_e32 v2, 0x7fff, v2
	s_delay_alu instid0(VALU_DEP_1) | instskip(SKIP_4) | instid1(SALU_CYCLE_1)
	v_cmp_ne_u16_e32 vcc_lo, 0, v2
	s_wait_alu 0xfffd
	v_cndmask_b32_e64 v14, 0, 1, vcc_lo
	s_wait_alu 0xfffe
	s_or_b32 exec_lo, exec_lo, s18
	s_mov_b32 s18, exec_lo
	v_cmpx_gt_u32_e64 s12, v58
	s_cbranch_execz .LBB922_21
.LBB922_98:                             ;   in Loop: Header=BB922_6 Depth=1
	global_load_u16 v2, v[20:21], off offset:832
	s_wait_loadcnt 0x0
	v_and_b32_e32 v2, 0x7fff, v2
	s_delay_alu instid0(VALU_DEP_1) | instskip(SKIP_4) | instid1(SALU_CYCLE_1)
	v_cmp_ne_u16_e32 vcc_lo, 0, v2
	s_wait_alu 0xfffd
	v_cndmask_b32_e64 v15, 0, 1, vcc_lo
	s_wait_alu 0xfffe
	s_or_b32 exec_lo, exec_lo, s18
	s_mov_b32 s18, exec_lo
	v_cmpx_gt_u32_e64 s12, v59
	s_cbranch_execz .LBB922_22
.LBB922_99:                             ;   in Loop: Header=BB922_6 Depth=1
	global_load_u16 v2, v[20:21], off offset:896
	s_wait_loadcnt 0x0
	v_and_b32_e32 v2, 0x7fff, v2
	s_delay_alu instid0(VALU_DEP_1) | instskip(SKIP_4) | instid1(SALU_CYCLE_1)
	v_cmp_ne_u16_e32 vcc_lo, 0, v2
	s_wait_alu 0xfffd
	v_cndmask_b32_e64 v16, 0, 1, vcc_lo
	s_wait_alu 0xfffe
	s_or_b32 exec_lo, exec_lo, s18
	s_mov_b32 s18, exec_lo
	v_cmpx_gt_u32_e64 s12, v60
	s_cbranch_execnz .LBB922_23
	s_branch .LBB922_24
.LBB922_100:
	s_nop 0
	s_sendmsg sendmsg(MSG_DEALLOC_VGPRS)
	s_endpgm
	.section	.rodata,"a",@progbits
	.p2align	6, 0x0
	.amdhsa_kernel _ZN2at6native12_GLOBAL__N_111flag_kernelILi512ELi16EN3c108BFloat16EEEvPKT1_PlPKllli
		.amdhsa_group_segment_fixed_size 33796
		.amdhsa_private_segment_fixed_size 0
		.amdhsa_kernarg_size 304
		.amdhsa_user_sgpr_count 2
		.amdhsa_user_sgpr_dispatch_ptr 0
		.amdhsa_user_sgpr_queue_ptr 0
		.amdhsa_user_sgpr_kernarg_segment_ptr 1
		.amdhsa_user_sgpr_dispatch_id 0
		.amdhsa_user_sgpr_private_segment_size 0
		.amdhsa_wavefront_size32 1
		.amdhsa_uses_dynamic_stack 0
		.amdhsa_enable_private_segment 0
		.amdhsa_system_sgpr_workgroup_id_x 1
		.amdhsa_system_sgpr_workgroup_id_y 0
		.amdhsa_system_sgpr_workgroup_id_z 0
		.amdhsa_system_sgpr_workgroup_info 0
		.amdhsa_system_vgpr_workitem_id 0
		.amdhsa_next_free_vgpr 100
		.amdhsa_next_free_sgpr 27
		.amdhsa_reserve_vcc 1
		.amdhsa_float_round_mode_32 0
		.amdhsa_float_round_mode_16_64 0
		.amdhsa_float_denorm_mode_32 3
		.amdhsa_float_denorm_mode_16_64 3
		.amdhsa_fp16_overflow 0
		.amdhsa_workgroup_processor_mode 1
		.amdhsa_memory_ordered 1
		.amdhsa_forward_progress 1
		.amdhsa_inst_pref_size 59
		.amdhsa_round_robin_scheduling 0
		.amdhsa_exception_fp_ieee_invalid_op 0
		.amdhsa_exception_fp_denorm_src 0
		.amdhsa_exception_fp_ieee_div_zero 0
		.amdhsa_exception_fp_ieee_overflow 0
		.amdhsa_exception_fp_ieee_underflow 0
		.amdhsa_exception_fp_ieee_inexact 0
		.amdhsa_exception_int_div_zero 0
	.end_amdhsa_kernel
	.section	.text._ZN2at6native12_GLOBAL__N_111flag_kernelILi512ELi16EN3c108BFloat16EEEvPKT1_PlPKllli,"axG",@progbits,_ZN2at6native12_GLOBAL__N_111flag_kernelILi512ELi16EN3c108BFloat16EEEvPKT1_PlPKllli,comdat
.Lfunc_end922:
	.size	_ZN2at6native12_GLOBAL__N_111flag_kernelILi512ELi16EN3c108BFloat16EEEvPKT1_PlPKllli, .Lfunc_end922-_ZN2at6native12_GLOBAL__N_111flag_kernelILi512ELi16EN3c108BFloat16EEEvPKT1_PlPKllli
                                        ; -- End function
	.set _ZN2at6native12_GLOBAL__N_111flag_kernelILi512ELi16EN3c108BFloat16EEEvPKT1_PlPKllli.num_vgpr, 100
	.set _ZN2at6native12_GLOBAL__N_111flag_kernelILi512ELi16EN3c108BFloat16EEEvPKT1_PlPKllli.num_agpr, 0
	.set _ZN2at6native12_GLOBAL__N_111flag_kernelILi512ELi16EN3c108BFloat16EEEvPKT1_PlPKllli.numbered_sgpr, 27
	.set _ZN2at6native12_GLOBAL__N_111flag_kernelILi512ELi16EN3c108BFloat16EEEvPKT1_PlPKllli.num_named_barrier, 0
	.set _ZN2at6native12_GLOBAL__N_111flag_kernelILi512ELi16EN3c108BFloat16EEEvPKT1_PlPKllli.private_seg_size, 0
	.set _ZN2at6native12_GLOBAL__N_111flag_kernelILi512ELi16EN3c108BFloat16EEEvPKT1_PlPKllli.uses_vcc, 1
	.set _ZN2at6native12_GLOBAL__N_111flag_kernelILi512ELi16EN3c108BFloat16EEEvPKT1_PlPKllli.uses_flat_scratch, 0
	.set _ZN2at6native12_GLOBAL__N_111flag_kernelILi512ELi16EN3c108BFloat16EEEvPKT1_PlPKllli.has_dyn_sized_stack, 0
	.set _ZN2at6native12_GLOBAL__N_111flag_kernelILi512ELi16EN3c108BFloat16EEEvPKT1_PlPKllli.has_recursion, 0
	.set _ZN2at6native12_GLOBAL__N_111flag_kernelILi512ELi16EN3c108BFloat16EEEvPKT1_PlPKllli.has_indirect_call, 0
	.section	.AMDGPU.csdata,"",@progbits
; Kernel info:
; codeLenInByte = 7480
; TotalNumSgprs: 29
; NumVgprs: 100
; ScratchSize: 0
; MemoryBound: 0
; FloatMode: 240
; IeeeMode: 1
; LDSByteSize: 33796 bytes/workgroup (compile time only)
; SGPRBlocks: 0
; VGPRBlocks: 12
; NumSGPRsForWavesPerEU: 29
; NumVGPRsForWavesPerEU: 100
; Occupancy: 12
; WaveLimiterHint : 0
; COMPUTE_PGM_RSRC2:SCRATCH_EN: 0
; COMPUTE_PGM_RSRC2:USER_SGPR: 2
; COMPUTE_PGM_RSRC2:TRAP_HANDLER: 0
; COMPUTE_PGM_RSRC2:TGID_X_EN: 1
; COMPUTE_PGM_RSRC2:TGID_Y_EN: 0
; COMPUTE_PGM_RSRC2:TGID_Z_EN: 0
; COMPUTE_PGM_RSRC2:TIDIG_COMP_CNT: 0
	.section	.text._ZN2at4cuda3cub15calc_block_sumsILi512ELi16ELb1EN3c104HalfEiEEvPKT2_PT3_li,"axG",@progbits,_ZN2at4cuda3cub15calc_block_sumsILi512ELi16ELb1EN3c104HalfEiEEvPKT2_PT3_li,comdat
	.protected	_ZN2at4cuda3cub15calc_block_sumsILi512ELi16ELb1EN3c104HalfEiEEvPKT2_PT3_li ; -- Begin function _ZN2at4cuda3cub15calc_block_sumsILi512ELi16ELb1EN3c104HalfEiEEvPKT2_PT3_li
	.globl	_ZN2at4cuda3cub15calc_block_sumsILi512ELi16ELb1EN3c104HalfEiEEvPKT2_PT3_li
	.p2align	8
	.type	_ZN2at4cuda3cub15calc_block_sumsILi512ELi16ELb1EN3c104HalfEiEEvPKT2_PT3_li,@function
_ZN2at4cuda3cub15calc_block_sumsILi512ELi16ELb1EN3c104HalfEiEEvPKT2_PT3_li: ; @_ZN2at4cuda3cub15calc_block_sumsILi512ELi16ELb1EN3c104HalfEiEEvPKT2_PT3_li
; %bb.0:
	s_load_b96 s[8:10], s[0:1], 0x10
	s_mov_b32 s2, ttmp9
	s_mov_b32 s3, 0
	s_wait_kmcnt 0x0
	s_lshl_b32 s4, s10, 13
	s_delay_alu instid0(SALU_CYCLE_1) | instskip(NEXT) | instid1(SALU_CYCLE_1)
	s_ashr_i32 s5, s4, 31
	s_mul_u64 s[12:13], s[4:5], s[2:3]
	s_delay_alu instid0(SALU_CYCLE_1) | instskip(NEXT) | instid1(SALU_CYCLE_1)
	s_sub_nc_u64 s[8:9], s[8:9], s[12:13]
	v_cmp_lt_i64_e64 s4, s[8:9], 1
	s_and_b32 vcc_lo, exec_lo, s4
	s_cbranch_vccnz .LBB923_58
; %bb.1:
	s_load_b128 s[4:7], s[0:1], 0x0
	s_mov_b32 s0, -1
	s_cmp_gt_i32 s10, 0
	s_mov_b32 s1, -1
	s_cbranch_scc1 .LBB923_3
; %bb.2:
	s_mov_b32 s1, 0
.LBB923_3:
	v_mov_b32_e32 v20, 0
	s_and_not1_b32 vcc_lo, exec_lo, s1
	s_cbranch_vccnz .LBB923_56
; %bb.4:
	v_lshrrev_b32_e32 v1, 3, v0
	s_lshl_b64 s[12:13], s[12:13], 1
	v_dual_mov_b32 v20, 0 :: v_dual_add_nc_u32 v21, 0x200, v0
	s_wait_kmcnt 0x0
	s_add_nc_u64 s[4:5], s[4:5], s[12:13]
	v_and_b32_e32 v36, 0x7c, v1
	v_lshlrev_b32_e32 v1, 1, v0
	v_or_b32_e32 v22, 0x400, v0
	v_add_nc_u32_e32 v23, 0x600, v0
	v_or_b32_e32 v24, 0x800, v0
	v_add_nc_u32_e32 v25, 0xa00, v0
	v_add_co_u32 v2, s1, s4, v1
	s_delay_alu instid0(VALU_DEP_1) | instskip(SKIP_1) | instid1(VALU_DEP_3)
	v_add_co_ci_u32_e64 v3, null, s5, 0, s1
	v_or_b32_e32 v26, 0xc00, v0
	v_add_co_u32 v18, vcc_lo, 0x3c00, v2
	v_add_nc_u32_e32 v27, 0xe00, v0
	v_or_b32_e32 v28, 0x1000, v0
	v_add_nc_u32_e32 v29, 0x1200, v0
	v_or_b32_e32 v30, 0x1400, v0
	;; [unrolled: 2-line block ×4, first 2 shown]
	v_add_nc_u32_e32 v35, 0x1e00, v0
	v_cmp_gt_u32_e64 s0, 32, v0
	v_mov_b32_e32 v1, 0
	v_add_co_ci_u32_e64 v19, null, 0, v3, vcc_lo
	v_mbcnt_lo_u32_b32 v37, -1, 0
	s_movk_i32 s4, 0xe000
	s_mov_b32 s5, -1
	s_branch .LBB923_6
.LBB923_5:                              ;   in Loop: Header=BB923_6 Depth=1
	v_add_nc_u32_e32 v20, v2, v20
	s_and_not1_b32 vcc_lo, exec_lo, s11
	s_wait_alu 0xfffe
	s_cbranch_vccz .LBB923_52
.LBB923_6:                              ; =>This Inner Loop Header: Depth=1
	v_cmp_gt_i64_e64 s1, 0x2000, s[8:9]
                                        ; implicit-def: $vgpr2
	s_and_b32 vcc_lo, exec_lo, s1
	s_mov_b32 s1, -1
	s_wait_alu 0xfffe
	s_cbranch_vccz .LBB923_29
; %bb.7:                                ;   in Loop: Header=BB923_6 Depth=1
	v_mov_b32_e32 v16, v1
	v_dual_mov_b32 v2, v1 :: v_dual_mov_b32 v3, v1
	v_dual_mov_b32 v4, v1 :: v_dual_mov_b32 v5, v1
	;; [unrolled: 1-line block ×7, first 2 shown]
	v_mov_b32_e32 v17, v16
	s_delay_alu instid0(VALU_DEP_2) | instskip(NEXT) | instid1(VALU_DEP_3)
	v_mov_b32_e32 v16, v15
	v_mov_b32_e32 v15, v14
	;; [unrolled: 1-line block ×15, first 2 shown]
	s_mov_b32 s1, exec_lo
	v_cmpx_gt_u32_e64 s8, v0
	s_cbranch_execnz .LBB923_37
; %bb.8:                                ;   in Loop: Header=BB923_6 Depth=1
	s_wait_alu 0xfffe
	s_or_b32 exec_lo, exec_lo, s1
	s_delay_alu instid0(SALU_CYCLE_1)
	s_mov_b32 s1, exec_lo
	v_cmpx_gt_u32_e64 s8, v21
	s_cbranch_execnz .LBB923_38
.LBB923_9:                              ;   in Loop: Header=BB923_6 Depth=1
	s_wait_alu 0xfffe
	s_or_b32 exec_lo, exec_lo, s1
	s_delay_alu instid0(SALU_CYCLE_1)
	s_mov_b32 s1, exec_lo
	v_cmpx_gt_u32_e64 s8, v22
	s_cbranch_execnz .LBB923_39
.LBB923_10:                             ;   in Loop: Header=BB923_6 Depth=1
	s_wait_alu 0xfffe
	s_or_b32 exec_lo, exec_lo, s1
	s_delay_alu instid0(SALU_CYCLE_1)
	s_mov_b32 s1, exec_lo
	v_cmpx_gt_u32_e64 s8, v23
	s_cbranch_execnz .LBB923_40
.LBB923_11:                             ;   in Loop: Header=BB923_6 Depth=1
	s_wait_alu 0xfffe
	s_or_b32 exec_lo, exec_lo, s1
	s_delay_alu instid0(SALU_CYCLE_1)
	s_mov_b32 s1, exec_lo
	v_cmpx_gt_u32_e64 s8, v24
	s_cbranch_execnz .LBB923_41
.LBB923_12:                             ;   in Loop: Header=BB923_6 Depth=1
	s_wait_alu 0xfffe
	s_or_b32 exec_lo, exec_lo, s1
	s_delay_alu instid0(SALU_CYCLE_1)
	s_mov_b32 s1, exec_lo
	v_cmpx_gt_u32_e64 s8, v25
	s_cbranch_execnz .LBB923_42
.LBB923_13:                             ;   in Loop: Header=BB923_6 Depth=1
	s_wait_alu 0xfffe
	s_or_b32 exec_lo, exec_lo, s1
	s_delay_alu instid0(SALU_CYCLE_1)
	s_mov_b32 s1, exec_lo
	v_cmpx_gt_u32_e64 s8, v26
	s_cbranch_execnz .LBB923_43
.LBB923_14:                             ;   in Loop: Header=BB923_6 Depth=1
	s_wait_alu 0xfffe
	s_or_b32 exec_lo, exec_lo, s1
	s_delay_alu instid0(SALU_CYCLE_1)
	s_mov_b32 s1, exec_lo
	v_cmpx_gt_u32_e64 s8, v27
	s_cbranch_execnz .LBB923_44
.LBB923_15:                             ;   in Loop: Header=BB923_6 Depth=1
	s_wait_alu 0xfffe
	s_or_b32 exec_lo, exec_lo, s1
	s_delay_alu instid0(SALU_CYCLE_1)
	s_mov_b32 s1, exec_lo
	v_cmpx_gt_u32_e64 s8, v28
	s_cbranch_execnz .LBB923_45
.LBB923_16:                             ;   in Loop: Header=BB923_6 Depth=1
	s_wait_alu 0xfffe
	s_or_b32 exec_lo, exec_lo, s1
	s_delay_alu instid0(SALU_CYCLE_1)
	s_mov_b32 s1, exec_lo
	v_cmpx_gt_u32_e64 s8, v29
	s_cbranch_execnz .LBB923_46
.LBB923_17:                             ;   in Loop: Header=BB923_6 Depth=1
	s_wait_alu 0xfffe
	s_or_b32 exec_lo, exec_lo, s1
	s_delay_alu instid0(SALU_CYCLE_1)
	s_mov_b32 s1, exec_lo
	v_cmpx_gt_u32_e64 s8, v30
	s_cbranch_execnz .LBB923_47
.LBB923_18:                             ;   in Loop: Header=BB923_6 Depth=1
	s_wait_alu 0xfffe
	s_or_b32 exec_lo, exec_lo, s1
	s_delay_alu instid0(SALU_CYCLE_1)
	s_mov_b32 s1, exec_lo
	v_cmpx_gt_u32_e64 s8, v31
	s_cbranch_execnz .LBB923_48
.LBB923_19:                             ;   in Loop: Header=BB923_6 Depth=1
	s_wait_alu 0xfffe
	s_or_b32 exec_lo, exec_lo, s1
	s_delay_alu instid0(SALU_CYCLE_1)
	s_mov_b32 s1, exec_lo
	v_cmpx_gt_u32_e64 s8, v32
	s_cbranch_execnz .LBB923_49
.LBB923_20:                             ;   in Loop: Header=BB923_6 Depth=1
	s_wait_alu 0xfffe
	s_or_b32 exec_lo, exec_lo, s1
	s_delay_alu instid0(SALU_CYCLE_1)
	s_mov_b32 s1, exec_lo
	v_cmpx_gt_u32_e64 s8, v33
	s_cbranch_execnz .LBB923_50
.LBB923_21:                             ;   in Loop: Header=BB923_6 Depth=1
	s_wait_alu 0xfffe
	s_or_b32 exec_lo, exec_lo, s1
	s_delay_alu instid0(SALU_CYCLE_1)
	s_mov_b32 s1, exec_lo
	v_cmpx_gt_u32_e64 s8, v34
	s_cbranch_execnz .LBB923_51
.LBB923_22:                             ;   in Loop: Header=BB923_6 Depth=1
	s_wait_alu 0xfffe
	s_or_b32 exec_lo, exec_lo, s1
	s_delay_alu instid0(SALU_CYCLE_1)
	s_mov_b32 s1, exec_lo
	v_cmpx_gt_u32_e64 s8, v35
	s_cbranch_execz .LBB923_24
.LBB923_23:                             ;   in Loop: Header=BB923_6 Depth=1
	global_load_u16 v17, v[18:19], off
	s_wait_loadcnt 0x0
	v_and_b32_e32 v17, 0x7fff, v17
	s_delay_alu instid0(VALU_DEP_1)
	v_cmp_ne_u16_e32 vcc_lo, 0, v17
	s_wait_alu 0xfffd
	v_cndmask_b32_e64 v17, 0, 1, vcc_lo
.LBB923_24:                             ;   in Loop: Header=BB923_6 Depth=1
	s_wait_alu 0xfffe
	s_or_b32 exec_lo, exec_lo, s1
	v_add_nc_u32_e32 v2, v3, v2
	s_mov_b32 s1, exec_lo
	s_barrier_signal -1
	s_barrier_wait -1
	s_delay_alu instid0(VALU_DEP_1) | instskip(SKIP_2) | instid1(VALU_DEP_1)
	v_add3_u32 v2, v2, v4, v5
	global_inv scope:SCOPE_SE
	v_add3_u32 v2, v2, v6, v7
	v_add3_u32 v2, v2, v8, v9
	s_delay_alu instid0(VALU_DEP_1) | instskip(NEXT) | instid1(VALU_DEP_1)
	v_add3_u32 v2, v2, v10, v11
	v_add3_u32 v2, v2, v12, v13
	s_delay_alu instid0(VALU_DEP_1) | instskip(NEXT) | instid1(VALU_DEP_1)
	;; [unrolled: 3-line block ×3, first 2 shown]
	v_mov_b32_dpp v3, v2 quad_perm:[1,0,3,2] row_mask:0xf bank_mask:0xf
	v_add_nc_u32_e32 v2, v2, v3
	s_delay_alu instid0(VALU_DEP_1) | instskip(NEXT) | instid1(VALU_DEP_1)
	v_mov_b32_dpp v3, v2 quad_perm:[2,3,0,1] row_mask:0xf bank_mask:0xf
	v_add_nc_u32_e32 v2, v2, v3
	s_delay_alu instid0(VALU_DEP_1) | instskip(NEXT) | instid1(VALU_DEP_1)
	v_mov_b32_dpp v3, v2 row_ror:4 row_mask:0xf bank_mask:0xf
	v_add_nc_u32_e32 v2, v2, v3
	s_delay_alu instid0(VALU_DEP_1) | instskip(NEXT) | instid1(VALU_DEP_1)
	v_mov_b32_dpp v3, v2 row_ror:8 row_mask:0xf bank_mask:0xf
	v_add_nc_u32_e32 v2, v2, v3
	ds_swizzle_b32 v3, v2 offset:swizzle(BROADCAST,32,15)
	s_wait_dscnt 0x0
	v_add_nc_u32_e32 v2, v2, v3
	ds_bpermute_b32 v2, v1, v2 offset:124
	v_cmpx_eq_u32_e32 0, v37
	s_cbranch_execz .LBB923_26
; %bb.25:                               ;   in Loop: Header=BB923_6 Depth=1
	s_wait_dscnt 0x0
	ds_store_b32 v36, v2
.LBB923_26:                             ;   in Loop: Header=BB923_6 Depth=1
	s_wait_alu 0xfffe
	s_or_b32 exec_lo, exec_lo, s1
	s_wait_loadcnt_dscnt 0x0
	s_barrier_signal -1
	s_barrier_wait -1
	global_inv scope:SCOPE_SE
	s_and_saveexec_b32 s1, s0
	s_cbranch_execz .LBB923_28
; %bb.27:                               ;   in Loop: Header=BB923_6 Depth=1
	v_and_b32_e32 v2, 15, v37
	s_delay_alu instid0(VALU_DEP_1)
	v_lshlrev_b32_e32 v3, 2, v2
	v_cmp_ne_u32_e32 vcc_lo, 15, v2
	ds_load_b32 v3, v3
	s_wait_alu 0xfffd
	v_add_co_ci_u32_e64 v4, null, 0, v37, vcc_lo
	v_cmp_gt_u32_e32 vcc_lo, 14, v2
	s_delay_alu instid0(VALU_DEP_2) | instskip(SKIP_3) | instid1(VALU_DEP_2)
	v_lshlrev_b32_e32 v4, 2, v4
	s_wait_alu 0xfffd
	v_cndmask_b32_e64 v5, 0, 2, vcc_lo
	v_cmp_gt_u32_e32 vcc_lo, 12, v2
	v_add_lshl_u32 v5, v5, v37, 2
	s_wait_alu 0xfffd
	v_cndmask_b32_e64 v2, 0, 4, vcc_lo
	s_delay_alu instid0(VALU_DEP_1)
	v_add_lshl_u32 v2, v2, v37, 2
	s_wait_dscnt 0x0
	ds_bpermute_b32 v4, v4, v3
	s_wait_dscnt 0x0
	v_add_nc_u32_e32 v3, v4, v3
	ds_bpermute_b32 v4, v5, v3
	s_wait_dscnt 0x0
	v_add_nc_u32_e32 v3, v4, v3
	v_lshlrev_b32_e32 v4, 2, v37
	ds_bpermute_b32 v2, v2, v3
	s_wait_dscnt 0x0
	v_add_nc_u32_e32 v2, v2, v3
	v_or_b32_e32 v3, 32, v4
	ds_bpermute_b32 v3, v3, v2
	s_wait_dscnt 0x0
	v_add_nc_u32_e32 v2, v3, v2
.LBB923_28:                             ;   in Loop: Header=BB923_6 Depth=1
	s_wait_alu 0xfffe
	s_or_b32 exec_lo, exec_lo, s1
	s_mov_b32 s1, 0
.LBB923_29:                             ;   in Loop: Header=BB923_6 Depth=1
	s_wait_alu 0xfffe
	s_and_b32 vcc_lo, exec_lo, s1
	s_wait_alu 0xfffe
	s_cbranch_vccz .LBB923_35
; %bb.30:                               ;   in Loop: Header=BB923_6 Depth=1
	s_clause 0xf
	global_load_u16 v2, v[18:19], off offset:-15360
	global_load_u16 v3, v[18:19], off offset:-14336
	;; [unrolled: 1-line block ×15, first 2 shown]
	global_load_u16 v17, v[18:19], off
	s_mov_b32 s1, exec_lo
	s_wait_loadcnt 0x0
	s_barrier_signal -1
	s_barrier_wait -1
	global_inv scope:SCOPE_SE
	v_and_b32_e32 v2, 0x7fff, v2
	v_and_b32_e32 v3, 0x7fff, v3
	;; [unrolled: 1-line block ×5, first 2 shown]
	v_cmp_ne_u16_e32 vcc_lo, 0, v2
	v_and_b32_e32 v8, 0x7fff, v8
	v_and_b32_e32 v7, 0x7fff, v7
	;; [unrolled: 1-line block ×4, first 2 shown]
	s_wait_alu 0xfffd
	v_cndmask_b32_e64 v2, 0, 1, vcc_lo
	v_cmp_ne_u16_e32 vcc_lo, 0, v4
	v_and_b32_e32 v12, 0x7fff, v12
	v_and_b32_e32 v11, 0x7fff, v11
	;; [unrolled: 1-line block ×4, first 2 shown]
	s_wait_alu 0xfffd
	v_cndmask_b32_e64 v4, 0, 1, vcc_lo
	v_cmp_ne_u16_e32 vcc_lo, 0, v3
	v_and_b32_e32 v16, 0x7fff, v16
	v_and_b32_e32 v15, 0x7fff, v15
	s_wait_alu 0xfffd
	v_add_co_ci_u32_e64 v2, null, 0, v2, vcc_lo
	v_cmp_ne_u16_e32 vcc_lo, 0, v6
	s_wait_alu 0xfffd
	v_cndmask_b32_e64 v3, 0, 1, vcc_lo
	v_cmp_ne_u16_e32 vcc_lo, 0, v5
	v_and_b32_e32 v5, 0x7fff, v17
	s_wait_alu 0xfffd
	v_add_co_ci_u32_e64 v2, null, v2, v4, vcc_lo
	v_cmp_ne_u16_e32 vcc_lo, 0, v8
	s_wait_alu 0xfffd
	v_cndmask_b32_e64 v4, 0, 1, vcc_lo
	v_cmp_ne_u16_e32 vcc_lo, 0, v7
	s_wait_alu 0xfffd
	v_add_co_ci_u32_e64 v2, null, v2, v3, vcc_lo
	v_cmp_ne_u16_e32 vcc_lo, 0, v10
	s_wait_alu 0xfffd
	v_cndmask_b32_e64 v3, 0, 1, vcc_lo
	v_cmp_ne_u16_e32 vcc_lo, 0, v9
	;; [unrolled: 6-line block ×5, first 2 shown]
	s_wait_alu 0xfffd
	v_add_co_ci_u32_e64 v2, null, v2, v3, vcc_lo
	v_cmp_ne_u16_e32 vcc_lo, 0, v5
	s_wait_alu 0xfffd
	s_delay_alu instid0(VALU_DEP_2) | instskip(NEXT) | instid1(VALU_DEP_1)
	v_add_co_ci_u32_e64 v2, null, v2, v4, vcc_lo
	v_mov_b32_dpp v3, v2 quad_perm:[1,0,3,2] row_mask:0xf bank_mask:0xf
	s_delay_alu instid0(VALU_DEP_1) | instskip(NEXT) | instid1(VALU_DEP_1)
	v_add_nc_u32_e32 v2, v3, v2
	v_mov_b32_dpp v3, v2 quad_perm:[2,3,0,1] row_mask:0xf bank_mask:0xf
	s_delay_alu instid0(VALU_DEP_1) | instskip(NEXT) | instid1(VALU_DEP_1)
	v_add_nc_u32_e32 v2, v2, v3
	v_mov_b32_dpp v3, v2 row_ror:4 row_mask:0xf bank_mask:0xf
	s_delay_alu instid0(VALU_DEP_1) | instskip(NEXT) | instid1(VALU_DEP_1)
	v_add_nc_u32_e32 v2, v2, v3
	v_mov_b32_dpp v3, v2 row_ror:8 row_mask:0xf bank_mask:0xf
	s_delay_alu instid0(VALU_DEP_1)
	v_add_nc_u32_e32 v2, v2, v3
	ds_swizzle_b32 v3, v2 offset:swizzle(BROADCAST,32,15)
	s_wait_dscnt 0x0
	v_add_nc_u32_e32 v2, v2, v3
	ds_bpermute_b32 v2, v1, v2 offset:124
	v_cmpx_eq_u32_e32 0, v37
	s_cbranch_execz .LBB923_32
; %bb.31:                               ;   in Loop: Header=BB923_6 Depth=1
	s_wait_dscnt 0x0
	ds_store_b32 v36, v2
.LBB923_32:                             ;   in Loop: Header=BB923_6 Depth=1
	s_wait_alu 0xfffe
	s_or_b32 exec_lo, exec_lo, s1
	s_wait_loadcnt_dscnt 0x0
	s_barrier_signal -1
	s_barrier_wait -1
	global_inv scope:SCOPE_SE
	s_and_saveexec_b32 s1, s0
	s_cbranch_execz .LBB923_34
; %bb.33:                               ;   in Loop: Header=BB923_6 Depth=1
	v_and_b32_e32 v2, 15, v37
	s_delay_alu instid0(VALU_DEP_1)
	v_lshlrev_b32_e32 v3, 2, v2
	v_cmp_ne_u32_e32 vcc_lo, 15, v2
	ds_load_b32 v3, v3
	s_wait_alu 0xfffd
	v_add_co_ci_u32_e64 v4, null, 0, v37, vcc_lo
	v_cmp_gt_u32_e32 vcc_lo, 14, v2
	s_delay_alu instid0(VALU_DEP_2) | instskip(SKIP_3) | instid1(VALU_DEP_2)
	v_lshlrev_b32_e32 v4, 2, v4
	s_wait_alu 0xfffd
	v_cndmask_b32_e64 v5, 0, 2, vcc_lo
	v_cmp_gt_u32_e32 vcc_lo, 12, v2
	v_add_lshl_u32 v5, v5, v37, 2
	s_wait_alu 0xfffd
	v_cndmask_b32_e64 v2, 0, 4, vcc_lo
	s_delay_alu instid0(VALU_DEP_1)
	v_add_lshl_u32 v2, v2, v37, 2
	s_wait_dscnt 0x0
	ds_bpermute_b32 v4, v4, v3
	s_wait_dscnt 0x0
	v_add_nc_u32_e32 v3, v4, v3
	ds_bpermute_b32 v4, v5, v3
	s_wait_dscnt 0x0
	v_add_nc_u32_e32 v3, v4, v3
	v_lshlrev_b32_e32 v4, 2, v37
	ds_bpermute_b32 v2, v2, v3
	s_wait_dscnt 0x0
	v_add_nc_u32_e32 v2, v2, v3
	v_or_b32_e32 v3, 32, v4
	ds_bpermute_b32 v3, v3, v2
	s_wait_dscnt 0x0
	v_add_nc_u32_e32 v2, v3, v2
.LBB923_34:                             ;   in Loop: Header=BB923_6 Depth=1
	s_wait_alu 0xfffe
	s_or_b32 exec_lo, exec_lo, s1
.LBB923_35:                             ;   in Loop: Header=BB923_6 Depth=1
	v_cmp_lt_i64_e64 s11, 0x2000, s[8:9]
	s_mov_b32 s1, -1
	s_and_b32 vcc_lo, exec_lo, s11
	s_mov_b32 s11, -1
	s_wait_alu 0xfffe
	s_cbranch_vccz .LBB923_5
; %bb.36:                               ;   in Loop: Header=BB923_6 Depth=1
	v_add_co_u32 v18, vcc_lo, 0x4000, v18
	s_add_co_i32 s10, s10, -1
	s_wait_alu 0xfffd
	v_add_co_ci_u32_e64 v19, null, 0, v19, vcc_lo
	s_cmp_eq_u32 s10, 0
	s_add_nc_u64 s[8:9], s[8:9], s[4:5]
	s_mov_b32 s1, 0
	s_cselect_b32 s11, -1, 0
	s_wait_loadcnt 0x0
	s_barrier_signal -1
	s_barrier_wait -1
	global_inv scope:SCOPE_SE
	s_branch .LBB923_5
.LBB923_37:                             ;   in Loop: Header=BB923_6 Depth=1
	global_load_u16 v2, v[18:19], off offset:-15360
	v_dual_mov_b32 v3, v1 :: v_dual_mov_b32 v4, v1
	v_dual_mov_b32 v5, v1 :: v_dual_mov_b32 v6, v1
	v_dual_mov_b32 v7, v1 :: v_dual_mov_b32 v8, v1
	v_dual_mov_b32 v10, v1 :: v_dual_mov_b32 v11, v1
	v_dual_mov_b32 v12, v1 :: v_dual_mov_b32 v13, v1
	v_dual_mov_b32 v14, v1 :: v_dual_mov_b32 v15, v1
	v_dual_mov_b32 v16, v1 :: v_dual_mov_b32 v17, v1
	s_wait_loadcnt 0x0
	v_dual_mov_b32 v9, v1 :: v_dual_and_b32 v2, 0x7fff, v2
	s_delay_alu instid0(VALU_DEP_1) | instskip(SKIP_2) | instid1(VALU_DEP_1)
	v_cmp_ne_u16_e32 vcc_lo, 0, v2
	s_wait_alu 0xfffd
	v_cndmask_b32_e64 v2, 0, 1, vcc_lo
	v_and_b32_e32 v2, 0xffff, v2
	s_wait_alu 0xfffe
	s_or_b32 exec_lo, exec_lo, s1
	s_delay_alu instid0(SALU_CYCLE_1)
	s_mov_b32 s1, exec_lo
	v_cmpx_gt_u32_e64 s8, v21
	s_cbranch_execz .LBB923_9
.LBB923_38:                             ;   in Loop: Header=BB923_6 Depth=1
	global_load_u16 v3, v[18:19], off offset:-14336
	s_wait_loadcnt 0x0
	v_and_b32_e32 v3, 0x7fff, v3
	s_delay_alu instid0(VALU_DEP_1) | instskip(SKIP_4) | instid1(SALU_CYCLE_1)
	v_cmp_ne_u16_e32 vcc_lo, 0, v3
	s_wait_alu 0xfffd
	v_cndmask_b32_e64 v3, 0, 1, vcc_lo
	s_wait_alu 0xfffe
	s_or_b32 exec_lo, exec_lo, s1
	s_mov_b32 s1, exec_lo
	v_cmpx_gt_u32_e64 s8, v22
	s_cbranch_execz .LBB923_10
.LBB923_39:                             ;   in Loop: Header=BB923_6 Depth=1
	global_load_u16 v4, v[18:19], off offset:-13312
	s_wait_loadcnt 0x0
	v_and_b32_e32 v4, 0x7fff, v4
	s_delay_alu instid0(VALU_DEP_1) | instskip(SKIP_4) | instid1(SALU_CYCLE_1)
	v_cmp_ne_u16_e32 vcc_lo, 0, v4
	s_wait_alu 0xfffd
	v_cndmask_b32_e64 v4, 0, 1, vcc_lo
	s_wait_alu 0xfffe
	s_or_b32 exec_lo, exec_lo, s1
	s_mov_b32 s1, exec_lo
	v_cmpx_gt_u32_e64 s8, v23
	s_cbranch_execz .LBB923_11
.LBB923_40:                             ;   in Loop: Header=BB923_6 Depth=1
	global_load_u16 v5, v[18:19], off offset:-12288
	s_wait_loadcnt 0x0
	v_and_b32_e32 v5, 0x7fff, v5
	s_delay_alu instid0(VALU_DEP_1) | instskip(SKIP_4) | instid1(SALU_CYCLE_1)
	v_cmp_ne_u16_e32 vcc_lo, 0, v5
	s_wait_alu 0xfffd
	v_cndmask_b32_e64 v5, 0, 1, vcc_lo
	s_wait_alu 0xfffe
	s_or_b32 exec_lo, exec_lo, s1
	s_mov_b32 s1, exec_lo
	v_cmpx_gt_u32_e64 s8, v24
	s_cbranch_execz .LBB923_12
.LBB923_41:                             ;   in Loop: Header=BB923_6 Depth=1
	global_load_u16 v6, v[18:19], off offset:-11264
	s_wait_loadcnt 0x0
	v_and_b32_e32 v6, 0x7fff, v6
	s_delay_alu instid0(VALU_DEP_1) | instskip(SKIP_4) | instid1(SALU_CYCLE_1)
	v_cmp_ne_u16_e32 vcc_lo, 0, v6
	s_wait_alu 0xfffd
	v_cndmask_b32_e64 v6, 0, 1, vcc_lo
	s_wait_alu 0xfffe
	s_or_b32 exec_lo, exec_lo, s1
	s_mov_b32 s1, exec_lo
	v_cmpx_gt_u32_e64 s8, v25
	s_cbranch_execz .LBB923_13
.LBB923_42:                             ;   in Loop: Header=BB923_6 Depth=1
	global_load_u16 v7, v[18:19], off offset:-10240
	s_wait_loadcnt 0x0
	v_and_b32_e32 v7, 0x7fff, v7
	s_delay_alu instid0(VALU_DEP_1) | instskip(SKIP_4) | instid1(SALU_CYCLE_1)
	v_cmp_ne_u16_e32 vcc_lo, 0, v7
	s_wait_alu 0xfffd
	v_cndmask_b32_e64 v7, 0, 1, vcc_lo
	s_wait_alu 0xfffe
	s_or_b32 exec_lo, exec_lo, s1
	s_mov_b32 s1, exec_lo
	v_cmpx_gt_u32_e64 s8, v26
	s_cbranch_execz .LBB923_14
.LBB923_43:                             ;   in Loop: Header=BB923_6 Depth=1
	global_load_u16 v8, v[18:19], off offset:-9216
	s_wait_loadcnt 0x0
	v_and_b32_e32 v8, 0x7fff, v8
	s_delay_alu instid0(VALU_DEP_1) | instskip(SKIP_4) | instid1(SALU_CYCLE_1)
	v_cmp_ne_u16_e32 vcc_lo, 0, v8
	s_wait_alu 0xfffd
	v_cndmask_b32_e64 v8, 0, 1, vcc_lo
	s_wait_alu 0xfffe
	s_or_b32 exec_lo, exec_lo, s1
	s_mov_b32 s1, exec_lo
	v_cmpx_gt_u32_e64 s8, v27
	s_cbranch_execz .LBB923_15
.LBB923_44:                             ;   in Loop: Header=BB923_6 Depth=1
	global_load_u16 v9, v[18:19], off offset:-8192
	s_wait_loadcnt 0x0
	v_and_b32_e32 v9, 0x7fff, v9
	s_delay_alu instid0(VALU_DEP_1) | instskip(SKIP_4) | instid1(SALU_CYCLE_1)
	v_cmp_ne_u16_e32 vcc_lo, 0, v9
	s_wait_alu 0xfffd
	v_cndmask_b32_e64 v9, 0, 1, vcc_lo
	s_wait_alu 0xfffe
	s_or_b32 exec_lo, exec_lo, s1
	s_mov_b32 s1, exec_lo
	v_cmpx_gt_u32_e64 s8, v28
	s_cbranch_execz .LBB923_16
.LBB923_45:                             ;   in Loop: Header=BB923_6 Depth=1
	global_load_u16 v10, v[18:19], off offset:-7168
	s_wait_loadcnt 0x0
	v_and_b32_e32 v10, 0x7fff, v10
	s_delay_alu instid0(VALU_DEP_1) | instskip(SKIP_4) | instid1(SALU_CYCLE_1)
	v_cmp_ne_u16_e32 vcc_lo, 0, v10
	s_wait_alu 0xfffd
	v_cndmask_b32_e64 v10, 0, 1, vcc_lo
	s_wait_alu 0xfffe
	s_or_b32 exec_lo, exec_lo, s1
	s_mov_b32 s1, exec_lo
	v_cmpx_gt_u32_e64 s8, v29
	s_cbranch_execz .LBB923_17
.LBB923_46:                             ;   in Loop: Header=BB923_6 Depth=1
	global_load_u16 v11, v[18:19], off offset:-6144
	s_wait_loadcnt 0x0
	v_and_b32_e32 v11, 0x7fff, v11
	s_delay_alu instid0(VALU_DEP_1) | instskip(SKIP_4) | instid1(SALU_CYCLE_1)
	v_cmp_ne_u16_e32 vcc_lo, 0, v11
	s_wait_alu 0xfffd
	v_cndmask_b32_e64 v11, 0, 1, vcc_lo
	s_wait_alu 0xfffe
	s_or_b32 exec_lo, exec_lo, s1
	s_mov_b32 s1, exec_lo
	v_cmpx_gt_u32_e64 s8, v30
	s_cbranch_execz .LBB923_18
.LBB923_47:                             ;   in Loop: Header=BB923_6 Depth=1
	global_load_u16 v12, v[18:19], off offset:-5120
	s_wait_loadcnt 0x0
	v_and_b32_e32 v12, 0x7fff, v12
	s_delay_alu instid0(VALU_DEP_1) | instskip(SKIP_4) | instid1(SALU_CYCLE_1)
	v_cmp_ne_u16_e32 vcc_lo, 0, v12
	s_wait_alu 0xfffd
	v_cndmask_b32_e64 v12, 0, 1, vcc_lo
	s_wait_alu 0xfffe
	s_or_b32 exec_lo, exec_lo, s1
	s_mov_b32 s1, exec_lo
	v_cmpx_gt_u32_e64 s8, v31
	s_cbranch_execz .LBB923_19
.LBB923_48:                             ;   in Loop: Header=BB923_6 Depth=1
	global_load_u16 v13, v[18:19], off offset:-4096
	s_wait_loadcnt 0x0
	v_and_b32_e32 v13, 0x7fff, v13
	s_delay_alu instid0(VALU_DEP_1) | instskip(SKIP_4) | instid1(SALU_CYCLE_1)
	v_cmp_ne_u16_e32 vcc_lo, 0, v13
	s_wait_alu 0xfffd
	v_cndmask_b32_e64 v13, 0, 1, vcc_lo
	s_wait_alu 0xfffe
	s_or_b32 exec_lo, exec_lo, s1
	s_mov_b32 s1, exec_lo
	v_cmpx_gt_u32_e64 s8, v32
	s_cbranch_execz .LBB923_20
.LBB923_49:                             ;   in Loop: Header=BB923_6 Depth=1
	global_load_u16 v14, v[18:19], off offset:-3072
	s_wait_loadcnt 0x0
	v_and_b32_e32 v14, 0x7fff, v14
	s_delay_alu instid0(VALU_DEP_1) | instskip(SKIP_4) | instid1(SALU_CYCLE_1)
	v_cmp_ne_u16_e32 vcc_lo, 0, v14
	s_wait_alu 0xfffd
	v_cndmask_b32_e64 v14, 0, 1, vcc_lo
	s_wait_alu 0xfffe
	s_or_b32 exec_lo, exec_lo, s1
	s_mov_b32 s1, exec_lo
	v_cmpx_gt_u32_e64 s8, v33
	s_cbranch_execz .LBB923_21
.LBB923_50:                             ;   in Loop: Header=BB923_6 Depth=1
	global_load_u16 v15, v[18:19], off offset:-2048
	s_wait_loadcnt 0x0
	v_and_b32_e32 v15, 0x7fff, v15
	s_delay_alu instid0(VALU_DEP_1) | instskip(SKIP_4) | instid1(SALU_CYCLE_1)
	v_cmp_ne_u16_e32 vcc_lo, 0, v15
	s_wait_alu 0xfffd
	v_cndmask_b32_e64 v15, 0, 1, vcc_lo
	s_wait_alu 0xfffe
	s_or_b32 exec_lo, exec_lo, s1
	s_mov_b32 s1, exec_lo
	v_cmpx_gt_u32_e64 s8, v34
	s_cbranch_execz .LBB923_22
.LBB923_51:                             ;   in Loop: Header=BB923_6 Depth=1
	global_load_u16 v16, v[18:19], off offset:-1024
	s_wait_loadcnt 0x0
	v_and_b32_e32 v16, 0x7fff, v16
	s_delay_alu instid0(VALU_DEP_1) | instskip(SKIP_4) | instid1(SALU_CYCLE_1)
	v_cmp_ne_u16_e32 vcc_lo, 0, v16
	s_wait_alu 0xfffd
	v_cndmask_b32_e64 v16, 0, 1, vcc_lo
	s_wait_alu 0xfffe
	s_or_b32 exec_lo, exec_lo, s1
	s_mov_b32 s1, exec_lo
	v_cmpx_gt_u32_e64 s8, v35
	s_cbranch_execnz .LBB923_23
	s_branch .LBB923_24
.LBB923_52:
	s_and_b32 vcc_lo, exec_lo, s1
	s_mov_b32 s0, -1
	s_wait_alu 0xfffe
	s_cbranch_vccz .LBB923_56
; %bb.53:
	s_mov_b32 s0, 0
	s_mov_b32 s1, exec_lo
	v_cmpx_eq_u32_e32 0, v0
	s_cbranch_execz .LBB923_55
; %bb.54:
	v_mov_b32_e32 v0, 0
	s_lshl_b64 s[4:5], s[2:3], 2
	s_wait_alu 0xfffe
	s_add_nc_u64 s[4:5], s[6:7], s[4:5]
	global_store_b32 v0, v20, s[4:5]
.LBB923_55:
	s_wait_alu 0xfffe
	s_or_b32 exec_lo, exec_lo, s1
.LBB923_56:
	v_cmp_eq_u32_e32 vcc_lo, 0, v0
	s_and_b32 s0, vcc_lo, s0
	s_wait_alu 0xfffe
	s_and_saveexec_b32 s1, s0
	s_cbranch_execz .LBB923_58
; %bb.57:
	v_mov_b32_e32 v0, 0
	s_lshl_b64 s[0:1], s[2:3], 2
	s_wait_kmcnt 0x0
	s_wait_alu 0xfffe
	s_add_nc_u64 s[0:1], s[6:7], s[0:1]
	global_store_b32 v0, v20, s[0:1]
.LBB923_58:
	s_endpgm
	.section	.rodata,"a",@progbits
	.p2align	6, 0x0
	.amdhsa_kernel _ZN2at4cuda3cub15calc_block_sumsILi512ELi16ELb1EN3c104HalfEiEEvPKT2_PT3_li
		.amdhsa_group_segment_fixed_size 64
		.amdhsa_private_segment_fixed_size 0
		.amdhsa_kernarg_size 28
		.amdhsa_user_sgpr_count 2
		.amdhsa_user_sgpr_dispatch_ptr 0
		.amdhsa_user_sgpr_queue_ptr 0
		.amdhsa_user_sgpr_kernarg_segment_ptr 1
		.amdhsa_user_sgpr_dispatch_id 0
		.amdhsa_user_sgpr_private_segment_size 0
		.amdhsa_wavefront_size32 1
		.amdhsa_uses_dynamic_stack 0
		.amdhsa_enable_private_segment 0
		.amdhsa_system_sgpr_workgroup_id_x 1
		.amdhsa_system_sgpr_workgroup_id_y 0
		.amdhsa_system_sgpr_workgroup_id_z 0
		.amdhsa_system_sgpr_workgroup_info 0
		.amdhsa_system_vgpr_workitem_id 0
		.amdhsa_next_free_vgpr 38
		.amdhsa_next_free_sgpr 14
		.amdhsa_reserve_vcc 1
		.amdhsa_float_round_mode_32 0
		.amdhsa_float_round_mode_16_64 0
		.amdhsa_float_denorm_mode_32 3
		.amdhsa_float_denorm_mode_16_64 3
		.amdhsa_fp16_overflow 0
		.amdhsa_workgroup_processor_mode 1
		.amdhsa_memory_ordered 1
		.amdhsa_forward_progress 1
		.amdhsa_inst_pref_size 29
		.amdhsa_round_robin_scheduling 0
		.amdhsa_exception_fp_ieee_invalid_op 0
		.amdhsa_exception_fp_denorm_src 0
		.amdhsa_exception_fp_ieee_div_zero 0
		.amdhsa_exception_fp_ieee_overflow 0
		.amdhsa_exception_fp_ieee_underflow 0
		.amdhsa_exception_fp_ieee_inexact 0
		.amdhsa_exception_int_div_zero 0
	.end_amdhsa_kernel
	.section	.text._ZN2at4cuda3cub15calc_block_sumsILi512ELi16ELb1EN3c104HalfEiEEvPKT2_PT3_li,"axG",@progbits,_ZN2at4cuda3cub15calc_block_sumsILi512ELi16ELb1EN3c104HalfEiEEvPKT2_PT3_li,comdat
.Lfunc_end923:
	.size	_ZN2at4cuda3cub15calc_block_sumsILi512ELi16ELb1EN3c104HalfEiEEvPKT2_PT3_li, .Lfunc_end923-_ZN2at4cuda3cub15calc_block_sumsILi512ELi16ELb1EN3c104HalfEiEEvPKT2_PT3_li
                                        ; -- End function
	.set _ZN2at4cuda3cub15calc_block_sumsILi512ELi16ELb1EN3c104HalfEiEEvPKT2_PT3_li.num_vgpr, 38
	.set _ZN2at4cuda3cub15calc_block_sumsILi512ELi16ELb1EN3c104HalfEiEEvPKT2_PT3_li.num_agpr, 0
	.set _ZN2at4cuda3cub15calc_block_sumsILi512ELi16ELb1EN3c104HalfEiEEvPKT2_PT3_li.numbered_sgpr, 14
	.set _ZN2at4cuda3cub15calc_block_sumsILi512ELi16ELb1EN3c104HalfEiEEvPKT2_PT3_li.num_named_barrier, 0
	.set _ZN2at4cuda3cub15calc_block_sumsILi512ELi16ELb1EN3c104HalfEiEEvPKT2_PT3_li.private_seg_size, 0
	.set _ZN2at4cuda3cub15calc_block_sumsILi512ELi16ELb1EN3c104HalfEiEEvPKT2_PT3_li.uses_vcc, 1
	.set _ZN2at4cuda3cub15calc_block_sumsILi512ELi16ELb1EN3c104HalfEiEEvPKT2_PT3_li.uses_flat_scratch, 0
	.set _ZN2at4cuda3cub15calc_block_sumsILi512ELi16ELb1EN3c104HalfEiEEvPKT2_PT3_li.has_dyn_sized_stack, 0
	.set _ZN2at4cuda3cub15calc_block_sumsILi512ELi16ELb1EN3c104HalfEiEEvPKT2_PT3_li.has_recursion, 0
	.set _ZN2at4cuda3cub15calc_block_sumsILi512ELi16ELb1EN3c104HalfEiEEvPKT2_PT3_li.has_indirect_call, 0
	.section	.AMDGPU.csdata,"",@progbits
; Kernel info:
; codeLenInByte = 3692
; TotalNumSgprs: 16
; NumVgprs: 38
; ScratchSize: 0
; MemoryBound: 0
; FloatMode: 240
; IeeeMode: 1
; LDSByteSize: 64 bytes/workgroup (compile time only)
; SGPRBlocks: 0
; VGPRBlocks: 4
; NumSGPRsForWavesPerEU: 16
; NumVGPRsForWavesPerEU: 38
; Occupancy: 16
; WaveLimiterHint : 1
; COMPUTE_PGM_RSRC2:SCRATCH_EN: 0
; COMPUTE_PGM_RSRC2:USER_SGPR: 2
; COMPUTE_PGM_RSRC2:TRAP_HANDLER: 0
; COMPUTE_PGM_RSRC2:TGID_X_EN: 1
; COMPUTE_PGM_RSRC2:TGID_Y_EN: 0
; COMPUTE_PGM_RSRC2:TGID_Z_EN: 0
; COMPUTE_PGM_RSRC2:TIDIG_COMP_CNT: 0
	.section	.text._ZN2at6native12_GLOBAL__N_111flag_kernelILi512ELi16EN3c104HalfEEEvPKT1_PlPKllli,"axG",@progbits,_ZN2at6native12_GLOBAL__N_111flag_kernelILi512ELi16EN3c104HalfEEEvPKT1_PlPKllli,comdat
	.globl	_ZN2at6native12_GLOBAL__N_111flag_kernelILi512ELi16EN3c104HalfEEEvPKT1_PlPKllli ; -- Begin function _ZN2at6native12_GLOBAL__N_111flag_kernelILi512ELi16EN3c104HalfEEEvPKT1_PlPKllli
	.p2align	8
	.type	_ZN2at6native12_GLOBAL__N_111flag_kernelILi512ELi16EN3c104HalfEEEvPKT1_PlPKllli,@function
_ZN2at6native12_GLOBAL__N_111flag_kernelILi512ELi16EN3c104HalfEEEvPKT1_PlPKllli: ; @_ZN2at6native12_GLOBAL__N_111flag_kernelILi512ELi16EN3c104HalfEEEvPKT1_PlPKllli
; %bb.0:
	s_clause 0x1
	s_load_b32 s26, s[0:1], 0x28
	s_load_b256 s[12:19], s[0:1], 0x0
	s_mov_b32 s2, ttmp9
	s_mov_b32 s3, 0
	s_wait_kmcnt 0x0
	s_lshl_b32 s4, s26, 13
	s_delay_alu instid0(SALU_CYCLE_1) | instskip(NEXT) | instid1(SALU_CYCLE_1)
	s_ashr_i32 s5, s4, 31
	s_mul_u64 s[22:23], s[4:5], s[2:3]
	s_delay_alu instid0(SALU_CYCLE_1)
	v_cmp_le_i64_e64 s2, s[18:19], s[22:23]
	s_and_b32 vcc_lo, exec_lo, s2
	s_cbranch_vccnz .LBB924_100
; %bb.1:
	s_load_b64 s[2:3], s[0:1], 0x20
	s_cmp_eq_u32 ttmp9, 0
	s_cbranch_scc1 .LBB924_3
; %bb.2:
	s_add_co_i32 s4, ttmp9, -1
	s_mov_b32 s5, 0
	s_delay_alu instid0(SALU_CYCLE_1) | instskip(NEXT) | instid1(SALU_CYCLE_1)
	s_lshl_b64 s[4:5], s[4:5], 3
	s_add_nc_u64 s[4:5], s[16:17], s[4:5]
	s_load_b64 s[4:5], s[4:5], 0x0
	s_cmp_lt_i32 s26, 1
	s_cbranch_scc0 .LBB924_4
	s_branch .LBB924_100
.LBB924_3:
	s_mov_b64 s[4:5], 0
	s_cmp_lt_i32 s26, 1
	s_cbranch_scc1 .LBB924_100
.LBB924_4:
	v_mbcnt_lo_u32_b32 v2, -1, 0
	v_lshlrev_b32_e32 v1, 4, v0
	s_wait_kmcnt 0x0
	s_sub_nc_u64 s[16:17], s[2:3], s[4:5]
	s_lshl_b64 s[24:25], s[4:5], 3
	v_add_nc_u32_e32 v8, 0x200, v0
	v_and_b32_e32 v4, 15, v2
	v_and_b32_e32 v6, 0x3e00, v1
	;; [unrolled: 1-line block ×3, first 2 shown]
	v_or_b32_e32 v9, 0x800, v0
	v_add_nc_u32_e32 v10, 0xa00, v0
	v_lshlrev_b32_e32 v25, 2, v0
	v_or_b32_e32 v41, v2, v6
	v_cmp_eq_u32_e64 s6, 0, v1
	v_mov_b32_e32 v1, 0
	v_cmp_eq_u32_e64 s2, 0, v4
	v_cmp_lt_u32_e64 s3, 1, v4
	v_cmp_lt_u32_e64 s4, 3, v4
	;; [unrolled: 1-line block ×3, first 2 shown]
	v_sub_co_u32 v4, s8, v2, 1
	v_lshrrev_b32_e32 v9, 3, v9
	v_lshrrev_b32_e32 v10, 3, v10
	v_or_b32_e32 v46, 32, v41
	s_delay_alu instid0(VALU_DEP_4)
	v_cmp_gt_i32_e32 vcc_lo, 0, v4
	v_and_b32_e32 v3, 0x3e0, v0
	v_or_b32_e32 v47, 64, v41
	v_or_b32_e32 v48, 0x60, v41
	;; [unrolled: 1-line block ×3, first 2 shown]
	v_cndmask_b32_e32 v4, v4, v2, vcc_lo
	v_min_u32_e32 v5, 0x1e0, v3
	v_or_b32_e32 v50, 0xa0, v41
	v_or_b32_e32 v51, 0xc0, v41
	;; [unrolled: 1-line block ×3, first 2 shown]
	v_lshlrev_b32_e32 v27, 2, v4
	v_or_b32_e32 v5, 31, v5
	v_lshrrev_b32_e32 v4, 3, v8
	v_add_nc_u32_e32 v8, 0x600, v0
	v_or_b32_e32 v53, 0x100, v41
	v_or_b32_e32 v54, 0x120, v41
	v_cmp_eq_u32_e64 s7, v0, v5
	v_lshlrev_b32_e32 v5, 1, v0
	v_and_b32_e32 v4, 0xfc, v4
	v_lshrrev_b32_e32 v8, 3, v8
	v_or_b32_e32 v55, 0x140, v41
	v_or_b32_e32 v56, 0x160, v41
	v_and_b32_e32 v5, 0x7fc, v5
	v_add_nc_u32_e32 v30, v25, v4
	v_or_b32_e32 v57, 0x180, v41
	v_or_b32_e32 v58, 0x1a0, v41
	;; [unrolled: 1-line block ×3, first 2 shown]
	v_lshl_add_u32 v28, v0, 6, v5
	v_or_b32_e32 v5, 0x400, v0
	v_or_b32_e32 v60, 0x1e0, v41
	v_lshrrev_b32_e32 v7, 5, v0
	v_or_b32_e32 v3, v2, v3
	s_lshl_b64 s[20:21], s[22:23], 1
	v_lshrrev_b32_e32 v5, 3, v5
	v_lshlrev_b32_e32 v2, 1, v2
	v_cmp_gt_u32_e64 s9, 16, v0
	v_cmp_lt_u32_e64 s10, 31, v0
	v_cmp_eq_u32_e64 s11, 0, v0
	v_and_b32_e32 v4, 0xfc, v5
	v_and_b32_e32 v5, 0x1fc, v8
	;; [unrolled: 1-line block ×4, first 2 shown]
	v_or_b32_e32 v10, 0xc00, v0
	v_add_nc_u32_e32 v31, v25, v4
	v_add_nc_u32_e32 v32, v25, v5
	;; [unrolled: 1-line block ×4, first 2 shown]
	v_lshrrev_b32_e32 v4, 3, v10
	v_add_nc_u32_e32 v5, 0xe00, v0
	v_or_b32_e32 v8, 0x1000, v0
	v_add_nc_u32_e32 v9, 0x1200, v0
	v_or_b32_e32 v10, 0x1400, v0
	v_and_b32_e32 v4, 0x1fc, v4
	v_lshrrev_b32_e32 v5, 3, v5
	v_lshrrev_b32_e32 v8, 3, v8
	;; [unrolled: 1-line block ×4, first 2 shown]
	v_add_nc_u32_e32 v35, v25, v4
	v_and_b32_e32 v4, 0x3fc, v5
	v_and_b32_e32 v5, 0x27c, v8
	;; [unrolled: 1-line block ×4, first 2 shown]
	v_add_nc_u32_e32 v10, 0x1600, v0
	v_add_nc_u32_e32 v36, v25, v4
	;; [unrolled: 1-line block ×3, first 2 shown]
	v_or_b32_e32 v5, 0x1800, v0
	v_add_nc_u32_e32 v38, v25, v8
	v_lshrrev_b32_e32 v4, 3, v10
	v_add_nc_u32_e32 v39, v25, v9
	v_add_nc_u32_e32 v8, 0x1a00, v0
	v_or_b32_e32 v9, 0x1c00, v0
	v_lshrrev_b32_e32 v5, 3, v5
	v_and_b32_e32 v4, 0x3fc, v4
	v_add_nc_u32_e32 v10, 0x1e00, v0
	v_lshrrev_b32_e32 v8, 3, v8
	v_lshrrev_b32_e32 v9, 3, v9
	v_lshlrev_b32_e32 v24, 2, v7
	v_add_nc_u32_e32 v40, v25, v4
	v_and_b32_e32 v4, 0x37c, v5
	v_lshrrev_b32_e32 v10, 3, v10
	v_and_b32_e32 v5, 0x3fc, v8
	v_and_b32_e32 v8, 0x3fc, v9
	v_add_nc_u32_e32 v26, -4, v24
	v_add_nc_u32_e32 v42, v25, v4
	v_lshrrev_b32_e32 v4, 3, v46
	v_and_b32_e32 v9, 0x7fc, v10
	v_add_nc_u32_e32 v43, v25, v5
	v_add_nc_u32_e32 v44, v25, v8
	v_lshrrev_b32_e32 v5, 3, v6
	v_lshlrev_b32_e32 v6, 2, v41
	v_and_b32_e32 v4, 0x7c4, v4
	v_lshrrev_b32_e32 v8, 3, v47
	v_add_nc_u32_e32 v45, v25, v9
	v_lshrrev_b32_e32 v9, 3, v50
	v_add_nc_u32_e32 v61, v5, v6
	v_add_nc_u32_e32 v62, v4, v6
	v_and_b32_e32 v4, 0x7c8, v8
	v_lshrrev_b32_e32 v5, 3, v48
	v_lshrrev_b32_e32 v8, 3, v49
	;; [unrolled: 1-line block ×3, first 2 shown]
	v_add_nc_u32_e32 v29, v24, v25
	v_add_nc_u32_e32 v63, v4, v6
	v_and_b32_e32 v4, 0x7cc, v5
	v_and_b32_e32 v5, 0x7d0, v8
	;; [unrolled: 1-line block ×4, first 2 shown]
	v_lshrrev_b32_e32 v10, 3, v52
	v_add_nc_u32_e32 v64, v4, v6
	v_add_nc_u32_e32 v65, v5, v6
	;; [unrolled: 1-line block ×4, first 2 shown]
	v_and_b32_e32 v4, 0x7dc, v10
	v_lshrrev_b32_e32 v5, 3, v53
	v_lshrrev_b32_e32 v8, 3, v54
	;; [unrolled: 1-line block ×4, first 2 shown]
	v_add_nc_u32_e32 v68, v4, v6
	v_and_b32_e32 v4, 0x7e0, v5
	v_and_b32_e32 v5, 0x7e4, v8
	;; [unrolled: 1-line block ×4, first 2 shown]
	v_lshrrev_b32_e32 v10, 3, v57
	v_add_nc_u32_e32 v69, v4, v6
	v_add_nc_u32_e32 v70, v5, v6
	v_lshrrev_b32_e32 v5, 3, v58
	v_add_nc_u32_e32 v71, v8, v6
	v_and_b32_e32 v4, 0x7f0, v10
	v_add_nc_u32_e32 v72, v9, v6
	v_lshrrev_b32_e32 v8, 3, v59
	v_lshrrev_b32_e32 v9, 3, v60
	s_add_nc_u64 s[14:15], s[14:15], s[24:25]
	v_add_nc_u32_e32 v73, v4, v6
	v_and_b32_e32 v4, 0x7f4, v5
	v_and_b32_e32 v5, 0x7f8, v8
	;; [unrolled: 1-line block ×3, first 2 shown]
	v_lshlrev_b32_e32 v9, 4, v3
	v_bfe_u32 v3, v3, 1, 27
	v_add_nc_u32_e32 v74, v4, v6
	v_lshlrev_b32_e32 v4, 10, v7
	v_add_nc_u32_e32 v75, v5, v6
	v_add_nc_u32_e32 v76, v8, v6
	v_add_lshl_u32 v77, v3, v9, 2
	s_add_nc_u64 s[0:1], s[0:1], 48
	v_add_co_u32 v3, s20, s20, v4
	s_wait_alu 0xf1ff
	v_add_co_ci_u32_e64 v4, null, s21, 0, s20
	v_add_co_u32 v18, s20, s22, v0
	s_delay_alu instid0(VALU_DEP_3) | instskip(SKIP_1) | instid1(VALU_DEP_3)
	v_add_co_u32 v0, vcc_lo, v3, v2
	s_wait_alu 0xfffd
	v_add_co_ci_u32_e64 v2, null, 0, v4, vcc_lo
	s_wait_alu 0xf1ff
	v_add_co_ci_u32_e64 v19, null, s23, 0, s20
	v_add_co_u32 v20, vcc_lo, s12, v0
	s_wait_alu 0xfffd
	v_add_co_ci_u32_e64 v21, null, s13, v2, vcc_lo
	s_movk_i32 s20, 0xe000
	s_mov_b32 s21, -1
	s_sub_nc_u64 s[12:13], s[18:19], s[22:23]
	s_branch .LBB924_6
.LBB924_5:                              ;   in Loop: Header=BB924_6 Depth=1
	v_add_co_u32 v18, vcc_lo, 0x2000, v18
	s_wait_alu 0xfffd
	v_add_co_ci_u32_e64 v19, null, 0, v19, vcc_lo
	v_add_co_u32 v20, vcc_lo, 0x4000, v20
	s_add_co_i32 s26, s26, -1
	s_lshl_b64 s[18:19], s[18:19], 3
	s_wait_alu 0xfffd
	v_add_co_ci_u32_e64 v21, null, 0, v21, vcc_lo
	s_cmp_eq_u32 s26, 0
	s_add_nc_u64 s[12:13], s[12:13], s[20:21]
	s_wait_alu 0xfffe
	s_add_nc_u64 s[14:15], s[14:15], s[18:19]
	s_cselect_b32 s18, -1, 0
	s_wait_loadcnt 0x0
	s_wait_storecnt 0x0
	s_barrier_signal -1
	s_barrier_wait -1
	global_inv scope:SCOPE_SE
	s_wait_alu 0xfffe
	s_and_not1_b32 vcc_lo, exec_lo, s18
	s_wait_alu 0xfffe
	s_cbranch_vccz .LBB924_100
.LBB924_6:                              ; =>This Inner Loop Header: Depth=1
	s_wait_alu 0xfffe
	v_cmp_gt_i64_e64 s18, 0x2000, s[12:13]
                                        ; implicit-def: $vgpr3
                                        ; implicit-def: $vgpr5
                                        ; implicit-def: $vgpr13
                                        ; implicit-def: $vgpr17
                                        ; implicit-def: $vgpr15
                                        ; implicit-def: $vgpr11
                                        ; implicit-def: $vgpr9
                                        ; implicit-def: $vgpr7
	s_and_b32 vcc_lo, exec_lo, s18
	s_mov_b32 s18, -1
	s_wait_alu 0xfffe
	s_cbranch_vccz .LBB924_25
; %bb.7:                                ;   in Loop: Header=BB924_6 Depth=1
	v_dual_mov_b32 v14, v1 :: v_dual_mov_b32 v15, v1
	v_dual_mov_b32 v2, v1 :: v_dual_mov_b32 v3, v1
	;; [unrolled: 1-line block ×7, first 2 shown]
	v_mov_b32_e32 v17, v15
	s_delay_alu instid0(VALU_DEP_2) | instskip(NEXT) | instid1(VALU_DEP_3)
	v_dual_mov_b32 v16, v14 :: v_dual_mov_b32 v15, v13
	v_mov_b32_e32 v14, v12
	v_mov_b32_e32 v13, v11
	;; [unrolled: 1-line block ×14, first 2 shown]
	s_mov_b32 s18, exec_lo
	v_cmpx_gt_u32_e64 s12, v41
	s_cbranch_execnz .LBB924_85
; %bb.8:                                ;   in Loop: Header=BB924_6 Depth=1
	s_wait_alu 0xfffe
	s_or_b32 exec_lo, exec_lo, s18
	s_delay_alu instid0(SALU_CYCLE_1)
	s_mov_b32 s18, exec_lo
	v_cmpx_gt_u32_e64 s12, v46
	s_cbranch_execnz .LBB924_86
.LBB924_9:                              ;   in Loop: Header=BB924_6 Depth=1
	s_wait_alu 0xfffe
	s_or_b32 exec_lo, exec_lo, s18
	s_delay_alu instid0(SALU_CYCLE_1)
	s_mov_b32 s18, exec_lo
	v_cmpx_gt_u32_e64 s12, v47
	s_cbranch_execnz .LBB924_87
.LBB924_10:                             ;   in Loop: Header=BB924_6 Depth=1
	s_wait_alu 0xfffe
	s_or_b32 exec_lo, exec_lo, s18
	s_delay_alu instid0(SALU_CYCLE_1)
	s_mov_b32 s18, exec_lo
	v_cmpx_gt_u32_e64 s12, v48
	s_cbranch_execnz .LBB924_88
.LBB924_11:                             ;   in Loop: Header=BB924_6 Depth=1
	s_wait_alu 0xfffe
	s_or_b32 exec_lo, exec_lo, s18
	s_delay_alu instid0(SALU_CYCLE_1)
	s_mov_b32 s18, exec_lo
	v_cmpx_gt_u32_e64 s12, v49
	s_cbranch_execnz .LBB924_89
.LBB924_12:                             ;   in Loop: Header=BB924_6 Depth=1
	s_wait_alu 0xfffe
	s_or_b32 exec_lo, exec_lo, s18
	s_delay_alu instid0(SALU_CYCLE_1)
	s_mov_b32 s18, exec_lo
	v_cmpx_gt_u32_e64 s12, v50
	s_cbranch_execnz .LBB924_90
.LBB924_13:                             ;   in Loop: Header=BB924_6 Depth=1
	s_wait_alu 0xfffe
	s_or_b32 exec_lo, exec_lo, s18
	s_delay_alu instid0(SALU_CYCLE_1)
	s_mov_b32 s18, exec_lo
	v_cmpx_gt_u32_e64 s12, v51
	s_cbranch_execnz .LBB924_91
.LBB924_14:                             ;   in Loop: Header=BB924_6 Depth=1
	s_wait_alu 0xfffe
	s_or_b32 exec_lo, exec_lo, s18
	s_delay_alu instid0(SALU_CYCLE_1)
	s_mov_b32 s18, exec_lo
	v_cmpx_gt_u32_e64 s12, v52
	s_cbranch_execnz .LBB924_92
.LBB924_15:                             ;   in Loop: Header=BB924_6 Depth=1
	s_wait_alu 0xfffe
	s_or_b32 exec_lo, exec_lo, s18
	s_delay_alu instid0(SALU_CYCLE_1)
	s_mov_b32 s18, exec_lo
	v_cmpx_gt_u32_e64 s12, v53
	s_cbranch_execnz .LBB924_93
.LBB924_16:                             ;   in Loop: Header=BB924_6 Depth=1
	s_wait_alu 0xfffe
	s_or_b32 exec_lo, exec_lo, s18
	s_delay_alu instid0(SALU_CYCLE_1)
	s_mov_b32 s18, exec_lo
	v_cmpx_gt_u32_e64 s12, v54
	s_cbranch_execnz .LBB924_94
.LBB924_17:                             ;   in Loop: Header=BB924_6 Depth=1
	s_wait_alu 0xfffe
	s_or_b32 exec_lo, exec_lo, s18
	s_delay_alu instid0(SALU_CYCLE_1)
	s_mov_b32 s18, exec_lo
	v_cmpx_gt_u32_e64 s12, v55
	s_cbranch_execnz .LBB924_95
.LBB924_18:                             ;   in Loop: Header=BB924_6 Depth=1
	s_wait_alu 0xfffe
	s_or_b32 exec_lo, exec_lo, s18
	s_delay_alu instid0(SALU_CYCLE_1)
	s_mov_b32 s18, exec_lo
	v_cmpx_gt_u32_e64 s12, v56
	s_cbranch_execnz .LBB924_96
.LBB924_19:                             ;   in Loop: Header=BB924_6 Depth=1
	s_wait_alu 0xfffe
	s_or_b32 exec_lo, exec_lo, s18
	s_delay_alu instid0(SALU_CYCLE_1)
	s_mov_b32 s18, exec_lo
	v_cmpx_gt_u32_e64 s12, v57
	s_cbranch_execnz .LBB924_97
.LBB924_20:                             ;   in Loop: Header=BB924_6 Depth=1
	s_wait_alu 0xfffe
	s_or_b32 exec_lo, exec_lo, s18
	s_delay_alu instid0(SALU_CYCLE_1)
	s_mov_b32 s18, exec_lo
	v_cmpx_gt_u32_e64 s12, v58
	s_cbranch_execnz .LBB924_98
.LBB924_21:                             ;   in Loop: Header=BB924_6 Depth=1
	s_wait_alu 0xfffe
	s_or_b32 exec_lo, exec_lo, s18
	s_delay_alu instid0(SALU_CYCLE_1)
	s_mov_b32 s18, exec_lo
	v_cmpx_gt_u32_e64 s12, v59
	s_cbranch_execnz .LBB924_99
.LBB924_22:                             ;   in Loop: Header=BB924_6 Depth=1
	s_wait_alu 0xfffe
	s_or_b32 exec_lo, exec_lo, s18
	s_delay_alu instid0(SALU_CYCLE_1)
	s_mov_b32 s18, exec_lo
	v_cmpx_gt_u32_e64 s12, v60
	s_cbranch_execz .LBB924_24
.LBB924_23:                             ;   in Loop: Header=BB924_6 Depth=1
	global_load_u16 v2, v[20:21], off offset:960
	s_wait_loadcnt 0x0
	v_and_b32_e32 v2, 0x7fff, v2
	s_delay_alu instid0(VALU_DEP_1)
	v_cmp_ne_u16_e32 vcc_lo, 0, v2
	s_wait_alu 0xfffd
	v_cndmask_b32_e64 v17, 0, 1, vcc_lo
.LBB924_24:                             ;   in Loop: Header=BB924_6 Depth=1
	s_wait_alu 0xfffe
	s_or_b32 exec_lo, exec_lo, s18
	ds_store_b32 v61, v0
	ds_store_b32 v62, v3 offset:128
	ds_store_b32 v63, v4 offset:256
	;; [unrolled: 1-line block ×15, first 2 shown]
	; wave barrier
	ds_load_2addr_b32 v[6:7], v77 offset1:1
	ds_load_2addr_b32 v[8:9], v77 offset0:2 offset1:3
	ds_load_2addr_b32 v[10:11], v77 offset0:4 offset1:5
	;; [unrolled: 1-line block ×7, first 2 shown]
	s_mov_b32 s18, 0
.LBB924_25:                             ;   in Loop: Header=BB924_6 Depth=1
	s_wait_alu 0xfffe
	s_and_b32 vcc_lo, exec_lo, s18
	s_wait_alu 0xfffe
	s_cbranch_vccz .LBB924_27
; %bb.26:                               ;   in Loop: Header=BB924_6 Depth=1
	global_load_u16 v0, v[20:21], off
	s_wait_dscnt 0x0
	s_clause 0xe
	global_load_u16 v2, v[20:21], off offset:64
	global_load_u16 v3, v[20:21], off offset:128
	;; [unrolled: 1-line block ×15, first 2 shown]
	s_wait_loadcnt 0xf
	v_and_b32_e32 v0, 0x7fff, v0
	s_wait_loadcnt 0xe
	v_and_b32_e32 v2, 0x7fff, v2
	;; [unrolled: 2-line block ×5, first 2 shown]
	v_cmp_ne_u16_e32 vcc_lo, 0, v0
	s_wait_loadcnt 0xa
	v_and_b32_e32 v6, 0x7fff, v6
	s_wait_loadcnt 0x9
	v_and_b32_e32 v7, 0x7fff, v7
	;; [unrolled: 2-line block ×4, first 2 shown]
	s_wait_alu 0xfffd
	v_cndmask_b32_e64 v0, 0, 1, vcc_lo
	v_cmp_ne_u16_e32 vcc_lo, 0, v2
	s_wait_loadcnt 0x6
	v_and_b32_e32 v10, 0x7fff, v10
	s_wait_loadcnt 0x5
	v_and_b32_e32 v11, 0x7fff, v11
	;; [unrolled: 2-line block ×4, first 2 shown]
	s_wait_alu 0xfffd
	v_cndmask_b32_e64 v2, 0, 1, vcc_lo
	v_cmp_ne_u16_e32 vcc_lo, 0, v3
	s_wait_loadcnt 0x2
	v_and_b32_e32 v14, 0x7fff, v14
	s_wait_loadcnt 0x1
	v_and_b32_e32 v15, 0x7fff, v15
	;; [unrolled: 2-line block ×3, first 2 shown]
	s_wait_alu 0xfffd
	v_cndmask_b32_e64 v3, 0, 1, vcc_lo
	v_cmp_ne_u16_e32 vcc_lo, 0, v4
	s_wait_alu 0xfffd
	v_cndmask_b32_e64 v4, 0, 1, vcc_lo
	v_cmp_ne_u16_e32 vcc_lo, 0, v5
	;; [unrolled: 3-line block ×13, first 2 shown]
	s_wait_alu 0xfffd
	v_cndmask_b32_e64 v16, 0, 1, vcc_lo
	ds_store_b32 v61, v0
	ds_store_b32 v62, v2 offset:128
	ds_store_b32 v63, v3 offset:256
	ds_store_b32 v64, v4 offset:384
	ds_store_b32 v65, v5 offset:512
	ds_store_b32 v66, v6 offset:640
	ds_store_b32 v67, v7 offset:768
	ds_store_b32 v68, v8 offset:896
	ds_store_b32 v69, v9 offset:1024
	ds_store_b32 v70, v10 offset:1152
	ds_store_b32 v71, v11 offset:1280
	ds_store_b32 v72, v12 offset:1408
	ds_store_b32 v73, v13 offset:1536
	ds_store_b32 v74, v14 offset:1664
	ds_store_b32 v75, v15 offset:1792
	ds_store_b32 v76, v16 offset:1920
	; wave barrier
	ds_load_2addr_b32 v[6:7], v77 offset1:1
	ds_load_2addr_b32 v[8:9], v77 offset0:2 offset1:3
	ds_load_2addr_b32 v[10:11], v77 offset0:4 offset1:5
	;; [unrolled: 1-line block ×7, first 2 shown]
.LBB924_27:                             ;   in Loop: Header=BB924_6 Depth=1
	s_wait_dscnt 0x7
	v_add_nc_u32_e32 v0, v7, v6
	s_wait_dscnt 0x0
	s_barrier_signal -1
	s_barrier_wait -1
	global_inv scope:SCOPE_SE
	v_add3_u32 v0, v0, v8, v9
	s_delay_alu instid0(VALU_DEP_1) | instskip(NEXT) | instid1(VALU_DEP_1)
	v_add3_u32 v0, v0, v10, v11
	v_add3_u32 v0, v0, v14, v15
	s_delay_alu instid0(VALU_DEP_1) | instskip(NEXT) | instid1(VALU_DEP_1)
	v_add3_u32 v0, v0, v16, v17
	;; [unrolled: 3-line block ×3, first 2 shown]
	v_add3_u32 v0, v0, v2, v3
	s_delay_alu instid0(VALU_DEP_1) | instskip(NEXT) | instid1(VALU_DEP_1)
	v_mov_b32_dpp v22, v0 row_shr:1 row_mask:0xf bank_mask:0xf
	v_cndmask_b32_e64 v22, v22, 0, s2
	s_delay_alu instid0(VALU_DEP_1) | instskip(NEXT) | instid1(VALU_DEP_1)
	v_add_nc_u32_e32 v0, v0, v22
	v_mov_b32_dpp v22, v0 row_shr:2 row_mask:0xf bank_mask:0xf
	s_delay_alu instid0(VALU_DEP_1) | instskip(NEXT) | instid1(VALU_DEP_1)
	v_cndmask_b32_e64 v22, 0, v22, s3
	v_add_nc_u32_e32 v0, v0, v22
	s_delay_alu instid0(VALU_DEP_1) | instskip(NEXT) | instid1(VALU_DEP_1)
	v_mov_b32_dpp v22, v0 row_shr:4 row_mask:0xf bank_mask:0xf
	v_cndmask_b32_e64 v22, 0, v22, s4
	s_delay_alu instid0(VALU_DEP_1) | instskip(NEXT) | instid1(VALU_DEP_1)
	v_add_nc_u32_e32 v0, v0, v22
	v_mov_b32_dpp v22, v0 row_shr:8 row_mask:0xf bank_mask:0xf
	s_delay_alu instid0(VALU_DEP_1) | instskip(NEXT) | instid1(VALU_DEP_1)
	v_cndmask_b32_e64 v22, 0, v22, s5
	v_add_nc_u32_e32 v0, v0, v22
	ds_swizzle_b32 v22, v0 offset:swizzle(BROADCAST,32,15)
	s_wait_dscnt 0x0
	v_cndmask_b32_e64 v22, v22, 0, s6
	s_delay_alu instid0(VALU_DEP_1)
	v_add_nc_u32_e32 v0, v0, v22
	s_and_saveexec_b32 s18, s7
; %bb.28:                               ;   in Loop: Header=BB924_6 Depth=1
	ds_store_b32 v24, v0
; %bb.29:                               ;   in Loop: Header=BB924_6 Depth=1
	s_wait_alu 0xfffe
	s_or_b32 exec_lo, exec_lo, s18
	s_wait_loadcnt_dscnt 0x0
	s_barrier_signal -1
	s_barrier_wait -1
	global_inv scope:SCOPE_SE
	s_and_saveexec_b32 s18, s9
	s_cbranch_execz .LBB924_31
; %bb.30:                               ;   in Loop: Header=BB924_6 Depth=1
	ds_load_b32 v22, v25
	s_wait_dscnt 0x0
	v_mov_b32_dpp v23, v22 row_shr:1 row_mask:0xf bank_mask:0xf
	s_delay_alu instid0(VALU_DEP_1) | instskip(NEXT) | instid1(VALU_DEP_1)
	v_cndmask_b32_e64 v23, v23, 0, s2
	v_add_nc_u32_e32 v22, v23, v22
	s_delay_alu instid0(VALU_DEP_1) | instskip(NEXT) | instid1(VALU_DEP_1)
	v_mov_b32_dpp v23, v22 row_shr:2 row_mask:0xf bank_mask:0xf
	v_cndmask_b32_e64 v23, 0, v23, s3
	s_delay_alu instid0(VALU_DEP_1) | instskip(NEXT) | instid1(VALU_DEP_1)
	v_add_nc_u32_e32 v22, v22, v23
	v_mov_b32_dpp v23, v22 row_shr:4 row_mask:0xf bank_mask:0xf
	s_delay_alu instid0(VALU_DEP_1) | instskip(NEXT) | instid1(VALU_DEP_1)
	v_cndmask_b32_e64 v23, 0, v23, s4
	v_add_nc_u32_e32 v22, v22, v23
	s_delay_alu instid0(VALU_DEP_1) | instskip(NEXT) | instid1(VALU_DEP_1)
	v_mov_b32_dpp v23, v22 row_shr:8 row_mask:0xf bank_mask:0xf
	v_cndmask_b32_e64 v23, 0, v23, s5
	s_delay_alu instid0(VALU_DEP_1)
	v_add_nc_u32_e32 v22, v22, v23
	ds_store_b32 v25, v22
.LBB924_31:                             ;   in Loop: Header=BB924_6 Depth=1
	s_wait_alu 0xfffe
	s_or_b32 exec_lo, exec_lo, s18
	v_mov_b32_e32 v22, 0
	s_wait_loadcnt_dscnt 0x0
	s_barrier_signal -1
	s_barrier_wait -1
	global_inv scope:SCOPE_SE
	s_and_saveexec_b32 s18, s10
; %bb.32:                               ;   in Loop: Header=BB924_6 Depth=1
	ds_load_b32 v22, v26
; %bb.33:                               ;   in Loop: Header=BB924_6 Depth=1
	s_wait_alu 0xfffe
	s_or_b32 exec_lo, exec_lo, s18
	s_wait_dscnt 0x0
	v_add_nc_u32_e32 v0, v22, v0
	ds_bpermute_b32 v0, v27, v0
	s_and_saveexec_b32 s18, s11
	s_cbranch_execz .LBB924_35
; %bb.34:                               ;   in Loop: Header=BB924_6 Depth=1
	ds_load_b32 v23, v1 offset:60
	s_wait_dscnt 0x0
	ds_store_b32 v1, v23 offset:33792
.LBB924_35:                             ;   in Loop: Header=BB924_6 Depth=1
	s_wait_alu 0xfffe
	s_or_b32 exec_lo, exec_lo, s18
	s_wait_dscnt 0x0
	v_cndmask_b32_e64 v0, v0, v22, s8
	s_wait_loadcnt 0x0
	s_barrier_signal -1
	s_barrier_wait -1
	global_inv scope:SCOPE_SE
	v_cndmask_b32_e64 v22, v0, 0, s11
	ds_store_2addr_b32 v28, v6, v7 offset1:1
	ds_store_2addr_b32 v28, v8, v9 offset0:2 offset1:3
	ds_store_2addr_b32 v28, v10, v11 offset0:4 offset1:5
	;; [unrolled: 1-line block ×7, first 2 shown]
	s_wait_loadcnt_dscnt 0x0
	s_barrier_signal -1
	v_add_nc_u32_e32 v23, v22, v6
	s_barrier_wait -1
	global_inv scope:SCOPE_SE
	s_mov_b32 s18, exec_lo
	v_add_nc_u32_e32 v91, v23, v7
	s_delay_alu instid0(VALU_DEP_1) | instskip(NEXT) | instid1(VALU_DEP_1)
	v_add_nc_u32_e32 v92, v91, v8
	v_add_nc_u32_e32 v93, v92, v9
	s_delay_alu instid0(VALU_DEP_1) | instskip(NEXT) | instid1(VALU_DEP_1)
	v_add_nc_u32_e32 v94, v93, v10
	v_add_nc_u32_e32 v95, v94, v11
	s_delay_alu instid0(VALU_DEP_1) | instskip(NEXT) | instid1(VALU_DEP_1)
	v_add_nc_u32_e32 v96, v95, v14
	v_add_nc_u32_e32 v97, v96, v15
	s_delay_alu instid0(VALU_DEP_1) | instskip(NEXT) | instid1(VALU_DEP_1)
	v_add_nc_u32_e32 v98, v97, v16
	v_add_nc_u32_e32 v6, v98, v17
	ds_load_b32 v99, v29
	ds_load_b32 v17, v30 offset:2048
	ds_load_b32 v90, v31 offset:4096
	;; [unrolled: 1-line block ×15, first 2 shown]
	s_wait_loadcnt_dscnt 0x0
	s_barrier_signal -1
	v_add_nc_u32_e32 v3, v6, v12
	s_barrier_wait -1
	global_inv scope:SCOPE_SE
	v_add_nc_u32_e32 v7, v3, v13
	s_delay_alu instid0(VALU_DEP_1) | instskip(NEXT) | instid1(VALU_DEP_1)
	v_add_nc_u32_e32 v4, v7, v4
	v_add_nc_u32_e32 v5, v4, v5
	s_delay_alu instid0(VALU_DEP_1)
	v_add_nc_u32_e32 v2, v5, v2
	ds_store_2addr_b32 v28, v22, v23 offset1:1
	ds_store_2addr_b32 v28, v91, v92 offset0:2 offset1:3
	ds_store_2addr_b32 v28, v93, v94 offset0:4 offset1:5
	;; [unrolled: 1-line block ×7, first 2 shown]
	s_wait_loadcnt_dscnt 0x0
	s_barrier_signal -1
	s_barrier_wait -1
	global_inv scope:SCOPE_SE
	ds_load_b32 v16, v30 offset:2048
	ds_load_b32 v15, v31 offset:4096
	;; [unrolled: 1-line block ×15, first 2 shown]
	v_cmpx_ne_u32_e32 0, v99
	s_cbranch_execz .LBB924_38
; %bb.36:                               ;   in Loop: Header=BB924_6 Depth=1
	ds_load_b32 v22, v29
	s_wait_dscnt 0x0
	v_ashrrev_i32_e32 v23, 31, v22
	s_delay_alu instid0(VALU_DEP_1)
	v_cmp_gt_i64_e32 vcc_lo, s[16:17], v[22:23]
	s_and_b32 exec_lo, exec_lo, vcc_lo
	s_cbranch_execz .LBB924_38
; %bb.37:                               ;   in Loop: Header=BB924_6 Depth=1
	v_lshlrev_b64_e32 v[22:23], 3, v[22:23]
	s_delay_alu instid0(VALU_DEP_1) | instskip(SKIP_1) | instid1(VALU_DEP_2)
	v_add_co_u32 v22, vcc_lo, s14, v22
	s_wait_alu 0xfffd
	v_add_co_ci_u32_e64 v23, null, s15, v23, vcc_lo
	global_store_b64 v[22:23], v[18:19], off
.LBB924_38:                             ;   in Loop: Header=BB924_6 Depth=1
	s_wait_alu 0xfffe
	s_or_b32 exec_lo, exec_lo, s18
	s_delay_alu instid0(SALU_CYCLE_1)
	s_mov_b32 s18, exec_lo
	v_cmpx_ne_u32_e32 0, v17
	s_cbranch_execz .LBB924_41
; %bb.39:                               ;   in Loop: Header=BB924_6 Depth=1
	s_wait_dscnt 0xe
	v_ashrrev_i32_e32 v17, 31, v16
	s_delay_alu instid0(VALU_DEP_1)
	v_cmp_gt_i64_e32 vcc_lo, s[16:17], v[16:17]
	s_and_b32 exec_lo, exec_lo, vcc_lo
	s_cbranch_execz .LBB924_41
; %bb.40:                               ;   in Loop: Header=BB924_6 Depth=1
	s_load_b32 s19, s[0:1], 0xc
	v_lshlrev_b64_e32 v[16:17], 3, v[16:17]
	s_wait_kmcnt 0x0
	s_and_b32 s19, s19, 0xffff
	s_wait_alu 0xfffe
	v_add_co_u32 v22, vcc_lo, v18, s19
	s_wait_alu 0xfffd
	v_add_co_ci_u32_e64 v23, null, 0, v19, vcc_lo
	v_add_co_u32 v16, vcc_lo, s14, v16
	s_wait_alu 0xfffd
	v_add_co_ci_u32_e64 v17, null, s15, v17, vcc_lo
	global_store_b64 v[16:17], v[22:23], off
.LBB924_41:                             ;   in Loop: Header=BB924_6 Depth=1
	s_wait_alu 0xfffe
	s_or_b32 exec_lo, exec_lo, s18
	s_delay_alu instid0(SALU_CYCLE_1)
	s_mov_b32 s18, exec_lo
	v_cmpx_ne_u32_e32 0, v90
	s_cbranch_execz .LBB924_44
; %bb.42:                               ;   in Loop: Header=BB924_6 Depth=1
	s_wait_dscnt 0xd
	v_ashrrev_i32_e32 v16, 31, v15
	s_delay_alu instid0(VALU_DEP_1)
	v_cmp_gt_i64_e32 vcc_lo, s[16:17], v[15:16]
	s_and_b32 exec_lo, exec_lo, vcc_lo
	s_cbranch_execz .LBB924_44
; %bb.43:                               ;   in Loop: Header=BB924_6 Depth=1
	s_load_b32 s19, s[0:1], 0xc
	v_lshlrev_b64_e32 v[15:16], 3, v[15:16]
	s_wait_kmcnt 0x0
	s_and_b32 s19, s19, 0xffff
	s_wait_alu 0xfffe
	s_lshl_b32 s19, s19, 1
	s_wait_alu 0xfffe
	v_add_co_u32 v22, vcc_lo, v18, s19
	s_wait_alu 0xfffd
	v_add_co_ci_u32_e64 v23, null, 0, v19, vcc_lo
	v_add_co_u32 v15, vcc_lo, s14, v15
	s_wait_alu 0xfffd
	v_add_co_ci_u32_e64 v16, null, s15, v16, vcc_lo
	global_store_b64 v[15:16], v[22:23], off
.LBB924_44:                             ;   in Loop: Header=BB924_6 Depth=1
	s_wait_alu 0xfffe
	s_or_b32 exec_lo, exec_lo, s18
	s_delay_alu instid0(SALU_CYCLE_1)
	s_mov_b32 s18, exec_lo
	v_cmpx_ne_u32_e32 0, v89
	s_cbranch_execz .LBB924_47
; %bb.45:                               ;   in Loop: Header=BB924_6 Depth=1
	s_wait_dscnt 0xc
	v_ashrrev_i32_e32 v15, 31, v14
	s_delay_alu instid0(VALU_DEP_1)
	v_cmp_gt_i64_e32 vcc_lo, s[16:17], v[14:15]
	s_and_b32 exec_lo, exec_lo, vcc_lo
	s_cbranch_execz .LBB924_47
; %bb.46:                               ;   in Loop: Header=BB924_6 Depth=1
	s_load_b32 s19, s[0:1], 0xc
	v_lshlrev_b64_e32 v[14:15], 3, v[14:15]
	s_wait_kmcnt 0x0
	s_and_b32 s19, s19, 0xffff
	s_wait_alu 0xfffe
	s_mul_i32 s19, s19, 3
	s_wait_alu 0xfffe
	v_add_co_u32 v16, vcc_lo, v18, s19
	s_wait_alu 0xfffd
	v_add_co_ci_u32_e64 v17, null, 0, v19, vcc_lo
	v_add_co_u32 v14, vcc_lo, s14, v14
	s_wait_alu 0xfffd
	v_add_co_ci_u32_e64 v15, null, s15, v15, vcc_lo
	global_store_b64 v[14:15], v[16:17], off
.LBB924_47:                             ;   in Loop: Header=BB924_6 Depth=1
	s_wait_alu 0xfffe
	s_or_b32 exec_lo, exec_lo, s18
	s_delay_alu instid0(SALU_CYCLE_1)
	s_mov_b32 s18, exec_lo
	v_cmpx_ne_u32_e32 0, v88
	s_cbranch_execz .LBB924_50
; %bb.48:                               ;   in Loop: Header=BB924_6 Depth=1
	s_wait_dscnt 0xb
	v_ashrrev_i32_e32 v14, 31, v13
	s_delay_alu instid0(VALU_DEP_1)
	v_cmp_gt_i64_e32 vcc_lo, s[16:17], v[13:14]
	s_and_b32 exec_lo, exec_lo, vcc_lo
	s_cbranch_execz .LBB924_50
; %bb.49:                               ;   in Loop: Header=BB924_6 Depth=1
	s_load_b32 s19, s[0:1], 0xc
	v_lshlrev_b64_e32 v[13:14], 3, v[13:14]
	s_wait_kmcnt 0x0
	s_and_b32 s19, s19, 0xffff
	s_wait_alu 0xfffe
	s_lshl_b32 s19, s19, 2
	s_wait_alu 0xfffe
	v_add_co_u32 v15, vcc_lo, v18, s19
	s_wait_alu 0xfffd
	v_add_co_ci_u32_e64 v16, null, 0, v19, vcc_lo
	v_add_co_u32 v13, vcc_lo, s14, v13
	s_wait_alu 0xfffd
	v_add_co_ci_u32_e64 v14, null, s15, v14, vcc_lo
	global_store_b64 v[13:14], v[15:16], off
.LBB924_50:                             ;   in Loop: Header=BB924_6 Depth=1
	s_wait_alu 0xfffe
	s_or_b32 exec_lo, exec_lo, s18
	s_delay_alu instid0(SALU_CYCLE_1)
	s_mov_b32 s18, exec_lo
	v_cmpx_ne_u32_e32 0, v87
	s_cbranch_execz .LBB924_53
; %bb.51:                               ;   in Loop: Header=BB924_6 Depth=1
	s_wait_dscnt 0xa
	v_ashrrev_i32_e32 v13, 31, v12
	s_delay_alu instid0(VALU_DEP_1)
	v_cmp_gt_i64_e32 vcc_lo, s[16:17], v[12:13]
	s_and_b32 exec_lo, exec_lo, vcc_lo
	s_cbranch_execz .LBB924_53
; %bb.52:                               ;   in Loop: Header=BB924_6 Depth=1
	s_load_b32 s19, s[0:1], 0xc
	v_lshlrev_b64_e32 v[12:13], 3, v[12:13]
	s_wait_kmcnt 0x0
	s_and_b32 s19, s19, 0xffff
	s_wait_alu 0xfffe
	s_mul_i32 s19, s19, 5
	s_wait_alu 0xfffe
	v_add_co_u32 v14, vcc_lo, v18, s19
	s_wait_alu 0xfffd
	v_add_co_ci_u32_e64 v15, null, 0, v19, vcc_lo
	v_add_co_u32 v12, vcc_lo, s14, v12
	s_wait_alu 0xfffd
	v_add_co_ci_u32_e64 v13, null, s15, v13, vcc_lo
	global_store_b64 v[12:13], v[14:15], off
.LBB924_53:                             ;   in Loop: Header=BB924_6 Depth=1
	s_wait_alu 0xfffe
	s_or_b32 exec_lo, exec_lo, s18
	s_delay_alu instid0(SALU_CYCLE_1)
	s_mov_b32 s18, exec_lo
	v_cmpx_ne_u32_e32 0, v86
	s_cbranch_execz .LBB924_56
; %bb.54:                               ;   in Loop: Header=BB924_6 Depth=1
	s_wait_dscnt 0x9
	v_ashrrev_i32_e32 v12, 31, v11
	s_delay_alu instid0(VALU_DEP_1)
	v_cmp_gt_i64_e32 vcc_lo, s[16:17], v[11:12]
	s_and_b32 exec_lo, exec_lo, vcc_lo
	s_cbranch_execz .LBB924_56
; %bb.55:                               ;   in Loop: Header=BB924_6 Depth=1
	s_load_b32 s19, s[0:1], 0xc
	v_lshlrev_b64_e32 v[11:12], 3, v[11:12]
	s_wait_kmcnt 0x0
	s_and_b32 s19, s19, 0xffff
	s_wait_alu 0xfffe
	s_mul_i32 s19, s19, 6
	s_wait_alu 0xfffe
	v_add_co_u32 v13, vcc_lo, v18, s19
	s_wait_alu 0xfffd
	v_add_co_ci_u32_e64 v14, null, 0, v19, vcc_lo
	v_add_co_u32 v11, vcc_lo, s14, v11
	s_wait_alu 0xfffd
	v_add_co_ci_u32_e64 v12, null, s15, v12, vcc_lo
	global_store_b64 v[11:12], v[13:14], off
.LBB924_56:                             ;   in Loop: Header=BB924_6 Depth=1
	;; [unrolled: 29-line block ×3, first 2 shown]
	s_wait_alu 0xfffe
	s_or_b32 exec_lo, exec_lo, s18
	s_delay_alu instid0(SALU_CYCLE_1)
	s_mov_b32 s18, exec_lo
	v_cmpx_ne_u32_e32 0, v84
	s_cbranch_execz .LBB924_62
; %bb.60:                               ;   in Loop: Header=BB924_6 Depth=1
	s_wait_dscnt 0x7
	v_ashrrev_i32_e32 v10, 31, v9
	s_delay_alu instid0(VALU_DEP_1)
	v_cmp_gt_i64_e32 vcc_lo, s[16:17], v[9:10]
	s_and_b32 exec_lo, exec_lo, vcc_lo
	s_cbranch_execz .LBB924_62
; %bb.61:                               ;   in Loop: Header=BB924_6 Depth=1
	s_load_b32 s19, s[0:1], 0xc
	v_lshlrev_b64_e32 v[9:10], 3, v[9:10]
	s_wait_kmcnt 0x0
	s_and_b32 s19, s19, 0xffff
	s_wait_alu 0xfffe
	s_lshl_b32 s19, s19, 3
	s_wait_alu 0xfffe
	v_add_co_u32 v11, vcc_lo, v18, s19
	s_wait_alu 0xfffd
	v_add_co_ci_u32_e64 v12, null, 0, v19, vcc_lo
	v_add_co_u32 v9, vcc_lo, s14, v9
	s_wait_alu 0xfffd
	v_add_co_ci_u32_e64 v10, null, s15, v10, vcc_lo
	global_store_b64 v[9:10], v[11:12], off
.LBB924_62:                             ;   in Loop: Header=BB924_6 Depth=1
	s_wait_alu 0xfffe
	s_or_b32 exec_lo, exec_lo, s18
	s_delay_alu instid0(SALU_CYCLE_1)
	s_mov_b32 s18, exec_lo
	v_cmpx_ne_u32_e32 0, v83
	s_cbranch_execz .LBB924_65
; %bb.63:                               ;   in Loop: Header=BB924_6 Depth=1
	s_wait_dscnt 0x6
	v_ashrrev_i32_e32 v9, 31, v8
	s_delay_alu instid0(VALU_DEP_1)
	v_cmp_gt_i64_e32 vcc_lo, s[16:17], v[8:9]
	s_and_b32 exec_lo, exec_lo, vcc_lo
	s_cbranch_execz .LBB924_65
; %bb.64:                               ;   in Loop: Header=BB924_6 Depth=1
	s_load_b32 s19, s[0:1], 0xc
	v_lshlrev_b64_e32 v[8:9], 3, v[8:9]
	s_wait_kmcnt 0x0
	s_and_b32 s19, s19, 0xffff
	s_wait_alu 0xfffe
	s_mul_i32 s19, s19, 9
	s_wait_alu 0xfffe
	v_add_co_u32 v10, vcc_lo, v18, s19
	s_wait_alu 0xfffd
	v_add_co_ci_u32_e64 v11, null, 0, v19, vcc_lo
	v_add_co_u32 v8, vcc_lo, s14, v8
	s_wait_alu 0xfffd
	v_add_co_ci_u32_e64 v9, null, s15, v9, vcc_lo
	global_store_b64 v[8:9], v[10:11], off
.LBB924_65:                             ;   in Loop: Header=BB924_6 Depth=1
	s_wait_alu 0xfffe
	s_or_b32 exec_lo, exec_lo, s18
	s_delay_alu instid0(SALU_CYCLE_1)
	s_mov_b32 s18, exec_lo
	v_cmpx_ne_u32_e32 0, v82
	s_cbranch_execz .LBB924_68
; %bb.66:                               ;   in Loop: Header=BB924_6 Depth=1
	s_wait_dscnt 0x5
	v_ashrrev_i32_e32 v8, 31, v7
	s_delay_alu instid0(VALU_DEP_1)
	v_cmp_gt_i64_e32 vcc_lo, s[16:17], v[7:8]
	s_and_b32 exec_lo, exec_lo, vcc_lo
	s_cbranch_execz .LBB924_68
; %bb.67:                               ;   in Loop: Header=BB924_6 Depth=1
	s_load_b32 s19, s[0:1], 0xc
	v_lshlrev_b64_e32 v[7:8], 3, v[7:8]
	s_wait_kmcnt 0x0
	s_and_b32 s19, s19, 0xffff
	s_wait_alu 0xfffe
	s_mul_i32 s19, s19, 10
	s_wait_alu 0xfffe
	v_add_co_u32 v9, vcc_lo, v18, s19
	s_wait_alu 0xfffd
	v_add_co_ci_u32_e64 v10, null, 0, v19, vcc_lo
	v_add_co_u32 v7, vcc_lo, s14, v7
	s_wait_alu 0xfffd
	v_add_co_ci_u32_e64 v8, null, s15, v8, vcc_lo
	global_store_b64 v[7:8], v[9:10], off
.LBB924_68:                             ;   in Loop: Header=BB924_6 Depth=1
	;; [unrolled: 29-line block ×7, first 2 shown]
	s_wait_alu 0xfffe
	s_or_b32 exec_lo, exec_lo, s18
	ds_load_b32 v0, v1 offset:33792
	v_cmp_lt_i64_e64 s22, 0x2000, s[12:13]
	s_wait_dscnt 0x0
	v_readfirstlane_b32 s18, v0
	s_ashr_i32 s19, s18, 31
	s_wait_alu 0xfffe
	s_sub_nc_u64 s[16:17], s[16:17], s[18:19]
	s_wait_alu 0xfffe
	v_cmp_gt_i64_e64 s23, s[16:17], 0
	s_and_b32 s22, s22, s23
	s_wait_alu 0xfffe
	s_and_not1_b32 vcc_lo, exec_lo, s22
	s_wait_alu 0xfffe
	s_cbranch_vccz .LBB924_5
; %bb.84:
                                        ; implicit-def: $sgpr12_sgpr13
                                        ; implicit-def: $sgpr14_sgpr15
                                        ; implicit-def: $vgpr18_vgpr19
                                        ; implicit-def: $sgpr26
                                        ; implicit-def: $vgpr20_vgpr21
	s_branch .LBB924_100
.LBB924_85:                             ;   in Loop: Header=BB924_6 Depth=1
	global_load_u16 v0, v[20:21], off
	v_dual_mov_b32 v14, v1 :: v_dual_mov_b32 v15, v1
	v_dual_mov_b32 v2, v1 :: v_dual_mov_b32 v3, v1
	;; [unrolled: 1-line block ×7, first 2 shown]
	s_wait_loadcnt 0x0
	v_and_b32_e32 v0, 0x7fff, v0
	v_mov_b32_e32 v17, v15
	s_delay_alu instid0(VALU_DEP_3) | instskip(SKIP_1) | instid1(VALU_DEP_4)
	v_dual_mov_b32 v16, v14 :: v_dual_mov_b32 v15, v13
	v_mov_b32_e32 v14, v12
	v_cmp_ne_u16_e32 vcc_lo, 0, v0
	v_mov_b32_e32 v13, v11
	v_mov_b32_e32 v12, v10
	;; [unrolled: 1-line block ×12, first 2 shown]
	s_wait_alu 0xfffd
	v_cndmask_b32_e64 v0, 0, 1, vcc_lo
	s_wait_alu 0xfffe
	s_or_b32 exec_lo, exec_lo, s18
	s_delay_alu instid0(SALU_CYCLE_1)
	s_mov_b32 s18, exec_lo
	v_cmpx_gt_u32_e64 s12, v46
	s_cbranch_execz .LBB924_9
.LBB924_86:                             ;   in Loop: Header=BB924_6 Depth=1
	global_load_u16 v2, v[20:21], off offset:64
	s_wait_loadcnt 0x0
	v_and_b32_e32 v2, 0x7fff, v2
	s_delay_alu instid0(VALU_DEP_1) | instskip(SKIP_4) | instid1(SALU_CYCLE_1)
	v_cmp_ne_u16_e32 vcc_lo, 0, v2
	s_wait_alu 0xfffd
	v_cndmask_b32_e64 v3, 0, 1, vcc_lo
	s_wait_alu 0xfffe
	s_or_b32 exec_lo, exec_lo, s18
	s_mov_b32 s18, exec_lo
	v_cmpx_gt_u32_e64 s12, v47
	s_cbranch_execz .LBB924_10
.LBB924_87:                             ;   in Loop: Header=BB924_6 Depth=1
	global_load_u16 v2, v[20:21], off offset:128
	s_wait_loadcnt 0x0
	v_and_b32_e32 v2, 0x7fff, v2
	s_delay_alu instid0(VALU_DEP_1) | instskip(SKIP_4) | instid1(SALU_CYCLE_1)
	v_cmp_ne_u16_e32 vcc_lo, 0, v2
	s_wait_alu 0xfffd
	v_cndmask_b32_e64 v4, 0, 1, vcc_lo
	s_wait_alu 0xfffe
	s_or_b32 exec_lo, exec_lo, s18
	s_mov_b32 s18, exec_lo
	v_cmpx_gt_u32_e64 s12, v48
	s_cbranch_execz .LBB924_11
.LBB924_88:                             ;   in Loop: Header=BB924_6 Depth=1
	global_load_u16 v2, v[20:21], off offset:192
	s_wait_loadcnt 0x0
	v_and_b32_e32 v2, 0x7fff, v2
	s_delay_alu instid0(VALU_DEP_1) | instskip(SKIP_4) | instid1(SALU_CYCLE_1)
	v_cmp_ne_u16_e32 vcc_lo, 0, v2
	s_wait_alu 0xfffd
	v_cndmask_b32_e64 v5, 0, 1, vcc_lo
	s_wait_alu 0xfffe
	s_or_b32 exec_lo, exec_lo, s18
	s_mov_b32 s18, exec_lo
	v_cmpx_gt_u32_e64 s12, v49
	s_cbranch_execz .LBB924_12
.LBB924_89:                             ;   in Loop: Header=BB924_6 Depth=1
	global_load_u16 v2, v[20:21], off offset:256
	s_wait_loadcnt 0x0
	v_and_b32_e32 v2, 0x7fff, v2
	s_delay_alu instid0(VALU_DEP_1) | instskip(SKIP_4) | instid1(SALU_CYCLE_1)
	v_cmp_ne_u16_e32 vcc_lo, 0, v2
	s_wait_alu 0xfffd
	v_cndmask_b32_e64 v6, 0, 1, vcc_lo
	s_wait_alu 0xfffe
	s_or_b32 exec_lo, exec_lo, s18
	s_mov_b32 s18, exec_lo
	v_cmpx_gt_u32_e64 s12, v50
	s_cbranch_execz .LBB924_13
.LBB924_90:                             ;   in Loop: Header=BB924_6 Depth=1
	global_load_u16 v2, v[20:21], off offset:320
	s_wait_loadcnt 0x0
	v_and_b32_e32 v2, 0x7fff, v2
	s_delay_alu instid0(VALU_DEP_1) | instskip(SKIP_4) | instid1(SALU_CYCLE_1)
	v_cmp_ne_u16_e32 vcc_lo, 0, v2
	s_wait_alu 0xfffd
	v_cndmask_b32_e64 v7, 0, 1, vcc_lo
	s_wait_alu 0xfffe
	s_or_b32 exec_lo, exec_lo, s18
	s_mov_b32 s18, exec_lo
	v_cmpx_gt_u32_e64 s12, v51
	s_cbranch_execz .LBB924_14
.LBB924_91:                             ;   in Loop: Header=BB924_6 Depth=1
	global_load_u16 v2, v[20:21], off offset:384
	s_wait_loadcnt 0x0
	v_and_b32_e32 v2, 0x7fff, v2
	s_delay_alu instid0(VALU_DEP_1) | instskip(SKIP_4) | instid1(SALU_CYCLE_1)
	v_cmp_ne_u16_e32 vcc_lo, 0, v2
	s_wait_alu 0xfffd
	v_cndmask_b32_e64 v8, 0, 1, vcc_lo
	s_wait_alu 0xfffe
	s_or_b32 exec_lo, exec_lo, s18
	s_mov_b32 s18, exec_lo
	v_cmpx_gt_u32_e64 s12, v52
	s_cbranch_execz .LBB924_15
.LBB924_92:                             ;   in Loop: Header=BB924_6 Depth=1
	global_load_u16 v2, v[20:21], off offset:448
	s_wait_loadcnt 0x0
	v_and_b32_e32 v2, 0x7fff, v2
	s_delay_alu instid0(VALU_DEP_1) | instskip(SKIP_4) | instid1(SALU_CYCLE_1)
	v_cmp_ne_u16_e32 vcc_lo, 0, v2
	s_wait_alu 0xfffd
	v_cndmask_b32_e64 v9, 0, 1, vcc_lo
	s_wait_alu 0xfffe
	s_or_b32 exec_lo, exec_lo, s18
	s_mov_b32 s18, exec_lo
	v_cmpx_gt_u32_e64 s12, v53
	s_cbranch_execz .LBB924_16
.LBB924_93:                             ;   in Loop: Header=BB924_6 Depth=1
	global_load_u16 v2, v[20:21], off offset:512
	s_wait_loadcnt 0x0
	v_and_b32_e32 v2, 0x7fff, v2
	s_delay_alu instid0(VALU_DEP_1) | instskip(SKIP_4) | instid1(SALU_CYCLE_1)
	v_cmp_ne_u16_e32 vcc_lo, 0, v2
	s_wait_alu 0xfffd
	v_cndmask_b32_e64 v10, 0, 1, vcc_lo
	s_wait_alu 0xfffe
	s_or_b32 exec_lo, exec_lo, s18
	s_mov_b32 s18, exec_lo
	v_cmpx_gt_u32_e64 s12, v54
	s_cbranch_execz .LBB924_17
.LBB924_94:                             ;   in Loop: Header=BB924_6 Depth=1
	global_load_u16 v2, v[20:21], off offset:576
	s_wait_loadcnt 0x0
	v_and_b32_e32 v2, 0x7fff, v2
	s_delay_alu instid0(VALU_DEP_1) | instskip(SKIP_4) | instid1(SALU_CYCLE_1)
	v_cmp_ne_u16_e32 vcc_lo, 0, v2
	s_wait_alu 0xfffd
	v_cndmask_b32_e64 v11, 0, 1, vcc_lo
	s_wait_alu 0xfffe
	s_or_b32 exec_lo, exec_lo, s18
	s_mov_b32 s18, exec_lo
	v_cmpx_gt_u32_e64 s12, v55
	s_cbranch_execz .LBB924_18
.LBB924_95:                             ;   in Loop: Header=BB924_6 Depth=1
	global_load_u16 v2, v[20:21], off offset:640
	s_wait_loadcnt 0x0
	v_and_b32_e32 v2, 0x7fff, v2
	s_delay_alu instid0(VALU_DEP_1) | instskip(SKIP_4) | instid1(SALU_CYCLE_1)
	v_cmp_ne_u16_e32 vcc_lo, 0, v2
	s_wait_alu 0xfffd
	v_cndmask_b32_e64 v12, 0, 1, vcc_lo
	s_wait_alu 0xfffe
	s_or_b32 exec_lo, exec_lo, s18
	s_mov_b32 s18, exec_lo
	v_cmpx_gt_u32_e64 s12, v56
	s_cbranch_execz .LBB924_19
.LBB924_96:                             ;   in Loop: Header=BB924_6 Depth=1
	global_load_u16 v2, v[20:21], off offset:704
	s_wait_loadcnt 0x0
	v_and_b32_e32 v2, 0x7fff, v2
	s_delay_alu instid0(VALU_DEP_1) | instskip(SKIP_4) | instid1(SALU_CYCLE_1)
	v_cmp_ne_u16_e32 vcc_lo, 0, v2
	s_wait_alu 0xfffd
	v_cndmask_b32_e64 v13, 0, 1, vcc_lo
	s_wait_alu 0xfffe
	s_or_b32 exec_lo, exec_lo, s18
	s_mov_b32 s18, exec_lo
	v_cmpx_gt_u32_e64 s12, v57
	s_cbranch_execz .LBB924_20
.LBB924_97:                             ;   in Loop: Header=BB924_6 Depth=1
	global_load_u16 v2, v[20:21], off offset:768
	s_wait_loadcnt 0x0
	v_and_b32_e32 v2, 0x7fff, v2
	s_delay_alu instid0(VALU_DEP_1) | instskip(SKIP_4) | instid1(SALU_CYCLE_1)
	v_cmp_ne_u16_e32 vcc_lo, 0, v2
	s_wait_alu 0xfffd
	v_cndmask_b32_e64 v14, 0, 1, vcc_lo
	s_wait_alu 0xfffe
	s_or_b32 exec_lo, exec_lo, s18
	s_mov_b32 s18, exec_lo
	v_cmpx_gt_u32_e64 s12, v58
	s_cbranch_execz .LBB924_21
.LBB924_98:                             ;   in Loop: Header=BB924_6 Depth=1
	global_load_u16 v2, v[20:21], off offset:832
	s_wait_loadcnt 0x0
	v_and_b32_e32 v2, 0x7fff, v2
	s_delay_alu instid0(VALU_DEP_1) | instskip(SKIP_4) | instid1(SALU_CYCLE_1)
	v_cmp_ne_u16_e32 vcc_lo, 0, v2
	s_wait_alu 0xfffd
	v_cndmask_b32_e64 v15, 0, 1, vcc_lo
	s_wait_alu 0xfffe
	s_or_b32 exec_lo, exec_lo, s18
	s_mov_b32 s18, exec_lo
	v_cmpx_gt_u32_e64 s12, v59
	s_cbranch_execz .LBB924_22
.LBB924_99:                             ;   in Loop: Header=BB924_6 Depth=1
	global_load_u16 v2, v[20:21], off offset:896
	s_wait_loadcnt 0x0
	v_and_b32_e32 v2, 0x7fff, v2
	s_delay_alu instid0(VALU_DEP_1) | instskip(SKIP_4) | instid1(SALU_CYCLE_1)
	v_cmp_ne_u16_e32 vcc_lo, 0, v2
	s_wait_alu 0xfffd
	v_cndmask_b32_e64 v16, 0, 1, vcc_lo
	s_wait_alu 0xfffe
	s_or_b32 exec_lo, exec_lo, s18
	s_mov_b32 s18, exec_lo
	v_cmpx_gt_u32_e64 s12, v60
	s_cbranch_execnz .LBB924_23
	s_branch .LBB924_24
.LBB924_100:
	s_nop 0
	s_sendmsg sendmsg(MSG_DEALLOC_VGPRS)
	s_endpgm
	.section	.rodata,"a",@progbits
	.p2align	6, 0x0
	.amdhsa_kernel _ZN2at6native12_GLOBAL__N_111flag_kernelILi512ELi16EN3c104HalfEEEvPKT1_PlPKllli
		.amdhsa_group_segment_fixed_size 33796
		.amdhsa_private_segment_fixed_size 0
		.amdhsa_kernarg_size 304
		.amdhsa_user_sgpr_count 2
		.amdhsa_user_sgpr_dispatch_ptr 0
		.amdhsa_user_sgpr_queue_ptr 0
		.amdhsa_user_sgpr_kernarg_segment_ptr 1
		.amdhsa_user_sgpr_dispatch_id 0
		.amdhsa_user_sgpr_private_segment_size 0
		.amdhsa_wavefront_size32 1
		.amdhsa_uses_dynamic_stack 0
		.amdhsa_enable_private_segment 0
		.amdhsa_system_sgpr_workgroup_id_x 1
		.amdhsa_system_sgpr_workgroup_id_y 0
		.amdhsa_system_sgpr_workgroup_id_z 0
		.amdhsa_system_sgpr_workgroup_info 0
		.amdhsa_system_vgpr_workitem_id 0
		.amdhsa_next_free_vgpr 100
		.amdhsa_next_free_sgpr 27
		.amdhsa_reserve_vcc 1
		.amdhsa_float_round_mode_32 0
		.amdhsa_float_round_mode_16_64 0
		.amdhsa_float_denorm_mode_32 3
		.amdhsa_float_denorm_mode_16_64 3
		.amdhsa_fp16_overflow 0
		.amdhsa_workgroup_processor_mode 1
		.amdhsa_memory_ordered 1
		.amdhsa_forward_progress 1
		.amdhsa_inst_pref_size 59
		.amdhsa_round_robin_scheduling 0
		.amdhsa_exception_fp_ieee_invalid_op 0
		.amdhsa_exception_fp_denorm_src 0
		.amdhsa_exception_fp_ieee_div_zero 0
		.amdhsa_exception_fp_ieee_overflow 0
		.amdhsa_exception_fp_ieee_underflow 0
		.amdhsa_exception_fp_ieee_inexact 0
		.amdhsa_exception_int_div_zero 0
	.end_amdhsa_kernel
	.section	.text._ZN2at6native12_GLOBAL__N_111flag_kernelILi512ELi16EN3c104HalfEEEvPKT1_PlPKllli,"axG",@progbits,_ZN2at6native12_GLOBAL__N_111flag_kernelILi512ELi16EN3c104HalfEEEvPKT1_PlPKllli,comdat
.Lfunc_end924:
	.size	_ZN2at6native12_GLOBAL__N_111flag_kernelILi512ELi16EN3c104HalfEEEvPKT1_PlPKllli, .Lfunc_end924-_ZN2at6native12_GLOBAL__N_111flag_kernelILi512ELi16EN3c104HalfEEEvPKT1_PlPKllli
                                        ; -- End function
	.set _ZN2at6native12_GLOBAL__N_111flag_kernelILi512ELi16EN3c104HalfEEEvPKT1_PlPKllli.num_vgpr, 100
	.set _ZN2at6native12_GLOBAL__N_111flag_kernelILi512ELi16EN3c104HalfEEEvPKT1_PlPKllli.num_agpr, 0
	.set _ZN2at6native12_GLOBAL__N_111flag_kernelILi512ELi16EN3c104HalfEEEvPKT1_PlPKllli.numbered_sgpr, 27
	.set _ZN2at6native12_GLOBAL__N_111flag_kernelILi512ELi16EN3c104HalfEEEvPKT1_PlPKllli.num_named_barrier, 0
	.set _ZN2at6native12_GLOBAL__N_111flag_kernelILi512ELi16EN3c104HalfEEEvPKT1_PlPKllli.private_seg_size, 0
	.set _ZN2at6native12_GLOBAL__N_111flag_kernelILi512ELi16EN3c104HalfEEEvPKT1_PlPKllli.uses_vcc, 1
	.set _ZN2at6native12_GLOBAL__N_111flag_kernelILi512ELi16EN3c104HalfEEEvPKT1_PlPKllli.uses_flat_scratch, 0
	.set _ZN2at6native12_GLOBAL__N_111flag_kernelILi512ELi16EN3c104HalfEEEvPKT1_PlPKllli.has_dyn_sized_stack, 0
	.set _ZN2at6native12_GLOBAL__N_111flag_kernelILi512ELi16EN3c104HalfEEEvPKT1_PlPKllli.has_recursion, 0
	.set _ZN2at6native12_GLOBAL__N_111flag_kernelILi512ELi16EN3c104HalfEEEvPKT1_PlPKllli.has_indirect_call, 0
	.section	.AMDGPU.csdata,"",@progbits
; Kernel info:
; codeLenInByte = 7480
; TotalNumSgprs: 29
; NumVgprs: 100
; ScratchSize: 0
; MemoryBound: 0
; FloatMode: 240
; IeeeMode: 1
; LDSByteSize: 33796 bytes/workgroup (compile time only)
; SGPRBlocks: 0
; VGPRBlocks: 12
; NumSGPRsForWavesPerEU: 29
; NumVGPRsForWavesPerEU: 100
; Occupancy: 12
; WaveLimiterHint : 0
; COMPUTE_PGM_RSRC2:SCRATCH_EN: 0
; COMPUTE_PGM_RSRC2:USER_SGPR: 2
; COMPUTE_PGM_RSRC2:TRAP_HANDLER: 0
; COMPUTE_PGM_RSRC2:TGID_X_EN: 1
; COMPUTE_PGM_RSRC2:TGID_Y_EN: 0
; COMPUTE_PGM_RSRC2:TGID_Z_EN: 0
; COMPUTE_PGM_RSRC2:TIDIG_COMP_CNT: 0
	.section	.AMDGPU.gpr_maximums,"",@progbits
	.set amdgpu.max_num_vgpr, 0
	.set amdgpu.max_num_agpr, 0
	.set amdgpu.max_num_sgpr, 0
	.section	.AMDGPU.csdata,"",@progbits
	.type	__hip_cuid_caddc0e37ad7de7,@object ; @__hip_cuid_caddc0e37ad7de7
	.section	.bss,"aw",@nobits
	.globl	__hip_cuid_caddc0e37ad7de7
__hip_cuid_caddc0e37ad7de7:
	.byte	0                               ; 0x0
	.size	__hip_cuid_caddc0e37ad7de7, 1

	.ident	"AMD clang version 22.0.0git (https://github.com/RadeonOpenCompute/llvm-project roc-7.2.4 26084 f58b06dce1f9c15707c5f808fd002e18c2accf7e)"
	.section	".note.GNU-stack","",@progbits
	.addrsig
	.addrsig_sym __hip_cuid_caddc0e37ad7de7
	.amdgpu_metadata
---
amdhsa.kernels:
  - .args:
      - .address_space:  global
        .offset:         0
        .size:           8
        .value_kind:     global_buffer
      - .address_space:  global
        .offset:         8
        .size:           8
        .value_kind:     global_buffer
      - .offset:         16
        .size:           8
        .value_kind:     by_value
      - .offset:         24
        .size:           8
        .value_kind:     by_value
      - .offset:         32
        .size:           4
        .value_kind:     hidden_block_count_x
      - .offset:         36
        .size:           4
        .value_kind:     hidden_block_count_y
      - .offset:         40
        .size:           4
        .value_kind:     hidden_block_count_z
      - .offset:         44
        .size:           2
        .value_kind:     hidden_group_size_x
      - .offset:         46
        .size:           2
        .value_kind:     hidden_group_size_y
      - .offset:         48
        .size:           2
        .value_kind:     hidden_group_size_z
      - .offset:         50
        .size:           2
        .value_kind:     hidden_remainder_x
      - .offset:         52
        .size:           2
        .value_kind:     hidden_remainder_y
      - .offset:         54
        .size:           2
        .value_kind:     hidden_remainder_z
      - .offset:         72
        .size:           8
        .value_kind:     hidden_global_offset_x
      - .offset:         80
        .size:           8
        .value_kind:     hidden_global_offset_y
      - .offset:         88
        .size:           8
        .value_kind:     hidden_global_offset_z
      - .offset:         96
        .size:           2
        .value_kind:     hidden_grid_dims
    .group_segment_fixed_size: 0
    .kernarg_segment_align: 8
    .kernarg_segment_size: 288
    .language:       OpenCL C
    .language_version:
      - 2
      - 0
    .max_flat_workgroup_size: 1024
    .name:           _ZN2at6native12_GLOBAL__N_116write_fill_valueEPlS2_ll
    .private_segment_fixed_size: 0
    .sgpr_count:     14
    .sgpr_spill_count: 0
    .symbol:         _ZN2at6native12_GLOBAL__N_116write_fill_valueEPlS2_ll.kd
    .uniform_work_group_size: 1
    .uses_dynamic_stack: false
    .vgpr_count:     6
    .vgpr_spill_count: 0
    .wavefront_size: 32
    .workgroup_processor_mode: 1
  - .args:
      - .offset:         0
        .size:           56
        .value_kind:     by_value
    .group_segment_fixed_size: 0
    .kernarg_segment_align: 8
    .kernarg_segment_size: 56
    .language:       OpenCL C
    .language_version:
      - 2
      - 0
    .max_flat_workgroup_size: 256
    .name:           _ZN7rocprim17ROCPRIM_400000_NS6detail17trampoline_kernelINS0_14default_configENS1_22reduce_config_selectorIiEEZNS1_11reduce_implILb1ES3_PiS7_iN6hipcub16HIPCUB_304000_NS6detail34convert_binary_result_type_wrapperINS9_3SumENS9_22TransformInputIteratorIbN2at6native12_GLOBAL__N_19NonZeroOpIhEEPKhlEEiEEEE10hipError_tPvRmT1_T2_T3_mT4_P12ihipStream_tbEUlT_E0_NS1_11comp_targetILNS1_3genE0ELNS1_11target_archE4294967295ELNS1_3gpuE0ELNS1_3repE0EEENS1_30default_config_static_selectorELNS0_4arch9wavefront6targetE0EEEvSQ_
    .private_segment_fixed_size: 0
    .sgpr_count:     0
    .sgpr_spill_count: 0
    .symbol:         _ZN7rocprim17ROCPRIM_400000_NS6detail17trampoline_kernelINS0_14default_configENS1_22reduce_config_selectorIiEEZNS1_11reduce_implILb1ES3_PiS7_iN6hipcub16HIPCUB_304000_NS6detail34convert_binary_result_type_wrapperINS9_3SumENS9_22TransformInputIteratorIbN2at6native12_GLOBAL__N_19NonZeroOpIhEEPKhlEEiEEEE10hipError_tPvRmT1_T2_T3_mT4_P12ihipStream_tbEUlT_E0_NS1_11comp_targetILNS1_3genE0ELNS1_11target_archE4294967295ELNS1_3gpuE0ELNS1_3repE0EEENS1_30default_config_static_selectorELNS0_4arch9wavefront6targetE0EEEvSQ_.kd
    .uniform_work_group_size: 1
    .uses_dynamic_stack: false
    .vgpr_count:     0
    .vgpr_spill_count: 0
    .wavefront_size: 32
    .workgroup_processor_mode: 1
  - .args:
      - .offset:         0
        .size:           56
        .value_kind:     by_value
    .group_segment_fixed_size: 0
    .kernarg_segment_align: 8
    .kernarg_segment_size: 56
    .language:       OpenCL C
    .language_version:
      - 2
      - 0
    .max_flat_workgroup_size: 256
    .name:           _ZN7rocprim17ROCPRIM_400000_NS6detail17trampoline_kernelINS0_14default_configENS1_22reduce_config_selectorIiEEZNS1_11reduce_implILb1ES3_PiS7_iN6hipcub16HIPCUB_304000_NS6detail34convert_binary_result_type_wrapperINS9_3SumENS9_22TransformInputIteratorIbN2at6native12_GLOBAL__N_19NonZeroOpIhEEPKhlEEiEEEE10hipError_tPvRmT1_T2_T3_mT4_P12ihipStream_tbEUlT_E0_NS1_11comp_targetILNS1_3genE5ELNS1_11target_archE942ELNS1_3gpuE9ELNS1_3repE0EEENS1_30default_config_static_selectorELNS0_4arch9wavefront6targetE0EEEvSQ_
    .private_segment_fixed_size: 0
    .sgpr_count:     0
    .sgpr_spill_count: 0
    .symbol:         _ZN7rocprim17ROCPRIM_400000_NS6detail17trampoline_kernelINS0_14default_configENS1_22reduce_config_selectorIiEEZNS1_11reduce_implILb1ES3_PiS7_iN6hipcub16HIPCUB_304000_NS6detail34convert_binary_result_type_wrapperINS9_3SumENS9_22TransformInputIteratorIbN2at6native12_GLOBAL__N_19NonZeroOpIhEEPKhlEEiEEEE10hipError_tPvRmT1_T2_T3_mT4_P12ihipStream_tbEUlT_E0_NS1_11comp_targetILNS1_3genE5ELNS1_11target_archE942ELNS1_3gpuE9ELNS1_3repE0EEENS1_30default_config_static_selectorELNS0_4arch9wavefront6targetE0EEEvSQ_.kd
    .uniform_work_group_size: 1
    .uses_dynamic_stack: false
    .vgpr_count:     0
    .vgpr_spill_count: 0
    .wavefront_size: 32
    .workgroup_processor_mode: 1
  - .args:
      - .offset:         0
        .size:           56
        .value_kind:     by_value
    .group_segment_fixed_size: 0
    .kernarg_segment_align: 8
    .kernarg_segment_size: 56
    .language:       OpenCL C
    .language_version:
      - 2
      - 0
    .max_flat_workgroup_size: 128
    .name:           _ZN7rocprim17ROCPRIM_400000_NS6detail17trampoline_kernelINS0_14default_configENS1_22reduce_config_selectorIiEEZNS1_11reduce_implILb1ES3_PiS7_iN6hipcub16HIPCUB_304000_NS6detail34convert_binary_result_type_wrapperINS9_3SumENS9_22TransformInputIteratorIbN2at6native12_GLOBAL__N_19NonZeroOpIhEEPKhlEEiEEEE10hipError_tPvRmT1_T2_T3_mT4_P12ihipStream_tbEUlT_E0_NS1_11comp_targetILNS1_3genE4ELNS1_11target_archE910ELNS1_3gpuE8ELNS1_3repE0EEENS1_30default_config_static_selectorELNS0_4arch9wavefront6targetE0EEEvSQ_
    .private_segment_fixed_size: 0
    .sgpr_count:     0
    .sgpr_spill_count: 0
    .symbol:         _ZN7rocprim17ROCPRIM_400000_NS6detail17trampoline_kernelINS0_14default_configENS1_22reduce_config_selectorIiEEZNS1_11reduce_implILb1ES3_PiS7_iN6hipcub16HIPCUB_304000_NS6detail34convert_binary_result_type_wrapperINS9_3SumENS9_22TransformInputIteratorIbN2at6native12_GLOBAL__N_19NonZeroOpIhEEPKhlEEiEEEE10hipError_tPvRmT1_T2_T3_mT4_P12ihipStream_tbEUlT_E0_NS1_11comp_targetILNS1_3genE4ELNS1_11target_archE910ELNS1_3gpuE8ELNS1_3repE0EEENS1_30default_config_static_selectorELNS0_4arch9wavefront6targetE0EEEvSQ_.kd
    .uniform_work_group_size: 1
    .uses_dynamic_stack: false
    .vgpr_count:     0
    .vgpr_spill_count: 0
    .wavefront_size: 32
    .workgroup_processor_mode: 1
  - .args:
      - .offset:         0
        .size:           56
        .value_kind:     by_value
    .group_segment_fixed_size: 0
    .kernarg_segment_align: 8
    .kernarg_segment_size: 56
    .language:       OpenCL C
    .language_version:
      - 2
      - 0
    .max_flat_workgroup_size: 256
    .name:           _ZN7rocprim17ROCPRIM_400000_NS6detail17trampoline_kernelINS0_14default_configENS1_22reduce_config_selectorIiEEZNS1_11reduce_implILb1ES3_PiS7_iN6hipcub16HIPCUB_304000_NS6detail34convert_binary_result_type_wrapperINS9_3SumENS9_22TransformInputIteratorIbN2at6native12_GLOBAL__N_19NonZeroOpIhEEPKhlEEiEEEE10hipError_tPvRmT1_T2_T3_mT4_P12ihipStream_tbEUlT_E0_NS1_11comp_targetILNS1_3genE3ELNS1_11target_archE908ELNS1_3gpuE7ELNS1_3repE0EEENS1_30default_config_static_selectorELNS0_4arch9wavefront6targetE0EEEvSQ_
    .private_segment_fixed_size: 0
    .sgpr_count:     0
    .sgpr_spill_count: 0
    .symbol:         _ZN7rocprim17ROCPRIM_400000_NS6detail17trampoline_kernelINS0_14default_configENS1_22reduce_config_selectorIiEEZNS1_11reduce_implILb1ES3_PiS7_iN6hipcub16HIPCUB_304000_NS6detail34convert_binary_result_type_wrapperINS9_3SumENS9_22TransformInputIteratorIbN2at6native12_GLOBAL__N_19NonZeroOpIhEEPKhlEEiEEEE10hipError_tPvRmT1_T2_T3_mT4_P12ihipStream_tbEUlT_E0_NS1_11comp_targetILNS1_3genE3ELNS1_11target_archE908ELNS1_3gpuE7ELNS1_3repE0EEENS1_30default_config_static_selectorELNS0_4arch9wavefront6targetE0EEEvSQ_.kd
    .uniform_work_group_size: 1
    .uses_dynamic_stack: false
    .vgpr_count:     0
    .vgpr_spill_count: 0
    .wavefront_size: 32
    .workgroup_processor_mode: 1
  - .args:
      - .offset:         0
        .size:           56
        .value_kind:     by_value
    .group_segment_fixed_size: 0
    .kernarg_segment_align: 8
    .kernarg_segment_size: 56
    .language:       OpenCL C
    .language_version:
      - 2
      - 0
    .max_flat_workgroup_size: 256
    .name:           _ZN7rocprim17ROCPRIM_400000_NS6detail17trampoline_kernelINS0_14default_configENS1_22reduce_config_selectorIiEEZNS1_11reduce_implILb1ES3_PiS7_iN6hipcub16HIPCUB_304000_NS6detail34convert_binary_result_type_wrapperINS9_3SumENS9_22TransformInputIteratorIbN2at6native12_GLOBAL__N_19NonZeroOpIhEEPKhlEEiEEEE10hipError_tPvRmT1_T2_T3_mT4_P12ihipStream_tbEUlT_E0_NS1_11comp_targetILNS1_3genE2ELNS1_11target_archE906ELNS1_3gpuE6ELNS1_3repE0EEENS1_30default_config_static_selectorELNS0_4arch9wavefront6targetE0EEEvSQ_
    .private_segment_fixed_size: 0
    .sgpr_count:     0
    .sgpr_spill_count: 0
    .symbol:         _ZN7rocprim17ROCPRIM_400000_NS6detail17trampoline_kernelINS0_14default_configENS1_22reduce_config_selectorIiEEZNS1_11reduce_implILb1ES3_PiS7_iN6hipcub16HIPCUB_304000_NS6detail34convert_binary_result_type_wrapperINS9_3SumENS9_22TransformInputIteratorIbN2at6native12_GLOBAL__N_19NonZeroOpIhEEPKhlEEiEEEE10hipError_tPvRmT1_T2_T3_mT4_P12ihipStream_tbEUlT_E0_NS1_11comp_targetILNS1_3genE2ELNS1_11target_archE906ELNS1_3gpuE6ELNS1_3repE0EEENS1_30default_config_static_selectorELNS0_4arch9wavefront6targetE0EEEvSQ_.kd
    .uniform_work_group_size: 1
    .uses_dynamic_stack: false
    .vgpr_count:     0
    .vgpr_spill_count: 0
    .wavefront_size: 32
    .workgroup_processor_mode: 1
  - .args:
      - .offset:         0
        .size:           56
        .value_kind:     by_value
    .group_segment_fixed_size: 64
    .kernarg_segment_align: 8
    .kernarg_segment_size: 56
    .language:       OpenCL C
    .language_version:
      - 2
      - 0
    .max_flat_workgroup_size: 256
    .name:           _ZN7rocprim17ROCPRIM_400000_NS6detail17trampoline_kernelINS0_14default_configENS1_22reduce_config_selectorIiEEZNS1_11reduce_implILb1ES3_PiS7_iN6hipcub16HIPCUB_304000_NS6detail34convert_binary_result_type_wrapperINS9_3SumENS9_22TransformInputIteratorIbN2at6native12_GLOBAL__N_19NonZeroOpIhEEPKhlEEiEEEE10hipError_tPvRmT1_T2_T3_mT4_P12ihipStream_tbEUlT_E0_NS1_11comp_targetILNS1_3genE10ELNS1_11target_archE1201ELNS1_3gpuE5ELNS1_3repE0EEENS1_30default_config_static_selectorELNS0_4arch9wavefront6targetE0EEEvSQ_
    .private_segment_fixed_size: 0
    .sgpr_count:     32
    .sgpr_spill_count: 0
    .symbol:         _ZN7rocprim17ROCPRIM_400000_NS6detail17trampoline_kernelINS0_14default_configENS1_22reduce_config_selectorIiEEZNS1_11reduce_implILb1ES3_PiS7_iN6hipcub16HIPCUB_304000_NS6detail34convert_binary_result_type_wrapperINS9_3SumENS9_22TransformInputIteratorIbN2at6native12_GLOBAL__N_19NonZeroOpIhEEPKhlEEiEEEE10hipError_tPvRmT1_T2_T3_mT4_P12ihipStream_tbEUlT_E0_NS1_11comp_targetILNS1_3genE10ELNS1_11target_archE1201ELNS1_3gpuE5ELNS1_3repE0EEENS1_30default_config_static_selectorELNS0_4arch9wavefront6targetE0EEEvSQ_.kd
    .uniform_work_group_size: 1
    .uses_dynamic_stack: false
    .vgpr_count:     20
    .vgpr_spill_count: 0
    .wavefront_size: 32
    .workgroup_processor_mode: 1
  - .args:
      - .offset:         0
        .size:           56
        .value_kind:     by_value
    .group_segment_fixed_size: 0
    .kernarg_segment_align: 8
    .kernarg_segment_size: 56
    .language:       OpenCL C
    .language_version:
      - 2
      - 0
    .max_flat_workgroup_size: 256
    .name:           _ZN7rocprim17ROCPRIM_400000_NS6detail17trampoline_kernelINS0_14default_configENS1_22reduce_config_selectorIiEEZNS1_11reduce_implILb1ES3_PiS7_iN6hipcub16HIPCUB_304000_NS6detail34convert_binary_result_type_wrapperINS9_3SumENS9_22TransformInputIteratorIbN2at6native12_GLOBAL__N_19NonZeroOpIhEEPKhlEEiEEEE10hipError_tPvRmT1_T2_T3_mT4_P12ihipStream_tbEUlT_E0_NS1_11comp_targetILNS1_3genE10ELNS1_11target_archE1200ELNS1_3gpuE4ELNS1_3repE0EEENS1_30default_config_static_selectorELNS0_4arch9wavefront6targetE0EEEvSQ_
    .private_segment_fixed_size: 0
    .sgpr_count:     0
    .sgpr_spill_count: 0
    .symbol:         _ZN7rocprim17ROCPRIM_400000_NS6detail17trampoline_kernelINS0_14default_configENS1_22reduce_config_selectorIiEEZNS1_11reduce_implILb1ES3_PiS7_iN6hipcub16HIPCUB_304000_NS6detail34convert_binary_result_type_wrapperINS9_3SumENS9_22TransformInputIteratorIbN2at6native12_GLOBAL__N_19NonZeroOpIhEEPKhlEEiEEEE10hipError_tPvRmT1_T2_T3_mT4_P12ihipStream_tbEUlT_E0_NS1_11comp_targetILNS1_3genE10ELNS1_11target_archE1200ELNS1_3gpuE4ELNS1_3repE0EEENS1_30default_config_static_selectorELNS0_4arch9wavefront6targetE0EEEvSQ_.kd
    .uniform_work_group_size: 1
    .uses_dynamic_stack: false
    .vgpr_count:     0
    .vgpr_spill_count: 0
    .wavefront_size: 32
    .workgroup_processor_mode: 1
  - .args:
      - .offset:         0
        .size:           56
        .value_kind:     by_value
    .group_segment_fixed_size: 0
    .kernarg_segment_align: 8
    .kernarg_segment_size: 56
    .language:       OpenCL C
    .language_version:
      - 2
      - 0
    .max_flat_workgroup_size: 256
    .name:           _ZN7rocprim17ROCPRIM_400000_NS6detail17trampoline_kernelINS0_14default_configENS1_22reduce_config_selectorIiEEZNS1_11reduce_implILb1ES3_PiS7_iN6hipcub16HIPCUB_304000_NS6detail34convert_binary_result_type_wrapperINS9_3SumENS9_22TransformInputIteratorIbN2at6native12_GLOBAL__N_19NonZeroOpIhEEPKhlEEiEEEE10hipError_tPvRmT1_T2_T3_mT4_P12ihipStream_tbEUlT_E0_NS1_11comp_targetILNS1_3genE9ELNS1_11target_archE1100ELNS1_3gpuE3ELNS1_3repE0EEENS1_30default_config_static_selectorELNS0_4arch9wavefront6targetE0EEEvSQ_
    .private_segment_fixed_size: 0
    .sgpr_count:     0
    .sgpr_spill_count: 0
    .symbol:         _ZN7rocprim17ROCPRIM_400000_NS6detail17trampoline_kernelINS0_14default_configENS1_22reduce_config_selectorIiEEZNS1_11reduce_implILb1ES3_PiS7_iN6hipcub16HIPCUB_304000_NS6detail34convert_binary_result_type_wrapperINS9_3SumENS9_22TransformInputIteratorIbN2at6native12_GLOBAL__N_19NonZeroOpIhEEPKhlEEiEEEE10hipError_tPvRmT1_T2_T3_mT4_P12ihipStream_tbEUlT_E0_NS1_11comp_targetILNS1_3genE9ELNS1_11target_archE1100ELNS1_3gpuE3ELNS1_3repE0EEENS1_30default_config_static_selectorELNS0_4arch9wavefront6targetE0EEEvSQ_.kd
    .uniform_work_group_size: 1
    .uses_dynamic_stack: false
    .vgpr_count:     0
    .vgpr_spill_count: 0
    .wavefront_size: 32
    .workgroup_processor_mode: 1
  - .args:
      - .offset:         0
        .size:           56
        .value_kind:     by_value
    .group_segment_fixed_size: 0
    .kernarg_segment_align: 8
    .kernarg_segment_size: 56
    .language:       OpenCL C
    .language_version:
      - 2
      - 0
    .max_flat_workgroup_size: 256
    .name:           _ZN7rocprim17ROCPRIM_400000_NS6detail17trampoline_kernelINS0_14default_configENS1_22reduce_config_selectorIiEEZNS1_11reduce_implILb1ES3_PiS7_iN6hipcub16HIPCUB_304000_NS6detail34convert_binary_result_type_wrapperINS9_3SumENS9_22TransformInputIteratorIbN2at6native12_GLOBAL__N_19NonZeroOpIhEEPKhlEEiEEEE10hipError_tPvRmT1_T2_T3_mT4_P12ihipStream_tbEUlT_E0_NS1_11comp_targetILNS1_3genE8ELNS1_11target_archE1030ELNS1_3gpuE2ELNS1_3repE0EEENS1_30default_config_static_selectorELNS0_4arch9wavefront6targetE0EEEvSQ_
    .private_segment_fixed_size: 0
    .sgpr_count:     0
    .sgpr_spill_count: 0
    .symbol:         _ZN7rocprim17ROCPRIM_400000_NS6detail17trampoline_kernelINS0_14default_configENS1_22reduce_config_selectorIiEEZNS1_11reduce_implILb1ES3_PiS7_iN6hipcub16HIPCUB_304000_NS6detail34convert_binary_result_type_wrapperINS9_3SumENS9_22TransformInputIteratorIbN2at6native12_GLOBAL__N_19NonZeroOpIhEEPKhlEEiEEEE10hipError_tPvRmT1_T2_T3_mT4_P12ihipStream_tbEUlT_E0_NS1_11comp_targetILNS1_3genE8ELNS1_11target_archE1030ELNS1_3gpuE2ELNS1_3repE0EEENS1_30default_config_static_selectorELNS0_4arch9wavefront6targetE0EEEvSQ_.kd
    .uniform_work_group_size: 1
    .uses_dynamic_stack: false
    .vgpr_count:     0
    .vgpr_spill_count: 0
    .wavefront_size: 32
    .workgroup_processor_mode: 1
  - .args:
      - .offset:         0
        .size:           40
        .value_kind:     by_value
    .group_segment_fixed_size: 0
    .kernarg_segment_align: 8
    .kernarg_segment_size: 40
    .language:       OpenCL C
    .language_version:
      - 2
      - 0
    .max_flat_workgroup_size: 256
    .name:           _ZN7rocprim17ROCPRIM_400000_NS6detail17trampoline_kernelINS0_14default_configENS1_22reduce_config_selectorIiEEZNS1_11reduce_implILb1ES3_PiS7_iN6hipcub16HIPCUB_304000_NS6detail34convert_binary_result_type_wrapperINS9_3SumENS9_22TransformInputIteratorIbN2at6native12_GLOBAL__N_19NonZeroOpIhEEPKhlEEiEEEE10hipError_tPvRmT1_T2_T3_mT4_P12ihipStream_tbEUlT_E1_NS1_11comp_targetILNS1_3genE0ELNS1_11target_archE4294967295ELNS1_3gpuE0ELNS1_3repE0EEENS1_30default_config_static_selectorELNS0_4arch9wavefront6targetE0EEEvSQ_
    .private_segment_fixed_size: 0
    .sgpr_count:     0
    .sgpr_spill_count: 0
    .symbol:         _ZN7rocprim17ROCPRIM_400000_NS6detail17trampoline_kernelINS0_14default_configENS1_22reduce_config_selectorIiEEZNS1_11reduce_implILb1ES3_PiS7_iN6hipcub16HIPCUB_304000_NS6detail34convert_binary_result_type_wrapperINS9_3SumENS9_22TransformInputIteratorIbN2at6native12_GLOBAL__N_19NonZeroOpIhEEPKhlEEiEEEE10hipError_tPvRmT1_T2_T3_mT4_P12ihipStream_tbEUlT_E1_NS1_11comp_targetILNS1_3genE0ELNS1_11target_archE4294967295ELNS1_3gpuE0ELNS1_3repE0EEENS1_30default_config_static_selectorELNS0_4arch9wavefront6targetE0EEEvSQ_.kd
    .uniform_work_group_size: 1
    .uses_dynamic_stack: false
    .vgpr_count:     0
    .vgpr_spill_count: 0
    .wavefront_size: 32
    .workgroup_processor_mode: 1
  - .args:
      - .offset:         0
        .size:           40
        .value_kind:     by_value
    .group_segment_fixed_size: 0
    .kernarg_segment_align: 8
    .kernarg_segment_size: 40
    .language:       OpenCL C
    .language_version:
      - 2
      - 0
    .max_flat_workgroup_size: 256
    .name:           _ZN7rocprim17ROCPRIM_400000_NS6detail17trampoline_kernelINS0_14default_configENS1_22reduce_config_selectorIiEEZNS1_11reduce_implILb1ES3_PiS7_iN6hipcub16HIPCUB_304000_NS6detail34convert_binary_result_type_wrapperINS9_3SumENS9_22TransformInputIteratorIbN2at6native12_GLOBAL__N_19NonZeroOpIhEEPKhlEEiEEEE10hipError_tPvRmT1_T2_T3_mT4_P12ihipStream_tbEUlT_E1_NS1_11comp_targetILNS1_3genE5ELNS1_11target_archE942ELNS1_3gpuE9ELNS1_3repE0EEENS1_30default_config_static_selectorELNS0_4arch9wavefront6targetE0EEEvSQ_
    .private_segment_fixed_size: 0
    .sgpr_count:     0
    .sgpr_spill_count: 0
    .symbol:         _ZN7rocprim17ROCPRIM_400000_NS6detail17trampoline_kernelINS0_14default_configENS1_22reduce_config_selectorIiEEZNS1_11reduce_implILb1ES3_PiS7_iN6hipcub16HIPCUB_304000_NS6detail34convert_binary_result_type_wrapperINS9_3SumENS9_22TransformInputIteratorIbN2at6native12_GLOBAL__N_19NonZeroOpIhEEPKhlEEiEEEE10hipError_tPvRmT1_T2_T3_mT4_P12ihipStream_tbEUlT_E1_NS1_11comp_targetILNS1_3genE5ELNS1_11target_archE942ELNS1_3gpuE9ELNS1_3repE0EEENS1_30default_config_static_selectorELNS0_4arch9wavefront6targetE0EEEvSQ_.kd
    .uniform_work_group_size: 1
    .uses_dynamic_stack: false
    .vgpr_count:     0
    .vgpr_spill_count: 0
    .wavefront_size: 32
    .workgroup_processor_mode: 1
  - .args:
      - .offset:         0
        .size:           40
        .value_kind:     by_value
    .group_segment_fixed_size: 0
    .kernarg_segment_align: 8
    .kernarg_segment_size: 40
    .language:       OpenCL C
    .language_version:
      - 2
      - 0
    .max_flat_workgroup_size: 128
    .name:           _ZN7rocprim17ROCPRIM_400000_NS6detail17trampoline_kernelINS0_14default_configENS1_22reduce_config_selectorIiEEZNS1_11reduce_implILb1ES3_PiS7_iN6hipcub16HIPCUB_304000_NS6detail34convert_binary_result_type_wrapperINS9_3SumENS9_22TransformInputIteratorIbN2at6native12_GLOBAL__N_19NonZeroOpIhEEPKhlEEiEEEE10hipError_tPvRmT1_T2_T3_mT4_P12ihipStream_tbEUlT_E1_NS1_11comp_targetILNS1_3genE4ELNS1_11target_archE910ELNS1_3gpuE8ELNS1_3repE0EEENS1_30default_config_static_selectorELNS0_4arch9wavefront6targetE0EEEvSQ_
    .private_segment_fixed_size: 0
    .sgpr_count:     0
    .sgpr_spill_count: 0
    .symbol:         _ZN7rocprim17ROCPRIM_400000_NS6detail17trampoline_kernelINS0_14default_configENS1_22reduce_config_selectorIiEEZNS1_11reduce_implILb1ES3_PiS7_iN6hipcub16HIPCUB_304000_NS6detail34convert_binary_result_type_wrapperINS9_3SumENS9_22TransformInputIteratorIbN2at6native12_GLOBAL__N_19NonZeroOpIhEEPKhlEEiEEEE10hipError_tPvRmT1_T2_T3_mT4_P12ihipStream_tbEUlT_E1_NS1_11comp_targetILNS1_3genE4ELNS1_11target_archE910ELNS1_3gpuE8ELNS1_3repE0EEENS1_30default_config_static_selectorELNS0_4arch9wavefront6targetE0EEEvSQ_.kd
    .uniform_work_group_size: 1
    .uses_dynamic_stack: false
    .vgpr_count:     0
    .vgpr_spill_count: 0
    .wavefront_size: 32
    .workgroup_processor_mode: 1
  - .args:
      - .offset:         0
        .size:           40
        .value_kind:     by_value
    .group_segment_fixed_size: 0
    .kernarg_segment_align: 8
    .kernarg_segment_size: 40
    .language:       OpenCL C
    .language_version:
      - 2
      - 0
    .max_flat_workgroup_size: 256
    .name:           _ZN7rocprim17ROCPRIM_400000_NS6detail17trampoline_kernelINS0_14default_configENS1_22reduce_config_selectorIiEEZNS1_11reduce_implILb1ES3_PiS7_iN6hipcub16HIPCUB_304000_NS6detail34convert_binary_result_type_wrapperINS9_3SumENS9_22TransformInputIteratorIbN2at6native12_GLOBAL__N_19NonZeroOpIhEEPKhlEEiEEEE10hipError_tPvRmT1_T2_T3_mT4_P12ihipStream_tbEUlT_E1_NS1_11comp_targetILNS1_3genE3ELNS1_11target_archE908ELNS1_3gpuE7ELNS1_3repE0EEENS1_30default_config_static_selectorELNS0_4arch9wavefront6targetE0EEEvSQ_
    .private_segment_fixed_size: 0
    .sgpr_count:     0
    .sgpr_spill_count: 0
    .symbol:         _ZN7rocprim17ROCPRIM_400000_NS6detail17trampoline_kernelINS0_14default_configENS1_22reduce_config_selectorIiEEZNS1_11reduce_implILb1ES3_PiS7_iN6hipcub16HIPCUB_304000_NS6detail34convert_binary_result_type_wrapperINS9_3SumENS9_22TransformInputIteratorIbN2at6native12_GLOBAL__N_19NonZeroOpIhEEPKhlEEiEEEE10hipError_tPvRmT1_T2_T3_mT4_P12ihipStream_tbEUlT_E1_NS1_11comp_targetILNS1_3genE3ELNS1_11target_archE908ELNS1_3gpuE7ELNS1_3repE0EEENS1_30default_config_static_selectorELNS0_4arch9wavefront6targetE0EEEvSQ_.kd
    .uniform_work_group_size: 1
    .uses_dynamic_stack: false
    .vgpr_count:     0
    .vgpr_spill_count: 0
    .wavefront_size: 32
    .workgroup_processor_mode: 1
  - .args:
      - .offset:         0
        .size:           40
        .value_kind:     by_value
    .group_segment_fixed_size: 0
    .kernarg_segment_align: 8
    .kernarg_segment_size: 40
    .language:       OpenCL C
    .language_version:
      - 2
      - 0
    .max_flat_workgroup_size: 256
    .name:           _ZN7rocprim17ROCPRIM_400000_NS6detail17trampoline_kernelINS0_14default_configENS1_22reduce_config_selectorIiEEZNS1_11reduce_implILb1ES3_PiS7_iN6hipcub16HIPCUB_304000_NS6detail34convert_binary_result_type_wrapperINS9_3SumENS9_22TransformInputIteratorIbN2at6native12_GLOBAL__N_19NonZeroOpIhEEPKhlEEiEEEE10hipError_tPvRmT1_T2_T3_mT4_P12ihipStream_tbEUlT_E1_NS1_11comp_targetILNS1_3genE2ELNS1_11target_archE906ELNS1_3gpuE6ELNS1_3repE0EEENS1_30default_config_static_selectorELNS0_4arch9wavefront6targetE0EEEvSQ_
    .private_segment_fixed_size: 0
    .sgpr_count:     0
    .sgpr_spill_count: 0
    .symbol:         _ZN7rocprim17ROCPRIM_400000_NS6detail17trampoline_kernelINS0_14default_configENS1_22reduce_config_selectorIiEEZNS1_11reduce_implILb1ES3_PiS7_iN6hipcub16HIPCUB_304000_NS6detail34convert_binary_result_type_wrapperINS9_3SumENS9_22TransformInputIteratorIbN2at6native12_GLOBAL__N_19NonZeroOpIhEEPKhlEEiEEEE10hipError_tPvRmT1_T2_T3_mT4_P12ihipStream_tbEUlT_E1_NS1_11comp_targetILNS1_3genE2ELNS1_11target_archE906ELNS1_3gpuE6ELNS1_3repE0EEENS1_30default_config_static_selectorELNS0_4arch9wavefront6targetE0EEEvSQ_.kd
    .uniform_work_group_size: 1
    .uses_dynamic_stack: false
    .vgpr_count:     0
    .vgpr_spill_count: 0
    .wavefront_size: 32
    .workgroup_processor_mode: 1
  - .args:
      - .offset:         0
        .size:           40
        .value_kind:     by_value
    .group_segment_fixed_size: 224
    .kernarg_segment_align: 8
    .kernarg_segment_size: 40
    .language:       OpenCL C
    .language_version:
      - 2
      - 0
    .max_flat_workgroup_size: 256
    .name:           _ZN7rocprim17ROCPRIM_400000_NS6detail17trampoline_kernelINS0_14default_configENS1_22reduce_config_selectorIiEEZNS1_11reduce_implILb1ES3_PiS7_iN6hipcub16HIPCUB_304000_NS6detail34convert_binary_result_type_wrapperINS9_3SumENS9_22TransformInputIteratorIbN2at6native12_GLOBAL__N_19NonZeroOpIhEEPKhlEEiEEEE10hipError_tPvRmT1_T2_T3_mT4_P12ihipStream_tbEUlT_E1_NS1_11comp_targetILNS1_3genE10ELNS1_11target_archE1201ELNS1_3gpuE5ELNS1_3repE0EEENS1_30default_config_static_selectorELNS0_4arch9wavefront6targetE0EEEvSQ_
    .private_segment_fixed_size: 0
    .sgpr_count:     47
    .sgpr_spill_count: 0
    .symbol:         _ZN7rocprim17ROCPRIM_400000_NS6detail17trampoline_kernelINS0_14default_configENS1_22reduce_config_selectorIiEEZNS1_11reduce_implILb1ES3_PiS7_iN6hipcub16HIPCUB_304000_NS6detail34convert_binary_result_type_wrapperINS9_3SumENS9_22TransformInputIteratorIbN2at6native12_GLOBAL__N_19NonZeroOpIhEEPKhlEEiEEEE10hipError_tPvRmT1_T2_T3_mT4_P12ihipStream_tbEUlT_E1_NS1_11comp_targetILNS1_3genE10ELNS1_11target_archE1201ELNS1_3gpuE5ELNS1_3repE0EEENS1_30default_config_static_selectorELNS0_4arch9wavefront6targetE0EEEvSQ_.kd
    .uniform_work_group_size: 1
    .uses_dynamic_stack: false
    .vgpr_count:     34
    .vgpr_spill_count: 0
    .wavefront_size: 32
    .workgroup_processor_mode: 1
  - .args:
      - .offset:         0
        .size:           40
        .value_kind:     by_value
    .group_segment_fixed_size: 0
    .kernarg_segment_align: 8
    .kernarg_segment_size: 40
    .language:       OpenCL C
    .language_version:
      - 2
      - 0
    .max_flat_workgroup_size: 256
    .name:           _ZN7rocprim17ROCPRIM_400000_NS6detail17trampoline_kernelINS0_14default_configENS1_22reduce_config_selectorIiEEZNS1_11reduce_implILb1ES3_PiS7_iN6hipcub16HIPCUB_304000_NS6detail34convert_binary_result_type_wrapperINS9_3SumENS9_22TransformInputIteratorIbN2at6native12_GLOBAL__N_19NonZeroOpIhEEPKhlEEiEEEE10hipError_tPvRmT1_T2_T3_mT4_P12ihipStream_tbEUlT_E1_NS1_11comp_targetILNS1_3genE10ELNS1_11target_archE1200ELNS1_3gpuE4ELNS1_3repE0EEENS1_30default_config_static_selectorELNS0_4arch9wavefront6targetE0EEEvSQ_
    .private_segment_fixed_size: 0
    .sgpr_count:     0
    .sgpr_spill_count: 0
    .symbol:         _ZN7rocprim17ROCPRIM_400000_NS6detail17trampoline_kernelINS0_14default_configENS1_22reduce_config_selectorIiEEZNS1_11reduce_implILb1ES3_PiS7_iN6hipcub16HIPCUB_304000_NS6detail34convert_binary_result_type_wrapperINS9_3SumENS9_22TransformInputIteratorIbN2at6native12_GLOBAL__N_19NonZeroOpIhEEPKhlEEiEEEE10hipError_tPvRmT1_T2_T3_mT4_P12ihipStream_tbEUlT_E1_NS1_11comp_targetILNS1_3genE10ELNS1_11target_archE1200ELNS1_3gpuE4ELNS1_3repE0EEENS1_30default_config_static_selectorELNS0_4arch9wavefront6targetE0EEEvSQ_.kd
    .uniform_work_group_size: 1
    .uses_dynamic_stack: false
    .vgpr_count:     0
    .vgpr_spill_count: 0
    .wavefront_size: 32
    .workgroup_processor_mode: 1
  - .args:
      - .offset:         0
        .size:           40
        .value_kind:     by_value
    .group_segment_fixed_size: 0
    .kernarg_segment_align: 8
    .kernarg_segment_size: 40
    .language:       OpenCL C
    .language_version:
      - 2
      - 0
    .max_flat_workgroup_size: 256
    .name:           _ZN7rocprim17ROCPRIM_400000_NS6detail17trampoline_kernelINS0_14default_configENS1_22reduce_config_selectorIiEEZNS1_11reduce_implILb1ES3_PiS7_iN6hipcub16HIPCUB_304000_NS6detail34convert_binary_result_type_wrapperINS9_3SumENS9_22TransformInputIteratorIbN2at6native12_GLOBAL__N_19NonZeroOpIhEEPKhlEEiEEEE10hipError_tPvRmT1_T2_T3_mT4_P12ihipStream_tbEUlT_E1_NS1_11comp_targetILNS1_3genE9ELNS1_11target_archE1100ELNS1_3gpuE3ELNS1_3repE0EEENS1_30default_config_static_selectorELNS0_4arch9wavefront6targetE0EEEvSQ_
    .private_segment_fixed_size: 0
    .sgpr_count:     0
    .sgpr_spill_count: 0
    .symbol:         _ZN7rocprim17ROCPRIM_400000_NS6detail17trampoline_kernelINS0_14default_configENS1_22reduce_config_selectorIiEEZNS1_11reduce_implILb1ES3_PiS7_iN6hipcub16HIPCUB_304000_NS6detail34convert_binary_result_type_wrapperINS9_3SumENS9_22TransformInputIteratorIbN2at6native12_GLOBAL__N_19NonZeroOpIhEEPKhlEEiEEEE10hipError_tPvRmT1_T2_T3_mT4_P12ihipStream_tbEUlT_E1_NS1_11comp_targetILNS1_3genE9ELNS1_11target_archE1100ELNS1_3gpuE3ELNS1_3repE0EEENS1_30default_config_static_selectorELNS0_4arch9wavefront6targetE0EEEvSQ_.kd
    .uniform_work_group_size: 1
    .uses_dynamic_stack: false
    .vgpr_count:     0
    .vgpr_spill_count: 0
    .wavefront_size: 32
    .workgroup_processor_mode: 1
  - .args:
      - .offset:         0
        .size:           40
        .value_kind:     by_value
    .group_segment_fixed_size: 0
    .kernarg_segment_align: 8
    .kernarg_segment_size: 40
    .language:       OpenCL C
    .language_version:
      - 2
      - 0
    .max_flat_workgroup_size: 256
    .name:           _ZN7rocprim17ROCPRIM_400000_NS6detail17trampoline_kernelINS0_14default_configENS1_22reduce_config_selectorIiEEZNS1_11reduce_implILb1ES3_PiS7_iN6hipcub16HIPCUB_304000_NS6detail34convert_binary_result_type_wrapperINS9_3SumENS9_22TransformInputIteratorIbN2at6native12_GLOBAL__N_19NonZeroOpIhEEPKhlEEiEEEE10hipError_tPvRmT1_T2_T3_mT4_P12ihipStream_tbEUlT_E1_NS1_11comp_targetILNS1_3genE8ELNS1_11target_archE1030ELNS1_3gpuE2ELNS1_3repE0EEENS1_30default_config_static_selectorELNS0_4arch9wavefront6targetE0EEEvSQ_
    .private_segment_fixed_size: 0
    .sgpr_count:     0
    .sgpr_spill_count: 0
    .symbol:         _ZN7rocprim17ROCPRIM_400000_NS6detail17trampoline_kernelINS0_14default_configENS1_22reduce_config_selectorIiEEZNS1_11reduce_implILb1ES3_PiS7_iN6hipcub16HIPCUB_304000_NS6detail34convert_binary_result_type_wrapperINS9_3SumENS9_22TransformInputIteratorIbN2at6native12_GLOBAL__N_19NonZeroOpIhEEPKhlEEiEEEE10hipError_tPvRmT1_T2_T3_mT4_P12ihipStream_tbEUlT_E1_NS1_11comp_targetILNS1_3genE8ELNS1_11target_archE1030ELNS1_3gpuE2ELNS1_3repE0EEENS1_30default_config_static_selectorELNS0_4arch9wavefront6targetE0EEEvSQ_.kd
    .uniform_work_group_size: 1
    .uses_dynamic_stack: false
    .vgpr_count:     0
    .vgpr_spill_count: 0
    .wavefront_size: 32
    .workgroup_processor_mode: 1
  - .args:
      - .offset:         0
        .size:           64
        .value_kind:     by_value
    .group_segment_fixed_size: 0
    .kernarg_segment_align: 8
    .kernarg_segment_size: 64
    .language:       OpenCL C
    .language_version:
      - 2
      - 0
    .max_flat_workgroup_size: 256
    .name:           _ZN7rocprim17ROCPRIM_400000_NS6detail17trampoline_kernelINS0_14default_configENS1_22reduce_config_selectorIbEEZNS1_11reduce_implILb1ES3_N6hipcub16HIPCUB_304000_NS22TransformInputIteratorIbN2at6native12_GLOBAL__N_19NonZeroOpIhEEPKhlEEPiiNS8_6detail34convert_binary_result_type_wrapperINS8_3SumESH_iEEEE10hipError_tPvRmT1_T2_T3_mT4_P12ihipStream_tbEUlT_E0_NS1_11comp_targetILNS1_3genE0ELNS1_11target_archE4294967295ELNS1_3gpuE0ELNS1_3repE0EEENS1_30default_config_static_selectorELNS0_4arch9wavefront6targetE0EEEvSQ_
    .private_segment_fixed_size: 0
    .sgpr_count:     0
    .sgpr_spill_count: 0
    .symbol:         _ZN7rocprim17ROCPRIM_400000_NS6detail17trampoline_kernelINS0_14default_configENS1_22reduce_config_selectorIbEEZNS1_11reduce_implILb1ES3_N6hipcub16HIPCUB_304000_NS22TransformInputIteratorIbN2at6native12_GLOBAL__N_19NonZeroOpIhEEPKhlEEPiiNS8_6detail34convert_binary_result_type_wrapperINS8_3SumESH_iEEEE10hipError_tPvRmT1_T2_T3_mT4_P12ihipStream_tbEUlT_E0_NS1_11comp_targetILNS1_3genE0ELNS1_11target_archE4294967295ELNS1_3gpuE0ELNS1_3repE0EEENS1_30default_config_static_selectorELNS0_4arch9wavefront6targetE0EEEvSQ_.kd
    .uniform_work_group_size: 1
    .uses_dynamic_stack: false
    .vgpr_count:     0
    .vgpr_spill_count: 0
    .wavefront_size: 32
    .workgroup_processor_mode: 1
  - .args:
      - .offset:         0
        .size:           64
        .value_kind:     by_value
    .group_segment_fixed_size: 0
    .kernarg_segment_align: 8
    .kernarg_segment_size: 64
    .language:       OpenCL C
    .language_version:
      - 2
      - 0
    .max_flat_workgroup_size: 256
    .name:           _ZN7rocprim17ROCPRIM_400000_NS6detail17trampoline_kernelINS0_14default_configENS1_22reduce_config_selectorIbEEZNS1_11reduce_implILb1ES3_N6hipcub16HIPCUB_304000_NS22TransformInputIteratorIbN2at6native12_GLOBAL__N_19NonZeroOpIhEEPKhlEEPiiNS8_6detail34convert_binary_result_type_wrapperINS8_3SumESH_iEEEE10hipError_tPvRmT1_T2_T3_mT4_P12ihipStream_tbEUlT_E0_NS1_11comp_targetILNS1_3genE5ELNS1_11target_archE942ELNS1_3gpuE9ELNS1_3repE0EEENS1_30default_config_static_selectorELNS0_4arch9wavefront6targetE0EEEvSQ_
    .private_segment_fixed_size: 0
    .sgpr_count:     0
    .sgpr_spill_count: 0
    .symbol:         _ZN7rocprim17ROCPRIM_400000_NS6detail17trampoline_kernelINS0_14default_configENS1_22reduce_config_selectorIbEEZNS1_11reduce_implILb1ES3_N6hipcub16HIPCUB_304000_NS22TransformInputIteratorIbN2at6native12_GLOBAL__N_19NonZeroOpIhEEPKhlEEPiiNS8_6detail34convert_binary_result_type_wrapperINS8_3SumESH_iEEEE10hipError_tPvRmT1_T2_T3_mT4_P12ihipStream_tbEUlT_E0_NS1_11comp_targetILNS1_3genE5ELNS1_11target_archE942ELNS1_3gpuE9ELNS1_3repE0EEENS1_30default_config_static_selectorELNS0_4arch9wavefront6targetE0EEEvSQ_.kd
    .uniform_work_group_size: 1
    .uses_dynamic_stack: false
    .vgpr_count:     0
    .vgpr_spill_count: 0
    .wavefront_size: 32
    .workgroup_processor_mode: 1
  - .args:
      - .offset:         0
        .size:           64
        .value_kind:     by_value
    .group_segment_fixed_size: 0
    .kernarg_segment_align: 8
    .kernarg_segment_size: 64
    .language:       OpenCL C
    .language_version:
      - 2
      - 0
    .max_flat_workgroup_size: 128
    .name:           _ZN7rocprim17ROCPRIM_400000_NS6detail17trampoline_kernelINS0_14default_configENS1_22reduce_config_selectorIbEEZNS1_11reduce_implILb1ES3_N6hipcub16HIPCUB_304000_NS22TransformInputIteratorIbN2at6native12_GLOBAL__N_19NonZeroOpIhEEPKhlEEPiiNS8_6detail34convert_binary_result_type_wrapperINS8_3SumESH_iEEEE10hipError_tPvRmT1_T2_T3_mT4_P12ihipStream_tbEUlT_E0_NS1_11comp_targetILNS1_3genE4ELNS1_11target_archE910ELNS1_3gpuE8ELNS1_3repE0EEENS1_30default_config_static_selectorELNS0_4arch9wavefront6targetE0EEEvSQ_
    .private_segment_fixed_size: 0
    .sgpr_count:     0
    .sgpr_spill_count: 0
    .symbol:         _ZN7rocprim17ROCPRIM_400000_NS6detail17trampoline_kernelINS0_14default_configENS1_22reduce_config_selectorIbEEZNS1_11reduce_implILb1ES3_N6hipcub16HIPCUB_304000_NS22TransformInputIteratorIbN2at6native12_GLOBAL__N_19NonZeroOpIhEEPKhlEEPiiNS8_6detail34convert_binary_result_type_wrapperINS8_3SumESH_iEEEE10hipError_tPvRmT1_T2_T3_mT4_P12ihipStream_tbEUlT_E0_NS1_11comp_targetILNS1_3genE4ELNS1_11target_archE910ELNS1_3gpuE8ELNS1_3repE0EEENS1_30default_config_static_selectorELNS0_4arch9wavefront6targetE0EEEvSQ_.kd
    .uniform_work_group_size: 1
    .uses_dynamic_stack: false
    .vgpr_count:     0
    .vgpr_spill_count: 0
    .wavefront_size: 32
    .workgroup_processor_mode: 1
  - .args:
      - .offset:         0
        .size:           64
        .value_kind:     by_value
    .group_segment_fixed_size: 0
    .kernarg_segment_align: 8
    .kernarg_segment_size: 64
    .language:       OpenCL C
    .language_version:
      - 2
      - 0
    .max_flat_workgroup_size: 256
    .name:           _ZN7rocprim17ROCPRIM_400000_NS6detail17trampoline_kernelINS0_14default_configENS1_22reduce_config_selectorIbEEZNS1_11reduce_implILb1ES3_N6hipcub16HIPCUB_304000_NS22TransformInputIteratorIbN2at6native12_GLOBAL__N_19NonZeroOpIhEEPKhlEEPiiNS8_6detail34convert_binary_result_type_wrapperINS8_3SumESH_iEEEE10hipError_tPvRmT1_T2_T3_mT4_P12ihipStream_tbEUlT_E0_NS1_11comp_targetILNS1_3genE3ELNS1_11target_archE908ELNS1_3gpuE7ELNS1_3repE0EEENS1_30default_config_static_selectorELNS0_4arch9wavefront6targetE0EEEvSQ_
    .private_segment_fixed_size: 0
    .sgpr_count:     0
    .sgpr_spill_count: 0
    .symbol:         _ZN7rocprim17ROCPRIM_400000_NS6detail17trampoline_kernelINS0_14default_configENS1_22reduce_config_selectorIbEEZNS1_11reduce_implILb1ES3_N6hipcub16HIPCUB_304000_NS22TransformInputIteratorIbN2at6native12_GLOBAL__N_19NonZeroOpIhEEPKhlEEPiiNS8_6detail34convert_binary_result_type_wrapperINS8_3SumESH_iEEEE10hipError_tPvRmT1_T2_T3_mT4_P12ihipStream_tbEUlT_E0_NS1_11comp_targetILNS1_3genE3ELNS1_11target_archE908ELNS1_3gpuE7ELNS1_3repE0EEENS1_30default_config_static_selectorELNS0_4arch9wavefront6targetE0EEEvSQ_.kd
    .uniform_work_group_size: 1
    .uses_dynamic_stack: false
    .vgpr_count:     0
    .vgpr_spill_count: 0
    .wavefront_size: 32
    .workgroup_processor_mode: 1
  - .args:
      - .offset:         0
        .size:           64
        .value_kind:     by_value
    .group_segment_fixed_size: 0
    .kernarg_segment_align: 8
    .kernarg_segment_size: 64
    .language:       OpenCL C
    .language_version:
      - 2
      - 0
    .max_flat_workgroup_size: 128
    .name:           _ZN7rocprim17ROCPRIM_400000_NS6detail17trampoline_kernelINS0_14default_configENS1_22reduce_config_selectorIbEEZNS1_11reduce_implILb1ES3_N6hipcub16HIPCUB_304000_NS22TransformInputIteratorIbN2at6native12_GLOBAL__N_19NonZeroOpIhEEPKhlEEPiiNS8_6detail34convert_binary_result_type_wrapperINS8_3SumESH_iEEEE10hipError_tPvRmT1_T2_T3_mT4_P12ihipStream_tbEUlT_E0_NS1_11comp_targetILNS1_3genE2ELNS1_11target_archE906ELNS1_3gpuE6ELNS1_3repE0EEENS1_30default_config_static_selectorELNS0_4arch9wavefront6targetE0EEEvSQ_
    .private_segment_fixed_size: 0
    .sgpr_count:     0
    .sgpr_spill_count: 0
    .symbol:         _ZN7rocprim17ROCPRIM_400000_NS6detail17trampoline_kernelINS0_14default_configENS1_22reduce_config_selectorIbEEZNS1_11reduce_implILb1ES3_N6hipcub16HIPCUB_304000_NS22TransformInputIteratorIbN2at6native12_GLOBAL__N_19NonZeroOpIhEEPKhlEEPiiNS8_6detail34convert_binary_result_type_wrapperINS8_3SumESH_iEEEE10hipError_tPvRmT1_T2_T3_mT4_P12ihipStream_tbEUlT_E0_NS1_11comp_targetILNS1_3genE2ELNS1_11target_archE906ELNS1_3gpuE6ELNS1_3repE0EEENS1_30default_config_static_selectorELNS0_4arch9wavefront6targetE0EEEvSQ_.kd
    .uniform_work_group_size: 1
    .uses_dynamic_stack: false
    .vgpr_count:     0
    .vgpr_spill_count: 0
    .wavefront_size: 32
    .workgroup_processor_mode: 1
  - .args:
      - .offset:         0
        .size:           64
        .value_kind:     by_value
    .group_segment_fixed_size: 64
    .kernarg_segment_align: 8
    .kernarg_segment_size: 64
    .language:       OpenCL C
    .language_version:
      - 2
      - 0
    .max_flat_workgroup_size: 256
    .name:           _ZN7rocprim17ROCPRIM_400000_NS6detail17trampoline_kernelINS0_14default_configENS1_22reduce_config_selectorIbEEZNS1_11reduce_implILb1ES3_N6hipcub16HIPCUB_304000_NS22TransformInputIteratorIbN2at6native12_GLOBAL__N_19NonZeroOpIhEEPKhlEEPiiNS8_6detail34convert_binary_result_type_wrapperINS8_3SumESH_iEEEE10hipError_tPvRmT1_T2_T3_mT4_P12ihipStream_tbEUlT_E0_NS1_11comp_targetILNS1_3genE10ELNS1_11target_archE1201ELNS1_3gpuE5ELNS1_3repE0EEENS1_30default_config_static_selectorELNS0_4arch9wavefront6targetE0EEEvSQ_
    .private_segment_fixed_size: 0
    .sgpr_count:     32
    .sgpr_spill_count: 0
    .symbol:         _ZN7rocprim17ROCPRIM_400000_NS6detail17trampoline_kernelINS0_14default_configENS1_22reduce_config_selectorIbEEZNS1_11reduce_implILb1ES3_N6hipcub16HIPCUB_304000_NS22TransformInputIteratorIbN2at6native12_GLOBAL__N_19NonZeroOpIhEEPKhlEEPiiNS8_6detail34convert_binary_result_type_wrapperINS8_3SumESH_iEEEE10hipError_tPvRmT1_T2_T3_mT4_P12ihipStream_tbEUlT_E0_NS1_11comp_targetILNS1_3genE10ELNS1_11target_archE1201ELNS1_3gpuE5ELNS1_3repE0EEENS1_30default_config_static_selectorELNS0_4arch9wavefront6targetE0EEEvSQ_.kd
    .uniform_work_group_size: 1
    .uses_dynamic_stack: false
    .vgpr_count:     19
    .vgpr_spill_count: 0
    .wavefront_size: 32
    .workgroup_processor_mode: 1
  - .args:
      - .offset:         0
        .size:           64
        .value_kind:     by_value
    .group_segment_fixed_size: 0
    .kernarg_segment_align: 8
    .kernarg_segment_size: 64
    .language:       OpenCL C
    .language_version:
      - 2
      - 0
    .max_flat_workgroup_size: 256
    .name:           _ZN7rocprim17ROCPRIM_400000_NS6detail17trampoline_kernelINS0_14default_configENS1_22reduce_config_selectorIbEEZNS1_11reduce_implILb1ES3_N6hipcub16HIPCUB_304000_NS22TransformInputIteratorIbN2at6native12_GLOBAL__N_19NonZeroOpIhEEPKhlEEPiiNS8_6detail34convert_binary_result_type_wrapperINS8_3SumESH_iEEEE10hipError_tPvRmT1_T2_T3_mT4_P12ihipStream_tbEUlT_E0_NS1_11comp_targetILNS1_3genE10ELNS1_11target_archE1200ELNS1_3gpuE4ELNS1_3repE0EEENS1_30default_config_static_selectorELNS0_4arch9wavefront6targetE0EEEvSQ_
    .private_segment_fixed_size: 0
    .sgpr_count:     0
    .sgpr_spill_count: 0
    .symbol:         _ZN7rocprim17ROCPRIM_400000_NS6detail17trampoline_kernelINS0_14default_configENS1_22reduce_config_selectorIbEEZNS1_11reduce_implILb1ES3_N6hipcub16HIPCUB_304000_NS22TransformInputIteratorIbN2at6native12_GLOBAL__N_19NonZeroOpIhEEPKhlEEPiiNS8_6detail34convert_binary_result_type_wrapperINS8_3SumESH_iEEEE10hipError_tPvRmT1_T2_T3_mT4_P12ihipStream_tbEUlT_E0_NS1_11comp_targetILNS1_3genE10ELNS1_11target_archE1200ELNS1_3gpuE4ELNS1_3repE0EEENS1_30default_config_static_selectorELNS0_4arch9wavefront6targetE0EEEvSQ_.kd
    .uniform_work_group_size: 1
    .uses_dynamic_stack: false
    .vgpr_count:     0
    .vgpr_spill_count: 0
    .wavefront_size: 32
    .workgroup_processor_mode: 1
  - .args:
      - .offset:         0
        .size:           64
        .value_kind:     by_value
    .group_segment_fixed_size: 0
    .kernarg_segment_align: 8
    .kernarg_segment_size: 64
    .language:       OpenCL C
    .language_version:
      - 2
      - 0
    .max_flat_workgroup_size: 128
    .name:           _ZN7rocprim17ROCPRIM_400000_NS6detail17trampoline_kernelINS0_14default_configENS1_22reduce_config_selectorIbEEZNS1_11reduce_implILb1ES3_N6hipcub16HIPCUB_304000_NS22TransformInputIteratorIbN2at6native12_GLOBAL__N_19NonZeroOpIhEEPKhlEEPiiNS8_6detail34convert_binary_result_type_wrapperINS8_3SumESH_iEEEE10hipError_tPvRmT1_T2_T3_mT4_P12ihipStream_tbEUlT_E0_NS1_11comp_targetILNS1_3genE9ELNS1_11target_archE1100ELNS1_3gpuE3ELNS1_3repE0EEENS1_30default_config_static_selectorELNS0_4arch9wavefront6targetE0EEEvSQ_
    .private_segment_fixed_size: 0
    .sgpr_count:     0
    .sgpr_spill_count: 0
    .symbol:         _ZN7rocprim17ROCPRIM_400000_NS6detail17trampoline_kernelINS0_14default_configENS1_22reduce_config_selectorIbEEZNS1_11reduce_implILb1ES3_N6hipcub16HIPCUB_304000_NS22TransformInputIteratorIbN2at6native12_GLOBAL__N_19NonZeroOpIhEEPKhlEEPiiNS8_6detail34convert_binary_result_type_wrapperINS8_3SumESH_iEEEE10hipError_tPvRmT1_T2_T3_mT4_P12ihipStream_tbEUlT_E0_NS1_11comp_targetILNS1_3genE9ELNS1_11target_archE1100ELNS1_3gpuE3ELNS1_3repE0EEENS1_30default_config_static_selectorELNS0_4arch9wavefront6targetE0EEEvSQ_.kd
    .uniform_work_group_size: 1
    .uses_dynamic_stack: false
    .vgpr_count:     0
    .vgpr_spill_count: 0
    .wavefront_size: 32
    .workgroup_processor_mode: 1
  - .args:
      - .offset:         0
        .size:           64
        .value_kind:     by_value
    .group_segment_fixed_size: 0
    .kernarg_segment_align: 8
    .kernarg_segment_size: 64
    .language:       OpenCL C
    .language_version:
      - 2
      - 0
    .max_flat_workgroup_size: 256
    .name:           _ZN7rocprim17ROCPRIM_400000_NS6detail17trampoline_kernelINS0_14default_configENS1_22reduce_config_selectorIbEEZNS1_11reduce_implILb1ES3_N6hipcub16HIPCUB_304000_NS22TransformInputIteratorIbN2at6native12_GLOBAL__N_19NonZeroOpIhEEPKhlEEPiiNS8_6detail34convert_binary_result_type_wrapperINS8_3SumESH_iEEEE10hipError_tPvRmT1_T2_T3_mT4_P12ihipStream_tbEUlT_E0_NS1_11comp_targetILNS1_3genE8ELNS1_11target_archE1030ELNS1_3gpuE2ELNS1_3repE0EEENS1_30default_config_static_selectorELNS0_4arch9wavefront6targetE0EEEvSQ_
    .private_segment_fixed_size: 0
    .sgpr_count:     0
    .sgpr_spill_count: 0
    .symbol:         _ZN7rocprim17ROCPRIM_400000_NS6detail17trampoline_kernelINS0_14default_configENS1_22reduce_config_selectorIbEEZNS1_11reduce_implILb1ES3_N6hipcub16HIPCUB_304000_NS22TransformInputIteratorIbN2at6native12_GLOBAL__N_19NonZeroOpIhEEPKhlEEPiiNS8_6detail34convert_binary_result_type_wrapperINS8_3SumESH_iEEEE10hipError_tPvRmT1_T2_T3_mT4_P12ihipStream_tbEUlT_E0_NS1_11comp_targetILNS1_3genE8ELNS1_11target_archE1030ELNS1_3gpuE2ELNS1_3repE0EEENS1_30default_config_static_selectorELNS0_4arch9wavefront6targetE0EEEvSQ_.kd
    .uniform_work_group_size: 1
    .uses_dynamic_stack: false
    .vgpr_count:     0
    .vgpr_spill_count: 0
    .wavefront_size: 32
    .workgroup_processor_mode: 1
  - .args:
      - .offset:         0
        .size:           48
        .value_kind:     by_value
    .group_segment_fixed_size: 0
    .kernarg_segment_align: 8
    .kernarg_segment_size: 48
    .language:       OpenCL C
    .language_version:
      - 2
      - 0
    .max_flat_workgroup_size: 256
    .name:           _ZN7rocprim17ROCPRIM_400000_NS6detail17trampoline_kernelINS0_14default_configENS1_22reduce_config_selectorIbEEZNS1_11reduce_implILb1ES3_N6hipcub16HIPCUB_304000_NS22TransformInputIteratorIbN2at6native12_GLOBAL__N_19NonZeroOpIhEEPKhlEEPiiNS8_6detail34convert_binary_result_type_wrapperINS8_3SumESH_iEEEE10hipError_tPvRmT1_T2_T3_mT4_P12ihipStream_tbEUlT_E1_NS1_11comp_targetILNS1_3genE0ELNS1_11target_archE4294967295ELNS1_3gpuE0ELNS1_3repE0EEENS1_30default_config_static_selectorELNS0_4arch9wavefront6targetE0EEEvSQ_
    .private_segment_fixed_size: 0
    .sgpr_count:     0
    .sgpr_spill_count: 0
    .symbol:         _ZN7rocprim17ROCPRIM_400000_NS6detail17trampoline_kernelINS0_14default_configENS1_22reduce_config_selectorIbEEZNS1_11reduce_implILb1ES3_N6hipcub16HIPCUB_304000_NS22TransformInputIteratorIbN2at6native12_GLOBAL__N_19NonZeroOpIhEEPKhlEEPiiNS8_6detail34convert_binary_result_type_wrapperINS8_3SumESH_iEEEE10hipError_tPvRmT1_T2_T3_mT4_P12ihipStream_tbEUlT_E1_NS1_11comp_targetILNS1_3genE0ELNS1_11target_archE4294967295ELNS1_3gpuE0ELNS1_3repE0EEENS1_30default_config_static_selectorELNS0_4arch9wavefront6targetE0EEEvSQ_.kd
    .uniform_work_group_size: 1
    .uses_dynamic_stack: false
    .vgpr_count:     0
    .vgpr_spill_count: 0
    .wavefront_size: 32
    .workgroup_processor_mode: 1
  - .args:
      - .offset:         0
        .size:           48
        .value_kind:     by_value
    .group_segment_fixed_size: 0
    .kernarg_segment_align: 8
    .kernarg_segment_size: 48
    .language:       OpenCL C
    .language_version:
      - 2
      - 0
    .max_flat_workgroup_size: 256
    .name:           _ZN7rocprim17ROCPRIM_400000_NS6detail17trampoline_kernelINS0_14default_configENS1_22reduce_config_selectorIbEEZNS1_11reduce_implILb1ES3_N6hipcub16HIPCUB_304000_NS22TransformInputIteratorIbN2at6native12_GLOBAL__N_19NonZeroOpIhEEPKhlEEPiiNS8_6detail34convert_binary_result_type_wrapperINS8_3SumESH_iEEEE10hipError_tPvRmT1_T2_T3_mT4_P12ihipStream_tbEUlT_E1_NS1_11comp_targetILNS1_3genE5ELNS1_11target_archE942ELNS1_3gpuE9ELNS1_3repE0EEENS1_30default_config_static_selectorELNS0_4arch9wavefront6targetE0EEEvSQ_
    .private_segment_fixed_size: 0
    .sgpr_count:     0
    .sgpr_spill_count: 0
    .symbol:         _ZN7rocprim17ROCPRIM_400000_NS6detail17trampoline_kernelINS0_14default_configENS1_22reduce_config_selectorIbEEZNS1_11reduce_implILb1ES3_N6hipcub16HIPCUB_304000_NS22TransformInputIteratorIbN2at6native12_GLOBAL__N_19NonZeroOpIhEEPKhlEEPiiNS8_6detail34convert_binary_result_type_wrapperINS8_3SumESH_iEEEE10hipError_tPvRmT1_T2_T3_mT4_P12ihipStream_tbEUlT_E1_NS1_11comp_targetILNS1_3genE5ELNS1_11target_archE942ELNS1_3gpuE9ELNS1_3repE0EEENS1_30default_config_static_selectorELNS0_4arch9wavefront6targetE0EEEvSQ_.kd
    .uniform_work_group_size: 1
    .uses_dynamic_stack: false
    .vgpr_count:     0
    .vgpr_spill_count: 0
    .wavefront_size: 32
    .workgroup_processor_mode: 1
  - .args:
      - .offset:         0
        .size:           48
        .value_kind:     by_value
    .group_segment_fixed_size: 0
    .kernarg_segment_align: 8
    .kernarg_segment_size: 48
    .language:       OpenCL C
    .language_version:
      - 2
      - 0
    .max_flat_workgroup_size: 128
    .name:           _ZN7rocprim17ROCPRIM_400000_NS6detail17trampoline_kernelINS0_14default_configENS1_22reduce_config_selectorIbEEZNS1_11reduce_implILb1ES3_N6hipcub16HIPCUB_304000_NS22TransformInputIteratorIbN2at6native12_GLOBAL__N_19NonZeroOpIhEEPKhlEEPiiNS8_6detail34convert_binary_result_type_wrapperINS8_3SumESH_iEEEE10hipError_tPvRmT1_T2_T3_mT4_P12ihipStream_tbEUlT_E1_NS1_11comp_targetILNS1_3genE4ELNS1_11target_archE910ELNS1_3gpuE8ELNS1_3repE0EEENS1_30default_config_static_selectorELNS0_4arch9wavefront6targetE0EEEvSQ_
    .private_segment_fixed_size: 0
    .sgpr_count:     0
    .sgpr_spill_count: 0
    .symbol:         _ZN7rocprim17ROCPRIM_400000_NS6detail17trampoline_kernelINS0_14default_configENS1_22reduce_config_selectorIbEEZNS1_11reduce_implILb1ES3_N6hipcub16HIPCUB_304000_NS22TransformInputIteratorIbN2at6native12_GLOBAL__N_19NonZeroOpIhEEPKhlEEPiiNS8_6detail34convert_binary_result_type_wrapperINS8_3SumESH_iEEEE10hipError_tPvRmT1_T2_T3_mT4_P12ihipStream_tbEUlT_E1_NS1_11comp_targetILNS1_3genE4ELNS1_11target_archE910ELNS1_3gpuE8ELNS1_3repE0EEENS1_30default_config_static_selectorELNS0_4arch9wavefront6targetE0EEEvSQ_.kd
    .uniform_work_group_size: 1
    .uses_dynamic_stack: false
    .vgpr_count:     0
    .vgpr_spill_count: 0
    .wavefront_size: 32
    .workgroup_processor_mode: 1
  - .args:
      - .offset:         0
        .size:           48
        .value_kind:     by_value
    .group_segment_fixed_size: 0
    .kernarg_segment_align: 8
    .kernarg_segment_size: 48
    .language:       OpenCL C
    .language_version:
      - 2
      - 0
    .max_flat_workgroup_size: 256
    .name:           _ZN7rocprim17ROCPRIM_400000_NS6detail17trampoline_kernelINS0_14default_configENS1_22reduce_config_selectorIbEEZNS1_11reduce_implILb1ES3_N6hipcub16HIPCUB_304000_NS22TransformInputIteratorIbN2at6native12_GLOBAL__N_19NonZeroOpIhEEPKhlEEPiiNS8_6detail34convert_binary_result_type_wrapperINS8_3SumESH_iEEEE10hipError_tPvRmT1_T2_T3_mT4_P12ihipStream_tbEUlT_E1_NS1_11comp_targetILNS1_3genE3ELNS1_11target_archE908ELNS1_3gpuE7ELNS1_3repE0EEENS1_30default_config_static_selectorELNS0_4arch9wavefront6targetE0EEEvSQ_
    .private_segment_fixed_size: 0
    .sgpr_count:     0
    .sgpr_spill_count: 0
    .symbol:         _ZN7rocprim17ROCPRIM_400000_NS6detail17trampoline_kernelINS0_14default_configENS1_22reduce_config_selectorIbEEZNS1_11reduce_implILb1ES3_N6hipcub16HIPCUB_304000_NS22TransformInputIteratorIbN2at6native12_GLOBAL__N_19NonZeroOpIhEEPKhlEEPiiNS8_6detail34convert_binary_result_type_wrapperINS8_3SumESH_iEEEE10hipError_tPvRmT1_T2_T3_mT4_P12ihipStream_tbEUlT_E1_NS1_11comp_targetILNS1_3genE3ELNS1_11target_archE908ELNS1_3gpuE7ELNS1_3repE0EEENS1_30default_config_static_selectorELNS0_4arch9wavefront6targetE0EEEvSQ_.kd
    .uniform_work_group_size: 1
    .uses_dynamic_stack: false
    .vgpr_count:     0
    .vgpr_spill_count: 0
    .wavefront_size: 32
    .workgroup_processor_mode: 1
  - .args:
      - .offset:         0
        .size:           48
        .value_kind:     by_value
    .group_segment_fixed_size: 0
    .kernarg_segment_align: 8
    .kernarg_segment_size: 48
    .language:       OpenCL C
    .language_version:
      - 2
      - 0
    .max_flat_workgroup_size: 128
    .name:           _ZN7rocprim17ROCPRIM_400000_NS6detail17trampoline_kernelINS0_14default_configENS1_22reduce_config_selectorIbEEZNS1_11reduce_implILb1ES3_N6hipcub16HIPCUB_304000_NS22TransformInputIteratorIbN2at6native12_GLOBAL__N_19NonZeroOpIhEEPKhlEEPiiNS8_6detail34convert_binary_result_type_wrapperINS8_3SumESH_iEEEE10hipError_tPvRmT1_T2_T3_mT4_P12ihipStream_tbEUlT_E1_NS1_11comp_targetILNS1_3genE2ELNS1_11target_archE906ELNS1_3gpuE6ELNS1_3repE0EEENS1_30default_config_static_selectorELNS0_4arch9wavefront6targetE0EEEvSQ_
    .private_segment_fixed_size: 0
    .sgpr_count:     0
    .sgpr_spill_count: 0
    .symbol:         _ZN7rocprim17ROCPRIM_400000_NS6detail17trampoline_kernelINS0_14default_configENS1_22reduce_config_selectorIbEEZNS1_11reduce_implILb1ES3_N6hipcub16HIPCUB_304000_NS22TransformInputIteratorIbN2at6native12_GLOBAL__N_19NonZeroOpIhEEPKhlEEPiiNS8_6detail34convert_binary_result_type_wrapperINS8_3SumESH_iEEEE10hipError_tPvRmT1_T2_T3_mT4_P12ihipStream_tbEUlT_E1_NS1_11comp_targetILNS1_3genE2ELNS1_11target_archE906ELNS1_3gpuE6ELNS1_3repE0EEENS1_30default_config_static_selectorELNS0_4arch9wavefront6targetE0EEEvSQ_.kd
    .uniform_work_group_size: 1
    .uses_dynamic_stack: false
    .vgpr_count:     0
    .vgpr_spill_count: 0
    .wavefront_size: 32
    .workgroup_processor_mode: 1
  - .args:
      - .offset:         0
        .size:           48
        .value_kind:     by_value
    .group_segment_fixed_size: 288
    .kernarg_segment_align: 8
    .kernarg_segment_size: 48
    .language:       OpenCL C
    .language_version:
      - 2
      - 0
    .max_flat_workgroup_size: 256
    .name:           _ZN7rocprim17ROCPRIM_400000_NS6detail17trampoline_kernelINS0_14default_configENS1_22reduce_config_selectorIbEEZNS1_11reduce_implILb1ES3_N6hipcub16HIPCUB_304000_NS22TransformInputIteratorIbN2at6native12_GLOBAL__N_19NonZeroOpIhEEPKhlEEPiiNS8_6detail34convert_binary_result_type_wrapperINS8_3SumESH_iEEEE10hipError_tPvRmT1_T2_T3_mT4_P12ihipStream_tbEUlT_E1_NS1_11comp_targetILNS1_3genE10ELNS1_11target_archE1201ELNS1_3gpuE5ELNS1_3repE0EEENS1_30default_config_static_selectorELNS0_4arch9wavefront6targetE0EEEvSQ_
    .private_segment_fixed_size: 0
    .sgpr_count:     49
    .sgpr_spill_count: 0
    .symbol:         _ZN7rocprim17ROCPRIM_400000_NS6detail17trampoline_kernelINS0_14default_configENS1_22reduce_config_selectorIbEEZNS1_11reduce_implILb1ES3_N6hipcub16HIPCUB_304000_NS22TransformInputIteratorIbN2at6native12_GLOBAL__N_19NonZeroOpIhEEPKhlEEPiiNS8_6detail34convert_binary_result_type_wrapperINS8_3SumESH_iEEEE10hipError_tPvRmT1_T2_T3_mT4_P12ihipStream_tbEUlT_E1_NS1_11comp_targetILNS1_3genE10ELNS1_11target_archE1201ELNS1_3gpuE5ELNS1_3repE0EEENS1_30default_config_static_selectorELNS0_4arch9wavefront6targetE0EEEvSQ_.kd
    .uniform_work_group_size: 1
    .uses_dynamic_stack: false
    .vgpr_count:     129
    .vgpr_spill_count: 0
    .wavefront_size: 32
    .workgroup_processor_mode: 1
  - .args:
      - .offset:         0
        .size:           48
        .value_kind:     by_value
    .group_segment_fixed_size: 0
    .kernarg_segment_align: 8
    .kernarg_segment_size: 48
    .language:       OpenCL C
    .language_version:
      - 2
      - 0
    .max_flat_workgroup_size: 256
    .name:           _ZN7rocprim17ROCPRIM_400000_NS6detail17trampoline_kernelINS0_14default_configENS1_22reduce_config_selectorIbEEZNS1_11reduce_implILb1ES3_N6hipcub16HIPCUB_304000_NS22TransformInputIteratorIbN2at6native12_GLOBAL__N_19NonZeroOpIhEEPKhlEEPiiNS8_6detail34convert_binary_result_type_wrapperINS8_3SumESH_iEEEE10hipError_tPvRmT1_T2_T3_mT4_P12ihipStream_tbEUlT_E1_NS1_11comp_targetILNS1_3genE10ELNS1_11target_archE1200ELNS1_3gpuE4ELNS1_3repE0EEENS1_30default_config_static_selectorELNS0_4arch9wavefront6targetE0EEEvSQ_
    .private_segment_fixed_size: 0
    .sgpr_count:     0
    .sgpr_spill_count: 0
    .symbol:         _ZN7rocprim17ROCPRIM_400000_NS6detail17trampoline_kernelINS0_14default_configENS1_22reduce_config_selectorIbEEZNS1_11reduce_implILb1ES3_N6hipcub16HIPCUB_304000_NS22TransformInputIteratorIbN2at6native12_GLOBAL__N_19NonZeroOpIhEEPKhlEEPiiNS8_6detail34convert_binary_result_type_wrapperINS8_3SumESH_iEEEE10hipError_tPvRmT1_T2_T3_mT4_P12ihipStream_tbEUlT_E1_NS1_11comp_targetILNS1_3genE10ELNS1_11target_archE1200ELNS1_3gpuE4ELNS1_3repE0EEENS1_30default_config_static_selectorELNS0_4arch9wavefront6targetE0EEEvSQ_.kd
    .uniform_work_group_size: 1
    .uses_dynamic_stack: false
    .vgpr_count:     0
    .vgpr_spill_count: 0
    .wavefront_size: 32
    .workgroup_processor_mode: 1
  - .args:
      - .offset:         0
        .size:           48
        .value_kind:     by_value
    .group_segment_fixed_size: 0
    .kernarg_segment_align: 8
    .kernarg_segment_size: 48
    .language:       OpenCL C
    .language_version:
      - 2
      - 0
    .max_flat_workgroup_size: 128
    .name:           _ZN7rocprim17ROCPRIM_400000_NS6detail17trampoline_kernelINS0_14default_configENS1_22reduce_config_selectorIbEEZNS1_11reduce_implILb1ES3_N6hipcub16HIPCUB_304000_NS22TransformInputIteratorIbN2at6native12_GLOBAL__N_19NonZeroOpIhEEPKhlEEPiiNS8_6detail34convert_binary_result_type_wrapperINS8_3SumESH_iEEEE10hipError_tPvRmT1_T2_T3_mT4_P12ihipStream_tbEUlT_E1_NS1_11comp_targetILNS1_3genE9ELNS1_11target_archE1100ELNS1_3gpuE3ELNS1_3repE0EEENS1_30default_config_static_selectorELNS0_4arch9wavefront6targetE0EEEvSQ_
    .private_segment_fixed_size: 0
    .sgpr_count:     0
    .sgpr_spill_count: 0
    .symbol:         _ZN7rocprim17ROCPRIM_400000_NS6detail17trampoline_kernelINS0_14default_configENS1_22reduce_config_selectorIbEEZNS1_11reduce_implILb1ES3_N6hipcub16HIPCUB_304000_NS22TransformInputIteratorIbN2at6native12_GLOBAL__N_19NonZeroOpIhEEPKhlEEPiiNS8_6detail34convert_binary_result_type_wrapperINS8_3SumESH_iEEEE10hipError_tPvRmT1_T2_T3_mT4_P12ihipStream_tbEUlT_E1_NS1_11comp_targetILNS1_3genE9ELNS1_11target_archE1100ELNS1_3gpuE3ELNS1_3repE0EEENS1_30default_config_static_selectorELNS0_4arch9wavefront6targetE0EEEvSQ_.kd
    .uniform_work_group_size: 1
    .uses_dynamic_stack: false
    .vgpr_count:     0
    .vgpr_spill_count: 0
    .wavefront_size: 32
    .workgroup_processor_mode: 1
  - .args:
      - .offset:         0
        .size:           48
        .value_kind:     by_value
    .group_segment_fixed_size: 0
    .kernarg_segment_align: 8
    .kernarg_segment_size: 48
    .language:       OpenCL C
    .language_version:
      - 2
      - 0
    .max_flat_workgroup_size: 256
    .name:           _ZN7rocprim17ROCPRIM_400000_NS6detail17trampoline_kernelINS0_14default_configENS1_22reduce_config_selectorIbEEZNS1_11reduce_implILb1ES3_N6hipcub16HIPCUB_304000_NS22TransformInputIteratorIbN2at6native12_GLOBAL__N_19NonZeroOpIhEEPKhlEEPiiNS8_6detail34convert_binary_result_type_wrapperINS8_3SumESH_iEEEE10hipError_tPvRmT1_T2_T3_mT4_P12ihipStream_tbEUlT_E1_NS1_11comp_targetILNS1_3genE8ELNS1_11target_archE1030ELNS1_3gpuE2ELNS1_3repE0EEENS1_30default_config_static_selectorELNS0_4arch9wavefront6targetE0EEEvSQ_
    .private_segment_fixed_size: 0
    .sgpr_count:     0
    .sgpr_spill_count: 0
    .symbol:         _ZN7rocprim17ROCPRIM_400000_NS6detail17trampoline_kernelINS0_14default_configENS1_22reduce_config_selectorIbEEZNS1_11reduce_implILb1ES3_N6hipcub16HIPCUB_304000_NS22TransformInputIteratorIbN2at6native12_GLOBAL__N_19NonZeroOpIhEEPKhlEEPiiNS8_6detail34convert_binary_result_type_wrapperINS8_3SumESH_iEEEE10hipError_tPvRmT1_T2_T3_mT4_P12ihipStream_tbEUlT_E1_NS1_11comp_targetILNS1_3genE8ELNS1_11target_archE1030ELNS1_3gpuE2ELNS1_3repE0EEENS1_30default_config_static_selectorELNS0_4arch9wavefront6targetE0EEEvSQ_.kd
    .uniform_work_group_size: 1
    .uses_dynamic_stack: false
    .vgpr_count:     0
    .vgpr_spill_count: 0
    .wavefront_size: 32
    .workgroup_processor_mode: 1
  - .args:
      - .address_space:  global
        .offset:         0
        .size:           8
        .value_kind:     global_buffer
      - .offset:         8
        .size:           4
        .value_kind:     by_value
      - .offset:         12
        .size:           1
        .value_kind:     by_value
      - .offset:         16
        .size:           4
        .value_kind:     by_value
      - .address_space:  global
        .offset:         24
        .size:           8
        .value_kind:     global_buffer
      - .offset:         32
        .size:           4
        .value_kind:     hidden_block_count_x
      - .offset:         36
        .size:           4
        .value_kind:     hidden_block_count_y
      - .offset:         40
        .size:           4
        .value_kind:     hidden_block_count_z
      - .offset:         44
        .size:           2
        .value_kind:     hidden_group_size_x
      - .offset:         46
        .size:           2
        .value_kind:     hidden_group_size_y
      - .offset:         48
        .size:           2
        .value_kind:     hidden_group_size_z
      - .offset:         50
        .size:           2
        .value_kind:     hidden_remainder_x
      - .offset:         52
        .size:           2
        .value_kind:     hidden_remainder_y
      - .offset:         54
        .size:           2
        .value_kind:     hidden_remainder_z
      - .offset:         72
        .size:           8
        .value_kind:     hidden_global_offset_x
      - .offset:         80
        .size:           8
        .value_kind:     hidden_global_offset_y
      - .offset:         88
        .size:           8
        .value_kind:     hidden_global_offset_z
      - .offset:         96
        .size:           2
        .value_kind:     hidden_grid_dims
    .group_segment_fixed_size: 0
    .kernarg_segment_align: 8
    .kernarg_segment_size: 288
    .language:       OpenCL C
    .language_version:
      - 2
      - 0
    .max_flat_workgroup_size: 256
    .name:           _ZN7rocprim17ROCPRIM_400000_NS6detail31init_lookback_scan_state_kernelINS1_19lookback_scan_stateImLb0ELb1EEENS1_16block_id_wrapperIjLb0EEEEEvT_jT0_jPNS7_10value_typeE
    .private_segment_fixed_size: 0
    .sgpr_count:     11
    .sgpr_spill_count: 0
    .symbol:         _ZN7rocprim17ROCPRIM_400000_NS6detail31init_lookback_scan_state_kernelINS1_19lookback_scan_stateImLb0ELb1EEENS1_16block_id_wrapperIjLb0EEEEEvT_jT0_jPNS7_10value_typeE.kd
    .uniform_work_group_size: 1
    .uses_dynamic_stack: false
    .vgpr_count:     8
    .vgpr_spill_count: 0
    .wavefront_size: 32
    .workgroup_processor_mode: 1
  - .args:
      - .offset:         0
        .size:           120
        .value_kind:     by_value
    .group_segment_fixed_size: 0
    .kernarg_segment_align: 8
    .kernarg_segment_size: 120
    .language:       OpenCL C
    .language_version:
      - 2
      - 0
    .max_flat_workgroup_size: 128
    .name:           _ZN7rocprim17ROCPRIM_400000_NS6detail17trampoline_kernelINS0_14default_configENS1_25partition_config_selectorILNS1_17partition_subalgoE5ElNS0_10empty_typeEbEEZZNS1_14partition_implILS5_5ELb0ES3_mN6hipcub16HIPCUB_304000_NS21CountingInputIteratorIllEEPS6_NSA_22TransformInputIteratorIbN2at6native12_GLOBAL__N_19NonZeroOpIhEEPKhlEENS0_5tupleIJPlS6_EEENSN_IJSD_SD_EEES6_PiJS6_EEE10hipError_tPvRmT3_T4_T5_T6_T7_T9_mT8_P12ihipStream_tbDpT10_ENKUlT_T0_E_clISt17integral_constantIbLb0EES1B_EEDaS16_S17_EUlS16_E_NS1_11comp_targetILNS1_3genE0ELNS1_11target_archE4294967295ELNS1_3gpuE0ELNS1_3repE0EEENS1_30default_config_static_selectorELNS0_4arch9wavefront6targetE0EEEvT1_
    .private_segment_fixed_size: 0
    .sgpr_count:     0
    .sgpr_spill_count: 0
    .symbol:         _ZN7rocprim17ROCPRIM_400000_NS6detail17trampoline_kernelINS0_14default_configENS1_25partition_config_selectorILNS1_17partition_subalgoE5ElNS0_10empty_typeEbEEZZNS1_14partition_implILS5_5ELb0ES3_mN6hipcub16HIPCUB_304000_NS21CountingInputIteratorIllEEPS6_NSA_22TransformInputIteratorIbN2at6native12_GLOBAL__N_19NonZeroOpIhEEPKhlEENS0_5tupleIJPlS6_EEENSN_IJSD_SD_EEES6_PiJS6_EEE10hipError_tPvRmT3_T4_T5_T6_T7_T9_mT8_P12ihipStream_tbDpT10_ENKUlT_T0_E_clISt17integral_constantIbLb0EES1B_EEDaS16_S17_EUlS16_E_NS1_11comp_targetILNS1_3genE0ELNS1_11target_archE4294967295ELNS1_3gpuE0ELNS1_3repE0EEENS1_30default_config_static_selectorELNS0_4arch9wavefront6targetE0EEEvT1_.kd
    .uniform_work_group_size: 1
    .uses_dynamic_stack: false
    .vgpr_count:     0
    .vgpr_spill_count: 0
    .wavefront_size: 32
    .workgroup_processor_mode: 1
  - .args:
      - .offset:         0
        .size:           120
        .value_kind:     by_value
    .group_segment_fixed_size: 0
    .kernarg_segment_align: 8
    .kernarg_segment_size: 120
    .language:       OpenCL C
    .language_version:
      - 2
      - 0
    .max_flat_workgroup_size: 512
    .name:           _ZN7rocprim17ROCPRIM_400000_NS6detail17trampoline_kernelINS0_14default_configENS1_25partition_config_selectorILNS1_17partition_subalgoE5ElNS0_10empty_typeEbEEZZNS1_14partition_implILS5_5ELb0ES3_mN6hipcub16HIPCUB_304000_NS21CountingInputIteratorIllEEPS6_NSA_22TransformInputIteratorIbN2at6native12_GLOBAL__N_19NonZeroOpIhEEPKhlEENS0_5tupleIJPlS6_EEENSN_IJSD_SD_EEES6_PiJS6_EEE10hipError_tPvRmT3_T4_T5_T6_T7_T9_mT8_P12ihipStream_tbDpT10_ENKUlT_T0_E_clISt17integral_constantIbLb0EES1B_EEDaS16_S17_EUlS16_E_NS1_11comp_targetILNS1_3genE5ELNS1_11target_archE942ELNS1_3gpuE9ELNS1_3repE0EEENS1_30default_config_static_selectorELNS0_4arch9wavefront6targetE0EEEvT1_
    .private_segment_fixed_size: 0
    .sgpr_count:     0
    .sgpr_spill_count: 0
    .symbol:         _ZN7rocprim17ROCPRIM_400000_NS6detail17trampoline_kernelINS0_14default_configENS1_25partition_config_selectorILNS1_17partition_subalgoE5ElNS0_10empty_typeEbEEZZNS1_14partition_implILS5_5ELb0ES3_mN6hipcub16HIPCUB_304000_NS21CountingInputIteratorIllEEPS6_NSA_22TransformInputIteratorIbN2at6native12_GLOBAL__N_19NonZeroOpIhEEPKhlEENS0_5tupleIJPlS6_EEENSN_IJSD_SD_EEES6_PiJS6_EEE10hipError_tPvRmT3_T4_T5_T6_T7_T9_mT8_P12ihipStream_tbDpT10_ENKUlT_T0_E_clISt17integral_constantIbLb0EES1B_EEDaS16_S17_EUlS16_E_NS1_11comp_targetILNS1_3genE5ELNS1_11target_archE942ELNS1_3gpuE9ELNS1_3repE0EEENS1_30default_config_static_selectorELNS0_4arch9wavefront6targetE0EEEvT1_.kd
    .uniform_work_group_size: 1
    .uses_dynamic_stack: false
    .vgpr_count:     0
    .vgpr_spill_count: 0
    .wavefront_size: 32
    .workgroup_processor_mode: 1
  - .args:
      - .offset:         0
        .size:           120
        .value_kind:     by_value
    .group_segment_fixed_size: 0
    .kernarg_segment_align: 8
    .kernarg_segment_size: 120
    .language:       OpenCL C
    .language_version:
      - 2
      - 0
    .max_flat_workgroup_size: 192
    .name:           _ZN7rocprim17ROCPRIM_400000_NS6detail17trampoline_kernelINS0_14default_configENS1_25partition_config_selectorILNS1_17partition_subalgoE5ElNS0_10empty_typeEbEEZZNS1_14partition_implILS5_5ELb0ES3_mN6hipcub16HIPCUB_304000_NS21CountingInputIteratorIllEEPS6_NSA_22TransformInputIteratorIbN2at6native12_GLOBAL__N_19NonZeroOpIhEEPKhlEENS0_5tupleIJPlS6_EEENSN_IJSD_SD_EEES6_PiJS6_EEE10hipError_tPvRmT3_T4_T5_T6_T7_T9_mT8_P12ihipStream_tbDpT10_ENKUlT_T0_E_clISt17integral_constantIbLb0EES1B_EEDaS16_S17_EUlS16_E_NS1_11comp_targetILNS1_3genE4ELNS1_11target_archE910ELNS1_3gpuE8ELNS1_3repE0EEENS1_30default_config_static_selectorELNS0_4arch9wavefront6targetE0EEEvT1_
    .private_segment_fixed_size: 0
    .sgpr_count:     0
    .sgpr_spill_count: 0
    .symbol:         _ZN7rocprim17ROCPRIM_400000_NS6detail17trampoline_kernelINS0_14default_configENS1_25partition_config_selectorILNS1_17partition_subalgoE5ElNS0_10empty_typeEbEEZZNS1_14partition_implILS5_5ELb0ES3_mN6hipcub16HIPCUB_304000_NS21CountingInputIteratorIllEEPS6_NSA_22TransformInputIteratorIbN2at6native12_GLOBAL__N_19NonZeroOpIhEEPKhlEENS0_5tupleIJPlS6_EEENSN_IJSD_SD_EEES6_PiJS6_EEE10hipError_tPvRmT3_T4_T5_T6_T7_T9_mT8_P12ihipStream_tbDpT10_ENKUlT_T0_E_clISt17integral_constantIbLb0EES1B_EEDaS16_S17_EUlS16_E_NS1_11comp_targetILNS1_3genE4ELNS1_11target_archE910ELNS1_3gpuE8ELNS1_3repE0EEENS1_30default_config_static_selectorELNS0_4arch9wavefront6targetE0EEEvT1_.kd
    .uniform_work_group_size: 1
    .uses_dynamic_stack: false
    .vgpr_count:     0
    .vgpr_spill_count: 0
    .wavefront_size: 32
    .workgroup_processor_mode: 1
  - .args:
      - .offset:         0
        .size:           120
        .value_kind:     by_value
    .group_segment_fixed_size: 0
    .kernarg_segment_align: 8
    .kernarg_segment_size: 120
    .language:       OpenCL C
    .language_version:
      - 2
      - 0
    .max_flat_workgroup_size: 128
    .name:           _ZN7rocprim17ROCPRIM_400000_NS6detail17trampoline_kernelINS0_14default_configENS1_25partition_config_selectorILNS1_17partition_subalgoE5ElNS0_10empty_typeEbEEZZNS1_14partition_implILS5_5ELb0ES3_mN6hipcub16HIPCUB_304000_NS21CountingInputIteratorIllEEPS6_NSA_22TransformInputIteratorIbN2at6native12_GLOBAL__N_19NonZeroOpIhEEPKhlEENS0_5tupleIJPlS6_EEENSN_IJSD_SD_EEES6_PiJS6_EEE10hipError_tPvRmT3_T4_T5_T6_T7_T9_mT8_P12ihipStream_tbDpT10_ENKUlT_T0_E_clISt17integral_constantIbLb0EES1B_EEDaS16_S17_EUlS16_E_NS1_11comp_targetILNS1_3genE3ELNS1_11target_archE908ELNS1_3gpuE7ELNS1_3repE0EEENS1_30default_config_static_selectorELNS0_4arch9wavefront6targetE0EEEvT1_
    .private_segment_fixed_size: 0
    .sgpr_count:     0
    .sgpr_spill_count: 0
    .symbol:         _ZN7rocprim17ROCPRIM_400000_NS6detail17trampoline_kernelINS0_14default_configENS1_25partition_config_selectorILNS1_17partition_subalgoE5ElNS0_10empty_typeEbEEZZNS1_14partition_implILS5_5ELb0ES3_mN6hipcub16HIPCUB_304000_NS21CountingInputIteratorIllEEPS6_NSA_22TransformInputIteratorIbN2at6native12_GLOBAL__N_19NonZeroOpIhEEPKhlEENS0_5tupleIJPlS6_EEENSN_IJSD_SD_EEES6_PiJS6_EEE10hipError_tPvRmT3_T4_T5_T6_T7_T9_mT8_P12ihipStream_tbDpT10_ENKUlT_T0_E_clISt17integral_constantIbLb0EES1B_EEDaS16_S17_EUlS16_E_NS1_11comp_targetILNS1_3genE3ELNS1_11target_archE908ELNS1_3gpuE7ELNS1_3repE0EEENS1_30default_config_static_selectorELNS0_4arch9wavefront6targetE0EEEvT1_.kd
    .uniform_work_group_size: 1
    .uses_dynamic_stack: false
    .vgpr_count:     0
    .vgpr_spill_count: 0
    .wavefront_size: 32
    .workgroup_processor_mode: 1
  - .args:
      - .offset:         0
        .size:           120
        .value_kind:     by_value
    .group_segment_fixed_size: 0
    .kernarg_segment_align: 8
    .kernarg_segment_size: 120
    .language:       OpenCL C
    .language_version:
      - 2
      - 0
    .max_flat_workgroup_size: 256
    .name:           _ZN7rocprim17ROCPRIM_400000_NS6detail17trampoline_kernelINS0_14default_configENS1_25partition_config_selectorILNS1_17partition_subalgoE5ElNS0_10empty_typeEbEEZZNS1_14partition_implILS5_5ELb0ES3_mN6hipcub16HIPCUB_304000_NS21CountingInputIteratorIllEEPS6_NSA_22TransformInputIteratorIbN2at6native12_GLOBAL__N_19NonZeroOpIhEEPKhlEENS0_5tupleIJPlS6_EEENSN_IJSD_SD_EEES6_PiJS6_EEE10hipError_tPvRmT3_T4_T5_T6_T7_T9_mT8_P12ihipStream_tbDpT10_ENKUlT_T0_E_clISt17integral_constantIbLb0EES1B_EEDaS16_S17_EUlS16_E_NS1_11comp_targetILNS1_3genE2ELNS1_11target_archE906ELNS1_3gpuE6ELNS1_3repE0EEENS1_30default_config_static_selectorELNS0_4arch9wavefront6targetE0EEEvT1_
    .private_segment_fixed_size: 0
    .sgpr_count:     0
    .sgpr_spill_count: 0
    .symbol:         _ZN7rocprim17ROCPRIM_400000_NS6detail17trampoline_kernelINS0_14default_configENS1_25partition_config_selectorILNS1_17partition_subalgoE5ElNS0_10empty_typeEbEEZZNS1_14partition_implILS5_5ELb0ES3_mN6hipcub16HIPCUB_304000_NS21CountingInputIteratorIllEEPS6_NSA_22TransformInputIteratorIbN2at6native12_GLOBAL__N_19NonZeroOpIhEEPKhlEENS0_5tupleIJPlS6_EEENSN_IJSD_SD_EEES6_PiJS6_EEE10hipError_tPvRmT3_T4_T5_T6_T7_T9_mT8_P12ihipStream_tbDpT10_ENKUlT_T0_E_clISt17integral_constantIbLb0EES1B_EEDaS16_S17_EUlS16_E_NS1_11comp_targetILNS1_3genE2ELNS1_11target_archE906ELNS1_3gpuE6ELNS1_3repE0EEENS1_30default_config_static_selectorELNS0_4arch9wavefront6targetE0EEEvT1_.kd
    .uniform_work_group_size: 1
    .uses_dynamic_stack: false
    .vgpr_count:     0
    .vgpr_spill_count: 0
    .wavefront_size: 32
    .workgroup_processor_mode: 1
  - .args:
      - .offset:         0
        .size:           120
        .value_kind:     by_value
    .group_segment_fixed_size: 8464
    .kernarg_segment_align: 8
    .kernarg_segment_size: 120
    .language:       OpenCL C
    .language_version:
      - 2
      - 0
    .max_flat_workgroup_size: 256
    .name:           _ZN7rocprim17ROCPRIM_400000_NS6detail17trampoline_kernelINS0_14default_configENS1_25partition_config_selectorILNS1_17partition_subalgoE5ElNS0_10empty_typeEbEEZZNS1_14partition_implILS5_5ELb0ES3_mN6hipcub16HIPCUB_304000_NS21CountingInputIteratorIllEEPS6_NSA_22TransformInputIteratorIbN2at6native12_GLOBAL__N_19NonZeroOpIhEEPKhlEENS0_5tupleIJPlS6_EEENSN_IJSD_SD_EEES6_PiJS6_EEE10hipError_tPvRmT3_T4_T5_T6_T7_T9_mT8_P12ihipStream_tbDpT10_ENKUlT_T0_E_clISt17integral_constantIbLb0EES1B_EEDaS16_S17_EUlS16_E_NS1_11comp_targetILNS1_3genE10ELNS1_11target_archE1200ELNS1_3gpuE4ELNS1_3repE0EEENS1_30default_config_static_selectorELNS0_4arch9wavefront6targetE0EEEvT1_
    .private_segment_fixed_size: 0
    .sgpr_count:     22
    .sgpr_spill_count: 0
    .symbol:         _ZN7rocprim17ROCPRIM_400000_NS6detail17trampoline_kernelINS0_14default_configENS1_25partition_config_selectorILNS1_17partition_subalgoE5ElNS0_10empty_typeEbEEZZNS1_14partition_implILS5_5ELb0ES3_mN6hipcub16HIPCUB_304000_NS21CountingInputIteratorIllEEPS6_NSA_22TransformInputIteratorIbN2at6native12_GLOBAL__N_19NonZeroOpIhEEPKhlEENS0_5tupleIJPlS6_EEENSN_IJSD_SD_EEES6_PiJS6_EEE10hipError_tPvRmT3_T4_T5_T6_T7_T9_mT8_P12ihipStream_tbDpT10_ENKUlT_T0_E_clISt17integral_constantIbLb0EES1B_EEDaS16_S17_EUlS16_E_NS1_11comp_targetILNS1_3genE10ELNS1_11target_archE1200ELNS1_3gpuE4ELNS1_3repE0EEENS1_30default_config_static_selectorELNS0_4arch9wavefront6targetE0EEEvT1_.kd
    .uniform_work_group_size: 1
    .uses_dynamic_stack: false
    .vgpr_count:     46
    .vgpr_spill_count: 0
    .wavefront_size: 32
    .workgroup_processor_mode: 1
  - .args:
      - .offset:         0
        .size:           120
        .value_kind:     by_value
    .group_segment_fixed_size: 0
    .kernarg_segment_align: 8
    .kernarg_segment_size: 120
    .language:       OpenCL C
    .language_version:
      - 2
      - 0
    .max_flat_workgroup_size: 128
    .name:           _ZN7rocprim17ROCPRIM_400000_NS6detail17trampoline_kernelINS0_14default_configENS1_25partition_config_selectorILNS1_17partition_subalgoE5ElNS0_10empty_typeEbEEZZNS1_14partition_implILS5_5ELb0ES3_mN6hipcub16HIPCUB_304000_NS21CountingInputIteratorIllEEPS6_NSA_22TransformInputIteratorIbN2at6native12_GLOBAL__N_19NonZeroOpIhEEPKhlEENS0_5tupleIJPlS6_EEENSN_IJSD_SD_EEES6_PiJS6_EEE10hipError_tPvRmT3_T4_T5_T6_T7_T9_mT8_P12ihipStream_tbDpT10_ENKUlT_T0_E_clISt17integral_constantIbLb0EES1B_EEDaS16_S17_EUlS16_E_NS1_11comp_targetILNS1_3genE9ELNS1_11target_archE1100ELNS1_3gpuE3ELNS1_3repE0EEENS1_30default_config_static_selectorELNS0_4arch9wavefront6targetE0EEEvT1_
    .private_segment_fixed_size: 0
    .sgpr_count:     0
    .sgpr_spill_count: 0
    .symbol:         _ZN7rocprim17ROCPRIM_400000_NS6detail17trampoline_kernelINS0_14default_configENS1_25partition_config_selectorILNS1_17partition_subalgoE5ElNS0_10empty_typeEbEEZZNS1_14partition_implILS5_5ELb0ES3_mN6hipcub16HIPCUB_304000_NS21CountingInputIteratorIllEEPS6_NSA_22TransformInputIteratorIbN2at6native12_GLOBAL__N_19NonZeroOpIhEEPKhlEENS0_5tupleIJPlS6_EEENSN_IJSD_SD_EEES6_PiJS6_EEE10hipError_tPvRmT3_T4_T5_T6_T7_T9_mT8_P12ihipStream_tbDpT10_ENKUlT_T0_E_clISt17integral_constantIbLb0EES1B_EEDaS16_S17_EUlS16_E_NS1_11comp_targetILNS1_3genE9ELNS1_11target_archE1100ELNS1_3gpuE3ELNS1_3repE0EEENS1_30default_config_static_selectorELNS0_4arch9wavefront6targetE0EEEvT1_.kd
    .uniform_work_group_size: 1
    .uses_dynamic_stack: false
    .vgpr_count:     0
    .vgpr_spill_count: 0
    .wavefront_size: 32
    .workgroup_processor_mode: 1
  - .args:
      - .offset:         0
        .size:           120
        .value_kind:     by_value
    .group_segment_fixed_size: 0
    .kernarg_segment_align: 8
    .kernarg_segment_size: 120
    .language:       OpenCL C
    .language_version:
      - 2
      - 0
    .max_flat_workgroup_size: 512
    .name:           _ZN7rocprim17ROCPRIM_400000_NS6detail17trampoline_kernelINS0_14default_configENS1_25partition_config_selectorILNS1_17partition_subalgoE5ElNS0_10empty_typeEbEEZZNS1_14partition_implILS5_5ELb0ES3_mN6hipcub16HIPCUB_304000_NS21CountingInputIteratorIllEEPS6_NSA_22TransformInputIteratorIbN2at6native12_GLOBAL__N_19NonZeroOpIhEEPKhlEENS0_5tupleIJPlS6_EEENSN_IJSD_SD_EEES6_PiJS6_EEE10hipError_tPvRmT3_T4_T5_T6_T7_T9_mT8_P12ihipStream_tbDpT10_ENKUlT_T0_E_clISt17integral_constantIbLb0EES1B_EEDaS16_S17_EUlS16_E_NS1_11comp_targetILNS1_3genE8ELNS1_11target_archE1030ELNS1_3gpuE2ELNS1_3repE0EEENS1_30default_config_static_selectorELNS0_4arch9wavefront6targetE0EEEvT1_
    .private_segment_fixed_size: 0
    .sgpr_count:     0
    .sgpr_spill_count: 0
    .symbol:         _ZN7rocprim17ROCPRIM_400000_NS6detail17trampoline_kernelINS0_14default_configENS1_25partition_config_selectorILNS1_17partition_subalgoE5ElNS0_10empty_typeEbEEZZNS1_14partition_implILS5_5ELb0ES3_mN6hipcub16HIPCUB_304000_NS21CountingInputIteratorIllEEPS6_NSA_22TransformInputIteratorIbN2at6native12_GLOBAL__N_19NonZeroOpIhEEPKhlEENS0_5tupleIJPlS6_EEENSN_IJSD_SD_EEES6_PiJS6_EEE10hipError_tPvRmT3_T4_T5_T6_T7_T9_mT8_P12ihipStream_tbDpT10_ENKUlT_T0_E_clISt17integral_constantIbLb0EES1B_EEDaS16_S17_EUlS16_E_NS1_11comp_targetILNS1_3genE8ELNS1_11target_archE1030ELNS1_3gpuE2ELNS1_3repE0EEENS1_30default_config_static_selectorELNS0_4arch9wavefront6targetE0EEEvT1_.kd
    .uniform_work_group_size: 1
    .uses_dynamic_stack: false
    .vgpr_count:     0
    .vgpr_spill_count: 0
    .wavefront_size: 32
    .workgroup_processor_mode: 1
  - .args:
      - .offset:         0
        .size:           40
        .value_kind:     by_value
    .group_segment_fixed_size: 0
    .kernarg_segment_align: 8
    .kernarg_segment_size: 40
    .language:       OpenCL C
    .language_version:
      - 2
      - 0
    .max_flat_workgroup_size: 128
    .name:           _ZN7rocprim17ROCPRIM_400000_NS6detail17trampoline_kernelINS0_14default_configENS1_25transform_config_selectorImLb1EEEZNS1_14transform_implILb1ES3_S5_PmPiNS0_8identityIvEEEE10hipError_tT2_T3_mT4_P12ihipStream_tbEUlT_E_NS1_11comp_targetILNS1_3genE0ELNS1_11target_archE4294967295ELNS1_3gpuE0ELNS1_3repE0EEENS1_30default_config_static_selectorELNS0_4arch9wavefront6targetE0EEEvT1_
    .private_segment_fixed_size: 0
    .sgpr_count:     0
    .sgpr_spill_count: 0
    .symbol:         _ZN7rocprim17ROCPRIM_400000_NS6detail17trampoline_kernelINS0_14default_configENS1_25transform_config_selectorImLb1EEEZNS1_14transform_implILb1ES3_S5_PmPiNS0_8identityIvEEEE10hipError_tT2_T3_mT4_P12ihipStream_tbEUlT_E_NS1_11comp_targetILNS1_3genE0ELNS1_11target_archE4294967295ELNS1_3gpuE0ELNS1_3repE0EEENS1_30default_config_static_selectorELNS0_4arch9wavefront6targetE0EEEvT1_.kd
    .uniform_work_group_size: 1
    .uses_dynamic_stack: false
    .vgpr_count:     0
    .vgpr_spill_count: 0
    .wavefront_size: 32
    .workgroup_processor_mode: 1
  - .args:
      - .offset:         0
        .size:           40
        .value_kind:     by_value
      - .offset:         40
        .size:           4
        .value_kind:     hidden_block_count_x
      - .offset:         44
        .size:           4
        .value_kind:     hidden_block_count_y
      - .offset:         48
        .size:           4
        .value_kind:     hidden_block_count_z
      - .offset:         52
        .size:           2
        .value_kind:     hidden_group_size_x
      - .offset:         54
        .size:           2
        .value_kind:     hidden_group_size_y
      - .offset:         56
        .size:           2
        .value_kind:     hidden_group_size_z
      - .offset:         58
        .size:           2
        .value_kind:     hidden_remainder_x
      - .offset:         60
        .size:           2
        .value_kind:     hidden_remainder_y
      - .offset:         62
        .size:           2
        .value_kind:     hidden_remainder_z
      - .offset:         80
        .size:           8
        .value_kind:     hidden_global_offset_x
      - .offset:         88
        .size:           8
        .value_kind:     hidden_global_offset_y
      - .offset:         96
        .size:           8
        .value_kind:     hidden_global_offset_z
      - .offset:         104
        .size:           2
        .value_kind:     hidden_grid_dims
    .group_segment_fixed_size: 0
    .kernarg_segment_align: 8
    .kernarg_segment_size: 296
    .language:       OpenCL C
    .language_version:
      - 2
      - 0
    .max_flat_workgroup_size: 1024
    .name:           _ZN7rocprim17ROCPRIM_400000_NS6detail17trampoline_kernelINS0_14default_configENS1_25transform_config_selectorImLb1EEEZNS1_14transform_implILb1ES3_S5_PmPiNS0_8identityIvEEEE10hipError_tT2_T3_mT4_P12ihipStream_tbEUlT_E_NS1_11comp_targetILNS1_3genE10ELNS1_11target_archE1201ELNS1_3gpuE5ELNS1_3repE0EEENS1_30default_config_static_selectorELNS0_4arch9wavefront6targetE0EEEvT1_
    .private_segment_fixed_size: 0
    .sgpr_count:     16
    .sgpr_spill_count: 0
    .symbol:         _ZN7rocprim17ROCPRIM_400000_NS6detail17trampoline_kernelINS0_14default_configENS1_25transform_config_selectorImLb1EEEZNS1_14transform_implILb1ES3_S5_PmPiNS0_8identityIvEEEE10hipError_tT2_T3_mT4_P12ihipStream_tbEUlT_E_NS1_11comp_targetILNS1_3genE10ELNS1_11target_archE1201ELNS1_3gpuE5ELNS1_3repE0EEENS1_30default_config_static_selectorELNS0_4arch9wavefront6targetE0EEEvT1_.kd
    .uniform_work_group_size: 1
    .uses_dynamic_stack: false
    .vgpr_count:     6
    .vgpr_spill_count: 0
    .wavefront_size: 32
    .workgroup_processor_mode: 1
  - .args:
      - .offset:         0
        .size:           40
        .value_kind:     by_value
    .group_segment_fixed_size: 0
    .kernarg_segment_align: 8
    .kernarg_segment_size: 40
    .language:       OpenCL C
    .language_version:
      - 2
      - 0
    .max_flat_workgroup_size: 512
    .name:           _ZN7rocprim17ROCPRIM_400000_NS6detail17trampoline_kernelINS0_14default_configENS1_25transform_config_selectorImLb1EEEZNS1_14transform_implILb1ES3_S5_PmPiNS0_8identityIvEEEE10hipError_tT2_T3_mT4_P12ihipStream_tbEUlT_E_NS1_11comp_targetILNS1_3genE5ELNS1_11target_archE942ELNS1_3gpuE9ELNS1_3repE0EEENS1_30default_config_static_selectorELNS0_4arch9wavefront6targetE0EEEvT1_
    .private_segment_fixed_size: 0
    .sgpr_count:     0
    .sgpr_spill_count: 0
    .symbol:         _ZN7rocprim17ROCPRIM_400000_NS6detail17trampoline_kernelINS0_14default_configENS1_25transform_config_selectorImLb1EEEZNS1_14transform_implILb1ES3_S5_PmPiNS0_8identityIvEEEE10hipError_tT2_T3_mT4_P12ihipStream_tbEUlT_E_NS1_11comp_targetILNS1_3genE5ELNS1_11target_archE942ELNS1_3gpuE9ELNS1_3repE0EEENS1_30default_config_static_selectorELNS0_4arch9wavefront6targetE0EEEvT1_.kd
    .uniform_work_group_size: 1
    .uses_dynamic_stack: false
    .vgpr_count:     0
    .vgpr_spill_count: 0
    .wavefront_size: 32
    .workgroup_processor_mode: 1
  - .args:
      - .offset:         0
        .size:           40
        .value_kind:     by_value
    .group_segment_fixed_size: 0
    .kernarg_segment_align: 8
    .kernarg_segment_size: 40
    .language:       OpenCL C
    .language_version:
      - 2
      - 0
    .max_flat_workgroup_size: 1024
    .name:           _ZN7rocprim17ROCPRIM_400000_NS6detail17trampoline_kernelINS0_14default_configENS1_25transform_config_selectorImLb1EEEZNS1_14transform_implILb1ES3_S5_PmPiNS0_8identityIvEEEE10hipError_tT2_T3_mT4_P12ihipStream_tbEUlT_E_NS1_11comp_targetILNS1_3genE4ELNS1_11target_archE910ELNS1_3gpuE8ELNS1_3repE0EEENS1_30default_config_static_selectorELNS0_4arch9wavefront6targetE0EEEvT1_
    .private_segment_fixed_size: 0
    .sgpr_count:     0
    .sgpr_spill_count: 0
    .symbol:         _ZN7rocprim17ROCPRIM_400000_NS6detail17trampoline_kernelINS0_14default_configENS1_25transform_config_selectorImLb1EEEZNS1_14transform_implILb1ES3_S5_PmPiNS0_8identityIvEEEE10hipError_tT2_T3_mT4_P12ihipStream_tbEUlT_E_NS1_11comp_targetILNS1_3genE4ELNS1_11target_archE910ELNS1_3gpuE8ELNS1_3repE0EEENS1_30default_config_static_selectorELNS0_4arch9wavefront6targetE0EEEvT1_.kd
    .uniform_work_group_size: 1
    .uses_dynamic_stack: false
    .vgpr_count:     0
    .vgpr_spill_count: 0
    .wavefront_size: 32
    .workgroup_processor_mode: 1
  - .args:
      - .offset:         0
        .size:           40
        .value_kind:     by_value
    .group_segment_fixed_size: 0
    .kernarg_segment_align: 8
    .kernarg_segment_size: 40
    .language:       OpenCL C
    .language_version:
      - 2
      - 0
    .max_flat_workgroup_size: 128
    .name:           _ZN7rocprim17ROCPRIM_400000_NS6detail17trampoline_kernelINS0_14default_configENS1_25transform_config_selectorImLb1EEEZNS1_14transform_implILb1ES3_S5_PmPiNS0_8identityIvEEEE10hipError_tT2_T3_mT4_P12ihipStream_tbEUlT_E_NS1_11comp_targetILNS1_3genE3ELNS1_11target_archE908ELNS1_3gpuE7ELNS1_3repE0EEENS1_30default_config_static_selectorELNS0_4arch9wavefront6targetE0EEEvT1_
    .private_segment_fixed_size: 0
    .sgpr_count:     0
    .sgpr_spill_count: 0
    .symbol:         _ZN7rocprim17ROCPRIM_400000_NS6detail17trampoline_kernelINS0_14default_configENS1_25transform_config_selectorImLb1EEEZNS1_14transform_implILb1ES3_S5_PmPiNS0_8identityIvEEEE10hipError_tT2_T3_mT4_P12ihipStream_tbEUlT_E_NS1_11comp_targetILNS1_3genE3ELNS1_11target_archE908ELNS1_3gpuE7ELNS1_3repE0EEENS1_30default_config_static_selectorELNS0_4arch9wavefront6targetE0EEEvT1_.kd
    .uniform_work_group_size: 1
    .uses_dynamic_stack: false
    .vgpr_count:     0
    .vgpr_spill_count: 0
    .wavefront_size: 32
    .workgroup_processor_mode: 1
  - .args:
      - .offset:         0
        .size:           40
        .value_kind:     by_value
    .group_segment_fixed_size: 0
    .kernarg_segment_align: 8
    .kernarg_segment_size: 40
    .language:       OpenCL C
    .language_version:
      - 2
      - 0
    .max_flat_workgroup_size: 512
    .name:           _ZN7rocprim17ROCPRIM_400000_NS6detail17trampoline_kernelINS0_14default_configENS1_25transform_config_selectorImLb1EEEZNS1_14transform_implILb1ES3_S5_PmPiNS0_8identityIvEEEE10hipError_tT2_T3_mT4_P12ihipStream_tbEUlT_E_NS1_11comp_targetILNS1_3genE2ELNS1_11target_archE906ELNS1_3gpuE6ELNS1_3repE0EEENS1_30default_config_static_selectorELNS0_4arch9wavefront6targetE0EEEvT1_
    .private_segment_fixed_size: 0
    .sgpr_count:     0
    .sgpr_spill_count: 0
    .symbol:         _ZN7rocprim17ROCPRIM_400000_NS6detail17trampoline_kernelINS0_14default_configENS1_25transform_config_selectorImLb1EEEZNS1_14transform_implILb1ES3_S5_PmPiNS0_8identityIvEEEE10hipError_tT2_T3_mT4_P12ihipStream_tbEUlT_E_NS1_11comp_targetILNS1_3genE2ELNS1_11target_archE906ELNS1_3gpuE6ELNS1_3repE0EEENS1_30default_config_static_selectorELNS0_4arch9wavefront6targetE0EEEvT1_.kd
    .uniform_work_group_size: 1
    .uses_dynamic_stack: false
    .vgpr_count:     0
    .vgpr_spill_count: 0
    .wavefront_size: 32
    .workgroup_processor_mode: 1
  - .args:
      - .offset:         0
        .size:           40
        .value_kind:     by_value
    .group_segment_fixed_size: 0
    .kernarg_segment_align: 8
    .kernarg_segment_size: 40
    .language:       OpenCL C
    .language_version:
      - 2
      - 0
    .max_flat_workgroup_size: 1024
    .name:           _ZN7rocprim17ROCPRIM_400000_NS6detail17trampoline_kernelINS0_14default_configENS1_25transform_config_selectorImLb1EEEZNS1_14transform_implILb1ES3_S5_PmPiNS0_8identityIvEEEE10hipError_tT2_T3_mT4_P12ihipStream_tbEUlT_E_NS1_11comp_targetILNS1_3genE9ELNS1_11target_archE1100ELNS1_3gpuE3ELNS1_3repE0EEENS1_30default_config_static_selectorELNS0_4arch9wavefront6targetE0EEEvT1_
    .private_segment_fixed_size: 0
    .sgpr_count:     0
    .sgpr_spill_count: 0
    .symbol:         _ZN7rocprim17ROCPRIM_400000_NS6detail17trampoline_kernelINS0_14default_configENS1_25transform_config_selectorImLb1EEEZNS1_14transform_implILb1ES3_S5_PmPiNS0_8identityIvEEEE10hipError_tT2_T3_mT4_P12ihipStream_tbEUlT_E_NS1_11comp_targetILNS1_3genE9ELNS1_11target_archE1100ELNS1_3gpuE3ELNS1_3repE0EEENS1_30default_config_static_selectorELNS0_4arch9wavefront6targetE0EEEvT1_.kd
    .uniform_work_group_size: 1
    .uses_dynamic_stack: false
    .vgpr_count:     0
    .vgpr_spill_count: 0
    .wavefront_size: 32
    .workgroup_processor_mode: 1
  - .args:
      - .offset:         0
        .size:           40
        .value_kind:     by_value
    .group_segment_fixed_size: 0
    .kernarg_segment_align: 8
    .kernarg_segment_size: 40
    .language:       OpenCL C
    .language_version:
      - 2
      - 0
    .max_flat_workgroup_size: 1024
    .name:           _ZN7rocprim17ROCPRIM_400000_NS6detail17trampoline_kernelINS0_14default_configENS1_25transform_config_selectorImLb1EEEZNS1_14transform_implILb1ES3_S5_PmPiNS0_8identityIvEEEE10hipError_tT2_T3_mT4_P12ihipStream_tbEUlT_E_NS1_11comp_targetILNS1_3genE8ELNS1_11target_archE1030ELNS1_3gpuE2ELNS1_3repE0EEENS1_30default_config_static_selectorELNS0_4arch9wavefront6targetE0EEEvT1_
    .private_segment_fixed_size: 0
    .sgpr_count:     0
    .sgpr_spill_count: 0
    .symbol:         _ZN7rocprim17ROCPRIM_400000_NS6detail17trampoline_kernelINS0_14default_configENS1_25transform_config_selectorImLb1EEEZNS1_14transform_implILb1ES3_S5_PmPiNS0_8identityIvEEEE10hipError_tT2_T3_mT4_P12ihipStream_tbEUlT_E_NS1_11comp_targetILNS1_3genE8ELNS1_11target_archE1030ELNS1_3gpuE2ELNS1_3repE0EEENS1_30default_config_static_selectorELNS0_4arch9wavefront6targetE0EEEvT1_.kd
    .uniform_work_group_size: 1
    .uses_dynamic_stack: false
    .vgpr_count:     0
    .vgpr_spill_count: 0
    .wavefront_size: 32
    .workgroup_processor_mode: 1
  - .args:
      - .address_space:  global
        .offset:         0
        .size:           8
        .value_kind:     global_buffer
      - .offset:         8
        .size:           4
        .value_kind:     by_value
      - .address_space:  global
        .offset:         16
        .size:           8
        .value_kind:     global_buffer
      - .offset:         24
        .size:           4
        .value_kind:     by_value
      - .address_space:  global
        .offset:         32
        .size:           8
        .value_kind:     global_buffer
      - .offset:         40
        .size:           4
        .value_kind:     hidden_block_count_x
      - .offset:         44
        .size:           4
        .value_kind:     hidden_block_count_y
      - .offset:         48
        .size:           4
        .value_kind:     hidden_block_count_z
      - .offset:         52
        .size:           2
        .value_kind:     hidden_group_size_x
      - .offset:         54
        .size:           2
        .value_kind:     hidden_group_size_y
      - .offset:         56
        .size:           2
        .value_kind:     hidden_group_size_z
      - .offset:         58
        .size:           2
        .value_kind:     hidden_remainder_x
      - .offset:         60
        .size:           2
        .value_kind:     hidden_remainder_y
      - .offset:         62
        .size:           2
        .value_kind:     hidden_remainder_z
      - .offset:         80
        .size:           8
        .value_kind:     hidden_global_offset_x
      - .offset:         88
        .size:           8
        .value_kind:     hidden_global_offset_y
      - .offset:         96
        .size:           8
        .value_kind:     hidden_global_offset_z
      - .offset:         104
        .size:           2
        .value_kind:     hidden_grid_dims
    .group_segment_fixed_size: 0
    .kernarg_segment_align: 8
    .kernarg_segment_size: 296
    .language:       OpenCL C
    .language_version:
      - 2
      - 0
    .max_flat_workgroup_size: 256
    .name:           _ZN7rocprim17ROCPRIM_400000_NS6detail31init_lookback_scan_state_kernelINS1_19lookback_scan_stateImLb1ELb1EEENS1_16block_id_wrapperIjLb1EEEEEvT_jT0_jPNS7_10value_typeE
    .private_segment_fixed_size: 0
    .sgpr_count:     14
    .sgpr_spill_count: 0
    .symbol:         _ZN7rocprim17ROCPRIM_400000_NS6detail31init_lookback_scan_state_kernelINS1_19lookback_scan_stateImLb1ELb1EEENS1_16block_id_wrapperIjLb1EEEEEvT_jT0_jPNS7_10value_typeE.kd
    .uniform_work_group_size: 1
    .uses_dynamic_stack: false
    .vgpr_count:     8
    .vgpr_spill_count: 0
    .wavefront_size: 32
    .workgroup_processor_mode: 1
  - .args:
      - .offset:         0
        .size:           136
        .value_kind:     by_value
    .group_segment_fixed_size: 0
    .kernarg_segment_align: 8
    .kernarg_segment_size: 136
    .language:       OpenCL C
    .language_version:
      - 2
      - 0
    .max_flat_workgroup_size: 128
    .name:           _ZN7rocprim17ROCPRIM_400000_NS6detail17trampoline_kernelINS0_14default_configENS1_25partition_config_selectorILNS1_17partition_subalgoE5ElNS0_10empty_typeEbEEZZNS1_14partition_implILS5_5ELb0ES3_mN6hipcub16HIPCUB_304000_NS21CountingInputIteratorIllEEPS6_NSA_22TransformInputIteratorIbN2at6native12_GLOBAL__N_19NonZeroOpIhEEPKhlEENS0_5tupleIJPlS6_EEENSN_IJSD_SD_EEES6_PiJS6_EEE10hipError_tPvRmT3_T4_T5_T6_T7_T9_mT8_P12ihipStream_tbDpT10_ENKUlT_T0_E_clISt17integral_constantIbLb1EES1B_EEDaS16_S17_EUlS16_E_NS1_11comp_targetILNS1_3genE0ELNS1_11target_archE4294967295ELNS1_3gpuE0ELNS1_3repE0EEENS1_30default_config_static_selectorELNS0_4arch9wavefront6targetE0EEEvT1_
    .private_segment_fixed_size: 0
    .sgpr_count:     0
    .sgpr_spill_count: 0
    .symbol:         _ZN7rocprim17ROCPRIM_400000_NS6detail17trampoline_kernelINS0_14default_configENS1_25partition_config_selectorILNS1_17partition_subalgoE5ElNS0_10empty_typeEbEEZZNS1_14partition_implILS5_5ELb0ES3_mN6hipcub16HIPCUB_304000_NS21CountingInputIteratorIllEEPS6_NSA_22TransformInputIteratorIbN2at6native12_GLOBAL__N_19NonZeroOpIhEEPKhlEENS0_5tupleIJPlS6_EEENSN_IJSD_SD_EEES6_PiJS6_EEE10hipError_tPvRmT3_T4_T5_T6_T7_T9_mT8_P12ihipStream_tbDpT10_ENKUlT_T0_E_clISt17integral_constantIbLb1EES1B_EEDaS16_S17_EUlS16_E_NS1_11comp_targetILNS1_3genE0ELNS1_11target_archE4294967295ELNS1_3gpuE0ELNS1_3repE0EEENS1_30default_config_static_selectorELNS0_4arch9wavefront6targetE0EEEvT1_.kd
    .uniform_work_group_size: 1
    .uses_dynamic_stack: false
    .vgpr_count:     0
    .vgpr_spill_count: 0
    .wavefront_size: 32
    .workgroup_processor_mode: 1
  - .args:
      - .offset:         0
        .size:           136
        .value_kind:     by_value
    .group_segment_fixed_size: 0
    .kernarg_segment_align: 8
    .kernarg_segment_size: 136
    .language:       OpenCL C
    .language_version:
      - 2
      - 0
    .max_flat_workgroup_size: 512
    .name:           _ZN7rocprim17ROCPRIM_400000_NS6detail17trampoline_kernelINS0_14default_configENS1_25partition_config_selectorILNS1_17partition_subalgoE5ElNS0_10empty_typeEbEEZZNS1_14partition_implILS5_5ELb0ES3_mN6hipcub16HIPCUB_304000_NS21CountingInputIteratorIllEEPS6_NSA_22TransformInputIteratorIbN2at6native12_GLOBAL__N_19NonZeroOpIhEEPKhlEENS0_5tupleIJPlS6_EEENSN_IJSD_SD_EEES6_PiJS6_EEE10hipError_tPvRmT3_T4_T5_T6_T7_T9_mT8_P12ihipStream_tbDpT10_ENKUlT_T0_E_clISt17integral_constantIbLb1EES1B_EEDaS16_S17_EUlS16_E_NS1_11comp_targetILNS1_3genE5ELNS1_11target_archE942ELNS1_3gpuE9ELNS1_3repE0EEENS1_30default_config_static_selectorELNS0_4arch9wavefront6targetE0EEEvT1_
    .private_segment_fixed_size: 0
    .sgpr_count:     0
    .sgpr_spill_count: 0
    .symbol:         _ZN7rocprim17ROCPRIM_400000_NS6detail17trampoline_kernelINS0_14default_configENS1_25partition_config_selectorILNS1_17partition_subalgoE5ElNS0_10empty_typeEbEEZZNS1_14partition_implILS5_5ELb0ES3_mN6hipcub16HIPCUB_304000_NS21CountingInputIteratorIllEEPS6_NSA_22TransformInputIteratorIbN2at6native12_GLOBAL__N_19NonZeroOpIhEEPKhlEENS0_5tupleIJPlS6_EEENSN_IJSD_SD_EEES6_PiJS6_EEE10hipError_tPvRmT3_T4_T5_T6_T7_T9_mT8_P12ihipStream_tbDpT10_ENKUlT_T0_E_clISt17integral_constantIbLb1EES1B_EEDaS16_S17_EUlS16_E_NS1_11comp_targetILNS1_3genE5ELNS1_11target_archE942ELNS1_3gpuE9ELNS1_3repE0EEENS1_30default_config_static_selectorELNS0_4arch9wavefront6targetE0EEEvT1_.kd
    .uniform_work_group_size: 1
    .uses_dynamic_stack: false
    .vgpr_count:     0
    .vgpr_spill_count: 0
    .wavefront_size: 32
    .workgroup_processor_mode: 1
  - .args:
      - .offset:         0
        .size:           136
        .value_kind:     by_value
    .group_segment_fixed_size: 0
    .kernarg_segment_align: 8
    .kernarg_segment_size: 136
    .language:       OpenCL C
    .language_version:
      - 2
      - 0
    .max_flat_workgroup_size: 192
    .name:           _ZN7rocprim17ROCPRIM_400000_NS6detail17trampoline_kernelINS0_14default_configENS1_25partition_config_selectorILNS1_17partition_subalgoE5ElNS0_10empty_typeEbEEZZNS1_14partition_implILS5_5ELb0ES3_mN6hipcub16HIPCUB_304000_NS21CountingInputIteratorIllEEPS6_NSA_22TransformInputIteratorIbN2at6native12_GLOBAL__N_19NonZeroOpIhEEPKhlEENS0_5tupleIJPlS6_EEENSN_IJSD_SD_EEES6_PiJS6_EEE10hipError_tPvRmT3_T4_T5_T6_T7_T9_mT8_P12ihipStream_tbDpT10_ENKUlT_T0_E_clISt17integral_constantIbLb1EES1B_EEDaS16_S17_EUlS16_E_NS1_11comp_targetILNS1_3genE4ELNS1_11target_archE910ELNS1_3gpuE8ELNS1_3repE0EEENS1_30default_config_static_selectorELNS0_4arch9wavefront6targetE0EEEvT1_
    .private_segment_fixed_size: 0
    .sgpr_count:     0
    .sgpr_spill_count: 0
    .symbol:         _ZN7rocprim17ROCPRIM_400000_NS6detail17trampoline_kernelINS0_14default_configENS1_25partition_config_selectorILNS1_17partition_subalgoE5ElNS0_10empty_typeEbEEZZNS1_14partition_implILS5_5ELb0ES3_mN6hipcub16HIPCUB_304000_NS21CountingInputIteratorIllEEPS6_NSA_22TransformInputIteratorIbN2at6native12_GLOBAL__N_19NonZeroOpIhEEPKhlEENS0_5tupleIJPlS6_EEENSN_IJSD_SD_EEES6_PiJS6_EEE10hipError_tPvRmT3_T4_T5_T6_T7_T9_mT8_P12ihipStream_tbDpT10_ENKUlT_T0_E_clISt17integral_constantIbLb1EES1B_EEDaS16_S17_EUlS16_E_NS1_11comp_targetILNS1_3genE4ELNS1_11target_archE910ELNS1_3gpuE8ELNS1_3repE0EEENS1_30default_config_static_selectorELNS0_4arch9wavefront6targetE0EEEvT1_.kd
    .uniform_work_group_size: 1
    .uses_dynamic_stack: false
    .vgpr_count:     0
    .vgpr_spill_count: 0
    .wavefront_size: 32
    .workgroup_processor_mode: 1
  - .args:
      - .offset:         0
        .size:           136
        .value_kind:     by_value
    .group_segment_fixed_size: 0
    .kernarg_segment_align: 8
    .kernarg_segment_size: 136
    .language:       OpenCL C
    .language_version:
      - 2
      - 0
    .max_flat_workgroup_size: 128
    .name:           _ZN7rocprim17ROCPRIM_400000_NS6detail17trampoline_kernelINS0_14default_configENS1_25partition_config_selectorILNS1_17partition_subalgoE5ElNS0_10empty_typeEbEEZZNS1_14partition_implILS5_5ELb0ES3_mN6hipcub16HIPCUB_304000_NS21CountingInputIteratorIllEEPS6_NSA_22TransformInputIteratorIbN2at6native12_GLOBAL__N_19NonZeroOpIhEEPKhlEENS0_5tupleIJPlS6_EEENSN_IJSD_SD_EEES6_PiJS6_EEE10hipError_tPvRmT3_T4_T5_T6_T7_T9_mT8_P12ihipStream_tbDpT10_ENKUlT_T0_E_clISt17integral_constantIbLb1EES1B_EEDaS16_S17_EUlS16_E_NS1_11comp_targetILNS1_3genE3ELNS1_11target_archE908ELNS1_3gpuE7ELNS1_3repE0EEENS1_30default_config_static_selectorELNS0_4arch9wavefront6targetE0EEEvT1_
    .private_segment_fixed_size: 0
    .sgpr_count:     0
    .sgpr_spill_count: 0
    .symbol:         _ZN7rocprim17ROCPRIM_400000_NS6detail17trampoline_kernelINS0_14default_configENS1_25partition_config_selectorILNS1_17partition_subalgoE5ElNS0_10empty_typeEbEEZZNS1_14partition_implILS5_5ELb0ES3_mN6hipcub16HIPCUB_304000_NS21CountingInputIteratorIllEEPS6_NSA_22TransformInputIteratorIbN2at6native12_GLOBAL__N_19NonZeroOpIhEEPKhlEENS0_5tupleIJPlS6_EEENSN_IJSD_SD_EEES6_PiJS6_EEE10hipError_tPvRmT3_T4_T5_T6_T7_T9_mT8_P12ihipStream_tbDpT10_ENKUlT_T0_E_clISt17integral_constantIbLb1EES1B_EEDaS16_S17_EUlS16_E_NS1_11comp_targetILNS1_3genE3ELNS1_11target_archE908ELNS1_3gpuE7ELNS1_3repE0EEENS1_30default_config_static_selectorELNS0_4arch9wavefront6targetE0EEEvT1_.kd
    .uniform_work_group_size: 1
    .uses_dynamic_stack: false
    .vgpr_count:     0
    .vgpr_spill_count: 0
    .wavefront_size: 32
    .workgroup_processor_mode: 1
  - .args:
      - .offset:         0
        .size:           136
        .value_kind:     by_value
    .group_segment_fixed_size: 0
    .kernarg_segment_align: 8
    .kernarg_segment_size: 136
    .language:       OpenCL C
    .language_version:
      - 2
      - 0
    .max_flat_workgroup_size: 256
    .name:           _ZN7rocprim17ROCPRIM_400000_NS6detail17trampoline_kernelINS0_14default_configENS1_25partition_config_selectorILNS1_17partition_subalgoE5ElNS0_10empty_typeEbEEZZNS1_14partition_implILS5_5ELb0ES3_mN6hipcub16HIPCUB_304000_NS21CountingInputIteratorIllEEPS6_NSA_22TransformInputIteratorIbN2at6native12_GLOBAL__N_19NonZeroOpIhEEPKhlEENS0_5tupleIJPlS6_EEENSN_IJSD_SD_EEES6_PiJS6_EEE10hipError_tPvRmT3_T4_T5_T6_T7_T9_mT8_P12ihipStream_tbDpT10_ENKUlT_T0_E_clISt17integral_constantIbLb1EES1B_EEDaS16_S17_EUlS16_E_NS1_11comp_targetILNS1_3genE2ELNS1_11target_archE906ELNS1_3gpuE6ELNS1_3repE0EEENS1_30default_config_static_selectorELNS0_4arch9wavefront6targetE0EEEvT1_
    .private_segment_fixed_size: 0
    .sgpr_count:     0
    .sgpr_spill_count: 0
    .symbol:         _ZN7rocprim17ROCPRIM_400000_NS6detail17trampoline_kernelINS0_14default_configENS1_25partition_config_selectorILNS1_17partition_subalgoE5ElNS0_10empty_typeEbEEZZNS1_14partition_implILS5_5ELb0ES3_mN6hipcub16HIPCUB_304000_NS21CountingInputIteratorIllEEPS6_NSA_22TransformInputIteratorIbN2at6native12_GLOBAL__N_19NonZeroOpIhEEPKhlEENS0_5tupleIJPlS6_EEENSN_IJSD_SD_EEES6_PiJS6_EEE10hipError_tPvRmT3_T4_T5_T6_T7_T9_mT8_P12ihipStream_tbDpT10_ENKUlT_T0_E_clISt17integral_constantIbLb1EES1B_EEDaS16_S17_EUlS16_E_NS1_11comp_targetILNS1_3genE2ELNS1_11target_archE906ELNS1_3gpuE6ELNS1_3repE0EEENS1_30default_config_static_selectorELNS0_4arch9wavefront6targetE0EEEvT1_.kd
    .uniform_work_group_size: 1
    .uses_dynamic_stack: false
    .vgpr_count:     0
    .vgpr_spill_count: 0
    .wavefront_size: 32
    .workgroup_processor_mode: 1
  - .args:
      - .offset:         0
        .size:           136
        .value_kind:     by_value
    .group_segment_fixed_size: 0
    .kernarg_segment_align: 8
    .kernarg_segment_size: 136
    .language:       OpenCL C
    .language_version:
      - 2
      - 0
    .max_flat_workgroup_size: 256
    .name:           _ZN7rocprim17ROCPRIM_400000_NS6detail17trampoline_kernelINS0_14default_configENS1_25partition_config_selectorILNS1_17partition_subalgoE5ElNS0_10empty_typeEbEEZZNS1_14partition_implILS5_5ELb0ES3_mN6hipcub16HIPCUB_304000_NS21CountingInputIteratorIllEEPS6_NSA_22TransformInputIteratorIbN2at6native12_GLOBAL__N_19NonZeroOpIhEEPKhlEENS0_5tupleIJPlS6_EEENSN_IJSD_SD_EEES6_PiJS6_EEE10hipError_tPvRmT3_T4_T5_T6_T7_T9_mT8_P12ihipStream_tbDpT10_ENKUlT_T0_E_clISt17integral_constantIbLb1EES1B_EEDaS16_S17_EUlS16_E_NS1_11comp_targetILNS1_3genE10ELNS1_11target_archE1200ELNS1_3gpuE4ELNS1_3repE0EEENS1_30default_config_static_selectorELNS0_4arch9wavefront6targetE0EEEvT1_
    .private_segment_fixed_size: 0
    .sgpr_count:     0
    .sgpr_spill_count: 0
    .symbol:         _ZN7rocprim17ROCPRIM_400000_NS6detail17trampoline_kernelINS0_14default_configENS1_25partition_config_selectorILNS1_17partition_subalgoE5ElNS0_10empty_typeEbEEZZNS1_14partition_implILS5_5ELb0ES3_mN6hipcub16HIPCUB_304000_NS21CountingInputIteratorIllEEPS6_NSA_22TransformInputIteratorIbN2at6native12_GLOBAL__N_19NonZeroOpIhEEPKhlEENS0_5tupleIJPlS6_EEENSN_IJSD_SD_EEES6_PiJS6_EEE10hipError_tPvRmT3_T4_T5_T6_T7_T9_mT8_P12ihipStream_tbDpT10_ENKUlT_T0_E_clISt17integral_constantIbLb1EES1B_EEDaS16_S17_EUlS16_E_NS1_11comp_targetILNS1_3genE10ELNS1_11target_archE1200ELNS1_3gpuE4ELNS1_3repE0EEENS1_30default_config_static_selectorELNS0_4arch9wavefront6targetE0EEEvT1_.kd
    .uniform_work_group_size: 1
    .uses_dynamic_stack: false
    .vgpr_count:     0
    .vgpr_spill_count: 0
    .wavefront_size: 32
    .workgroup_processor_mode: 1
  - .args:
      - .offset:         0
        .size:           136
        .value_kind:     by_value
    .group_segment_fixed_size: 0
    .kernarg_segment_align: 8
    .kernarg_segment_size: 136
    .language:       OpenCL C
    .language_version:
      - 2
      - 0
    .max_flat_workgroup_size: 128
    .name:           _ZN7rocprim17ROCPRIM_400000_NS6detail17trampoline_kernelINS0_14default_configENS1_25partition_config_selectorILNS1_17partition_subalgoE5ElNS0_10empty_typeEbEEZZNS1_14partition_implILS5_5ELb0ES3_mN6hipcub16HIPCUB_304000_NS21CountingInputIteratorIllEEPS6_NSA_22TransformInputIteratorIbN2at6native12_GLOBAL__N_19NonZeroOpIhEEPKhlEENS0_5tupleIJPlS6_EEENSN_IJSD_SD_EEES6_PiJS6_EEE10hipError_tPvRmT3_T4_T5_T6_T7_T9_mT8_P12ihipStream_tbDpT10_ENKUlT_T0_E_clISt17integral_constantIbLb1EES1B_EEDaS16_S17_EUlS16_E_NS1_11comp_targetILNS1_3genE9ELNS1_11target_archE1100ELNS1_3gpuE3ELNS1_3repE0EEENS1_30default_config_static_selectorELNS0_4arch9wavefront6targetE0EEEvT1_
    .private_segment_fixed_size: 0
    .sgpr_count:     0
    .sgpr_spill_count: 0
    .symbol:         _ZN7rocprim17ROCPRIM_400000_NS6detail17trampoline_kernelINS0_14default_configENS1_25partition_config_selectorILNS1_17partition_subalgoE5ElNS0_10empty_typeEbEEZZNS1_14partition_implILS5_5ELb0ES3_mN6hipcub16HIPCUB_304000_NS21CountingInputIteratorIllEEPS6_NSA_22TransformInputIteratorIbN2at6native12_GLOBAL__N_19NonZeroOpIhEEPKhlEENS0_5tupleIJPlS6_EEENSN_IJSD_SD_EEES6_PiJS6_EEE10hipError_tPvRmT3_T4_T5_T6_T7_T9_mT8_P12ihipStream_tbDpT10_ENKUlT_T0_E_clISt17integral_constantIbLb1EES1B_EEDaS16_S17_EUlS16_E_NS1_11comp_targetILNS1_3genE9ELNS1_11target_archE1100ELNS1_3gpuE3ELNS1_3repE0EEENS1_30default_config_static_selectorELNS0_4arch9wavefront6targetE0EEEvT1_.kd
    .uniform_work_group_size: 1
    .uses_dynamic_stack: false
    .vgpr_count:     0
    .vgpr_spill_count: 0
    .wavefront_size: 32
    .workgroup_processor_mode: 1
  - .args:
      - .offset:         0
        .size:           136
        .value_kind:     by_value
    .group_segment_fixed_size: 0
    .kernarg_segment_align: 8
    .kernarg_segment_size: 136
    .language:       OpenCL C
    .language_version:
      - 2
      - 0
    .max_flat_workgroup_size: 512
    .name:           _ZN7rocprim17ROCPRIM_400000_NS6detail17trampoline_kernelINS0_14default_configENS1_25partition_config_selectorILNS1_17partition_subalgoE5ElNS0_10empty_typeEbEEZZNS1_14partition_implILS5_5ELb0ES3_mN6hipcub16HIPCUB_304000_NS21CountingInputIteratorIllEEPS6_NSA_22TransformInputIteratorIbN2at6native12_GLOBAL__N_19NonZeroOpIhEEPKhlEENS0_5tupleIJPlS6_EEENSN_IJSD_SD_EEES6_PiJS6_EEE10hipError_tPvRmT3_T4_T5_T6_T7_T9_mT8_P12ihipStream_tbDpT10_ENKUlT_T0_E_clISt17integral_constantIbLb1EES1B_EEDaS16_S17_EUlS16_E_NS1_11comp_targetILNS1_3genE8ELNS1_11target_archE1030ELNS1_3gpuE2ELNS1_3repE0EEENS1_30default_config_static_selectorELNS0_4arch9wavefront6targetE0EEEvT1_
    .private_segment_fixed_size: 0
    .sgpr_count:     0
    .sgpr_spill_count: 0
    .symbol:         _ZN7rocprim17ROCPRIM_400000_NS6detail17trampoline_kernelINS0_14default_configENS1_25partition_config_selectorILNS1_17partition_subalgoE5ElNS0_10empty_typeEbEEZZNS1_14partition_implILS5_5ELb0ES3_mN6hipcub16HIPCUB_304000_NS21CountingInputIteratorIllEEPS6_NSA_22TransformInputIteratorIbN2at6native12_GLOBAL__N_19NonZeroOpIhEEPKhlEENS0_5tupleIJPlS6_EEENSN_IJSD_SD_EEES6_PiJS6_EEE10hipError_tPvRmT3_T4_T5_T6_T7_T9_mT8_P12ihipStream_tbDpT10_ENKUlT_T0_E_clISt17integral_constantIbLb1EES1B_EEDaS16_S17_EUlS16_E_NS1_11comp_targetILNS1_3genE8ELNS1_11target_archE1030ELNS1_3gpuE2ELNS1_3repE0EEENS1_30default_config_static_selectorELNS0_4arch9wavefront6targetE0EEEvT1_.kd
    .uniform_work_group_size: 1
    .uses_dynamic_stack: false
    .vgpr_count:     0
    .vgpr_spill_count: 0
    .wavefront_size: 32
    .workgroup_processor_mode: 1
  - .args:
      - .address_space:  global
        .offset:         0
        .size:           8
        .value_kind:     global_buffer
      - .offset:         8
        .size:           4
        .value_kind:     by_value
      - .offset:         12
        .size:           1
        .value_kind:     by_value
      - .offset:         16
        .size:           4
        .value_kind:     by_value
      - .address_space:  global
        .offset:         24
        .size:           8
        .value_kind:     global_buffer
      - .offset:         32
        .size:           4
        .value_kind:     hidden_block_count_x
      - .offset:         36
        .size:           4
        .value_kind:     hidden_block_count_y
      - .offset:         40
        .size:           4
        .value_kind:     hidden_block_count_z
      - .offset:         44
        .size:           2
        .value_kind:     hidden_group_size_x
      - .offset:         46
        .size:           2
        .value_kind:     hidden_group_size_y
      - .offset:         48
        .size:           2
        .value_kind:     hidden_group_size_z
      - .offset:         50
        .size:           2
        .value_kind:     hidden_remainder_x
      - .offset:         52
        .size:           2
        .value_kind:     hidden_remainder_y
      - .offset:         54
        .size:           2
        .value_kind:     hidden_remainder_z
      - .offset:         72
        .size:           8
        .value_kind:     hidden_global_offset_x
      - .offset:         80
        .size:           8
        .value_kind:     hidden_global_offset_y
      - .offset:         88
        .size:           8
        .value_kind:     hidden_global_offset_z
      - .offset:         96
        .size:           2
        .value_kind:     hidden_grid_dims
    .group_segment_fixed_size: 0
    .kernarg_segment_align: 8
    .kernarg_segment_size: 288
    .language:       OpenCL C
    .language_version:
      - 2
      - 0
    .max_flat_workgroup_size: 256
    .name:           _ZN7rocprim17ROCPRIM_400000_NS6detail31init_lookback_scan_state_kernelINS1_19lookback_scan_stateImLb1ELb1EEENS1_16block_id_wrapperIjLb0EEEEEvT_jT0_jPNS7_10value_typeE
    .private_segment_fixed_size: 0
    .sgpr_count:     12
    .sgpr_spill_count: 0
    .symbol:         _ZN7rocprim17ROCPRIM_400000_NS6detail31init_lookback_scan_state_kernelINS1_19lookback_scan_stateImLb1ELb1EEENS1_16block_id_wrapperIjLb0EEEEEvT_jT0_jPNS7_10value_typeE.kd
    .uniform_work_group_size: 1
    .uses_dynamic_stack: false
    .vgpr_count:     8
    .vgpr_spill_count: 0
    .wavefront_size: 32
    .workgroup_processor_mode: 1
  - .args:
      - .offset:         0
        .size:           120
        .value_kind:     by_value
    .group_segment_fixed_size: 0
    .kernarg_segment_align: 8
    .kernarg_segment_size: 120
    .language:       OpenCL C
    .language_version:
      - 2
      - 0
    .max_flat_workgroup_size: 128
    .name:           _ZN7rocprim17ROCPRIM_400000_NS6detail17trampoline_kernelINS0_14default_configENS1_25partition_config_selectorILNS1_17partition_subalgoE5ElNS0_10empty_typeEbEEZZNS1_14partition_implILS5_5ELb0ES3_mN6hipcub16HIPCUB_304000_NS21CountingInputIteratorIllEEPS6_NSA_22TransformInputIteratorIbN2at6native12_GLOBAL__N_19NonZeroOpIhEEPKhlEENS0_5tupleIJPlS6_EEENSN_IJSD_SD_EEES6_PiJS6_EEE10hipError_tPvRmT3_T4_T5_T6_T7_T9_mT8_P12ihipStream_tbDpT10_ENKUlT_T0_E_clISt17integral_constantIbLb1EES1A_IbLb0EEEEDaS16_S17_EUlS16_E_NS1_11comp_targetILNS1_3genE0ELNS1_11target_archE4294967295ELNS1_3gpuE0ELNS1_3repE0EEENS1_30default_config_static_selectorELNS0_4arch9wavefront6targetE0EEEvT1_
    .private_segment_fixed_size: 0
    .sgpr_count:     0
    .sgpr_spill_count: 0
    .symbol:         _ZN7rocprim17ROCPRIM_400000_NS6detail17trampoline_kernelINS0_14default_configENS1_25partition_config_selectorILNS1_17partition_subalgoE5ElNS0_10empty_typeEbEEZZNS1_14partition_implILS5_5ELb0ES3_mN6hipcub16HIPCUB_304000_NS21CountingInputIteratorIllEEPS6_NSA_22TransformInputIteratorIbN2at6native12_GLOBAL__N_19NonZeroOpIhEEPKhlEENS0_5tupleIJPlS6_EEENSN_IJSD_SD_EEES6_PiJS6_EEE10hipError_tPvRmT3_T4_T5_T6_T7_T9_mT8_P12ihipStream_tbDpT10_ENKUlT_T0_E_clISt17integral_constantIbLb1EES1A_IbLb0EEEEDaS16_S17_EUlS16_E_NS1_11comp_targetILNS1_3genE0ELNS1_11target_archE4294967295ELNS1_3gpuE0ELNS1_3repE0EEENS1_30default_config_static_selectorELNS0_4arch9wavefront6targetE0EEEvT1_.kd
    .uniform_work_group_size: 1
    .uses_dynamic_stack: false
    .vgpr_count:     0
    .vgpr_spill_count: 0
    .wavefront_size: 32
    .workgroup_processor_mode: 1
  - .args:
      - .offset:         0
        .size:           120
        .value_kind:     by_value
    .group_segment_fixed_size: 0
    .kernarg_segment_align: 8
    .kernarg_segment_size: 120
    .language:       OpenCL C
    .language_version:
      - 2
      - 0
    .max_flat_workgroup_size: 512
    .name:           _ZN7rocprim17ROCPRIM_400000_NS6detail17trampoline_kernelINS0_14default_configENS1_25partition_config_selectorILNS1_17partition_subalgoE5ElNS0_10empty_typeEbEEZZNS1_14partition_implILS5_5ELb0ES3_mN6hipcub16HIPCUB_304000_NS21CountingInputIteratorIllEEPS6_NSA_22TransformInputIteratorIbN2at6native12_GLOBAL__N_19NonZeroOpIhEEPKhlEENS0_5tupleIJPlS6_EEENSN_IJSD_SD_EEES6_PiJS6_EEE10hipError_tPvRmT3_T4_T5_T6_T7_T9_mT8_P12ihipStream_tbDpT10_ENKUlT_T0_E_clISt17integral_constantIbLb1EES1A_IbLb0EEEEDaS16_S17_EUlS16_E_NS1_11comp_targetILNS1_3genE5ELNS1_11target_archE942ELNS1_3gpuE9ELNS1_3repE0EEENS1_30default_config_static_selectorELNS0_4arch9wavefront6targetE0EEEvT1_
    .private_segment_fixed_size: 0
    .sgpr_count:     0
    .sgpr_spill_count: 0
    .symbol:         _ZN7rocprim17ROCPRIM_400000_NS6detail17trampoline_kernelINS0_14default_configENS1_25partition_config_selectorILNS1_17partition_subalgoE5ElNS0_10empty_typeEbEEZZNS1_14partition_implILS5_5ELb0ES3_mN6hipcub16HIPCUB_304000_NS21CountingInputIteratorIllEEPS6_NSA_22TransformInputIteratorIbN2at6native12_GLOBAL__N_19NonZeroOpIhEEPKhlEENS0_5tupleIJPlS6_EEENSN_IJSD_SD_EEES6_PiJS6_EEE10hipError_tPvRmT3_T4_T5_T6_T7_T9_mT8_P12ihipStream_tbDpT10_ENKUlT_T0_E_clISt17integral_constantIbLb1EES1A_IbLb0EEEEDaS16_S17_EUlS16_E_NS1_11comp_targetILNS1_3genE5ELNS1_11target_archE942ELNS1_3gpuE9ELNS1_3repE0EEENS1_30default_config_static_selectorELNS0_4arch9wavefront6targetE0EEEvT1_.kd
    .uniform_work_group_size: 1
    .uses_dynamic_stack: false
    .vgpr_count:     0
    .vgpr_spill_count: 0
    .wavefront_size: 32
    .workgroup_processor_mode: 1
  - .args:
      - .offset:         0
        .size:           120
        .value_kind:     by_value
    .group_segment_fixed_size: 0
    .kernarg_segment_align: 8
    .kernarg_segment_size: 120
    .language:       OpenCL C
    .language_version:
      - 2
      - 0
    .max_flat_workgroup_size: 192
    .name:           _ZN7rocprim17ROCPRIM_400000_NS6detail17trampoline_kernelINS0_14default_configENS1_25partition_config_selectorILNS1_17partition_subalgoE5ElNS0_10empty_typeEbEEZZNS1_14partition_implILS5_5ELb0ES3_mN6hipcub16HIPCUB_304000_NS21CountingInputIteratorIllEEPS6_NSA_22TransformInputIteratorIbN2at6native12_GLOBAL__N_19NonZeroOpIhEEPKhlEENS0_5tupleIJPlS6_EEENSN_IJSD_SD_EEES6_PiJS6_EEE10hipError_tPvRmT3_T4_T5_T6_T7_T9_mT8_P12ihipStream_tbDpT10_ENKUlT_T0_E_clISt17integral_constantIbLb1EES1A_IbLb0EEEEDaS16_S17_EUlS16_E_NS1_11comp_targetILNS1_3genE4ELNS1_11target_archE910ELNS1_3gpuE8ELNS1_3repE0EEENS1_30default_config_static_selectorELNS0_4arch9wavefront6targetE0EEEvT1_
    .private_segment_fixed_size: 0
    .sgpr_count:     0
    .sgpr_spill_count: 0
    .symbol:         _ZN7rocprim17ROCPRIM_400000_NS6detail17trampoline_kernelINS0_14default_configENS1_25partition_config_selectorILNS1_17partition_subalgoE5ElNS0_10empty_typeEbEEZZNS1_14partition_implILS5_5ELb0ES3_mN6hipcub16HIPCUB_304000_NS21CountingInputIteratorIllEEPS6_NSA_22TransformInputIteratorIbN2at6native12_GLOBAL__N_19NonZeroOpIhEEPKhlEENS0_5tupleIJPlS6_EEENSN_IJSD_SD_EEES6_PiJS6_EEE10hipError_tPvRmT3_T4_T5_T6_T7_T9_mT8_P12ihipStream_tbDpT10_ENKUlT_T0_E_clISt17integral_constantIbLb1EES1A_IbLb0EEEEDaS16_S17_EUlS16_E_NS1_11comp_targetILNS1_3genE4ELNS1_11target_archE910ELNS1_3gpuE8ELNS1_3repE0EEENS1_30default_config_static_selectorELNS0_4arch9wavefront6targetE0EEEvT1_.kd
    .uniform_work_group_size: 1
    .uses_dynamic_stack: false
    .vgpr_count:     0
    .vgpr_spill_count: 0
    .wavefront_size: 32
    .workgroup_processor_mode: 1
  - .args:
      - .offset:         0
        .size:           120
        .value_kind:     by_value
    .group_segment_fixed_size: 0
    .kernarg_segment_align: 8
    .kernarg_segment_size: 120
    .language:       OpenCL C
    .language_version:
      - 2
      - 0
    .max_flat_workgroup_size: 128
    .name:           _ZN7rocprim17ROCPRIM_400000_NS6detail17trampoline_kernelINS0_14default_configENS1_25partition_config_selectorILNS1_17partition_subalgoE5ElNS0_10empty_typeEbEEZZNS1_14partition_implILS5_5ELb0ES3_mN6hipcub16HIPCUB_304000_NS21CountingInputIteratorIllEEPS6_NSA_22TransformInputIteratorIbN2at6native12_GLOBAL__N_19NonZeroOpIhEEPKhlEENS0_5tupleIJPlS6_EEENSN_IJSD_SD_EEES6_PiJS6_EEE10hipError_tPvRmT3_T4_T5_T6_T7_T9_mT8_P12ihipStream_tbDpT10_ENKUlT_T0_E_clISt17integral_constantIbLb1EES1A_IbLb0EEEEDaS16_S17_EUlS16_E_NS1_11comp_targetILNS1_3genE3ELNS1_11target_archE908ELNS1_3gpuE7ELNS1_3repE0EEENS1_30default_config_static_selectorELNS0_4arch9wavefront6targetE0EEEvT1_
    .private_segment_fixed_size: 0
    .sgpr_count:     0
    .sgpr_spill_count: 0
    .symbol:         _ZN7rocprim17ROCPRIM_400000_NS6detail17trampoline_kernelINS0_14default_configENS1_25partition_config_selectorILNS1_17partition_subalgoE5ElNS0_10empty_typeEbEEZZNS1_14partition_implILS5_5ELb0ES3_mN6hipcub16HIPCUB_304000_NS21CountingInputIteratorIllEEPS6_NSA_22TransformInputIteratorIbN2at6native12_GLOBAL__N_19NonZeroOpIhEEPKhlEENS0_5tupleIJPlS6_EEENSN_IJSD_SD_EEES6_PiJS6_EEE10hipError_tPvRmT3_T4_T5_T6_T7_T9_mT8_P12ihipStream_tbDpT10_ENKUlT_T0_E_clISt17integral_constantIbLb1EES1A_IbLb0EEEEDaS16_S17_EUlS16_E_NS1_11comp_targetILNS1_3genE3ELNS1_11target_archE908ELNS1_3gpuE7ELNS1_3repE0EEENS1_30default_config_static_selectorELNS0_4arch9wavefront6targetE0EEEvT1_.kd
    .uniform_work_group_size: 1
    .uses_dynamic_stack: false
    .vgpr_count:     0
    .vgpr_spill_count: 0
    .wavefront_size: 32
    .workgroup_processor_mode: 1
  - .args:
      - .offset:         0
        .size:           120
        .value_kind:     by_value
    .group_segment_fixed_size: 0
    .kernarg_segment_align: 8
    .kernarg_segment_size: 120
    .language:       OpenCL C
    .language_version:
      - 2
      - 0
    .max_flat_workgroup_size: 256
    .name:           _ZN7rocprim17ROCPRIM_400000_NS6detail17trampoline_kernelINS0_14default_configENS1_25partition_config_selectorILNS1_17partition_subalgoE5ElNS0_10empty_typeEbEEZZNS1_14partition_implILS5_5ELb0ES3_mN6hipcub16HIPCUB_304000_NS21CountingInputIteratorIllEEPS6_NSA_22TransformInputIteratorIbN2at6native12_GLOBAL__N_19NonZeroOpIhEEPKhlEENS0_5tupleIJPlS6_EEENSN_IJSD_SD_EEES6_PiJS6_EEE10hipError_tPvRmT3_T4_T5_T6_T7_T9_mT8_P12ihipStream_tbDpT10_ENKUlT_T0_E_clISt17integral_constantIbLb1EES1A_IbLb0EEEEDaS16_S17_EUlS16_E_NS1_11comp_targetILNS1_3genE2ELNS1_11target_archE906ELNS1_3gpuE6ELNS1_3repE0EEENS1_30default_config_static_selectorELNS0_4arch9wavefront6targetE0EEEvT1_
    .private_segment_fixed_size: 0
    .sgpr_count:     0
    .sgpr_spill_count: 0
    .symbol:         _ZN7rocprim17ROCPRIM_400000_NS6detail17trampoline_kernelINS0_14default_configENS1_25partition_config_selectorILNS1_17partition_subalgoE5ElNS0_10empty_typeEbEEZZNS1_14partition_implILS5_5ELb0ES3_mN6hipcub16HIPCUB_304000_NS21CountingInputIteratorIllEEPS6_NSA_22TransformInputIteratorIbN2at6native12_GLOBAL__N_19NonZeroOpIhEEPKhlEENS0_5tupleIJPlS6_EEENSN_IJSD_SD_EEES6_PiJS6_EEE10hipError_tPvRmT3_T4_T5_T6_T7_T9_mT8_P12ihipStream_tbDpT10_ENKUlT_T0_E_clISt17integral_constantIbLb1EES1A_IbLb0EEEEDaS16_S17_EUlS16_E_NS1_11comp_targetILNS1_3genE2ELNS1_11target_archE906ELNS1_3gpuE6ELNS1_3repE0EEENS1_30default_config_static_selectorELNS0_4arch9wavefront6targetE0EEEvT1_.kd
    .uniform_work_group_size: 1
    .uses_dynamic_stack: false
    .vgpr_count:     0
    .vgpr_spill_count: 0
    .wavefront_size: 32
    .workgroup_processor_mode: 1
  - .args:
      - .offset:         0
        .size:           120
        .value_kind:     by_value
    .group_segment_fixed_size: 0
    .kernarg_segment_align: 8
    .kernarg_segment_size: 120
    .language:       OpenCL C
    .language_version:
      - 2
      - 0
    .max_flat_workgroup_size: 256
    .name:           _ZN7rocprim17ROCPRIM_400000_NS6detail17trampoline_kernelINS0_14default_configENS1_25partition_config_selectorILNS1_17partition_subalgoE5ElNS0_10empty_typeEbEEZZNS1_14partition_implILS5_5ELb0ES3_mN6hipcub16HIPCUB_304000_NS21CountingInputIteratorIllEEPS6_NSA_22TransformInputIteratorIbN2at6native12_GLOBAL__N_19NonZeroOpIhEEPKhlEENS0_5tupleIJPlS6_EEENSN_IJSD_SD_EEES6_PiJS6_EEE10hipError_tPvRmT3_T4_T5_T6_T7_T9_mT8_P12ihipStream_tbDpT10_ENKUlT_T0_E_clISt17integral_constantIbLb1EES1A_IbLb0EEEEDaS16_S17_EUlS16_E_NS1_11comp_targetILNS1_3genE10ELNS1_11target_archE1200ELNS1_3gpuE4ELNS1_3repE0EEENS1_30default_config_static_selectorELNS0_4arch9wavefront6targetE0EEEvT1_
    .private_segment_fixed_size: 0
    .sgpr_count:     0
    .sgpr_spill_count: 0
    .symbol:         _ZN7rocprim17ROCPRIM_400000_NS6detail17trampoline_kernelINS0_14default_configENS1_25partition_config_selectorILNS1_17partition_subalgoE5ElNS0_10empty_typeEbEEZZNS1_14partition_implILS5_5ELb0ES3_mN6hipcub16HIPCUB_304000_NS21CountingInputIteratorIllEEPS6_NSA_22TransformInputIteratorIbN2at6native12_GLOBAL__N_19NonZeroOpIhEEPKhlEENS0_5tupleIJPlS6_EEENSN_IJSD_SD_EEES6_PiJS6_EEE10hipError_tPvRmT3_T4_T5_T6_T7_T9_mT8_P12ihipStream_tbDpT10_ENKUlT_T0_E_clISt17integral_constantIbLb1EES1A_IbLb0EEEEDaS16_S17_EUlS16_E_NS1_11comp_targetILNS1_3genE10ELNS1_11target_archE1200ELNS1_3gpuE4ELNS1_3repE0EEENS1_30default_config_static_selectorELNS0_4arch9wavefront6targetE0EEEvT1_.kd
    .uniform_work_group_size: 1
    .uses_dynamic_stack: false
    .vgpr_count:     0
    .vgpr_spill_count: 0
    .wavefront_size: 32
    .workgroup_processor_mode: 1
  - .args:
      - .offset:         0
        .size:           120
        .value_kind:     by_value
    .group_segment_fixed_size: 0
    .kernarg_segment_align: 8
    .kernarg_segment_size: 120
    .language:       OpenCL C
    .language_version:
      - 2
      - 0
    .max_flat_workgroup_size: 128
    .name:           _ZN7rocprim17ROCPRIM_400000_NS6detail17trampoline_kernelINS0_14default_configENS1_25partition_config_selectorILNS1_17partition_subalgoE5ElNS0_10empty_typeEbEEZZNS1_14partition_implILS5_5ELb0ES3_mN6hipcub16HIPCUB_304000_NS21CountingInputIteratorIllEEPS6_NSA_22TransformInputIteratorIbN2at6native12_GLOBAL__N_19NonZeroOpIhEEPKhlEENS0_5tupleIJPlS6_EEENSN_IJSD_SD_EEES6_PiJS6_EEE10hipError_tPvRmT3_T4_T5_T6_T7_T9_mT8_P12ihipStream_tbDpT10_ENKUlT_T0_E_clISt17integral_constantIbLb1EES1A_IbLb0EEEEDaS16_S17_EUlS16_E_NS1_11comp_targetILNS1_3genE9ELNS1_11target_archE1100ELNS1_3gpuE3ELNS1_3repE0EEENS1_30default_config_static_selectorELNS0_4arch9wavefront6targetE0EEEvT1_
    .private_segment_fixed_size: 0
    .sgpr_count:     0
    .sgpr_spill_count: 0
    .symbol:         _ZN7rocprim17ROCPRIM_400000_NS6detail17trampoline_kernelINS0_14default_configENS1_25partition_config_selectorILNS1_17partition_subalgoE5ElNS0_10empty_typeEbEEZZNS1_14partition_implILS5_5ELb0ES3_mN6hipcub16HIPCUB_304000_NS21CountingInputIteratorIllEEPS6_NSA_22TransformInputIteratorIbN2at6native12_GLOBAL__N_19NonZeroOpIhEEPKhlEENS0_5tupleIJPlS6_EEENSN_IJSD_SD_EEES6_PiJS6_EEE10hipError_tPvRmT3_T4_T5_T6_T7_T9_mT8_P12ihipStream_tbDpT10_ENKUlT_T0_E_clISt17integral_constantIbLb1EES1A_IbLb0EEEEDaS16_S17_EUlS16_E_NS1_11comp_targetILNS1_3genE9ELNS1_11target_archE1100ELNS1_3gpuE3ELNS1_3repE0EEENS1_30default_config_static_selectorELNS0_4arch9wavefront6targetE0EEEvT1_.kd
    .uniform_work_group_size: 1
    .uses_dynamic_stack: false
    .vgpr_count:     0
    .vgpr_spill_count: 0
    .wavefront_size: 32
    .workgroup_processor_mode: 1
  - .args:
      - .offset:         0
        .size:           120
        .value_kind:     by_value
    .group_segment_fixed_size: 0
    .kernarg_segment_align: 8
    .kernarg_segment_size: 120
    .language:       OpenCL C
    .language_version:
      - 2
      - 0
    .max_flat_workgroup_size: 512
    .name:           _ZN7rocprim17ROCPRIM_400000_NS6detail17trampoline_kernelINS0_14default_configENS1_25partition_config_selectorILNS1_17partition_subalgoE5ElNS0_10empty_typeEbEEZZNS1_14partition_implILS5_5ELb0ES3_mN6hipcub16HIPCUB_304000_NS21CountingInputIteratorIllEEPS6_NSA_22TransformInputIteratorIbN2at6native12_GLOBAL__N_19NonZeroOpIhEEPKhlEENS0_5tupleIJPlS6_EEENSN_IJSD_SD_EEES6_PiJS6_EEE10hipError_tPvRmT3_T4_T5_T6_T7_T9_mT8_P12ihipStream_tbDpT10_ENKUlT_T0_E_clISt17integral_constantIbLb1EES1A_IbLb0EEEEDaS16_S17_EUlS16_E_NS1_11comp_targetILNS1_3genE8ELNS1_11target_archE1030ELNS1_3gpuE2ELNS1_3repE0EEENS1_30default_config_static_selectorELNS0_4arch9wavefront6targetE0EEEvT1_
    .private_segment_fixed_size: 0
    .sgpr_count:     0
    .sgpr_spill_count: 0
    .symbol:         _ZN7rocprim17ROCPRIM_400000_NS6detail17trampoline_kernelINS0_14default_configENS1_25partition_config_selectorILNS1_17partition_subalgoE5ElNS0_10empty_typeEbEEZZNS1_14partition_implILS5_5ELb0ES3_mN6hipcub16HIPCUB_304000_NS21CountingInputIteratorIllEEPS6_NSA_22TransformInputIteratorIbN2at6native12_GLOBAL__N_19NonZeroOpIhEEPKhlEENS0_5tupleIJPlS6_EEENSN_IJSD_SD_EEES6_PiJS6_EEE10hipError_tPvRmT3_T4_T5_T6_T7_T9_mT8_P12ihipStream_tbDpT10_ENKUlT_T0_E_clISt17integral_constantIbLb1EES1A_IbLb0EEEEDaS16_S17_EUlS16_E_NS1_11comp_targetILNS1_3genE8ELNS1_11target_archE1030ELNS1_3gpuE2ELNS1_3repE0EEENS1_30default_config_static_selectorELNS0_4arch9wavefront6targetE0EEEvT1_.kd
    .uniform_work_group_size: 1
    .uses_dynamic_stack: false
    .vgpr_count:     0
    .vgpr_spill_count: 0
    .wavefront_size: 32
    .workgroup_processor_mode: 1
  - .args:
      - .address_space:  global
        .offset:         0
        .size:           8
        .value_kind:     global_buffer
      - .offset:         8
        .size:           4
        .value_kind:     by_value
      - .address_space:  global
        .offset:         16
        .size:           8
        .value_kind:     global_buffer
      - .offset:         24
        .size:           4
        .value_kind:     by_value
      - .address_space:  global
        .offset:         32
        .size:           8
        .value_kind:     global_buffer
      - .offset:         40
        .size:           4
        .value_kind:     hidden_block_count_x
      - .offset:         44
        .size:           4
        .value_kind:     hidden_block_count_y
      - .offset:         48
        .size:           4
        .value_kind:     hidden_block_count_z
      - .offset:         52
        .size:           2
        .value_kind:     hidden_group_size_x
      - .offset:         54
        .size:           2
        .value_kind:     hidden_group_size_y
      - .offset:         56
        .size:           2
        .value_kind:     hidden_group_size_z
      - .offset:         58
        .size:           2
        .value_kind:     hidden_remainder_x
      - .offset:         60
        .size:           2
        .value_kind:     hidden_remainder_y
      - .offset:         62
        .size:           2
        .value_kind:     hidden_remainder_z
      - .offset:         80
        .size:           8
        .value_kind:     hidden_global_offset_x
      - .offset:         88
        .size:           8
        .value_kind:     hidden_global_offset_y
      - .offset:         96
        .size:           8
        .value_kind:     hidden_global_offset_z
      - .offset:         104
        .size:           2
        .value_kind:     hidden_grid_dims
    .group_segment_fixed_size: 0
    .kernarg_segment_align: 8
    .kernarg_segment_size: 296
    .language:       OpenCL C
    .language_version:
      - 2
      - 0
    .max_flat_workgroup_size: 256
    .name:           _ZN7rocprim17ROCPRIM_400000_NS6detail31init_lookback_scan_state_kernelINS1_19lookback_scan_stateImLb0ELb1EEENS1_16block_id_wrapperIjLb1EEEEEvT_jT0_jPNS7_10value_typeE
    .private_segment_fixed_size: 0
    .sgpr_count:     13
    .sgpr_spill_count: 0
    .symbol:         _ZN7rocprim17ROCPRIM_400000_NS6detail31init_lookback_scan_state_kernelINS1_19lookback_scan_stateImLb0ELb1EEENS1_16block_id_wrapperIjLb1EEEEEvT_jT0_jPNS7_10value_typeE.kd
    .uniform_work_group_size: 1
    .uses_dynamic_stack: false
    .vgpr_count:     8
    .vgpr_spill_count: 0
    .wavefront_size: 32
    .workgroup_processor_mode: 1
  - .args:
      - .offset:         0
        .size:           136
        .value_kind:     by_value
    .group_segment_fixed_size: 0
    .kernarg_segment_align: 8
    .kernarg_segment_size: 136
    .language:       OpenCL C
    .language_version:
      - 2
      - 0
    .max_flat_workgroup_size: 128
    .name:           _ZN7rocprim17ROCPRIM_400000_NS6detail17trampoline_kernelINS0_14default_configENS1_25partition_config_selectorILNS1_17partition_subalgoE5ElNS0_10empty_typeEbEEZZNS1_14partition_implILS5_5ELb0ES3_mN6hipcub16HIPCUB_304000_NS21CountingInputIteratorIllEEPS6_NSA_22TransformInputIteratorIbN2at6native12_GLOBAL__N_19NonZeroOpIhEEPKhlEENS0_5tupleIJPlS6_EEENSN_IJSD_SD_EEES6_PiJS6_EEE10hipError_tPvRmT3_T4_T5_T6_T7_T9_mT8_P12ihipStream_tbDpT10_ENKUlT_T0_E_clISt17integral_constantIbLb0EES1A_IbLb1EEEEDaS16_S17_EUlS16_E_NS1_11comp_targetILNS1_3genE0ELNS1_11target_archE4294967295ELNS1_3gpuE0ELNS1_3repE0EEENS1_30default_config_static_selectorELNS0_4arch9wavefront6targetE0EEEvT1_
    .private_segment_fixed_size: 0
    .sgpr_count:     0
    .sgpr_spill_count: 0
    .symbol:         _ZN7rocprim17ROCPRIM_400000_NS6detail17trampoline_kernelINS0_14default_configENS1_25partition_config_selectorILNS1_17partition_subalgoE5ElNS0_10empty_typeEbEEZZNS1_14partition_implILS5_5ELb0ES3_mN6hipcub16HIPCUB_304000_NS21CountingInputIteratorIllEEPS6_NSA_22TransformInputIteratorIbN2at6native12_GLOBAL__N_19NonZeroOpIhEEPKhlEENS0_5tupleIJPlS6_EEENSN_IJSD_SD_EEES6_PiJS6_EEE10hipError_tPvRmT3_T4_T5_T6_T7_T9_mT8_P12ihipStream_tbDpT10_ENKUlT_T0_E_clISt17integral_constantIbLb0EES1A_IbLb1EEEEDaS16_S17_EUlS16_E_NS1_11comp_targetILNS1_3genE0ELNS1_11target_archE4294967295ELNS1_3gpuE0ELNS1_3repE0EEENS1_30default_config_static_selectorELNS0_4arch9wavefront6targetE0EEEvT1_.kd
    .uniform_work_group_size: 1
    .uses_dynamic_stack: false
    .vgpr_count:     0
    .vgpr_spill_count: 0
    .wavefront_size: 32
    .workgroup_processor_mode: 1
  - .args:
      - .offset:         0
        .size:           136
        .value_kind:     by_value
    .group_segment_fixed_size: 0
    .kernarg_segment_align: 8
    .kernarg_segment_size: 136
    .language:       OpenCL C
    .language_version:
      - 2
      - 0
    .max_flat_workgroup_size: 512
    .name:           _ZN7rocprim17ROCPRIM_400000_NS6detail17trampoline_kernelINS0_14default_configENS1_25partition_config_selectorILNS1_17partition_subalgoE5ElNS0_10empty_typeEbEEZZNS1_14partition_implILS5_5ELb0ES3_mN6hipcub16HIPCUB_304000_NS21CountingInputIteratorIllEEPS6_NSA_22TransformInputIteratorIbN2at6native12_GLOBAL__N_19NonZeroOpIhEEPKhlEENS0_5tupleIJPlS6_EEENSN_IJSD_SD_EEES6_PiJS6_EEE10hipError_tPvRmT3_T4_T5_T6_T7_T9_mT8_P12ihipStream_tbDpT10_ENKUlT_T0_E_clISt17integral_constantIbLb0EES1A_IbLb1EEEEDaS16_S17_EUlS16_E_NS1_11comp_targetILNS1_3genE5ELNS1_11target_archE942ELNS1_3gpuE9ELNS1_3repE0EEENS1_30default_config_static_selectorELNS0_4arch9wavefront6targetE0EEEvT1_
    .private_segment_fixed_size: 0
    .sgpr_count:     0
    .sgpr_spill_count: 0
    .symbol:         _ZN7rocprim17ROCPRIM_400000_NS6detail17trampoline_kernelINS0_14default_configENS1_25partition_config_selectorILNS1_17partition_subalgoE5ElNS0_10empty_typeEbEEZZNS1_14partition_implILS5_5ELb0ES3_mN6hipcub16HIPCUB_304000_NS21CountingInputIteratorIllEEPS6_NSA_22TransformInputIteratorIbN2at6native12_GLOBAL__N_19NonZeroOpIhEEPKhlEENS0_5tupleIJPlS6_EEENSN_IJSD_SD_EEES6_PiJS6_EEE10hipError_tPvRmT3_T4_T5_T6_T7_T9_mT8_P12ihipStream_tbDpT10_ENKUlT_T0_E_clISt17integral_constantIbLb0EES1A_IbLb1EEEEDaS16_S17_EUlS16_E_NS1_11comp_targetILNS1_3genE5ELNS1_11target_archE942ELNS1_3gpuE9ELNS1_3repE0EEENS1_30default_config_static_selectorELNS0_4arch9wavefront6targetE0EEEvT1_.kd
    .uniform_work_group_size: 1
    .uses_dynamic_stack: false
    .vgpr_count:     0
    .vgpr_spill_count: 0
    .wavefront_size: 32
    .workgroup_processor_mode: 1
  - .args:
      - .offset:         0
        .size:           136
        .value_kind:     by_value
    .group_segment_fixed_size: 0
    .kernarg_segment_align: 8
    .kernarg_segment_size: 136
    .language:       OpenCL C
    .language_version:
      - 2
      - 0
    .max_flat_workgroup_size: 192
    .name:           _ZN7rocprim17ROCPRIM_400000_NS6detail17trampoline_kernelINS0_14default_configENS1_25partition_config_selectorILNS1_17partition_subalgoE5ElNS0_10empty_typeEbEEZZNS1_14partition_implILS5_5ELb0ES3_mN6hipcub16HIPCUB_304000_NS21CountingInputIteratorIllEEPS6_NSA_22TransformInputIteratorIbN2at6native12_GLOBAL__N_19NonZeroOpIhEEPKhlEENS0_5tupleIJPlS6_EEENSN_IJSD_SD_EEES6_PiJS6_EEE10hipError_tPvRmT3_T4_T5_T6_T7_T9_mT8_P12ihipStream_tbDpT10_ENKUlT_T0_E_clISt17integral_constantIbLb0EES1A_IbLb1EEEEDaS16_S17_EUlS16_E_NS1_11comp_targetILNS1_3genE4ELNS1_11target_archE910ELNS1_3gpuE8ELNS1_3repE0EEENS1_30default_config_static_selectorELNS0_4arch9wavefront6targetE0EEEvT1_
    .private_segment_fixed_size: 0
    .sgpr_count:     0
    .sgpr_spill_count: 0
    .symbol:         _ZN7rocprim17ROCPRIM_400000_NS6detail17trampoline_kernelINS0_14default_configENS1_25partition_config_selectorILNS1_17partition_subalgoE5ElNS0_10empty_typeEbEEZZNS1_14partition_implILS5_5ELb0ES3_mN6hipcub16HIPCUB_304000_NS21CountingInputIteratorIllEEPS6_NSA_22TransformInputIteratorIbN2at6native12_GLOBAL__N_19NonZeroOpIhEEPKhlEENS0_5tupleIJPlS6_EEENSN_IJSD_SD_EEES6_PiJS6_EEE10hipError_tPvRmT3_T4_T5_T6_T7_T9_mT8_P12ihipStream_tbDpT10_ENKUlT_T0_E_clISt17integral_constantIbLb0EES1A_IbLb1EEEEDaS16_S17_EUlS16_E_NS1_11comp_targetILNS1_3genE4ELNS1_11target_archE910ELNS1_3gpuE8ELNS1_3repE0EEENS1_30default_config_static_selectorELNS0_4arch9wavefront6targetE0EEEvT1_.kd
    .uniform_work_group_size: 1
    .uses_dynamic_stack: false
    .vgpr_count:     0
    .vgpr_spill_count: 0
    .wavefront_size: 32
    .workgroup_processor_mode: 1
  - .args:
      - .offset:         0
        .size:           136
        .value_kind:     by_value
    .group_segment_fixed_size: 0
    .kernarg_segment_align: 8
    .kernarg_segment_size: 136
    .language:       OpenCL C
    .language_version:
      - 2
      - 0
    .max_flat_workgroup_size: 128
    .name:           _ZN7rocprim17ROCPRIM_400000_NS6detail17trampoline_kernelINS0_14default_configENS1_25partition_config_selectorILNS1_17partition_subalgoE5ElNS0_10empty_typeEbEEZZNS1_14partition_implILS5_5ELb0ES3_mN6hipcub16HIPCUB_304000_NS21CountingInputIteratorIllEEPS6_NSA_22TransformInputIteratorIbN2at6native12_GLOBAL__N_19NonZeroOpIhEEPKhlEENS0_5tupleIJPlS6_EEENSN_IJSD_SD_EEES6_PiJS6_EEE10hipError_tPvRmT3_T4_T5_T6_T7_T9_mT8_P12ihipStream_tbDpT10_ENKUlT_T0_E_clISt17integral_constantIbLb0EES1A_IbLb1EEEEDaS16_S17_EUlS16_E_NS1_11comp_targetILNS1_3genE3ELNS1_11target_archE908ELNS1_3gpuE7ELNS1_3repE0EEENS1_30default_config_static_selectorELNS0_4arch9wavefront6targetE0EEEvT1_
    .private_segment_fixed_size: 0
    .sgpr_count:     0
    .sgpr_spill_count: 0
    .symbol:         _ZN7rocprim17ROCPRIM_400000_NS6detail17trampoline_kernelINS0_14default_configENS1_25partition_config_selectorILNS1_17partition_subalgoE5ElNS0_10empty_typeEbEEZZNS1_14partition_implILS5_5ELb0ES3_mN6hipcub16HIPCUB_304000_NS21CountingInputIteratorIllEEPS6_NSA_22TransformInputIteratorIbN2at6native12_GLOBAL__N_19NonZeroOpIhEEPKhlEENS0_5tupleIJPlS6_EEENSN_IJSD_SD_EEES6_PiJS6_EEE10hipError_tPvRmT3_T4_T5_T6_T7_T9_mT8_P12ihipStream_tbDpT10_ENKUlT_T0_E_clISt17integral_constantIbLb0EES1A_IbLb1EEEEDaS16_S17_EUlS16_E_NS1_11comp_targetILNS1_3genE3ELNS1_11target_archE908ELNS1_3gpuE7ELNS1_3repE0EEENS1_30default_config_static_selectorELNS0_4arch9wavefront6targetE0EEEvT1_.kd
    .uniform_work_group_size: 1
    .uses_dynamic_stack: false
    .vgpr_count:     0
    .vgpr_spill_count: 0
    .wavefront_size: 32
    .workgroup_processor_mode: 1
  - .args:
      - .offset:         0
        .size:           136
        .value_kind:     by_value
    .group_segment_fixed_size: 0
    .kernarg_segment_align: 8
    .kernarg_segment_size: 136
    .language:       OpenCL C
    .language_version:
      - 2
      - 0
    .max_flat_workgroup_size: 256
    .name:           _ZN7rocprim17ROCPRIM_400000_NS6detail17trampoline_kernelINS0_14default_configENS1_25partition_config_selectorILNS1_17partition_subalgoE5ElNS0_10empty_typeEbEEZZNS1_14partition_implILS5_5ELb0ES3_mN6hipcub16HIPCUB_304000_NS21CountingInputIteratorIllEEPS6_NSA_22TransformInputIteratorIbN2at6native12_GLOBAL__N_19NonZeroOpIhEEPKhlEENS0_5tupleIJPlS6_EEENSN_IJSD_SD_EEES6_PiJS6_EEE10hipError_tPvRmT3_T4_T5_T6_T7_T9_mT8_P12ihipStream_tbDpT10_ENKUlT_T0_E_clISt17integral_constantIbLb0EES1A_IbLb1EEEEDaS16_S17_EUlS16_E_NS1_11comp_targetILNS1_3genE2ELNS1_11target_archE906ELNS1_3gpuE6ELNS1_3repE0EEENS1_30default_config_static_selectorELNS0_4arch9wavefront6targetE0EEEvT1_
    .private_segment_fixed_size: 0
    .sgpr_count:     0
    .sgpr_spill_count: 0
    .symbol:         _ZN7rocprim17ROCPRIM_400000_NS6detail17trampoline_kernelINS0_14default_configENS1_25partition_config_selectorILNS1_17partition_subalgoE5ElNS0_10empty_typeEbEEZZNS1_14partition_implILS5_5ELb0ES3_mN6hipcub16HIPCUB_304000_NS21CountingInputIteratorIllEEPS6_NSA_22TransformInputIteratorIbN2at6native12_GLOBAL__N_19NonZeroOpIhEEPKhlEENS0_5tupleIJPlS6_EEENSN_IJSD_SD_EEES6_PiJS6_EEE10hipError_tPvRmT3_T4_T5_T6_T7_T9_mT8_P12ihipStream_tbDpT10_ENKUlT_T0_E_clISt17integral_constantIbLb0EES1A_IbLb1EEEEDaS16_S17_EUlS16_E_NS1_11comp_targetILNS1_3genE2ELNS1_11target_archE906ELNS1_3gpuE6ELNS1_3repE0EEENS1_30default_config_static_selectorELNS0_4arch9wavefront6targetE0EEEvT1_.kd
    .uniform_work_group_size: 1
    .uses_dynamic_stack: false
    .vgpr_count:     0
    .vgpr_spill_count: 0
    .wavefront_size: 32
    .workgroup_processor_mode: 1
  - .args:
      - .offset:         0
        .size:           136
        .value_kind:     by_value
    .group_segment_fixed_size: 8464
    .kernarg_segment_align: 8
    .kernarg_segment_size: 136
    .language:       OpenCL C
    .language_version:
      - 2
      - 0
    .max_flat_workgroup_size: 256
    .name:           _ZN7rocprim17ROCPRIM_400000_NS6detail17trampoline_kernelINS0_14default_configENS1_25partition_config_selectorILNS1_17partition_subalgoE5ElNS0_10empty_typeEbEEZZNS1_14partition_implILS5_5ELb0ES3_mN6hipcub16HIPCUB_304000_NS21CountingInputIteratorIllEEPS6_NSA_22TransformInputIteratorIbN2at6native12_GLOBAL__N_19NonZeroOpIhEEPKhlEENS0_5tupleIJPlS6_EEENSN_IJSD_SD_EEES6_PiJS6_EEE10hipError_tPvRmT3_T4_T5_T6_T7_T9_mT8_P12ihipStream_tbDpT10_ENKUlT_T0_E_clISt17integral_constantIbLb0EES1A_IbLb1EEEEDaS16_S17_EUlS16_E_NS1_11comp_targetILNS1_3genE10ELNS1_11target_archE1200ELNS1_3gpuE4ELNS1_3repE0EEENS1_30default_config_static_selectorELNS0_4arch9wavefront6targetE0EEEvT1_
    .private_segment_fixed_size: 0
    .sgpr_count:     26
    .sgpr_spill_count: 0
    .symbol:         _ZN7rocprim17ROCPRIM_400000_NS6detail17trampoline_kernelINS0_14default_configENS1_25partition_config_selectorILNS1_17partition_subalgoE5ElNS0_10empty_typeEbEEZZNS1_14partition_implILS5_5ELb0ES3_mN6hipcub16HIPCUB_304000_NS21CountingInputIteratorIllEEPS6_NSA_22TransformInputIteratorIbN2at6native12_GLOBAL__N_19NonZeroOpIhEEPKhlEENS0_5tupleIJPlS6_EEENSN_IJSD_SD_EEES6_PiJS6_EEE10hipError_tPvRmT3_T4_T5_T6_T7_T9_mT8_P12ihipStream_tbDpT10_ENKUlT_T0_E_clISt17integral_constantIbLb0EES1A_IbLb1EEEEDaS16_S17_EUlS16_E_NS1_11comp_targetILNS1_3genE10ELNS1_11target_archE1200ELNS1_3gpuE4ELNS1_3repE0EEENS1_30default_config_static_selectorELNS0_4arch9wavefront6targetE0EEEvT1_.kd
    .uniform_work_group_size: 1
    .uses_dynamic_stack: false
    .vgpr_count:     48
    .vgpr_spill_count: 0
    .wavefront_size: 32
    .workgroup_processor_mode: 1
  - .args:
      - .offset:         0
        .size:           136
        .value_kind:     by_value
    .group_segment_fixed_size: 0
    .kernarg_segment_align: 8
    .kernarg_segment_size: 136
    .language:       OpenCL C
    .language_version:
      - 2
      - 0
    .max_flat_workgroup_size: 128
    .name:           _ZN7rocprim17ROCPRIM_400000_NS6detail17trampoline_kernelINS0_14default_configENS1_25partition_config_selectorILNS1_17partition_subalgoE5ElNS0_10empty_typeEbEEZZNS1_14partition_implILS5_5ELb0ES3_mN6hipcub16HIPCUB_304000_NS21CountingInputIteratorIllEEPS6_NSA_22TransformInputIteratorIbN2at6native12_GLOBAL__N_19NonZeroOpIhEEPKhlEENS0_5tupleIJPlS6_EEENSN_IJSD_SD_EEES6_PiJS6_EEE10hipError_tPvRmT3_T4_T5_T6_T7_T9_mT8_P12ihipStream_tbDpT10_ENKUlT_T0_E_clISt17integral_constantIbLb0EES1A_IbLb1EEEEDaS16_S17_EUlS16_E_NS1_11comp_targetILNS1_3genE9ELNS1_11target_archE1100ELNS1_3gpuE3ELNS1_3repE0EEENS1_30default_config_static_selectorELNS0_4arch9wavefront6targetE0EEEvT1_
    .private_segment_fixed_size: 0
    .sgpr_count:     0
    .sgpr_spill_count: 0
    .symbol:         _ZN7rocprim17ROCPRIM_400000_NS6detail17trampoline_kernelINS0_14default_configENS1_25partition_config_selectorILNS1_17partition_subalgoE5ElNS0_10empty_typeEbEEZZNS1_14partition_implILS5_5ELb0ES3_mN6hipcub16HIPCUB_304000_NS21CountingInputIteratorIllEEPS6_NSA_22TransformInputIteratorIbN2at6native12_GLOBAL__N_19NonZeroOpIhEEPKhlEENS0_5tupleIJPlS6_EEENSN_IJSD_SD_EEES6_PiJS6_EEE10hipError_tPvRmT3_T4_T5_T6_T7_T9_mT8_P12ihipStream_tbDpT10_ENKUlT_T0_E_clISt17integral_constantIbLb0EES1A_IbLb1EEEEDaS16_S17_EUlS16_E_NS1_11comp_targetILNS1_3genE9ELNS1_11target_archE1100ELNS1_3gpuE3ELNS1_3repE0EEENS1_30default_config_static_selectorELNS0_4arch9wavefront6targetE0EEEvT1_.kd
    .uniform_work_group_size: 1
    .uses_dynamic_stack: false
    .vgpr_count:     0
    .vgpr_spill_count: 0
    .wavefront_size: 32
    .workgroup_processor_mode: 1
  - .args:
      - .offset:         0
        .size:           136
        .value_kind:     by_value
    .group_segment_fixed_size: 0
    .kernarg_segment_align: 8
    .kernarg_segment_size: 136
    .language:       OpenCL C
    .language_version:
      - 2
      - 0
    .max_flat_workgroup_size: 512
    .name:           _ZN7rocprim17ROCPRIM_400000_NS6detail17trampoline_kernelINS0_14default_configENS1_25partition_config_selectorILNS1_17partition_subalgoE5ElNS0_10empty_typeEbEEZZNS1_14partition_implILS5_5ELb0ES3_mN6hipcub16HIPCUB_304000_NS21CountingInputIteratorIllEEPS6_NSA_22TransformInputIteratorIbN2at6native12_GLOBAL__N_19NonZeroOpIhEEPKhlEENS0_5tupleIJPlS6_EEENSN_IJSD_SD_EEES6_PiJS6_EEE10hipError_tPvRmT3_T4_T5_T6_T7_T9_mT8_P12ihipStream_tbDpT10_ENKUlT_T0_E_clISt17integral_constantIbLb0EES1A_IbLb1EEEEDaS16_S17_EUlS16_E_NS1_11comp_targetILNS1_3genE8ELNS1_11target_archE1030ELNS1_3gpuE2ELNS1_3repE0EEENS1_30default_config_static_selectorELNS0_4arch9wavefront6targetE0EEEvT1_
    .private_segment_fixed_size: 0
    .sgpr_count:     0
    .sgpr_spill_count: 0
    .symbol:         _ZN7rocprim17ROCPRIM_400000_NS6detail17trampoline_kernelINS0_14default_configENS1_25partition_config_selectorILNS1_17partition_subalgoE5ElNS0_10empty_typeEbEEZZNS1_14partition_implILS5_5ELb0ES3_mN6hipcub16HIPCUB_304000_NS21CountingInputIteratorIllEEPS6_NSA_22TransformInputIteratorIbN2at6native12_GLOBAL__N_19NonZeroOpIhEEPKhlEENS0_5tupleIJPlS6_EEENSN_IJSD_SD_EEES6_PiJS6_EEE10hipError_tPvRmT3_T4_T5_T6_T7_T9_mT8_P12ihipStream_tbDpT10_ENKUlT_T0_E_clISt17integral_constantIbLb0EES1A_IbLb1EEEEDaS16_S17_EUlS16_E_NS1_11comp_targetILNS1_3genE8ELNS1_11target_archE1030ELNS1_3gpuE2ELNS1_3repE0EEENS1_30default_config_static_selectorELNS0_4arch9wavefront6targetE0EEEvT1_.kd
    .uniform_work_group_size: 1
    .uses_dynamic_stack: false
    .vgpr_count:     0
    .vgpr_spill_count: 0
    .wavefront_size: 32
    .workgroup_processor_mode: 1
  - .args:
      - .address_space:  global
        .offset:         0
        .size:           8
        .value_kind:     global_buffer
      - .offset:         8
        .size:           128
        .value_kind:     by_value
      - .offset:         136
        .size:           4
        .value_kind:     by_value
      - .offset:         144
        .size:           8
        .value_kind:     by_value
      - .address_space:  global
        .offset:         152
        .size:           8
        .value_kind:     global_buffer
      - .offset:         160
        .size:           8
        .value_kind:     by_value
      - .offset:         168
        .size:           4
        .value_kind:     hidden_block_count_x
      - .offset:         172
        .size:           4
        .value_kind:     hidden_block_count_y
      - .offset:         176
        .size:           4
        .value_kind:     hidden_block_count_z
      - .offset:         180
        .size:           2
        .value_kind:     hidden_group_size_x
      - .offset:         182
        .size:           2
        .value_kind:     hidden_group_size_y
      - .offset:         184
        .size:           2
        .value_kind:     hidden_group_size_z
      - .offset:         186
        .size:           2
        .value_kind:     hidden_remainder_x
      - .offset:         188
        .size:           2
        .value_kind:     hidden_remainder_y
      - .offset:         190
        .size:           2
        .value_kind:     hidden_remainder_z
      - .offset:         208
        .size:           8
        .value_kind:     hidden_global_offset_x
      - .offset:         216
        .size:           8
        .value_kind:     hidden_global_offset_y
      - .offset:         224
        .size:           8
        .value_kind:     hidden_global_offset_z
      - .offset:         232
        .size:           2
        .value_kind:     hidden_grid_dims
    .group_segment_fixed_size: 0
    .kernarg_segment_align: 8
    .kernarg_segment_size: 424
    .language:       OpenCL C
    .language_version:
      - 2
      - 0
    .max_flat_workgroup_size: 1024
    .name:           _ZN2at6native12_GLOBAL__N_113write_indicesIlEEvPlNS1_10TensorDimsIT_EEiS5_S3_l
    .private_segment_fixed_size: 0
    .sgpr_count:     28
    .sgpr_spill_count: 0
    .symbol:         _ZN2at6native12_GLOBAL__N_113write_indicesIlEEvPlNS1_10TensorDimsIT_EEiS5_S3_l.kd
    .uniform_work_group_size: 1
    .uses_dynamic_stack: false
    .vgpr_count:     15
    .vgpr_spill_count: 0
    .wavefront_size: 32
    .workgroup_processor_mode: 1
  - .args:
      - .offset:         0
        .size:           56
        .value_kind:     by_value
    .group_segment_fixed_size: 0
    .kernarg_segment_align: 8
    .kernarg_segment_size: 56
    .language:       OpenCL C
    .language_version:
      - 2
      - 0
    .max_flat_workgroup_size: 256
    .name:           _ZN7rocprim17ROCPRIM_400000_NS6detail17trampoline_kernelINS0_14default_configENS1_22reduce_config_selectorIiEEZNS1_11reduce_implILb1ES3_PiS7_iN6hipcub16HIPCUB_304000_NS6detail34convert_binary_result_type_wrapperINS9_3SumENS9_22TransformInputIteratorIbN2at6native12_GLOBAL__N_19NonZeroOpIaEEPKalEEiEEEE10hipError_tPvRmT1_T2_T3_mT4_P12ihipStream_tbEUlT_E0_NS1_11comp_targetILNS1_3genE0ELNS1_11target_archE4294967295ELNS1_3gpuE0ELNS1_3repE0EEENS1_30default_config_static_selectorELNS0_4arch9wavefront6targetE0EEEvSQ_
    .private_segment_fixed_size: 0
    .sgpr_count:     0
    .sgpr_spill_count: 0
    .symbol:         _ZN7rocprim17ROCPRIM_400000_NS6detail17trampoline_kernelINS0_14default_configENS1_22reduce_config_selectorIiEEZNS1_11reduce_implILb1ES3_PiS7_iN6hipcub16HIPCUB_304000_NS6detail34convert_binary_result_type_wrapperINS9_3SumENS9_22TransformInputIteratorIbN2at6native12_GLOBAL__N_19NonZeroOpIaEEPKalEEiEEEE10hipError_tPvRmT1_T2_T3_mT4_P12ihipStream_tbEUlT_E0_NS1_11comp_targetILNS1_3genE0ELNS1_11target_archE4294967295ELNS1_3gpuE0ELNS1_3repE0EEENS1_30default_config_static_selectorELNS0_4arch9wavefront6targetE0EEEvSQ_.kd
    .uniform_work_group_size: 1
    .uses_dynamic_stack: false
    .vgpr_count:     0
    .vgpr_spill_count: 0
    .wavefront_size: 32
    .workgroup_processor_mode: 1
  - .args:
      - .offset:         0
        .size:           56
        .value_kind:     by_value
    .group_segment_fixed_size: 0
    .kernarg_segment_align: 8
    .kernarg_segment_size: 56
    .language:       OpenCL C
    .language_version:
      - 2
      - 0
    .max_flat_workgroup_size: 256
    .name:           _ZN7rocprim17ROCPRIM_400000_NS6detail17trampoline_kernelINS0_14default_configENS1_22reduce_config_selectorIiEEZNS1_11reduce_implILb1ES3_PiS7_iN6hipcub16HIPCUB_304000_NS6detail34convert_binary_result_type_wrapperINS9_3SumENS9_22TransformInputIteratorIbN2at6native12_GLOBAL__N_19NonZeroOpIaEEPKalEEiEEEE10hipError_tPvRmT1_T2_T3_mT4_P12ihipStream_tbEUlT_E0_NS1_11comp_targetILNS1_3genE5ELNS1_11target_archE942ELNS1_3gpuE9ELNS1_3repE0EEENS1_30default_config_static_selectorELNS0_4arch9wavefront6targetE0EEEvSQ_
    .private_segment_fixed_size: 0
    .sgpr_count:     0
    .sgpr_spill_count: 0
    .symbol:         _ZN7rocprim17ROCPRIM_400000_NS6detail17trampoline_kernelINS0_14default_configENS1_22reduce_config_selectorIiEEZNS1_11reduce_implILb1ES3_PiS7_iN6hipcub16HIPCUB_304000_NS6detail34convert_binary_result_type_wrapperINS9_3SumENS9_22TransformInputIteratorIbN2at6native12_GLOBAL__N_19NonZeroOpIaEEPKalEEiEEEE10hipError_tPvRmT1_T2_T3_mT4_P12ihipStream_tbEUlT_E0_NS1_11comp_targetILNS1_3genE5ELNS1_11target_archE942ELNS1_3gpuE9ELNS1_3repE0EEENS1_30default_config_static_selectorELNS0_4arch9wavefront6targetE0EEEvSQ_.kd
    .uniform_work_group_size: 1
    .uses_dynamic_stack: false
    .vgpr_count:     0
    .vgpr_spill_count: 0
    .wavefront_size: 32
    .workgroup_processor_mode: 1
  - .args:
      - .offset:         0
        .size:           56
        .value_kind:     by_value
    .group_segment_fixed_size: 0
    .kernarg_segment_align: 8
    .kernarg_segment_size: 56
    .language:       OpenCL C
    .language_version:
      - 2
      - 0
    .max_flat_workgroup_size: 128
    .name:           _ZN7rocprim17ROCPRIM_400000_NS6detail17trampoline_kernelINS0_14default_configENS1_22reduce_config_selectorIiEEZNS1_11reduce_implILb1ES3_PiS7_iN6hipcub16HIPCUB_304000_NS6detail34convert_binary_result_type_wrapperINS9_3SumENS9_22TransformInputIteratorIbN2at6native12_GLOBAL__N_19NonZeroOpIaEEPKalEEiEEEE10hipError_tPvRmT1_T2_T3_mT4_P12ihipStream_tbEUlT_E0_NS1_11comp_targetILNS1_3genE4ELNS1_11target_archE910ELNS1_3gpuE8ELNS1_3repE0EEENS1_30default_config_static_selectorELNS0_4arch9wavefront6targetE0EEEvSQ_
    .private_segment_fixed_size: 0
    .sgpr_count:     0
    .sgpr_spill_count: 0
    .symbol:         _ZN7rocprim17ROCPRIM_400000_NS6detail17trampoline_kernelINS0_14default_configENS1_22reduce_config_selectorIiEEZNS1_11reduce_implILb1ES3_PiS7_iN6hipcub16HIPCUB_304000_NS6detail34convert_binary_result_type_wrapperINS9_3SumENS9_22TransformInputIteratorIbN2at6native12_GLOBAL__N_19NonZeroOpIaEEPKalEEiEEEE10hipError_tPvRmT1_T2_T3_mT4_P12ihipStream_tbEUlT_E0_NS1_11comp_targetILNS1_3genE4ELNS1_11target_archE910ELNS1_3gpuE8ELNS1_3repE0EEENS1_30default_config_static_selectorELNS0_4arch9wavefront6targetE0EEEvSQ_.kd
    .uniform_work_group_size: 1
    .uses_dynamic_stack: false
    .vgpr_count:     0
    .vgpr_spill_count: 0
    .wavefront_size: 32
    .workgroup_processor_mode: 1
  - .args:
      - .offset:         0
        .size:           56
        .value_kind:     by_value
    .group_segment_fixed_size: 0
    .kernarg_segment_align: 8
    .kernarg_segment_size: 56
    .language:       OpenCL C
    .language_version:
      - 2
      - 0
    .max_flat_workgroup_size: 256
    .name:           _ZN7rocprim17ROCPRIM_400000_NS6detail17trampoline_kernelINS0_14default_configENS1_22reduce_config_selectorIiEEZNS1_11reduce_implILb1ES3_PiS7_iN6hipcub16HIPCUB_304000_NS6detail34convert_binary_result_type_wrapperINS9_3SumENS9_22TransformInputIteratorIbN2at6native12_GLOBAL__N_19NonZeroOpIaEEPKalEEiEEEE10hipError_tPvRmT1_T2_T3_mT4_P12ihipStream_tbEUlT_E0_NS1_11comp_targetILNS1_3genE3ELNS1_11target_archE908ELNS1_3gpuE7ELNS1_3repE0EEENS1_30default_config_static_selectorELNS0_4arch9wavefront6targetE0EEEvSQ_
    .private_segment_fixed_size: 0
    .sgpr_count:     0
    .sgpr_spill_count: 0
    .symbol:         _ZN7rocprim17ROCPRIM_400000_NS6detail17trampoline_kernelINS0_14default_configENS1_22reduce_config_selectorIiEEZNS1_11reduce_implILb1ES3_PiS7_iN6hipcub16HIPCUB_304000_NS6detail34convert_binary_result_type_wrapperINS9_3SumENS9_22TransformInputIteratorIbN2at6native12_GLOBAL__N_19NonZeroOpIaEEPKalEEiEEEE10hipError_tPvRmT1_T2_T3_mT4_P12ihipStream_tbEUlT_E0_NS1_11comp_targetILNS1_3genE3ELNS1_11target_archE908ELNS1_3gpuE7ELNS1_3repE0EEENS1_30default_config_static_selectorELNS0_4arch9wavefront6targetE0EEEvSQ_.kd
    .uniform_work_group_size: 1
    .uses_dynamic_stack: false
    .vgpr_count:     0
    .vgpr_spill_count: 0
    .wavefront_size: 32
    .workgroup_processor_mode: 1
  - .args:
      - .offset:         0
        .size:           56
        .value_kind:     by_value
    .group_segment_fixed_size: 0
    .kernarg_segment_align: 8
    .kernarg_segment_size: 56
    .language:       OpenCL C
    .language_version:
      - 2
      - 0
    .max_flat_workgroup_size: 256
    .name:           _ZN7rocprim17ROCPRIM_400000_NS6detail17trampoline_kernelINS0_14default_configENS1_22reduce_config_selectorIiEEZNS1_11reduce_implILb1ES3_PiS7_iN6hipcub16HIPCUB_304000_NS6detail34convert_binary_result_type_wrapperINS9_3SumENS9_22TransformInputIteratorIbN2at6native12_GLOBAL__N_19NonZeroOpIaEEPKalEEiEEEE10hipError_tPvRmT1_T2_T3_mT4_P12ihipStream_tbEUlT_E0_NS1_11comp_targetILNS1_3genE2ELNS1_11target_archE906ELNS1_3gpuE6ELNS1_3repE0EEENS1_30default_config_static_selectorELNS0_4arch9wavefront6targetE0EEEvSQ_
    .private_segment_fixed_size: 0
    .sgpr_count:     0
    .sgpr_spill_count: 0
    .symbol:         _ZN7rocprim17ROCPRIM_400000_NS6detail17trampoline_kernelINS0_14default_configENS1_22reduce_config_selectorIiEEZNS1_11reduce_implILb1ES3_PiS7_iN6hipcub16HIPCUB_304000_NS6detail34convert_binary_result_type_wrapperINS9_3SumENS9_22TransformInputIteratorIbN2at6native12_GLOBAL__N_19NonZeroOpIaEEPKalEEiEEEE10hipError_tPvRmT1_T2_T3_mT4_P12ihipStream_tbEUlT_E0_NS1_11comp_targetILNS1_3genE2ELNS1_11target_archE906ELNS1_3gpuE6ELNS1_3repE0EEENS1_30default_config_static_selectorELNS0_4arch9wavefront6targetE0EEEvSQ_.kd
    .uniform_work_group_size: 1
    .uses_dynamic_stack: false
    .vgpr_count:     0
    .vgpr_spill_count: 0
    .wavefront_size: 32
    .workgroup_processor_mode: 1
  - .args:
      - .offset:         0
        .size:           56
        .value_kind:     by_value
    .group_segment_fixed_size: 64
    .kernarg_segment_align: 8
    .kernarg_segment_size: 56
    .language:       OpenCL C
    .language_version:
      - 2
      - 0
    .max_flat_workgroup_size: 256
    .name:           _ZN7rocprim17ROCPRIM_400000_NS6detail17trampoline_kernelINS0_14default_configENS1_22reduce_config_selectorIiEEZNS1_11reduce_implILb1ES3_PiS7_iN6hipcub16HIPCUB_304000_NS6detail34convert_binary_result_type_wrapperINS9_3SumENS9_22TransformInputIteratorIbN2at6native12_GLOBAL__N_19NonZeroOpIaEEPKalEEiEEEE10hipError_tPvRmT1_T2_T3_mT4_P12ihipStream_tbEUlT_E0_NS1_11comp_targetILNS1_3genE10ELNS1_11target_archE1201ELNS1_3gpuE5ELNS1_3repE0EEENS1_30default_config_static_selectorELNS0_4arch9wavefront6targetE0EEEvSQ_
    .private_segment_fixed_size: 0
    .sgpr_count:     32
    .sgpr_spill_count: 0
    .symbol:         _ZN7rocprim17ROCPRIM_400000_NS6detail17trampoline_kernelINS0_14default_configENS1_22reduce_config_selectorIiEEZNS1_11reduce_implILb1ES3_PiS7_iN6hipcub16HIPCUB_304000_NS6detail34convert_binary_result_type_wrapperINS9_3SumENS9_22TransformInputIteratorIbN2at6native12_GLOBAL__N_19NonZeroOpIaEEPKalEEiEEEE10hipError_tPvRmT1_T2_T3_mT4_P12ihipStream_tbEUlT_E0_NS1_11comp_targetILNS1_3genE10ELNS1_11target_archE1201ELNS1_3gpuE5ELNS1_3repE0EEENS1_30default_config_static_selectorELNS0_4arch9wavefront6targetE0EEEvSQ_.kd
    .uniform_work_group_size: 1
    .uses_dynamic_stack: false
    .vgpr_count:     20
    .vgpr_spill_count: 0
    .wavefront_size: 32
    .workgroup_processor_mode: 1
  - .args:
      - .offset:         0
        .size:           56
        .value_kind:     by_value
    .group_segment_fixed_size: 0
    .kernarg_segment_align: 8
    .kernarg_segment_size: 56
    .language:       OpenCL C
    .language_version:
      - 2
      - 0
    .max_flat_workgroup_size: 256
    .name:           _ZN7rocprim17ROCPRIM_400000_NS6detail17trampoline_kernelINS0_14default_configENS1_22reduce_config_selectorIiEEZNS1_11reduce_implILb1ES3_PiS7_iN6hipcub16HIPCUB_304000_NS6detail34convert_binary_result_type_wrapperINS9_3SumENS9_22TransformInputIteratorIbN2at6native12_GLOBAL__N_19NonZeroOpIaEEPKalEEiEEEE10hipError_tPvRmT1_T2_T3_mT4_P12ihipStream_tbEUlT_E0_NS1_11comp_targetILNS1_3genE10ELNS1_11target_archE1200ELNS1_3gpuE4ELNS1_3repE0EEENS1_30default_config_static_selectorELNS0_4arch9wavefront6targetE0EEEvSQ_
    .private_segment_fixed_size: 0
    .sgpr_count:     0
    .sgpr_spill_count: 0
    .symbol:         _ZN7rocprim17ROCPRIM_400000_NS6detail17trampoline_kernelINS0_14default_configENS1_22reduce_config_selectorIiEEZNS1_11reduce_implILb1ES3_PiS7_iN6hipcub16HIPCUB_304000_NS6detail34convert_binary_result_type_wrapperINS9_3SumENS9_22TransformInputIteratorIbN2at6native12_GLOBAL__N_19NonZeroOpIaEEPKalEEiEEEE10hipError_tPvRmT1_T2_T3_mT4_P12ihipStream_tbEUlT_E0_NS1_11comp_targetILNS1_3genE10ELNS1_11target_archE1200ELNS1_3gpuE4ELNS1_3repE0EEENS1_30default_config_static_selectorELNS0_4arch9wavefront6targetE0EEEvSQ_.kd
    .uniform_work_group_size: 1
    .uses_dynamic_stack: false
    .vgpr_count:     0
    .vgpr_spill_count: 0
    .wavefront_size: 32
    .workgroup_processor_mode: 1
  - .args:
      - .offset:         0
        .size:           56
        .value_kind:     by_value
    .group_segment_fixed_size: 0
    .kernarg_segment_align: 8
    .kernarg_segment_size: 56
    .language:       OpenCL C
    .language_version:
      - 2
      - 0
    .max_flat_workgroup_size: 256
    .name:           _ZN7rocprim17ROCPRIM_400000_NS6detail17trampoline_kernelINS0_14default_configENS1_22reduce_config_selectorIiEEZNS1_11reduce_implILb1ES3_PiS7_iN6hipcub16HIPCUB_304000_NS6detail34convert_binary_result_type_wrapperINS9_3SumENS9_22TransformInputIteratorIbN2at6native12_GLOBAL__N_19NonZeroOpIaEEPKalEEiEEEE10hipError_tPvRmT1_T2_T3_mT4_P12ihipStream_tbEUlT_E0_NS1_11comp_targetILNS1_3genE9ELNS1_11target_archE1100ELNS1_3gpuE3ELNS1_3repE0EEENS1_30default_config_static_selectorELNS0_4arch9wavefront6targetE0EEEvSQ_
    .private_segment_fixed_size: 0
    .sgpr_count:     0
    .sgpr_spill_count: 0
    .symbol:         _ZN7rocprim17ROCPRIM_400000_NS6detail17trampoline_kernelINS0_14default_configENS1_22reduce_config_selectorIiEEZNS1_11reduce_implILb1ES3_PiS7_iN6hipcub16HIPCUB_304000_NS6detail34convert_binary_result_type_wrapperINS9_3SumENS9_22TransformInputIteratorIbN2at6native12_GLOBAL__N_19NonZeroOpIaEEPKalEEiEEEE10hipError_tPvRmT1_T2_T3_mT4_P12ihipStream_tbEUlT_E0_NS1_11comp_targetILNS1_3genE9ELNS1_11target_archE1100ELNS1_3gpuE3ELNS1_3repE0EEENS1_30default_config_static_selectorELNS0_4arch9wavefront6targetE0EEEvSQ_.kd
    .uniform_work_group_size: 1
    .uses_dynamic_stack: false
    .vgpr_count:     0
    .vgpr_spill_count: 0
    .wavefront_size: 32
    .workgroup_processor_mode: 1
  - .args:
      - .offset:         0
        .size:           56
        .value_kind:     by_value
    .group_segment_fixed_size: 0
    .kernarg_segment_align: 8
    .kernarg_segment_size: 56
    .language:       OpenCL C
    .language_version:
      - 2
      - 0
    .max_flat_workgroup_size: 256
    .name:           _ZN7rocprim17ROCPRIM_400000_NS6detail17trampoline_kernelINS0_14default_configENS1_22reduce_config_selectorIiEEZNS1_11reduce_implILb1ES3_PiS7_iN6hipcub16HIPCUB_304000_NS6detail34convert_binary_result_type_wrapperINS9_3SumENS9_22TransformInputIteratorIbN2at6native12_GLOBAL__N_19NonZeroOpIaEEPKalEEiEEEE10hipError_tPvRmT1_T2_T3_mT4_P12ihipStream_tbEUlT_E0_NS1_11comp_targetILNS1_3genE8ELNS1_11target_archE1030ELNS1_3gpuE2ELNS1_3repE0EEENS1_30default_config_static_selectorELNS0_4arch9wavefront6targetE0EEEvSQ_
    .private_segment_fixed_size: 0
    .sgpr_count:     0
    .sgpr_spill_count: 0
    .symbol:         _ZN7rocprim17ROCPRIM_400000_NS6detail17trampoline_kernelINS0_14default_configENS1_22reduce_config_selectorIiEEZNS1_11reduce_implILb1ES3_PiS7_iN6hipcub16HIPCUB_304000_NS6detail34convert_binary_result_type_wrapperINS9_3SumENS9_22TransformInputIteratorIbN2at6native12_GLOBAL__N_19NonZeroOpIaEEPKalEEiEEEE10hipError_tPvRmT1_T2_T3_mT4_P12ihipStream_tbEUlT_E0_NS1_11comp_targetILNS1_3genE8ELNS1_11target_archE1030ELNS1_3gpuE2ELNS1_3repE0EEENS1_30default_config_static_selectorELNS0_4arch9wavefront6targetE0EEEvSQ_.kd
    .uniform_work_group_size: 1
    .uses_dynamic_stack: false
    .vgpr_count:     0
    .vgpr_spill_count: 0
    .wavefront_size: 32
    .workgroup_processor_mode: 1
  - .args:
      - .offset:         0
        .size:           40
        .value_kind:     by_value
    .group_segment_fixed_size: 0
    .kernarg_segment_align: 8
    .kernarg_segment_size: 40
    .language:       OpenCL C
    .language_version:
      - 2
      - 0
    .max_flat_workgroup_size: 256
    .name:           _ZN7rocprim17ROCPRIM_400000_NS6detail17trampoline_kernelINS0_14default_configENS1_22reduce_config_selectorIiEEZNS1_11reduce_implILb1ES3_PiS7_iN6hipcub16HIPCUB_304000_NS6detail34convert_binary_result_type_wrapperINS9_3SumENS9_22TransformInputIteratorIbN2at6native12_GLOBAL__N_19NonZeroOpIaEEPKalEEiEEEE10hipError_tPvRmT1_T2_T3_mT4_P12ihipStream_tbEUlT_E1_NS1_11comp_targetILNS1_3genE0ELNS1_11target_archE4294967295ELNS1_3gpuE0ELNS1_3repE0EEENS1_30default_config_static_selectorELNS0_4arch9wavefront6targetE0EEEvSQ_
    .private_segment_fixed_size: 0
    .sgpr_count:     0
    .sgpr_spill_count: 0
    .symbol:         _ZN7rocprim17ROCPRIM_400000_NS6detail17trampoline_kernelINS0_14default_configENS1_22reduce_config_selectorIiEEZNS1_11reduce_implILb1ES3_PiS7_iN6hipcub16HIPCUB_304000_NS6detail34convert_binary_result_type_wrapperINS9_3SumENS9_22TransformInputIteratorIbN2at6native12_GLOBAL__N_19NonZeroOpIaEEPKalEEiEEEE10hipError_tPvRmT1_T2_T3_mT4_P12ihipStream_tbEUlT_E1_NS1_11comp_targetILNS1_3genE0ELNS1_11target_archE4294967295ELNS1_3gpuE0ELNS1_3repE0EEENS1_30default_config_static_selectorELNS0_4arch9wavefront6targetE0EEEvSQ_.kd
    .uniform_work_group_size: 1
    .uses_dynamic_stack: false
    .vgpr_count:     0
    .vgpr_spill_count: 0
    .wavefront_size: 32
    .workgroup_processor_mode: 1
  - .args:
      - .offset:         0
        .size:           40
        .value_kind:     by_value
    .group_segment_fixed_size: 0
    .kernarg_segment_align: 8
    .kernarg_segment_size: 40
    .language:       OpenCL C
    .language_version:
      - 2
      - 0
    .max_flat_workgroup_size: 256
    .name:           _ZN7rocprim17ROCPRIM_400000_NS6detail17trampoline_kernelINS0_14default_configENS1_22reduce_config_selectorIiEEZNS1_11reduce_implILb1ES3_PiS7_iN6hipcub16HIPCUB_304000_NS6detail34convert_binary_result_type_wrapperINS9_3SumENS9_22TransformInputIteratorIbN2at6native12_GLOBAL__N_19NonZeroOpIaEEPKalEEiEEEE10hipError_tPvRmT1_T2_T3_mT4_P12ihipStream_tbEUlT_E1_NS1_11comp_targetILNS1_3genE5ELNS1_11target_archE942ELNS1_3gpuE9ELNS1_3repE0EEENS1_30default_config_static_selectorELNS0_4arch9wavefront6targetE0EEEvSQ_
    .private_segment_fixed_size: 0
    .sgpr_count:     0
    .sgpr_spill_count: 0
    .symbol:         _ZN7rocprim17ROCPRIM_400000_NS6detail17trampoline_kernelINS0_14default_configENS1_22reduce_config_selectorIiEEZNS1_11reduce_implILb1ES3_PiS7_iN6hipcub16HIPCUB_304000_NS6detail34convert_binary_result_type_wrapperINS9_3SumENS9_22TransformInputIteratorIbN2at6native12_GLOBAL__N_19NonZeroOpIaEEPKalEEiEEEE10hipError_tPvRmT1_T2_T3_mT4_P12ihipStream_tbEUlT_E1_NS1_11comp_targetILNS1_3genE5ELNS1_11target_archE942ELNS1_3gpuE9ELNS1_3repE0EEENS1_30default_config_static_selectorELNS0_4arch9wavefront6targetE0EEEvSQ_.kd
    .uniform_work_group_size: 1
    .uses_dynamic_stack: false
    .vgpr_count:     0
    .vgpr_spill_count: 0
    .wavefront_size: 32
    .workgroup_processor_mode: 1
  - .args:
      - .offset:         0
        .size:           40
        .value_kind:     by_value
    .group_segment_fixed_size: 0
    .kernarg_segment_align: 8
    .kernarg_segment_size: 40
    .language:       OpenCL C
    .language_version:
      - 2
      - 0
    .max_flat_workgroup_size: 128
    .name:           _ZN7rocprim17ROCPRIM_400000_NS6detail17trampoline_kernelINS0_14default_configENS1_22reduce_config_selectorIiEEZNS1_11reduce_implILb1ES3_PiS7_iN6hipcub16HIPCUB_304000_NS6detail34convert_binary_result_type_wrapperINS9_3SumENS9_22TransformInputIteratorIbN2at6native12_GLOBAL__N_19NonZeroOpIaEEPKalEEiEEEE10hipError_tPvRmT1_T2_T3_mT4_P12ihipStream_tbEUlT_E1_NS1_11comp_targetILNS1_3genE4ELNS1_11target_archE910ELNS1_3gpuE8ELNS1_3repE0EEENS1_30default_config_static_selectorELNS0_4arch9wavefront6targetE0EEEvSQ_
    .private_segment_fixed_size: 0
    .sgpr_count:     0
    .sgpr_spill_count: 0
    .symbol:         _ZN7rocprim17ROCPRIM_400000_NS6detail17trampoline_kernelINS0_14default_configENS1_22reduce_config_selectorIiEEZNS1_11reduce_implILb1ES3_PiS7_iN6hipcub16HIPCUB_304000_NS6detail34convert_binary_result_type_wrapperINS9_3SumENS9_22TransformInputIteratorIbN2at6native12_GLOBAL__N_19NonZeroOpIaEEPKalEEiEEEE10hipError_tPvRmT1_T2_T3_mT4_P12ihipStream_tbEUlT_E1_NS1_11comp_targetILNS1_3genE4ELNS1_11target_archE910ELNS1_3gpuE8ELNS1_3repE0EEENS1_30default_config_static_selectorELNS0_4arch9wavefront6targetE0EEEvSQ_.kd
    .uniform_work_group_size: 1
    .uses_dynamic_stack: false
    .vgpr_count:     0
    .vgpr_spill_count: 0
    .wavefront_size: 32
    .workgroup_processor_mode: 1
  - .args:
      - .offset:         0
        .size:           40
        .value_kind:     by_value
    .group_segment_fixed_size: 0
    .kernarg_segment_align: 8
    .kernarg_segment_size: 40
    .language:       OpenCL C
    .language_version:
      - 2
      - 0
    .max_flat_workgroup_size: 256
    .name:           _ZN7rocprim17ROCPRIM_400000_NS6detail17trampoline_kernelINS0_14default_configENS1_22reduce_config_selectorIiEEZNS1_11reduce_implILb1ES3_PiS7_iN6hipcub16HIPCUB_304000_NS6detail34convert_binary_result_type_wrapperINS9_3SumENS9_22TransformInputIteratorIbN2at6native12_GLOBAL__N_19NonZeroOpIaEEPKalEEiEEEE10hipError_tPvRmT1_T2_T3_mT4_P12ihipStream_tbEUlT_E1_NS1_11comp_targetILNS1_3genE3ELNS1_11target_archE908ELNS1_3gpuE7ELNS1_3repE0EEENS1_30default_config_static_selectorELNS0_4arch9wavefront6targetE0EEEvSQ_
    .private_segment_fixed_size: 0
    .sgpr_count:     0
    .sgpr_spill_count: 0
    .symbol:         _ZN7rocprim17ROCPRIM_400000_NS6detail17trampoline_kernelINS0_14default_configENS1_22reduce_config_selectorIiEEZNS1_11reduce_implILb1ES3_PiS7_iN6hipcub16HIPCUB_304000_NS6detail34convert_binary_result_type_wrapperINS9_3SumENS9_22TransformInputIteratorIbN2at6native12_GLOBAL__N_19NonZeroOpIaEEPKalEEiEEEE10hipError_tPvRmT1_T2_T3_mT4_P12ihipStream_tbEUlT_E1_NS1_11comp_targetILNS1_3genE3ELNS1_11target_archE908ELNS1_3gpuE7ELNS1_3repE0EEENS1_30default_config_static_selectorELNS0_4arch9wavefront6targetE0EEEvSQ_.kd
    .uniform_work_group_size: 1
    .uses_dynamic_stack: false
    .vgpr_count:     0
    .vgpr_spill_count: 0
    .wavefront_size: 32
    .workgroup_processor_mode: 1
  - .args:
      - .offset:         0
        .size:           40
        .value_kind:     by_value
    .group_segment_fixed_size: 0
    .kernarg_segment_align: 8
    .kernarg_segment_size: 40
    .language:       OpenCL C
    .language_version:
      - 2
      - 0
    .max_flat_workgroup_size: 256
    .name:           _ZN7rocprim17ROCPRIM_400000_NS6detail17trampoline_kernelINS0_14default_configENS1_22reduce_config_selectorIiEEZNS1_11reduce_implILb1ES3_PiS7_iN6hipcub16HIPCUB_304000_NS6detail34convert_binary_result_type_wrapperINS9_3SumENS9_22TransformInputIteratorIbN2at6native12_GLOBAL__N_19NonZeroOpIaEEPKalEEiEEEE10hipError_tPvRmT1_T2_T3_mT4_P12ihipStream_tbEUlT_E1_NS1_11comp_targetILNS1_3genE2ELNS1_11target_archE906ELNS1_3gpuE6ELNS1_3repE0EEENS1_30default_config_static_selectorELNS0_4arch9wavefront6targetE0EEEvSQ_
    .private_segment_fixed_size: 0
    .sgpr_count:     0
    .sgpr_spill_count: 0
    .symbol:         _ZN7rocprim17ROCPRIM_400000_NS6detail17trampoline_kernelINS0_14default_configENS1_22reduce_config_selectorIiEEZNS1_11reduce_implILb1ES3_PiS7_iN6hipcub16HIPCUB_304000_NS6detail34convert_binary_result_type_wrapperINS9_3SumENS9_22TransformInputIteratorIbN2at6native12_GLOBAL__N_19NonZeroOpIaEEPKalEEiEEEE10hipError_tPvRmT1_T2_T3_mT4_P12ihipStream_tbEUlT_E1_NS1_11comp_targetILNS1_3genE2ELNS1_11target_archE906ELNS1_3gpuE6ELNS1_3repE0EEENS1_30default_config_static_selectorELNS0_4arch9wavefront6targetE0EEEvSQ_.kd
    .uniform_work_group_size: 1
    .uses_dynamic_stack: false
    .vgpr_count:     0
    .vgpr_spill_count: 0
    .wavefront_size: 32
    .workgroup_processor_mode: 1
  - .args:
      - .offset:         0
        .size:           40
        .value_kind:     by_value
    .group_segment_fixed_size: 224
    .kernarg_segment_align: 8
    .kernarg_segment_size: 40
    .language:       OpenCL C
    .language_version:
      - 2
      - 0
    .max_flat_workgroup_size: 256
    .name:           _ZN7rocprim17ROCPRIM_400000_NS6detail17trampoline_kernelINS0_14default_configENS1_22reduce_config_selectorIiEEZNS1_11reduce_implILb1ES3_PiS7_iN6hipcub16HIPCUB_304000_NS6detail34convert_binary_result_type_wrapperINS9_3SumENS9_22TransformInputIteratorIbN2at6native12_GLOBAL__N_19NonZeroOpIaEEPKalEEiEEEE10hipError_tPvRmT1_T2_T3_mT4_P12ihipStream_tbEUlT_E1_NS1_11comp_targetILNS1_3genE10ELNS1_11target_archE1201ELNS1_3gpuE5ELNS1_3repE0EEENS1_30default_config_static_selectorELNS0_4arch9wavefront6targetE0EEEvSQ_
    .private_segment_fixed_size: 0
    .sgpr_count:     47
    .sgpr_spill_count: 0
    .symbol:         _ZN7rocprim17ROCPRIM_400000_NS6detail17trampoline_kernelINS0_14default_configENS1_22reduce_config_selectorIiEEZNS1_11reduce_implILb1ES3_PiS7_iN6hipcub16HIPCUB_304000_NS6detail34convert_binary_result_type_wrapperINS9_3SumENS9_22TransformInputIteratorIbN2at6native12_GLOBAL__N_19NonZeroOpIaEEPKalEEiEEEE10hipError_tPvRmT1_T2_T3_mT4_P12ihipStream_tbEUlT_E1_NS1_11comp_targetILNS1_3genE10ELNS1_11target_archE1201ELNS1_3gpuE5ELNS1_3repE0EEENS1_30default_config_static_selectorELNS0_4arch9wavefront6targetE0EEEvSQ_.kd
    .uniform_work_group_size: 1
    .uses_dynamic_stack: false
    .vgpr_count:     34
    .vgpr_spill_count: 0
    .wavefront_size: 32
    .workgroup_processor_mode: 1
  - .args:
      - .offset:         0
        .size:           40
        .value_kind:     by_value
    .group_segment_fixed_size: 0
    .kernarg_segment_align: 8
    .kernarg_segment_size: 40
    .language:       OpenCL C
    .language_version:
      - 2
      - 0
    .max_flat_workgroup_size: 256
    .name:           _ZN7rocprim17ROCPRIM_400000_NS6detail17trampoline_kernelINS0_14default_configENS1_22reduce_config_selectorIiEEZNS1_11reduce_implILb1ES3_PiS7_iN6hipcub16HIPCUB_304000_NS6detail34convert_binary_result_type_wrapperINS9_3SumENS9_22TransformInputIteratorIbN2at6native12_GLOBAL__N_19NonZeroOpIaEEPKalEEiEEEE10hipError_tPvRmT1_T2_T3_mT4_P12ihipStream_tbEUlT_E1_NS1_11comp_targetILNS1_3genE10ELNS1_11target_archE1200ELNS1_3gpuE4ELNS1_3repE0EEENS1_30default_config_static_selectorELNS0_4arch9wavefront6targetE0EEEvSQ_
    .private_segment_fixed_size: 0
    .sgpr_count:     0
    .sgpr_spill_count: 0
    .symbol:         _ZN7rocprim17ROCPRIM_400000_NS6detail17trampoline_kernelINS0_14default_configENS1_22reduce_config_selectorIiEEZNS1_11reduce_implILb1ES3_PiS7_iN6hipcub16HIPCUB_304000_NS6detail34convert_binary_result_type_wrapperINS9_3SumENS9_22TransformInputIteratorIbN2at6native12_GLOBAL__N_19NonZeroOpIaEEPKalEEiEEEE10hipError_tPvRmT1_T2_T3_mT4_P12ihipStream_tbEUlT_E1_NS1_11comp_targetILNS1_3genE10ELNS1_11target_archE1200ELNS1_3gpuE4ELNS1_3repE0EEENS1_30default_config_static_selectorELNS0_4arch9wavefront6targetE0EEEvSQ_.kd
    .uniform_work_group_size: 1
    .uses_dynamic_stack: false
    .vgpr_count:     0
    .vgpr_spill_count: 0
    .wavefront_size: 32
    .workgroup_processor_mode: 1
  - .args:
      - .offset:         0
        .size:           40
        .value_kind:     by_value
    .group_segment_fixed_size: 0
    .kernarg_segment_align: 8
    .kernarg_segment_size: 40
    .language:       OpenCL C
    .language_version:
      - 2
      - 0
    .max_flat_workgroup_size: 256
    .name:           _ZN7rocprim17ROCPRIM_400000_NS6detail17trampoline_kernelINS0_14default_configENS1_22reduce_config_selectorIiEEZNS1_11reduce_implILb1ES3_PiS7_iN6hipcub16HIPCUB_304000_NS6detail34convert_binary_result_type_wrapperINS9_3SumENS9_22TransformInputIteratorIbN2at6native12_GLOBAL__N_19NonZeroOpIaEEPKalEEiEEEE10hipError_tPvRmT1_T2_T3_mT4_P12ihipStream_tbEUlT_E1_NS1_11comp_targetILNS1_3genE9ELNS1_11target_archE1100ELNS1_3gpuE3ELNS1_3repE0EEENS1_30default_config_static_selectorELNS0_4arch9wavefront6targetE0EEEvSQ_
    .private_segment_fixed_size: 0
    .sgpr_count:     0
    .sgpr_spill_count: 0
    .symbol:         _ZN7rocprim17ROCPRIM_400000_NS6detail17trampoline_kernelINS0_14default_configENS1_22reduce_config_selectorIiEEZNS1_11reduce_implILb1ES3_PiS7_iN6hipcub16HIPCUB_304000_NS6detail34convert_binary_result_type_wrapperINS9_3SumENS9_22TransformInputIteratorIbN2at6native12_GLOBAL__N_19NonZeroOpIaEEPKalEEiEEEE10hipError_tPvRmT1_T2_T3_mT4_P12ihipStream_tbEUlT_E1_NS1_11comp_targetILNS1_3genE9ELNS1_11target_archE1100ELNS1_3gpuE3ELNS1_3repE0EEENS1_30default_config_static_selectorELNS0_4arch9wavefront6targetE0EEEvSQ_.kd
    .uniform_work_group_size: 1
    .uses_dynamic_stack: false
    .vgpr_count:     0
    .vgpr_spill_count: 0
    .wavefront_size: 32
    .workgroup_processor_mode: 1
  - .args:
      - .offset:         0
        .size:           40
        .value_kind:     by_value
    .group_segment_fixed_size: 0
    .kernarg_segment_align: 8
    .kernarg_segment_size: 40
    .language:       OpenCL C
    .language_version:
      - 2
      - 0
    .max_flat_workgroup_size: 256
    .name:           _ZN7rocprim17ROCPRIM_400000_NS6detail17trampoline_kernelINS0_14default_configENS1_22reduce_config_selectorIiEEZNS1_11reduce_implILb1ES3_PiS7_iN6hipcub16HIPCUB_304000_NS6detail34convert_binary_result_type_wrapperINS9_3SumENS9_22TransformInputIteratorIbN2at6native12_GLOBAL__N_19NonZeroOpIaEEPKalEEiEEEE10hipError_tPvRmT1_T2_T3_mT4_P12ihipStream_tbEUlT_E1_NS1_11comp_targetILNS1_3genE8ELNS1_11target_archE1030ELNS1_3gpuE2ELNS1_3repE0EEENS1_30default_config_static_selectorELNS0_4arch9wavefront6targetE0EEEvSQ_
    .private_segment_fixed_size: 0
    .sgpr_count:     0
    .sgpr_spill_count: 0
    .symbol:         _ZN7rocprim17ROCPRIM_400000_NS6detail17trampoline_kernelINS0_14default_configENS1_22reduce_config_selectorIiEEZNS1_11reduce_implILb1ES3_PiS7_iN6hipcub16HIPCUB_304000_NS6detail34convert_binary_result_type_wrapperINS9_3SumENS9_22TransformInputIteratorIbN2at6native12_GLOBAL__N_19NonZeroOpIaEEPKalEEiEEEE10hipError_tPvRmT1_T2_T3_mT4_P12ihipStream_tbEUlT_E1_NS1_11comp_targetILNS1_3genE8ELNS1_11target_archE1030ELNS1_3gpuE2ELNS1_3repE0EEENS1_30default_config_static_selectorELNS0_4arch9wavefront6targetE0EEEvSQ_.kd
    .uniform_work_group_size: 1
    .uses_dynamic_stack: false
    .vgpr_count:     0
    .vgpr_spill_count: 0
    .wavefront_size: 32
    .workgroup_processor_mode: 1
  - .args:
      - .offset:         0
        .size:           64
        .value_kind:     by_value
    .group_segment_fixed_size: 0
    .kernarg_segment_align: 8
    .kernarg_segment_size: 64
    .language:       OpenCL C
    .language_version:
      - 2
      - 0
    .max_flat_workgroup_size: 256
    .name:           _ZN7rocprim17ROCPRIM_400000_NS6detail17trampoline_kernelINS0_14default_configENS1_22reduce_config_selectorIbEEZNS1_11reduce_implILb1ES3_N6hipcub16HIPCUB_304000_NS22TransformInputIteratorIbN2at6native12_GLOBAL__N_19NonZeroOpIaEEPKalEEPiiNS8_6detail34convert_binary_result_type_wrapperINS8_3SumESH_iEEEE10hipError_tPvRmT1_T2_T3_mT4_P12ihipStream_tbEUlT_E0_NS1_11comp_targetILNS1_3genE0ELNS1_11target_archE4294967295ELNS1_3gpuE0ELNS1_3repE0EEENS1_30default_config_static_selectorELNS0_4arch9wavefront6targetE0EEEvSQ_
    .private_segment_fixed_size: 0
    .sgpr_count:     0
    .sgpr_spill_count: 0
    .symbol:         _ZN7rocprim17ROCPRIM_400000_NS6detail17trampoline_kernelINS0_14default_configENS1_22reduce_config_selectorIbEEZNS1_11reduce_implILb1ES3_N6hipcub16HIPCUB_304000_NS22TransformInputIteratorIbN2at6native12_GLOBAL__N_19NonZeroOpIaEEPKalEEPiiNS8_6detail34convert_binary_result_type_wrapperINS8_3SumESH_iEEEE10hipError_tPvRmT1_T2_T3_mT4_P12ihipStream_tbEUlT_E0_NS1_11comp_targetILNS1_3genE0ELNS1_11target_archE4294967295ELNS1_3gpuE0ELNS1_3repE0EEENS1_30default_config_static_selectorELNS0_4arch9wavefront6targetE0EEEvSQ_.kd
    .uniform_work_group_size: 1
    .uses_dynamic_stack: false
    .vgpr_count:     0
    .vgpr_spill_count: 0
    .wavefront_size: 32
    .workgroup_processor_mode: 1
  - .args:
      - .offset:         0
        .size:           64
        .value_kind:     by_value
    .group_segment_fixed_size: 0
    .kernarg_segment_align: 8
    .kernarg_segment_size: 64
    .language:       OpenCL C
    .language_version:
      - 2
      - 0
    .max_flat_workgroup_size: 256
    .name:           _ZN7rocprim17ROCPRIM_400000_NS6detail17trampoline_kernelINS0_14default_configENS1_22reduce_config_selectorIbEEZNS1_11reduce_implILb1ES3_N6hipcub16HIPCUB_304000_NS22TransformInputIteratorIbN2at6native12_GLOBAL__N_19NonZeroOpIaEEPKalEEPiiNS8_6detail34convert_binary_result_type_wrapperINS8_3SumESH_iEEEE10hipError_tPvRmT1_T2_T3_mT4_P12ihipStream_tbEUlT_E0_NS1_11comp_targetILNS1_3genE5ELNS1_11target_archE942ELNS1_3gpuE9ELNS1_3repE0EEENS1_30default_config_static_selectorELNS0_4arch9wavefront6targetE0EEEvSQ_
    .private_segment_fixed_size: 0
    .sgpr_count:     0
    .sgpr_spill_count: 0
    .symbol:         _ZN7rocprim17ROCPRIM_400000_NS6detail17trampoline_kernelINS0_14default_configENS1_22reduce_config_selectorIbEEZNS1_11reduce_implILb1ES3_N6hipcub16HIPCUB_304000_NS22TransformInputIteratorIbN2at6native12_GLOBAL__N_19NonZeroOpIaEEPKalEEPiiNS8_6detail34convert_binary_result_type_wrapperINS8_3SumESH_iEEEE10hipError_tPvRmT1_T2_T3_mT4_P12ihipStream_tbEUlT_E0_NS1_11comp_targetILNS1_3genE5ELNS1_11target_archE942ELNS1_3gpuE9ELNS1_3repE0EEENS1_30default_config_static_selectorELNS0_4arch9wavefront6targetE0EEEvSQ_.kd
    .uniform_work_group_size: 1
    .uses_dynamic_stack: false
    .vgpr_count:     0
    .vgpr_spill_count: 0
    .wavefront_size: 32
    .workgroup_processor_mode: 1
  - .args:
      - .offset:         0
        .size:           64
        .value_kind:     by_value
    .group_segment_fixed_size: 0
    .kernarg_segment_align: 8
    .kernarg_segment_size: 64
    .language:       OpenCL C
    .language_version:
      - 2
      - 0
    .max_flat_workgroup_size: 128
    .name:           _ZN7rocprim17ROCPRIM_400000_NS6detail17trampoline_kernelINS0_14default_configENS1_22reduce_config_selectorIbEEZNS1_11reduce_implILb1ES3_N6hipcub16HIPCUB_304000_NS22TransformInputIteratorIbN2at6native12_GLOBAL__N_19NonZeroOpIaEEPKalEEPiiNS8_6detail34convert_binary_result_type_wrapperINS8_3SumESH_iEEEE10hipError_tPvRmT1_T2_T3_mT4_P12ihipStream_tbEUlT_E0_NS1_11comp_targetILNS1_3genE4ELNS1_11target_archE910ELNS1_3gpuE8ELNS1_3repE0EEENS1_30default_config_static_selectorELNS0_4arch9wavefront6targetE0EEEvSQ_
    .private_segment_fixed_size: 0
    .sgpr_count:     0
    .sgpr_spill_count: 0
    .symbol:         _ZN7rocprim17ROCPRIM_400000_NS6detail17trampoline_kernelINS0_14default_configENS1_22reduce_config_selectorIbEEZNS1_11reduce_implILb1ES3_N6hipcub16HIPCUB_304000_NS22TransformInputIteratorIbN2at6native12_GLOBAL__N_19NonZeroOpIaEEPKalEEPiiNS8_6detail34convert_binary_result_type_wrapperINS8_3SumESH_iEEEE10hipError_tPvRmT1_T2_T3_mT4_P12ihipStream_tbEUlT_E0_NS1_11comp_targetILNS1_3genE4ELNS1_11target_archE910ELNS1_3gpuE8ELNS1_3repE0EEENS1_30default_config_static_selectorELNS0_4arch9wavefront6targetE0EEEvSQ_.kd
    .uniform_work_group_size: 1
    .uses_dynamic_stack: false
    .vgpr_count:     0
    .vgpr_spill_count: 0
    .wavefront_size: 32
    .workgroup_processor_mode: 1
  - .args:
      - .offset:         0
        .size:           64
        .value_kind:     by_value
    .group_segment_fixed_size: 0
    .kernarg_segment_align: 8
    .kernarg_segment_size: 64
    .language:       OpenCL C
    .language_version:
      - 2
      - 0
    .max_flat_workgroup_size: 256
    .name:           _ZN7rocprim17ROCPRIM_400000_NS6detail17trampoline_kernelINS0_14default_configENS1_22reduce_config_selectorIbEEZNS1_11reduce_implILb1ES3_N6hipcub16HIPCUB_304000_NS22TransformInputIteratorIbN2at6native12_GLOBAL__N_19NonZeroOpIaEEPKalEEPiiNS8_6detail34convert_binary_result_type_wrapperINS8_3SumESH_iEEEE10hipError_tPvRmT1_T2_T3_mT4_P12ihipStream_tbEUlT_E0_NS1_11comp_targetILNS1_3genE3ELNS1_11target_archE908ELNS1_3gpuE7ELNS1_3repE0EEENS1_30default_config_static_selectorELNS0_4arch9wavefront6targetE0EEEvSQ_
    .private_segment_fixed_size: 0
    .sgpr_count:     0
    .sgpr_spill_count: 0
    .symbol:         _ZN7rocprim17ROCPRIM_400000_NS6detail17trampoline_kernelINS0_14default_configENS1_22reduce_config_selectorIbEEZNS1_11reduce_implILb1ES3_N6hipcub16HIPCUB_304000_NS22TransformInputIteratorIbN2at6native12_GLOBAL__N_19NonZeroOpIaEEPKalEEPiiNS8_6detail34convert_binary_result_type_wrapperINS8_3SumESH_iEEEE10hipError_tPvRmT1_T2_T3_mT4_P12ihipStream_tbEUlT_E0_NS1_11comp_targetILNS1_3genE3ELNS1_11target_archE908ELNS1_3gpuE7ELNS1_3repE0EEENS1_30default_config_static_selectorELNS0_4arch9wavefront6targetE0EEEvSQ_.kd
    .uniform_work_group_size: 1
    .uses_dynamic_stack: false
    .vgpr_count:     0
    .vgpr_spill_count: 0
    .wavefront_size: 32
    .workgroup_processor_mode: 1
  - .args:
      - .offset:         0
        .size:           64
        .value_kind:     by_value
    .group_segment_fixed_size: 0
    .kernarg_segment_align: 8
    .kernarg_segment_size: 64
    .language:       OpenCL C
    .language_version:
      - 2
      - 0
    .max_flat_workgroup_size: 128
    .name:           _ZN7rocprim17ROCPRIM_400000_NS6detail17trampoline_kernelINS0_14default_configENS1_22reduce_config_selectorIbEEZNS1_11reduce_implILb1ES3_N6hipcub16HIPCUB_304000_NS22TransformInputIteratorIbN2at6native12_GLOBAL__N_19NonZeroOpIaEEPKalEEPiiNS8_6detail34convert_binary_result_type_wrapperINS8_3SumESH_iEEEE10hipError_tPvRmT1_T2_T3_mT4_P12ihipStream_tbEUlT_E0_NS1_11comp_targetILNS1_3genE2ELNS1_11target_archE906ELNS1_3gpuE6ELNS1_3repE0EEENS1_30default_config_static_selectorELNS0_4arch9wavefront6targetE0EEEvSQ_
    .private_segment_fixed_size: 0
    .sgpr_count:     0
    .sgpr_spill_count: 0
    .symbol:         _ZN7rocprim17ROCPRIM_400000_NS6detail17trampoline_kernelINS0_14default_configENS1_22reduce_config_selectorIbEEZNS1_11reduce_implILb1ES3_N6hipcub16HIPCUB_304000_NS22TransformInputIteratorIbN2at6native12_GLOBAL__N_19NonZeroOpIaEEPKalEEPiiNS8_6detail34convert_binary_result_type_wrapperINS8_3SumESH_iEEEE10hipError_tPvRmT1_T2_T3_mT4_P12ihipStream_tbEUlT_E0_NS1_11comp_targetILNS1_3genE2ELNS1_11target_archE906ELNS1_3gpuE6ELNS1_3repE0EEENS1_30default_config_static_selectorELNS0_4arch9wavefront6targetE0EEEvSQ_.kd
    .uniform_work_group_size: 1
    .uses_dynamic_stack: false
    .vgpr_count:     0
    .vgpr_spill_count: 0
    .wavefront_size: 32
    .workgroup_processor_mode: 1
  - .args:
      - .offset:         0
        .size:           64
        .value_kind:     by_value
    .group_segment_fixed_size: 64
    .kernarg_segment_align: 8
    .kernarg_segment_size: 64
    .language:       OpenCL C
    .language_version:
      - 2
      - 0
    .max_flat_workgroup_size: 256
    .name:           _ZN7rocprim17ROCPRIM_400000_NS6detail17trampoline_kernelINS0_14default_configENS1_22reduce_config_selectorIbEEZNS1_11reduce_implILb1ES3_N6hipcub16HIPCUB_304000_NS22TransformInputIteratorIbN2at6native12_GLOBAL__N_19NonZeroOpIaEEPKalEEPiiNS8_6detail34convert_binary_result_type_wrapperINS8_3SumESH_iEEEE10hipError_tPvRmT1_T2_T3_mT4_P12ihipStream_tbEUlT_E0_NS1_11comp_targetILNS1_3genE10ELNS1_11target_archE1201ELNS1_3gpuE5ELNS1_3repE0EEENS1_30default_config_static_selectorELNS0_4arch9wavefront6targetE0EEEvSQ_
    .private_segment_fixed_size: 0
    .sgpr_count:     32
    .sgpr_spill_count: 0
    .symbol:         _ZN7rocprim17ROCPRIM_400000_NS6detail17trampoline_kernelINS0_14default_configENS1_22reduce_config_selectorIbEEZNS1_11reduce_implILb1ES3_N6hipcub16HIPCUB_304000_NS22TransformInputIteratorIbN2at6native12_GLOBAL__N_19NonZeroOpIaEEPKalEEPiiNS8_6detail34convert_binary_result_type_wrapperINS8_3SumESH_iEEEE10hipError_tPvRmT1_T2_T3_mT4_P12ihipStream_tbEUlT_E0_NS1_11comp_targetILNS1_3genE10ELNS1_11target_archE1201ELNS1_3gpuE5ELNS1_3repE0EEENS1_30default_config_static_selectorELNS0_4arch9wavefront6targetE0EEEvSQ_.kd
    .uniform_work_group_size: 1
    .uses_dynamic_stack: false
    .vgpr_count:     19
    .vgpr_spill_count: 0
    .wavefront_size: 32
    .workgroup_processor_mode: 1
  - .args:
      - .offset:         0
        .size:           64
        .value_kind:     by_value
    .group_segment_fixed_size: 0
    .kernarg_segment_align: 8
    .kernarg_segment_size: 64
    .language:       OpenCL C
    .language_version:
      - 2
      - 0
    .max_flat_workgroup_size: 256
    .name:           _ZN7rocprim17ROCPRIM_400000_NS6detail17trampoline_kernelINS0_14default_configENS1_22reduce_config_selectorIbEEZNS1_11reduce_implILb1ES3_N6hipcub16HIPCUB_304000_NS22TransformInputIteratorIbN2at6native12_GLOBAL__N_19NonZeroOpIaEEPKalEEPiiNS8_6detail34convert_binary_result_type_wrapperINS8_3SumESH_iEEEE10hipError_tPvRmT1_T2_T3_mT4_P12ihipStream_tbEUlT_E0_NS1_11comp_targetILNS1_3genE10ELNS1_11target_archE1200ELNS1_3gpuE4ELNS1_3repE0EEENS1_30default_config_static_selectorELNS0_4arch9wavefront6targetE0EEEvSQ_
    .private_segment_fixed_size: 0
    .sgpr_count:     0
    .sgpr_spill_count: 0
    .symbol:         _ZN7rocprim17ROCPRIM_400000_NS6detail17trampoline_kernelINS0_14default_configENS1_22reduce_config_selectorIbEEZNS1_11reduce_implILb1ES3_N6hipcub16HIPCUB_304000_NS22TransformInputIteratorIbN2at6native12_GLOBAL__N_19NonZeroOpIaEEPKalEEPiiNS8_6detail34convert_binary_result_type_wrapperINS8_3SumESH_iEEEE10hipError_tPvRmT1_T2_T3_mT4_P12ihipStream_tbEUlT_E0_NS1_11comp_targetILNS1_3genE10ELNS1_11target_archE1200ELNS1_3gpuE4ELNS1_3repE0EEENS1_30default_config_static_selectorELNS0_4arch9wavefront6targetE0EEEvSQ_.kd
    .uniform_work_group_size: 1
    .uses_dynamic_stack: false
    .vgpr_count:     0
    .vgpr_spill_count: 0
    .wavefront_size: 32
    .workgroup_processor_mode: 1
  - .args:
      - .offset:         0
        .size:           64
        .value_kind:     by_value
    .group_segment_fixed_size: 0
    .kernarg_segment_align: 8
    .kernarg_segment_size: 64
    .language:       OpenCL C
    .language_version:
      - 2
      - 0
    .max_flat_workgroup_size: 128
    .name:           _ZN7rocprim17ROCPRIM_400000_NS6detail17trampoline_kernelINS0_14default_configENS1_22reduce_config_selectorIbEEZNS1_11reduce_implILb1ES3_N6hipcub16HIPCUB_304000_NS22TransformInputIteratorIbN2at6native12_GLOBAL__N_19NonZeroOpIaEEPKalEEPiiNS8_6detail34convert_binary_result_type_wrapperINS8_3SumESH_iEEEE10hipError_tPvRmT1_T2_T3_mT4_P12ihipStream_tbEUlT_E0_NS1_11comp_targetILNS1_3genE9ELNS1_11target_archE1100ELNS1_3gpuE3ELNS1_3repE0EEENS1_30default_config_static_selectorELNS0_4arch9wavefront6targetE0EEEvSQ_
    .private_segment_fixed_size: 0
    .sgpr_count:     0
    .sgpr_spill_count: 0
    .symbol:         _ZN7rocprim17ROCPRIM_400000_NS6detail17trampoline_kernelINS0_14default_configENS1_22reduce_config_selectorIbEEZNS1_11reduce_implILb1ES3_N6hipcub16HIPCUB_304000_NS22TransformInputIteratorIbN2at6native12_GLOBAL__N_19NonZeroOpIaEEPKalEEPiiNS8_6detail34convert_binary_result_type_wrapperINS8_3SumESH_iEEEE10hipError_tPvRmT1_T2_T3_mT4_P12ihipStream_tbEUlT_E0_NS1_11comp_targetILNS1_3genE9ELNS1_11target_archE1100ELNS1_3gpuE3ELNS1_3repE0EEENS1_30default_config_static_selectorELNS0_4arch9wavefront6targetE0EEEvSQ_.kd
    .uniform_work_group_size: 1
    .uses_dynamic_stack: false
    .vgpr_count:     0
    .vgpr_spill_count: 0
    .wavefront_size: 32
    .workgroup_processor_mode: 1
  - .args:
      - .offset:         0
        .size:           64
        .value_kind:     by_value
    .group_segment_fixed_size: 0
    .kernarg_segment_align: 8
    .kernarg_segment_size: 64
    .language:       OpenCL C
    .language_version:
      - 2
      - 0
    .max_flat_workgroup_size: 256
    .name:           _ZN7rocprim17ROCPRIM_400000_NS6detail17trampoline_kernelINS0_14default_configENS1_22reduce_config_selectorIbEEZNS1_11reduce_implILb1ES3_N6hipcub16HIPCUB_304000_NS22TransformInputIteratorIbN2at6native12_GLOBAL__N_19NonZeroOpIaEEPKalEEPiiNS8_6detail34convert_binary_result_type_wrapperINS8_3SumESH_iEEEE10hipError_tPvRmT1_T2_T3_mT4_P12ihipStream_tbEUlT_E0_NS1_11comp_targetILNS1_3genE8ELNS1_11target_archE1030ELNS1_3gpuE2ELNS1_3repE0EEENS1_30default_config_static_selectorELNS0_4arch9wavefront6targetE0EEEvSQ_
    .private_segment_fixed_size: 0
    .sgpr_count:     0
    .sgpr_spill_count: 0
    .symbol:         _ZN7rocprim17ROCPRIM_400000_NS6detail17trampoline_kernelINS0_14default_configENS1_22reduce_config_selectorIbEEZNS1_11reduce_implILb1ES3_N6hipcub16HIPCUB_304000_NS22TransformInputIteratorIbN2at6native12_GLOBAL__N_19NonZeroOpIaEEPKalEEPiiNS8_6detail34convert_binary_result_type_wrapperINS8_3SumESH_iEEEE10hipError_tPvRmT1_T2_T3_mT4_P12ihipStream_tbEUlT_E0_NS1_11comp_targetILNS1_3genE8ELNS1_11target_archE1030ELNS1_3gpuE2ELNS1_3repE0EEENS1_30default_config_static_selectorELNS0_4arch9wavefront6targetE0EEEvSQ_.kd
    .uniform_work_group_size: 1
    .uses_dynamic_stack: false
    .vgpr_count:     0
    .vgpr_spill_count: 0
    .wavefront_size: 32
    .workgroup_processor_mode: 1
  - .args:
      - .offset:         0
        .size:           48
        .value_kind:     by_value
    .group_segment_fixed_size: 0
    .kernarg_segment_align: 8
    .kernarg_segment_size: 48
    .language:       OpenCL C
    .language_version:
      - 2
      - 0
    .max_flat_workgroup_size: 256
    .name:           _ZN7rocprim17ROCPRIM_400000_NS6detail17trampoline_kernelINS0_14default_configENS1_22reduce_config_selectorIbEEZNS1_11reduce_implILb1ES3_N6hipcub16HIPCUB_304000_NS22TransformInputIteratorIbN2at6native12_GLOBAL__N_19NonZeroOpIaEEPKalEEPiiNS8_6detail34convert_binary_result_type_wrapperINS8_3SumESH_iEEEE10hipError_tPvRmT1_T2_T3_mT4_P12ihipStream_tbEUlT_E1_NS1_11comp_targetILNS1_3genE0ELNS1_11target_archE4294967295ELNS1_3gpuE0ELNS1_3repE0EEENS1_30default_config_static_selectorELNS0_4arch9wavefront6targetE0EEEvSQ_
    .private_segment_fixed_size: 0
    .sgpr_count:     0
    .sgpr_spill_count: 0
    .symbol:         _ZN7rocprim17ROCPRIM_400000_NS6detail17trampoline_kernelINS0_14default_configENS1_22reduce_config_selectorIbEEZNS1_11reduce_implILb1ES3_N6hipcub16HIPCUB_304000_NS22TransformInputIteratorIbN2at6native12_GLOBAL__N_19NonZeroOpIaEEPKalEEPiiNS8_6detail34convert_binary_result_type_wrapperINS8_3SumESH_iEEEE10hipError_tPvRmT1_T2_T3_mT4_P12ihipStream_tbEUlT_E1_NS1_11comp_targetILNS1_3genE0ELNS1_11target_archE4294967295ELNS1_3gpuE0ELNS1_3repE0EEENS1_30default_config_static_selectorELNS0_4arch9wavefront6targetE0EEEvSQ_.kd
    .uniform_work_group_size: 1
    .uses_dynamic_stack: false
    .vgpr_count:     0
    .vgpr_spill_count: 0
    .wavefront_size: 32
    .workgroup_processor_mode: 1
  - .args:
      - .offset:         0
        .size:           48
        .value_kind:     by_value
    .group_segment_fixed_size: 0
    .kernarg_segment_align: 8
    .kernarg_segment_size: 48
    .language:       OpenCL C
    .language_version:
      - 2
      - 0
    .max_flat_workgroup_size: 256
    .name:           _ZN7rocprim17ROCPRIM_400000_NS6detail17trampoline_kernelINS0_14default_configENS1_22reduce_config_selectorIbEEZNS1_11reduce_implILb1ES3_N6hipcub16HIPCUB_304000_NS22TransformInputIteratorIbN2at6native12_GLOBAL__N_19NonZeroOpIaEEPKalEEPiiNS8_6detail34convert_binary_result_type_wrapperINS8_3SumESH_iEEEE10hipError_tPvRmT1_T2_T3_mT4_P12ihipStream_tbEUlT_E1_NS1_11comp_targetILNS1_3genE5ELNS1_11target_archE942ELNS1_3gpuE9ELNS1_3repE0EEENS1_30default_config_static_selectorELNS0_4arch9wavefront6targetE0EEEvSQ_
    .private_segment_fixed_size: 0
    .sgpr_count:     0
    .sgpr_spill_count: 0
    .symbol:         _ZN7rocprim17ROCPRIM_400000_NS6detail17trampoline_kernelINS0_14default_configENS1_22reduce_config_selectorIbEEZNS1_11reduce_implILb1ES3_N6hipcub16HIPCUB_304000_NS22TransformInputIteratorIbN2at6native12_GLOBAL__N_19NonZeroOpIaEEPKalEEPiiNS8_6detail34convert_binary_result_type_wrapperINS8_3SumESH_iEEEE10hipError_tPvRmT1_T2_T3_mT4_P12ihipStream_tbEUlT_E1_NS1_11comp_targetILNS1_3genE5ELNS1_11target_archE942ELNS1_3gpuE9ELNS1_3repE0EEENS1_30default_config_static_selectorELNS0_4arch9wavefront6targetE0EEEvSQ_.kd
    .uniform_work_group_size: 1
    .uses_dynamic_stack: false
    .vgpr_count:     0
    .vgpr_spill_count: 0
    .wavefront_size: 32
    .workgroup_processor_mode: 1
  - .args:
      - .offset:         0
        .size:           48
        .value_kind:     by_value
    .group_segment_fixed_size: 0
    .kernarg_segment_align: 8
    .kernarg_segment_size: 48
    .language:       OpenCL C
    .language_version:
      - 2
      - 0
    .max_flat_workgroup_size: 128
    .name:           _ZN7rocprim17ROCPRIM_400000_NS6detail17trampoline_kernelINS0_14default_configENS1_22reduce_config_selectorIbEEZNS1_11reduce_implILb1ES3_N6hipcub16HIPCUB_304000_NS22TransformInputIteratorIbN2at6native12_GLOBAL__N_19NonZeroOpIaEEPKalEEPiiNS8_6detail34convert_binary_result_type_wrapperINS8_3SumESH_iEEEE10hipError_tPvRmT1_T2_T3_mT4_P12ihipStream_tbEUlT_E1_NS1_11comp_targetILNS1_3genE4ELNS1_11target_archE910ELNS1_3gpuE8ELNS1_3repE0EEENS1_30default_config_static_selectorELNS0_4arch9wavefront6targetE0EEEvSQ_
    .private_segment_fixed_size: 0
    .sgpr_count:     0
    .sgpr_spill_count: 0
    .symbol:         _ZN7rocprim17ROCPRIM_400000_NS6detail17trampoline_kernelINS0_14default_configENS1_22reduce_config_selectorIbEEZNS1_11reduce_implILb1ES3_N6hipcub16HIPCUB_304000_NS22TransformInputIteratorIbN2at6native12_GLOBAL__N_19NonZeroOpIaEEPKalEEPiiNS8_6detail34convert_binary_result_type_wrapperINS8_3SumESH_iEEEE10hipError_tPvRmT1_T2_T3_mT4_P12ihipStream_tbEUlT_E1_NS1_11comp_targetILNS1_3genE4ELNS1_11target_archE910ELNS1_3gpuE8ELNS1_3repE0EEENS1_30default_config_static_selectorELNS0_4arch9wavefront6targetE0EEEvSQ_.kd
    .uniform_work_group_size: 1
    .uses_dynamic_stack: false
    .vgpr_count:     0
    .vgpr_spill_count: 0
    .wavefront_size: 32
    .workgroup_processor_mode: 1
  - .args:
      - .offset:         0
        .size:           48
        .value_kind:     by_value
    .group_segment_fixed_size: 0
    .kernarg_segment_align: 8
    .kernarg_segment_size: 48
    .language:       OpenCL C
    .language_version:
      - 2
      - 0
    .max_flat_workgroup_size: 256
    .name:           _ZN7rocprim17ROCPRIM_400000_NS6detail17trampoline_kernelINS0_14default_configENS1_22reduce_config_selectorIbEEZNS1_11reduce_implILb1ES3_N6hipcub16HIPCUB_304000_NS22TransformInputIteratorIbN2at6native12_GLOBAL__N_19NonZeroOpIaEEPKalEEPiiNS8_6detail34convert_binary_result_type_wrapperINS8_3SumESH_iEEEE10hipError_tPvRmT1_T2_T3_mT4_P12ihipStream_tbEUlT_E1_NS1_11comp_targetILNS1_3genE3ELNS1_11target_archE908ELNS1_3gpuE7ELNS1_3repE0EEENS1_30default_config_static_selectorELNS0_4arch9wavefront6targetE0EEEvSQ_
    .private_segment_fixed_size: 0
    .sgpr_count:     0
    .sgpr_spill_count: 0
    .symbol:         _ZN7rocprim17ROCPRIM_400000_NS6detail17trampoline_kernelINS0_14default_configENS1_22reduce_config_selectorIbEEZNS1_11reduce_implILb1ES3_N6hipcub16HIPCUB_304000_NS22TransformInputIteratorIbN2at6native12_GLOBAL__N_19NonZeroOpIaEEPKalEEPiiNS8_6detail34convert_binary_result_type_wrapperINS8_3SumESH_iEEEE10hipError_tPvRmT1_T2_T3_mT4_P12ihipStream_tbEUlT_E1_NS1_11comp_targetILNS1_3genE3ELNS1_11target_archE908ELNS1_3gpuE7ELNS1_3repE0EEENS1_30default_config_static_selectorELNS0_4arch9wavefront6targetE0EEEvSQ_.kd
    .uniform_work_group_size: 1
    .uses_dynamic_stack: false
    .vgpr_count:     0
    .vgpr_spill_count: 0
    .wavefront_size: 32
    .workgroup_processor_mode: 1
  - .args:
      - .offset:         0
        .size:           48
        .value_kind:     by_value
    .group_segment_fixed_size: 0
    .kernarg_segment_align: 8
    .kernarg_segment_size: 48
    .language:       OpenCL C
    .language_version:
      - 2
      - 0
    .max_flat_workgroup_size: 128
    .name:           _ZN7rocprim17ROCPRIM_400000_NS6detail17trampoline_kernelINS0_14default_configENS1_22reduce_config_selectorIbEEZNS1_11reduce_implILb1ES3_N6hipcub16HIPCUB_304000_NS22TransformInputIteratorIbN2at6native12_GLOBAL__N_19NonZeroOpIaEEPKalEEPiiNS8_6detail34convert_binary_result_type_wrapperINS8_3SumESH_iEEEE10hipError_tPvRmT1_T2_T3_mT4_P12ihipStream_tbEUlT_E1_NS1_11comp_targetILNS1_3genE2ELNS1_11target_archE906ELNS1_3gpuE6ELNS1_3repE0EEENS1_30default_config_static_selectorELNS0_4arch9wavefront6targetE0EEEvSQ_
    .private_segment_fixed_size: 0
    .sgpr_count:     0
    .sgpr_spill_count: 0
    .symbol:         _ZN7rocprim17ROCPRIM_400000_NS6detail17trampoline_kernelINS0_14default_configENS1_22reduce_config_selectorIbEEZNS1_11reduce_implILb1ES3_N6hipcub16HIPCUB_304000_NS22TransformInputIteratorIbN2at6native12_GLOBAL__N_19NonZeroOpIaEEPKalEEPiiNS8_6detail34convert_binary_result_type_wrapperINS8_3SumESH_iEEEE10hipError_tPvRmT1_T2_T3_mT4_P12ihipStream_tbEUlT_E1_NS1_11comp_targetILNS1_3genE2ELNS1_11target_archE906ELNS1_3gpuE6ELNS1_3repE0EEENS1_30default_config_static_selectorELNS0_4arch9wavefront6targetE0EEEvSQ_.kd
    .uniform_work_group_size: 1
    .uses_dynamic_stack: false
    .vgpr_count:     0
    .vgpr_spill_count: 0
    .wavefront_size: 32
    .workgroup_processor_mode: 1
  - .args:
      - .offset:         0
        .size:           48
        .value_kind:     by_value
    .group_segment_fixed_size: 288
    .kernarg_segment_align: 8
    .kernarg_segment_size: 48
    .language:       OpenCL C
    .language_version:
      - 2
      - 0
    .max_flat_workgroup_size: 256
    .name:           _ZN7rocprim17ROCPRIM_400000_NS6detail17trampoline_kernelINS0_14default_configENS1_22reduce_config_selectorIbEEZNS1_11reduce_implILb1ES3_N6hipcub16HIPCUB_304000_NS22TransformInputIteratorIbN2at6native12_GLOBAL__N_19NonZeroOpIaEEPKalEEPiiNS8_6detail34convert_binary_result_type_wrapperINS8_3SumESH_iEEEE10hipError_tPvRmT1_T2_T3_mT4_P12ihipStream_tbEUlT_E1_NS1_11comp_targetILNS1_3genE10ELNS1_11target_archE1201ELNS1_3gpuE5ELNS1_3repE0EEENS1_30default_config_static_selectorELNS0_4arch9wavefront6targetE0EEEvSQ_
    .private_segment_fixed_size: 0
    .sgpr_count:     49
    .sgpr_spill_count: 0
    .symbol:         _ZN7rocprim17ROCPRIM_400000_NS6detail17trampoline_kernelINS0_14default_configENS1_22reduce_config_selectorIbEEZNS1_11reduce_implILb1ES3_N6hipcub16HIPCUB_304000_NS22TransformInputIteratorIbN2at6native12_GLOBAL__N_19NonZeroOpIaEEPKalEEPiiNS8_6detail34convert_binary_result_type_wrapperINS8_3SumESH_iEEEE10hipError_tPvRmT1_T2_T3_mT4_P12ihipStream_tbEUlT_E1_NS1_11comp_targetILNS1_3genE10ELNS1_11target_archE1201ELNS1_3gpuE5ELNS1_3repE0EEENS1_30default_config_static_selectorELNS0_4arch9wavefront6targetE0EEEvSQ_.kd
    .uniform_work_group_size: 1
    .uses_dynamic_stack: false
    .vgpr_count:     129
    .vgpr_spill_count: 0
    .wavefront_size: 32
    .workgroup_processor_mode: 1
  - .args:
      - .offset:         0
        .size:           48
        .value_kind:     by_value
    .group_segment_fixed_size: 0
    .kernarg_segment_align: 8
    .kernarg_segment_size: 48
    .language:       OpenCL C
    .language_version:
      - 2
      - 0
    .max_flat_workgroup_size: 256
    .name:           _ZN7rocprim17ROCPRIM_400000_NS6detail17trampoline_kernelINS0_14default_configENS1_22reduce_config_selectorIbEEZNS1_11reduce_implILb1ES3_N6hipcub16HIPCUB_304000_NS22TransformInputIteratorIbN2at6native12_GLOBAL__N_19NonZeroOpIaEEPKalEEPiiNS8_6detail34convert_binary_result_type_wrapperINS8_3SumESH_iEEEE10hipError_tPvRmT1_T2_T3_mT4_P12ihipStream_tbEUlT_E1_NS1_11comp_targetILNS1_3genE10ELNS1_11target_archE1200ELNS1_3gpuE4ELNS1_3repE0EEENS1_30default_config_static_selectorELNS0_4arch9wavefront6targetE0EEEvSQ_
    .private_segment_fixed_size: 0
    .sgpr_count:     0
    .sgpr_spill_count: 0
    .symbol:         _ZN7rocprim17ROCPRIM_400000_NS6detail17trampoline_kernelINS0_14default_configENS1_22reduce_config_selectorIbEEZNS1_11reduce_implILb1ES3_N6hipcub16HIPCUB_304000_NS22TransformInputIteratorIbN2at6native12_GLOBAL__N_19NonZeroOpIaEEPKalEEPiiNS8_6detail34convert_binary_result_type_wrapperINS8_3SumESH_iEEEE10hipError_tPvRmT1_T2_T3_mT4_P12ihipStream_tbEUlT_E1_NS1_11comp_targetILNS1_3genE10ELNS1_11target_archE1200ELNS1_3gpuE4ELNS1_3repE0EEENS1_30default_config_static_selectorELNS0_4arch9wavefront6targetE0EEEvSQ_.kd
    .uniform_work_group_size: 1
    .uses_dynamic_stack: false
    .vgpr_count:     0
    .vgpr_spill_count: 0
    .wavefront_size: 32
    .workgroup_processor_mode: 1
  - .args:
      - .offset:         0
        .size:           48
        .value_kind:     by_value
    .group_segment_fixed_size: 0
    .kernarg_segment_align: 8
    .kernarg_segment_size: 48
    .language:       OpenCL C
    .language_version:
      - 2
      - 0
    .max_flat_workgroup_size: 128
    .name:           _ZN7rocprim17ROCPRIM_400000_NS6detail17trampoline_kernelINS0_14default_configENS1_22reduce_config_selectorIbEEZNS1_11reduce_implILb1ES3_N6hipcub16HIPCUB_304000_NS22TransformInputIteratorIbN2at6native12_GLOBAL__N_19NonZeroOpIaEEPKalEEPiiNS8_6detail34convert_binary_result_type_wrapperINS8_3SumESH_iEEEE10hipError_tPvRmT1_T2_T3_mT4_P12ihipStream_tbEUlT_E1_NS1_11comp_targetILNS1_3genE9ELNS1_11target_archE1100ELNS1_3gpuE3ELNS1_3repE0EEENS1_30default_config_static_selectorELNS0_4arch9wavefront6targetE0EEEvSQ_
    .private_segment_fixed_size: 0
    .sgpr_count:     0
    .sgpr_spill_count: 0
    .symbol:         _ZN7rocprim17ROCPRIM_400000_NS6detail17trampoline_kernelINS0_14default_configENS1_22reduce_config_selectorIbEEZNS1_11reduce_implILb1ES3_N6hipcub16HIPCUB_304000_NS22TransformInputIteratorIbN2at6native12_GLOBAL__N_19NonZeroOpIaEEPKalEEPiiNS8_6detail34convert_binary_result_type_wrapperINS8_3SumESH_iEEEE10hipError_tPvRmT1_T2_T3_mT4_P12ihipStream_tbEUlT_E1_NS1_11comp_targetILNS1_3genE9ELNS1_11target_archE1100ELNS1_3gpuE3ELNS1_3repE0EEENS1_30default_config_static_selectorELNS0_4arch9wavefront6targetE0EEEvSQ_.kd
    .uniform_work_group_size: 1
    .uses_dynamic_stack: false
    .vgpr_count:     0
    .vgpr_spill_count: 0
    .wavefront_size: 32
    .workgroup_processor_mode: 1
  - .args:
      - .offset:         0
        .size:           48
        .value_kind:     by_value
    .group_segment_fixed_size: 0
    .kernarg_segment_align: 8
    .kernarg_segment_size: 48
    .language:       OpenCL C
    .language_version:
      - 2
      - 0
    .max_flat_workgroup_size: 256
    .name:           _ZN7rocprim17ROCPRIM_400000_NS6detail17trampoline_kernelINS0_14default_configENS1_22reduce_config_selectorIbEEZNS1_11reduce_implILb1ES3_N6hipcub16HIPCUB_304000_NS22TransformInputIteratorIbN2at6native12_GLOBAL__N_19NonZeroOpIaEEPKalEEPiiNS8_6detail34convert_binary_result_type_wrapperINS8_3SumESH_iEEEE10hipError_tPvRmT1_T2_T3_mT4_P12ihipStream_tbEUlT_E1_NS1_11comp_targetILNS1_3genE8ELNS1_11target_archE1030ELNS1_3gpuE2ELNS1_3repE0EEENS1_30default_config_static_selectorELNS0_4arch9wavefront6targetE0EEEvSQ_
    .private_segment_fixed_size: 0
    .sgpr_count:     0
    .sgpr_spill_count: 0
    .symbol:         _ZN7rocprim17ROCPRIM_400000_NS6detail17trampoline_kernelINS0_14default_configENS1_22reduce_config_selectorIbEEZNS1_11reduce_implILb1ES3_N6hipcub16HIPCUB_304000_NS22TransformInputIteratorIbN2at6native12_GLOBAL__N_19NonZeroOpIaEEPKalEEPiiNS8_6detail34convert_binary_result_type_wrapperINS8_3SumESH_iEEEE10hipError_tPvRmT1_T2_T3_mT4_P12ihipStream_tbEUlT_E1_NS1_11comp_targetILNS1_3genE8ELNS1_11target_archE1030ELNS1_3gpuE2ELNS1_3repE0EEENS1_30default_config_static_selectorELNS0_4arch9wavefront6targetE0EEEvSQ_.kd
    .uniform_work_group_size: 1
    .uses_dynamic_stack: false
    .vgpr_count:     0
    .vgpr_spill_count: 0
    .wavefront_size: 32
    .workgroup_processor_mode: 1
  - .args:
      - .offset:         0
        .size:           120
        .value_kind:     by_value
    .group_segment_fixed_size: 0
    .kernarg_segment_align: 8
    .kernarg_segment_size: 120
    .language:       OpenCL C
    .language_version:
      - 2
      - 0
    .max_flat_workgroup_size: 128
    .name:           _ZN7rocprim17ROCPRIM_400000_NS6detail17trampoline_kernelINS0_14default_configENS1_25partition_config_selectorILNS1_17partition_subalgoE5ElNS0_10empty_typeEbEEZZNS1_14partition_implILS5_5ELb0ES3_mN6hipcub16HIPCUB_304000_NS21CountingInputIteratorIllEEPS6_NSA_22TransformInputIteratorIbN2at6native12_GLOBAL__N_19NonZeroOpIaEEPKalEENS0_5tupleIJPlS6_EEENSN_IJSD_SD_EEES6_PiJS6_EEE10hipError_tPvRmT3_T4_T5_T6_T7_T9_mT8_P12ihipStream_tbDpT10_ENKUlT_T0_E_clISt17integral_constantIbLb0EES1B_EEDaS16_S17_EUlS16_E_NS1_11comp_targetILNS1_3genE0ELNS1_11target_archE4294967295ELNS1_3gpuE0ELNS1_3repE0EEENS1_30default_config_static_selectorELNS0_4arch9wavefront6targetE0EEEvT1_
    .private_segment_fixed_size: 0
    .sgpr_count:     0
    .sgpr_spill_count: 0
    .symbol:         _ZN7rocprim17ROCPRIM_400000_NS6detail17trampoline_kernelINS0_14default_configENS1_25partition_config_selectorILNS1_17partition_subalgoE5ElNS0_10empty_typeEbEEZZNS1_14partition_implILS5_5ELb0ES3_mN6hipcub16HIPCUB_304000_NS21CountingInputIteratorIllEEPS6_NSA_22TransformInputIteratorIbN2at6native12_GLOBAL__N_19NonZeroOpIaEEPKalEENS0_5tupleIJPlS6_EEENSN_IJSD_SD_EEES6_PiJS6_EEE10hipError_tPvRmT3_T4_T5_T6_T7_T9_mT8_P12ihipStream_tbDpT10_ENKUlT_T0_E_clISt17integral_constantIbLb0EES1B_EEDaS16_S17_EUlS16_E_NS1_11comp_targetILNS1_3genE0ELNS1_11target_archE4294967295ELNS1_3gpuE0ELNS1_3repE0EEENS1_30default_config_static_selectorELNS0_4arch9wavefront6targetE0EEEvT1_.kd
    .uniform_work_group_size: 1
    .uses_dynamic_stack: false
    .vgpr_count:     0
    .vgpr_spill_count: 0
    .wavefront_size: 32
    .workgroup_processor_mode: 1
  - .args:
      - .offset:         0
        .size:           120
        .value_kind:     by_value
    .group_segment_fixed_size: 0
    .kernarg_segment_align: 8
    .kernarg_segment_size: 120
    .language:       OpenCL C
    .language_version:
      - 2
      - 0
    .max_flat_workgroup_size: 512
    .name:           _ZN7rocprim17ROCPRIM_400000_NS6detail17trampoline_kernelINS0_14default_configENS1_25partition_config_selectorILNS1_17partition_subalgoE5ElNS0_10empty_typeEbEEZZNS1_14partition_implILS5_5ELb0ES3_mN6hipcub16HIPCUB_304000_NS21CountingInputIteratorIllEEPS6_NSA_22TransformInputIteratorIbN2at6native12_GLOBAL__N_19NonZeroOpIaEEPKalEENS0_5tupleIJPlS6_EEENSN_IJSD_SD_EEES6_PiJS6_EEE10hipError_tPvRmT3_T4_T5_T6_T7_T9_mT8_P12ihipStream_tbDpT10_ENKUlT_T0_E_clISt17integral_constantIbLb0EES1B_EEDaS16_S17_EUlS16_E_NS1_11comp_targetILNS1_3genE5ELNS1_11target_archE942ELNS1_3gpuE9ELNS1_3repE0EEENS1_30default_config_static_selectorELNS0_4arch9wavefront6targetE0EEEvT1_
    .private_segment_fixed_size: 0
    .sgpr_count:     0
    .sgpr_spill_count: 0
    .symbol:         _ZN7rocprim17ROCPRIM_400000_NS6detail17trampoline_kernelINS0_14default_configENS1_25partition_config_selectorILNS1_17partition_subalgoE5ElNS0_10empty_typeEbEEZZNS1_14partition_implILS5_5ELb0ES3_mN6hipcub16HIPCUB_304000_NS21CountingInputIteratorIllEEPS6_NSA_22TransformInputIteratorIbN2at6native12_GLOBAL__N_19NonZeroOpIaEEPKalEENS0_5tupleIJPlS6_EEENSN_IJSD_SD_EEES6_PiJS6_EEE10hipError_tPvRmT3_T4_T5_T6_T7_T9_mT8_P12ihipStream_tbDpT10_ENKUlT_T0_E_clISt17integral_constantIbLb0EES1B_EEDaS16_S17_EUlS16_E_NS1_11comp_targetILNS1_3genE5ELNS1_11target_archE942ELNS1_3gpuE9ELNS1_3repE0EEENS1_30default_config_static_selectorELNS0_4arch9wavefront6targetE0EEEvT1_.kd
    .uniform_work_group_size: 1
    .uses_dynamic_stack: false
    .vgpr_count:     0
    .vgpr_spill_count: 0
    .wavefront_size: 32
    .workgroup_processor_mode: 1
  - .args:
      - .offset:         0
        .size:           120
        .value_kind:     by_value
    .group_segment_fixed_size: 0
    .kernarg_segment_align: 8
    .kernarg_segment_size: 120
    .language:       OpenCL C
    .language_version:
      - 2
      - 0
    .max_flat_workgroup_size: 192
    .name:           _ZN7rocprim17ROCPRIM_400000_NS6detail17trampoline_kernelINS0_14default_configENS1_25partition_config_selectorILNS1_17partition_subalgoE5ElNS0_10empty_typeEbEEZZNS1_14partition_implILS5_5ELb0ES3_mN6hipcub16HIPCUB_304000_NS21CountingInputIteratorIllEEPS6_NSA_22TransformInputIteratorIbN2at6native12_GLOBAL__N_19NonZeroOpIaEEPKalEENS0_5tupleIJPlS6_EEENSN_IJSD_SD_EEES6_PiJS6_EEE10hipError_tPvRmT3_T4_T5_T6_T7_T9_mT8_P12ihipStream_tbDpT10_ENKUlT_T0_E_clISt17integral_constantIbLb0EES1B_EEDaS16_S17_EUlS16_E_NS1_11comp_targetILNS1_3genE4ELNS1_11target_archE910ELNS1_3gpuE8ELNS1_3repE0EEENS1_30default_config_static_selectorELNS0_4arch9wavefront6targetE0EEEvT1_
    .private_segment_fixed_size: 0
    .sgpr_count:     0
    .sgpr_spill_count: 0
    .symbol:         _ZN7rocprim17ROCPRIM_400000_NS6detail17trampoline_kernelINS0_14default_configENS1_25partition_config_selectorILNS1_17partition_subalgoE5ElNS0_10empty_typeEbEEZZNS1_14partition_implILS5_5ELb0ES3_mN6hipcub16HIPCUB_304000_NS21CountingInputIteratorIllEEPS6_NSA_22TransformInputIteratorIbN2at6native12_GLOBAL__N_19NonZeroOpIaEEPKalEENS0_5tupleIJPlS6_EEENSN_IJSD_SD_EEES6_PiJS6_EEE10hipError_tPvRmT3_T4_T5_T6_T7_T9_mT8_P12ihipStream_tbDpT10_ENKUlT_T0_E_clISt17integral_constantIbLb0EES1B_EEDaS16_S17_EUlS16_E_NS1_11comp_targetILNS1_3genE4ELNS1_11target_archE910ELNS1_3gpuE8ELNS1_3repE0EEENS1_30default_config_static_selectorELNS0_4arch9wavefront6targetE0EEEvT1_.kd
    .uniform_work_group_size: 1
    .uses_dynamic_stack: false
    .vgpr_count:     0
    .vgpr_spill_count: 0
    .wavefront_size: 32
    .workgroup_processor_mode: 1
  - .args:
      - .offset:         0
        .size:           120
        .value_kind:     by_value
    .group_segment_fixed_size: 0
    .kernarg_segment_align: 8
    .kernarg_segment_size: 120
    .language:       OpenCL C
    .language_version:
      - 2
      - 0
    .max_flat_workgroup_size: 128
    .name:           _ZN7rocprim17ROCPRIM_400000_NS6detail17trampoline_kernelINS0_14default_configENS1_25partition_config_selectorILNS1_17partition_subalgoE5ElNS0_10empty_typeEbEEZZNS1_14partition_implILS5_5ELb0ES3_mN6hipcub16HIPCUB_304000_NS21CountingInputIteratorIllEEPS6_NSA_22TransformInputIteratorIbN2at6native12_GLOBAL__N_19NonZeroOpIaEEPKalEENS0_5tupleIJPlS6_EEENSN_IJSD_SD_EEES6_PiJS6_EEE10hipError_tPvRmT3_T4_T5_T6_T7_T9_mT8_P12ihipStream_tbDpT10_ENKUlT_T0_E_clISt17integral_constantIbLb0EES1B_EEDaS16_S17_EUlS16_E_NS1_11comp_targetILNS1_3genE3ELNS1_11target_archE908ELNS1_3gpuE7ELNS1_3repE0EEENS1_30default_config_static_selectorELNS0_4arch9wavefront6targetE0EEEvT1_
    .private_segment_fixed_size: 0
    .sgpr_count:     0
    .sgpr_spill_count: 0
    .symbol:         _ZN7rocprim17ROCPRIM_400000_NS6detail17trampoline_kernelINS0_14default_configENS1_25partition_config_selectorILNS1_17partition_subalgoE5ElNS0_10empty_typeEbEEZZNS1_14partition_implILS5_5ELb0ES3_mN6hipcub16HIPCUB_304000_NS21CountingInputIteratorIllEEPS6_NSA_22TransformInputIteratorIbN2at6native12_GLOBAL__N_19NonZeroOpIaEEPKalEENS0_5tupleIJPlS6_EEENSN_IJSD_SD_EEES6_PiJS6_EEE10hipError_tPvRmT3_T4_T5_T6_T7_T9_mT8_P12ihipStream_tbDpT10_ENKUlT_T0_E_clISt17integral_constantIbLb0EES1B_EEDaS16_S17_EUlS16_E_NS1_11comp_targetILNS1_3genE3ELNS1_11target_archE908ELNS1_3gpuE7ELNS1_3repE0EEENS1_30default_config_static_selectorELNS0_4arch9wavefront6targetE0EEEvT1_.kd
    .uniform_work_group_size: 1
    .uses_dynamic_stack: false
    .vgpr_count:     0
    .vgpr_spill_count: 0
    .wavefront_size: 32
    .workgroup_processor_mode: 1
  - .args:
      - .offset:         0
        .size:           120
        .value_kind:     by_value
    .group_segment_fixed_size: 0
    .kernarg_segment_align: 8
    .kernarg_segment_size: 120
    .language:       OpenCL C
    .language_version:
      - 2
      - 0
    .max_flat_workgroup_size: 256
    .name:           _ZN7rocprim17ROCPRIM_400000_NS6detail17trampoline_kernelINS0_14default_configENS1_25partition_config_selectorILNS1_17partition_subalgoE5ElNS0_10empty_typeEbEEZZNS1_14partition_implILS5_5ELb0ES3_mN6hipcub16HIPCUB_304000_NS21CountingInputIteratorIllEEPS6_NSA_22TransformInputIteratorIbN2at6native12_GLOBAL__N_19NonZeroOpIaEEPKalEENS0_5tupleIJPlS6_EEENSN_IJSD_SD_EEES6_PiJS6_EEE10hipError_tPvRmT3_T4_T5_T6_T7_T9_mT8_P12ihipStream_tbDpT10_ENKUlT_T0_E_clISt17integral_constantIbLb0EES1B_EEDaS16_S17_EUlS16_E_NS1_11comp_targetILNS1_3genE2ELNS1_11target_archE906ELNS1_3gpuE6ELNS1_3repE0EEENS1_30default_config_static_selectorELNS0_4arch9wavefront6targetE0EEEvT1_
    .private_segment_fixed_size: 0
    .sgpr_count:     0
    .sgpr_spill_count: 0
    .symbol:         _ZN7rocprim17ROCPRIM_400000_NS6detail17trampoline_kernelINS0_14default_configENS1_25partition_config_selectorILNS1_17partition_subalgoE5ElNS0_10empty_typeEbEEZZNS1_14partition_implILS5_5ELb0ES3_mN6hipcub16HIPCUB_304000_NS21CountingInputIteratorIllEEPS6_NSA_22TransformInputIteratorIbN2at6native12_GLOBAL__N_19NonZeroOpIaEEPKalEENS0_5tupleIJPlS6_EEENSN_IJSD_SD_EEES6_PiJS6_EEE10hipError_tPvRmT3_T4_T5_T6_T7_T9_mT8_P12ihipStream_tbDpT10_ENKUlT_T0_E_clISt17integral_constantIbLb0EES1B_EEDaS16_S17_EUlS16_E_NS1_11comp_targetILNS1_3genE2ELNS1_11target_archE906ELNS1_3gpuE6ELNS1_3repE0EEENS1_30default_config_static_selectorELNS0_4arch9wavefront6targetE0EEEvT1_.kd
    .uniform_work_group_size: 1
    .uses_dynamic_stack: false
    .vgpr_count:     0
    .vgpr_spill_count: 0
    .wavefront_size: 32
    .workgroup_processor_mode: 1
  - .args:
      - .offset:         0
        .size:           120
        .value_kind:     by_value
    .group_segment_fixed_size: 8464
    .kernarg_segment_align: 8
    .kernarg_segment_size: 120
    .language:       OpenCL C
    .language_version:
      - 2
      - 0
    .max_flat_workgroup_size: 256
    .name:           _ZN7rocprim17ROCPRIM_400000_NS6detail17trampoline_kernelINS0_14default_configENS1_25partition_config_selectorILNS1_17partition_subalgoE5ElNS0_10empty_typeEbEEZZNS1_14partition_implILS5_5ELb0ES3_mN6hipcub16HIPCUB_304000_NS21CountingInputIteratorIllEEPS6_NSA_22TransformInputIteratorIbN2at6native12_GLOBAL__N_19NonZeroOpIaEEPKalEENS0_5tupleIJPlS6_EEENSN_IJSD_SD_EEES6_PiJS6_EEE10hipError_tPvRmT3_T4_T5_T6_T7_T9_mT8_P12ihipStream_tbDpT10_ENKUlT_T0_E_clISt17integral_constantIbLb0EES1B_EEDaS16_S17_EUlS16_E_NS1_11comp_targetILNS1_3genE10ELNS1_11target_archE1200ELNS1_3gpuE4ELNS1_3repE0EEENS1_30default_config_static_selectorELNS0_4arch9wavefront6targetE0EEEvT1_
    .private_segment_fixed_size: 0
    .sgpr_count:     22
    .sgpr_spill_count: 0
    .symbol:         _ZN7rocprim17ROCPRIM_400000_NS6detail17trampoline_kernelINS0_14default_configENS1_25partition_config_selectorILNS1_17partition_subalgoE5ElNS0_10empty_typeEbEEZZNS1_14partition_implILS5_5ELb0ES3_mN6hipcub16HIPCUB_304000_NS21CountingInputIteratorIllEEPS6_NSA_22TransformInputIteratorIbN2at6native12_GLOBAL__N_19NonZeroOpIaEEPKalEENS0_5tupleIJPlS6_EEENSN_IJSD_SD_EEES6_PiJS6_EEE10hipError_tPvRmT3_T4_T5_T6_T7_T9_mT8_P12ihipStream_tbDpT10_ENKUlT_T0_E_clISt17integral_constantIbLb0EES1B_EEDaS16_S17_EUlS16_E_NS1_11comp_targetILNS1_3genE10ELNS1_11target_archE1200ELNS1_3gpuE4ELNS1_3repE0EEENS1_30default_config_static_selectorELNS0_4arch9wavefront6targetE0EEEvT1_.kd
    .uniform_work_group_size: 1
    .uses_dynamic_stack: false
    .vgpr_count:     46
    .vgpr_spill_count: 0
    .wavefront_size: 32
    .workgroup_processor_mode: 1
  - .args:
      - .offset:         0
        .size:           120
        .value_kind:     by_value
    .group_segment_fixed_size: 0
    .kernarg_segment_align: 8
    .kernarg_segment_size: 120
    .language:       OpenCL C
    .language_version:
      - 2
      - 0
    .max_flat_workgroup_size: 128
    .name:           _ZN7rocprim17ROCPRIM_400000_NS6detail17trampoline_kernelINS0_14default_configENS1_25partition_config_selectorILNS1_17partition_subalgoE5ElNS0_10empty_typeEbEEZZNS1_14partition_implILS5_5ELb0ES3_mN6hipcub16HIPCUB_304000_NS21CountingInputIteratorIllEEPS6_NSA_22TransformInputIteratorIbN2at6native12_GLOBAL__N_19NonZeroOpIaEEPKalEENS0_5tupleIJPlS6_EEENSN_IJSD_SD_EEES6_PiJS6_EEE10hipError_tPvRmT3_T4_T5_T6_T7_T9_mT8_P12ihipStream_tbDpT10_ENKUlT_T0_E_clISt17integral_constantIbLb0EES1B_EEDaS16_S17_EUlS16_E_NS1_11comp_targetILNS1_3genE9ELNS1_11target_archE1100ELNS1_3gpuE3ELNS1_3repE0EEENS1_30default_config_static_selectorELNS0_4arch9wavefront6targetE0EEEvT1_
    .private_segment_fixed_size: 0
    .sgpr_count:     0
    .sgpr_spill_count: 0
    .symbol:         _ZN7rocprim17ROCPRIM_400000_NS6detail17trampoline_kernelINS0_14default_configENS1_25partition_config_selectorILNS1_17partition_subalgoE5ElNS0_10empty_typeEbEEZZNS1_14partition_implILS5_5ELb0ES3_mN6hipcub16HIPCUB_304000_NS21CountingInputIteratorIllEEPS6_NSA_22TransformInputIteratorIbN2at6native12_GLOBAL__N_19NonZeroOpIaEEPKalEENS0_5tupleIJPlS6_EEENSN_IJSD_SD_EEES6_PiJS6_EEE10hipError_tPvRmT3_T4_T5_T6_T7_T9_mT8_P12ihipStream_tbDpT10_ENKUlT_T0_E_clISt17integral_constantIbLb0EES1B_EEDaS16_S17_EUlS16_E_NS1_11comp_targetILNS1_3genE9ELNS1_11target_archE1100ELNS1_3gpuE3ELNS1_3repE0EEENS1_30default_config_static_selectorELNS0_4arch9wavefront6targetE0EEEvT1_.kd
    .uniform_work_group_size: 1
    .uses_dynamic_stack: false
    .vgpr_count:     0
    .vgpr_spill_count: 0
    .wavefront_size: 32
    .workgroup_processor_mode: 1
  - .args:
      - .offset:         0
        .size:           120
        .value_kind:     by_value
    .group_segment_fixed_size: 0
    .kernarg_segment_align: 8
    .kernarg_segment_size: 120
    .language:       OpenCL C
    .language_version:
      - 2
      - 0
    .max_flat_workgroup_size: 512
    .name:           _ZN7rocprim17ROCPRIM_400000_NS6detail17trampoline_kernelINS0_14default_configENS1_25partition_config_selectorILNS1_17partition_subalgoE5ElNS0_10empty_typeEbEEZZNS1_14partition_implILS5_5ELb0ES3_mN6hipcub16HIPCUB_304000_NS21CountingInputIteratorIllEEPS6_NSA_22TransformInputIteratorIbN2at6native12_GLOBAL__N_19NonZeroOpIaEEPKalEENS0_5tupleIJPlS6_EEENSN_IJSD_SD_EEES6_PiJS6_EEE10hipError_tPvRmT3_T4_T5_T6_T7_T9_mT8_P12ihipStream_tbDpT10_ENKUlT_T0_E_clISt17integral_constantIbLb0EES1B_EEDaS16_S17_EUlS16_E_NS1_11comp_targetILNS1_3genE8ELNS1_11target_archE1030ELNS1_3gpuE2ELNS1_3repE0EEENS1_30default_config_static_selectorELNS0_4arch9wavefront6targetE0EEEvT1_
    .private_segment_fixed_size: 0
    .sgpr_count:     0
    .sgpr_spill_count: 0
    .symbol:         _ZN7rocprim17ROCPRIM_400000_NS6detail17trampoline_kernelINS0_14default_configENS1_25partition_config_selectorILNS1_17partition_subalgoE5ElNS0_10empty_typeEbEEZZNS1_14partition_implILS5_5ELb0ES3_mN6hipcub16HIPCUB_304000_NS21CountingInputIteratorIllEEPS6_NSA_22TransformInputIteratorIbN2at6native12_GLOBAL__N_19NonZeroOpIaEEPKalEENS0_5tupleIJPlS6_EEENSN_IJSD_SD_EEES6_PiJS6_EEE10hipError_tPvRmT3_T4_T5_T6_T7_T9_mT8_P12ihipStream_tbDpT10_ENKUlT_T0_E_clISt17integral_constantIbLb0EES1B_EEDaS16_S17_EUlS16_E_NS1_11comp_targetILNS1_3genE8ELNS1_11target_archE1030ELNS1_3gpuE2ELNS1_3repE0EEENS1_30default_config_static_selectorELNS0_4arch9wavefront6targetE0EEEvT1_.kd
    .uniform_work_group_size: 1
    .uses_dynamic_stack: false
    .vgpr_count:     0
    .vgpr_spill_count: 0
    .wavefront_size: 32
    .workgroup_processor_mode: 1
  - .args:
      - .offset:         0
        .size:           136
        .value_kind:     by_value
    .group_segment_fixed_size: 0
    .kernarg_segment_align: 8
    .kernarg_segment_size: 136
    .language:       OpenCL C
    .language_version:
      - 2
      - 0
    .max_flat_workgroup_size: 128
    .name:           _ZN7rocprim17ROCPRIM_400000_NS6detail17trampoline_kernelINS0_14default_configENS1_25partition_config_selectorILNS1_17partition_subalgoE5ElNS0_10empty_typeEbEEZZNS1_14partition_implILS5_5ELb0ES3_mN6hipcub16HIPCUB_304000_NS21CountingInputIteratorIllEEPS6_NSA_22TransformInputIteratorIbN2at6native12_GLOBAL__N_19NonZeroOpIaEEPKalEENS0_5tupleIJPlS6_EEENSN_IJSD_SD_EEES6_PiJS6_EEE10hipError_tPvRmT3_T4_T5_T6_T7_T9_mT8_P12ihipStream_tbDpT10_ENKUlT_T0_E_clISt17integral_constantIbLb1EES1B_EEDaS16_S17_EUlS16_E_NS1_11comp_targetILNS1_3genE0ELNS1_11target_archE4294967295ELNS1_3gpuE0ELNS1_3repE0EEENS1_30default_config_static_selectorELNS0_4arch9wavefront6targetE0EEEvT1_
    .private_segment_fixed_size: 0
    .sgpr_count:     0
    .sgpr_spill_count: 0
    .symbol:         _ZN7rocprim17ROCPRIM_400000_NS6detail17trampoline_kernelINS0_14default_configENS1_25partition_config_selectorILNS1_17partition_subalgoE5ElNS0_10empty_typeEbEEZZNS1_14partition_implILS5_5ELb0ES3_mN6hipcub16HIPCUB_304000_NS21CountingInputIteratorIllEEPS6_NSA_22TransformInputIteratorIbN2at6native12_GLOBAL__N_19NonZeroOpIaEEPKalEENS0_5tupleIJPlS6_EEENSN_IJSD_SD_EEES6_PiJS6_EEE10hipError_tPvRmT3_T4_T5_T6_T7_T9_mT8_P12ihipStream_tbDpT10_ENKUlT_T0_E_clISt17integral_constantIbLb1EES1B_EEDaS16_S17_EUlS16_E_NS1_11comp_targetILNS1_3genE0ELNS1_11target_archE4294967295ELNS1_3gpuE0ELNS1_3repE0EEENS1_30default_config_static_selectorELNS0_4arch9wavefront6targetE0EEEvT1_.kd
    .uniform_work_group_size: 1
    .uses_dynamic_stack: false
    .vgpr_count:     0
    .vgpr_spill_count: 0
    .wavefront_size: 32
    .workgroup_processor_mode: 1
  - .args:
      - .offset:         0
        .size:           136
        .value_kind:     by_value
    .group_segment_fixed_size: 0
    .kernarg_segment_align: 8
    .kernarg_segment_size: 136
    .language:       OpenCL C
    .language_version:
      - 2
      - 0
    .max_flat_workgroup_size: 512
    .name:           _ZN7rocprim17ROCPRIM_400000_NS6detail17trampoline_kernelINS0_14default_configENS1_25partition_config_selectorILNS1_17partition_subalgoE5ElNS0_10empty_typeEbEEZZNS1_14partition_implILS5_5ELb0ES3_mN6hipcub16HIPCUB_304000_NS21CountingInputIteratorIllEEPS6_NSA_22TransformInputIteratorIbN2at6native12_GLOBAL__N_19NonZeroOpIaEEPKalEENS0_5tupleIJPlS6_EEENSN_IJSD_SD_EEES6_PiJS6_EEE10hipError_tPvRmT3_T4_T5_T6_T7_T9_mT8_P12ihipStream_tbDpT10_ENKUlT_T0_E_clISt17integral_constantIbLb1EES1B_EEDaS16_S17_EUlS16_E_NS1_11comp_targetILNS1_3genE5ELNS1_11target_archE942ELNS1_3gpuE9ELNS1_3repE0EEENS1_30default_config_static_selectorELNS0_4arch9wavefront6targetE0EEEvT1_
    .private_segment_fixed_size: 0
    .sgpr_count:     0
    .sgpr_spill_count: 0
    .symbol:         _ZN7rocprim17ROCPRIM_400000_NS6detail17trampoline_kernelINS0_14default_configENS1_25partition_config_selectorILNS1_17partition_subalgoE5ElNS0_10empty_typeEbEEZZNS1_14partition_implILS5_5ELb0ES3_mN6hipcub16HIPCUB_304000_NS21CountingInputIteratorIllEEPS6_NSA_22TransformInputIteratorIbN2at6native12_GLOBAL__N_19NonZeroOpIaEEPKalEENS0_5tupleIJPlS6_EEENSN_IJSD_SD_EEES6_PiJS6_EEE10hipError_tPvRmT3_T4_T5_T6_T7_T9_mT8_P12ihipStream_tbDpT10_ENKUlT_T0_E_clISt17integral_constantIbLb1EES1B_EEDaS16_S17_EUlS16_E_NS1_11comp_targetILNS1_3genE5ELNS1_11target_archE942ELNS1_3gpuE9ELNS1_3repE0EEENS1_30default_config_static_selectorELNS0_4arch9wavefront6targetE0EEEvT1_.kd
    .uniform_work_group_size: 1
    .uses_dynamic_stack: false
    .vgpr_count:     0
    .vgpr_spill_count: 0
    .wavefront_size: 32
    .workgroup_processor_mode: 1
  - .args:
      - .offset:         0
        .size:           136
        .value_kind:     by_value
    .group_segment_fixed_size: 0
    .kernarg_segment_align: 8
    .kernarg_segment_size: 136
    .language:       OpenCL C
    .language_version:
      - 2
      - 0
    .max_flat_workgroup_size: 192
    .name:           _ZN7rocprim17ROCPRIM_400000_NS6detail17trampoline_kernelINS0_14default_configENS1_25partition_config_selectorILNS1_17partition_subalgoE5ElNS0_10empty_typeEbEEZZNS1_14partition_implILS5_5ELb0ES3_mN6hipcub16HIPCUB_304000_NS21CountingInputIteratorIllEEPS6_NSA_22TransformInputIteratorIbN2at6native12_GLOBAL__N_19NonZeroOpIaEEPKalEENS0_5tupleIJPlS6_EEENSN_IJSD_SD_EEES6_PiJS6_EEE10hipError_tPvRmT3_T4_T5_T6_T7_T9_mT8_P12ihipStream_tbDpT10_ENKUlT_T0_E_clISt17integral_constantIbLb1EES1B_EEDaS16_S17_EUlS16_E_NS1_11comp_targetILNS1_3genE4ELNS1_11target_archE910ELNS1_3gpuE8ELNS1_3repE0EEENS1_30default_config_static_selectorELNS0_4arch9wavefront6targetE0EEEvT1_
    .private_segment_fixed_size: 0
    .sgpr_count:     0
    .sgpr_spill_count: 0
    .symbol:         _ZN7rocprim17ROCPRIM_400000_NS6detail17trampoline_kernelINS0_14default_configENS1_25partition_config_selectorILNS1_17partition_subalgoE5ElNS0_10empty_typeEbEEZZNS1_14partition_implILS5_5ELb0ES3_mN6hipcub16HIPCUB_304000_NS21CountingInputIteratorIllEEPS6_NSA_22TransformInputIteratorIbN2at6native12_GLOBAL__N_19NonZeroOpIaEEPKalEENS0_5tupleIJPlS6_EEENSN_IJSD_SD_EEES6_PiJS6_EEE10hipError_tPvRmT3_T4_T5_T6_T7_T9_mT8_P12ihipStream_tbDpT10_ENKUlT_T0_E_clISt17integral_constantIbLb1EES1B_EEDaS16_S17_EUlS16_E_NS1_11comp_targetILNS1_3genE4ELNS1_11target_archE910ELNS1_3gpuE8ELNS1_3repE0EEENS1_30default_config_static_selectorELNS0_4arch9wavefront6targetE0EEEvT1_.kd
    .uniform_work_group_size: 1
    .uses_dynamic_stack: false
    .vgpr_count:     0
    .vgpr_spill_count: 0
    .wavefront_size: 32
    .workgroup_processor_mode: 1
  - .args:
      - .offset:         0
        .size:           136
        .value_kind:     by_value
    .group_segment_fixed_size: 0
    .kernarg_segment_align: 8
    .kernarg_segment_size: 136
    .language:       OpenCL C
    .language_version:
      - 2
      - 0
    .max_flat_workgroup_size: 128
    .name:           _ZN7rocprim17ROCPRIM_400000_NS6detail17trampoline_kernelINS0_14default_configENS1_25partition_config_selectorILNS1_17partition_subalgoE5ElNS0_10empty_typeEbEEZZNS1_14partition_implILS5_5ELb0ES3_mN6hipcub16HIPCUB_304000_NS21CountingInputIteratorIllEEPS6_NSA_22TransformInputIteratorIbN2at6native12_GLOBAL__N_19NonZeroOpIaEEPKalEENS0_5tupleIJPlS6_EEENSN_IJSD_SD_EEES6_PiJS6_EEE10hipError_tPvRmT3_T4_T5_T6_T7_T9_mT8_P12ihipStream_tbDpT10_ENKUlT_T0_E_clISt17integral_constantIbLb1EES1B_EEDaS16_S17_EUlS16_E_NS1_11comp_targetILNS1_3genE3ELNS1_11target_archE908ELNS1_3gpuE7ELNS1_3repE0EEENS1_30default_config_static_selectorELNS0_4arch9wavefront6targetE0EEEvT1_
    .private_segment_fixed_size: 0
    .sgpr_count:     0
    .sgpr_spill_count: 0
    .symbol:         _ZN7rocprim17ROCPRIM_400000_NS6detail17trampoline_kernelINS0_14default_configENS1_25partition_config_selectorILNS1_17partition_subalgoE5ElNS0_10empty_typeEbEEZZNS1_14partition_implILS5_5ELb0ES3_mN6hipcub16HIPCUB_304000_NS21CountingInputIteratorIllEEPS6_NSA_22TransformInputIteratorIbN2at6native12_GLOBAL__N_19NonZeroOpIaEEPKalEENS0_5tupleIJPlS6_EEENSN_IJSD_SD_EEES6_PiJS6_EEE10hipError_tPvRmT3_T4_T5_T6_T7_T9_mT8_P12ihipStream_tbDpT10_ENKUlT_T0_E_clISt17integral_constantIbLb1EES1B_EEDaS16_S17_EUlS16_E_NS1_11comp_targetILNS1_3genE3ELNS1_11target_archE908ELNS1_3gpuE7ELNS1_3repE0EEENS1_30default_config_static_selectorELNS0_4arch9wavefront6targetE0EEEvT1_.kd
    .uniform_work_group_size: 1
    .uses_dynamic_stack: false
    .vgpr_count:     0
    .vgpr_spill_count: 0
    .wavefront_size: 32
    .workgroup_processor_mode: 1
  - .args:
      - .offset:         0
        .size:           136
        .value_kind:     by_value
    .group_segment_fixed_size: 0
    .kernarg_segment_align: 8
    .kernarg_segment_size: 136
    .language:       OpenCL C
    .language_version:
      - 2
      - 0
    .max_flat_workgroup_size: 256
    .name:           _ZN7rocprim17ROCPRIM_400000_NS6detail17trampoline_kernelINS0_14default_configENS1_25partition_config_selectorILNS1_17partition_subalgoE5ElNS0_10empty_typeEbEEZZNS1_14partition_implILS5_5ELb0ES3_mN6hipcub16HIPCUB_304000_NS21CountingInputIteratorIllEEPS6_NSA_22TransformInputIteratorIbN2at6native12_GLOBAL__N_19NonZeroOpIaEEPKalEENS0_5tupleIJPlS6_EEENSN_IJSD_SD_EEES6_PiJS6_EEE10hipError_tPvRmT3_T4_T5_T6_T7_T9_mT8_P12ihipStream_tbDpT10_ENKUlT_T0_E_clISt17integral_constantIbLb1EES1B_EEDaS16_S17_EUlS16_E_NS1_11comp_targetILNS1_3genE2ELNS1_11target_archE906ELNS1_3gpuE6ELNS1_3repE0EEENS1_30default_config_static_selectorELNS0_4arch9wavefront6targetE0EEEvT1_
    .private_segment_fixed_size: 0
    .sgpr_count:     0
    .sgpr_spill_count: 0
    .symbol:         _ZN7rocprim17ROCPRIM_400000_NS6detail17trampoline_kernelINS0_14default_configENS1_25partition_config_selectorILNS1_17partition_subalgoE5ElNS0_10empty_typeEbEEZZNS1_14partition_implILS5_5ELb0ES3_mN6hipcub16HIPCUB_304000_NS21CountingInputIteratorIllEEPS6_NSA_22TransformInputIteratorIbN2at6native12_GLOBAL__N_19NonZeroOpIaEEPKalEENS0_5tupleIJPlS6_EEENSN_IJSD_SD_EEES6_PiJS6_EEE10hipError_tPvRmT3_T4_T5_T6_T7_T9_mT8_P12ihipStream_tbDpT10_ENKUlT_T0_E_clISt17integral_constantIbLb1EES1B_EEDaS16_S17_EUlS16_E_NS1_11comp_targetILNS1_3genE2ELNS1_11target_archE906ELNS1_3gpuE6ELNS1_3repE0EEENS1_30default_config_static_selectorELNS0_4arch9wavefront6targetE0EEEvT1_.kd
    .uniform_work_group_size: 1
    .uses_dynamic_stack: false
    .vgpr_count:     0
    .vgpr_spill_count: 0
    .wavefront_size: 32
    .workgroup_processor_mode: 1
  - .args:
      - .offset:         0
        .size:           136
        .value_kind:     by_value
    .group_segment_fixed_size: 0
    .kernarg_segment_align: 8
    .kernarg_segment_size: 136
    .language:       OpenCL C
    .language_version:
      - 2
      - 0
    .max_flat_workgroup_size: 256
    .name:           _ZN7rocprim17ROCPRIM_400000_NS6detail17trampoline_kernelINS0_14default_configENS1_25partition_config_selectorILNS1_17partition_subalgoE5ElNS0_10empty_typeEbEEZZNS1_14partition_implILS5_5ELb0ES3_mN6hipcub16HIPCUB_304000_NS21CountingInputIteratorIllEEPS6_NSA_22TransformInputIteratorIbN2at6native12_GLOBAL__N_19NonZeroOpIaEEPKalEENS0_5tupleIJPlS6_EEENSN_IJSD_SD_EEES6_PiJS6_EEE10hipError_tPvRmT3_T4_T5_T6_T7_T9_mT8_P12ihipStream_tbDpT10_ENKUlT_T0_E_clISt17integral_constantIbLb1EES1B_EEDaS16_S17_EUlS16_E_NS1_11comp_targetILNS1_3genE10ELNS1_11target_archE1200ELNS1_3gpuE4ELNS1_3repE0EEENS1_30default_config_static_selectorELNS0_4arch9wavefront6targetE0EEEvT1_
    .private_segment_fixed_size: 0
    .sgpr_count:     0
    .sgpr_spill_count: 0
    .symbol:         _ZN7rocprim17ROCPRIM_400000_NS6detail17trampoline_kernelINS0_14default_configENS1_25partition_config_selectorILNS1_17partition_subalgoE5ElNS0_10empty_typeEbEEZZNS1_14partition_implILS5_5ELb0ES3_mN6hipcub16HIPCUB_304000_NS21CountingInputIteratorIllEEPS6_NSA_22TransformInputIteratorIbN2at6native12_GLOBAL__N_19NonZeroOpIaEEPKalEENS0_5tupleIJPlS6_EEENSN_IJSD_SD_EEES6_PiJS6_EEE10hipError_tPvRmT3_T4_T5_T6_T7_T9_mT8_P12ihipStream_tbDpT10_ENKUlT_T0_E_clISt17integral_constantIbLb1EES1B_EEDaS16_S17_EUlS16_E_NS1_11comp_targetILNS1_3genE10ELNS1_11target_archE1200ELNS1_3gpuE4ELNS1_3repE0EEENS1_30default_config_static_selectorELNS0_4arch9wavefront6targetE0EEEvT1_.kd
    .uniform_work_group_size: 1
    .uses_dynamic_stack: false
    .vgpr_count:     0
    .vgpr_spill_count: 0
    .wavefront_size: 32
    .workgroup_processor_mode: 1
  - .args:
      - .offset:         0
        .size:           136
        .value_kind:     by_value
    .group_segment_fixed_size: 0
    .kernarg_segment_align: 8
    .kernarg_segment_size: 136
    .language:       OpenCL C
    .language_version:
      - 2
      - 0
    .max_flat_workgroup_size: 128
    .name:           _ZN7rocprim17ROCPRIM_400000_NS6detail17trampoline_kernelINS0_14default_configENS1_25partition_config_selectorILNS1_17partition_subalgoE5ElNS0_10empty_typeEbEEZZNS1_14partition_implILS5_5ELb0ES3_mN6hipcub16HIPCUB_304000_NS21CountingInputIteratorIllEEPS6_NSA_22TransformInputIteratorIbN2at6native12_GLOBAL__N_19NonZeroOpIaEEPKalEENS0_5tupleIJPlS6_EEENSN_IJSD_SD_EEES6_PiJS6_EEE10hipError_tPvRmT3_T4_T5_T6_T7_T9_mT8_P12ihipStream_tbDpT10_ENKUlT_T0_E_clISt17integral_constantIbLb1EES1B_EEDaS16_S17_EUlS16_E_NS1_11comp_targetILNS1_3genE9ELNS1_11target_archE1100ELNS1_3gpuE3ELNS1_3repE0EEENS1_30default_config_static_selectorELNS0_4arch9wavefront6targetE0EEEvT1_
    .private_segment_fixed_size: 0
    .sgpr_count:     0
    .sgpr_spill_count: 0
    .symbol:         _ZN7rocprim17ROCPRIM_400000_NS6detail17trampoline_kernelINS0_14default_configENS1_25partition_config_selectorILNS1_17partition_subalgoE5ElNS0_10empty_typeEbEEZZNS1_14partition_implILS5_5ELb0ES3_mN6hipcub16HIPCUB_304000_NS21CountingInputIteratorIllEEPS6_NSA_22TransformInputIteratorIbN2at6native12_GLOBAL__N_19NonZeroOpIaEEPKalEENS0_5tupleIJPlS6_EEENSN_IJSD_SD_EEES6_PiJS6_EEE10hipError_tPvRmT3_T4_T5_T6_T7_T9_mT8_P12ihipStream_tbDpT10_ENKUlT_T0_E_clISt17integral_constantIbLb1EES1B_EEDaS16_S17_EUlS16_E_NS1_11comp_targetILNS1_3genE9ELNS1_11target_archE1100ELNS1_3gpuE3ELNS1_3repE0EEENS1_30default_config_static_selectorELNS0_4arch9wavefront6targetE0EEEvT1_.kd
    .uniform_work_group_size: 1
    .uses_dynamic_stack: false
    .vgpr_count:     0
    .vgpr_spill_count: 0
    .wavefront_size: 32
    .workgroup_processor_mode: 1
  - .args:
      - .offset:         0
        .size:           136
        .value_kind:     by_value
    .group_segment_fixed_size: 0
    .kernarg_segment_align: 8
    .kernarg_segment_size: 136
    .language:       OpenCL C
    .language_version:
      - 2
      - 0
    .max_flat_workgroup_size: 512
    .name:           _ZN7rocprim17ROCPRIM_400000_NS6detail17trampoline_kernelINS0_14default_configENS1_25partition_config_selectorILNS1_17partition_subalgoE5ElNS0_10empty_typeEbEEZZNS1_14partition_implILS5_5ELb0ES3_mN6hipcub16HIPCUB_304000_NS21CountingInputIteratorIllEEPS6_NSA_22TransformInputIteratorIbN2at6native12_GLOBAL__N_19NonZeroOpIaEEPKalEENS0_5tupleIJPlS6_EEENSN_IJSD_SD_EEES6_PiJS6_EEE10hipError_tPvRmT3_T4_T5_T6_T7_T9_mT8_P12ihipStream_tbDpT10_ENKUlT_T0_E_clISt17integral_constantIbLb1EES1B_EEDaS16_S17_EUlS16_E_NS1_11comp_targetILNS1_3genE8ELNS1_11target_archE1030ELNS1_3gpuE2ELNS1_3repE0EEENS1_30default_config_static_selectorELNS0_4arch9wavefront6targetE0EEEvT1_
    .private_segment_fixed_size: 0
    .sgpr_count:     0
    .sgpr_spill_count: 0
    .symbol:         _ZN7rocprim17ROCPRIM_400000_NS6detail17trampoline_kernelINS0_14default_configENS1_25partition_config_selectorILNS1_17partition_subalgoE5ElNS0_10empty_typeEbEEZZNS1_14partition_implILS5_5ELb0ES3_mN6hipcub16HIPCUB_304000_NS21CountingInputIteratorIllEEPS6_NSA_22TransformInputIteratorIbN2at6native12_GLOBAL__N_19NonZeroOpIaEEPKalEENS0_5tupleIJPlS6_EEENSN_IJSD_SD_EEES6_PiJS6_EEE10hipError_tPvRmT3_T4_T5_T6_T7_T9_mT8_P12ihipStream_tbDpT10_ENKUlT_T0_E_clISt17integral_constantIbLb1EES1B_EEDaS16_S17_EUlS16_E_NS1_11comp_targetILNS1_3genE8ELNS1_11target_archE1030ELNS1_3gpuE2ELNS1_3repE0EEENS1_30default_config_static_selectorELNS0_4arch9wavefront6targetE0EEEvT1_.kd
    .uniform_work_group_size: 1
    .uses_dynamic_stack: false
    .vgpr_count:     0
    .vgpr_spill_count: 0
    .wavefront_size: 32
    .workgroup_processor_mode: 1
  - .args:
      - .offset:         0
        .size:           120
        .value_kind:     by_value
    .group_segment_fixed_size: 0
    .kernarg_segment_align: 8
    .kernarg_segment_size: 120
    .language:       OpenCL C
    .language_version:
      - 2
      - 0
    .max_flat_workgroup_size: 128
    .name:           _ZN7rocprim17ROCPRIM_400000_NS6detail17trampoline_kernelINS0_14default_configENS1_25partition_config_selectorILNS1_17partition_subalgoE5ElNS0_10empty_typeEbEEZZNS1_14partition_implILS5_5ELb0ES3_mN6hipcub16HIPCUB_304000_NS21CountingInputIteratorIllEEPS6_NSA_22TransformInputIteratorIbN2at6native12_GLOBAL__N_19NonZeroOpIaEEPKalEENS0_5tupleIJPlS6_EEENSN_IJSD_SD_EEES6_PiJS6_EEE10hipError_tPvRmT3_T4_T5_T6_T7_T9_mT8_P12ihipStream_tbDpT10_ENKUlT_T0_E_clISt17integral_constantIbLb1EES1A_IbLb0EEEEDaS16_S17_EUlS16_E_NS1_11comp_targetILNS1_3genE0ELNS1_11target_archE4294967295ELNS1_3gpuE0ELNS1_3repE0EEENS1_30default_config_static_selectorELNS0_4arch9wavefront6targetE0EEEvT1_
    .private_segment_fixed_size: 0
    .sgpr_count:     0
    .sgpr_spill_count: 0
    .symbol:         _ZN7rocprim17ROCPRIM_400000_NS6detail17trampoline_kernelINS0_14default_configENS1_25partition_config_selectorILNS1_17partition_subalgoE5ElNS0_10empty_typeEbEEZZNS1_14partition_implILS5_5ELb0ES3_mN6hipcub16HIPCUB_304000_NS21CountingInputIteratorIllEEPS6_NSA_22TransformInputIteratorIbN2at6native12_GLOBAL__N_19NonZeroOpIaEEPKalEENS0_5tupleIJPlS6_EEENSN_IJSD_SD_EEES6_PiJS6_EEE10hipError_tPvRmT3_T4_T5_T6_T7_T9_mT8_P12ihipStream_tbDpT10_ENKUlT_T0_E_clISt17integral_constantIbLb1EES1A_IbLb0EEEEDaS16_S17_EUlS16_E_NS1_11comp_targetILNS1_3genE0ELNS1_11target_archE4294967295ELNS1_3gpuE0ELNS1_3repE0EEENS1_30default_config_static_selectorELNS0_4arch9wavefront6targetE0EEEvT1_.kd
    .uniform_work_group_size: 1
    .uses_dynamic_stack: false
    .vgpr_count:     0
    .vgpr_spill_count: 0
    .wavefront_size: 32
    .workgroup_processor_mode: 1
  - .args:
      - .offset:         0
        .size:           120
        .value_kind:     by_value
    .group_segment_fixed_size: 0
    .kernarg_segment_align: 8
    .kernarg_segment_size: 120
    .language:       OpenCL C
    .language_version:
      - 2
      - 0
    .max_flat_workgroup_size: 512
    .name:           _ZN7rocprim17ROCPRIM_400000_NS6detail17trampoline_kernelINS0_14default_configENS1_25partition_config_selectorILNS1_17partition_subalgoE5ElNS0_10empty_typeEbEEZZNS1_14partition_implILS5_5ELb0ES3_mN6hipcub16HIPCUB_304000_NS21CountingInputIteratorIllEEPS6_NSA_22TransformInputIteratorIbN2at6native12_GLOBAL__N_19NonZeroOpIaEEPKalEENS0_5tupleIJPlS6_EEENSN_IJSD_SD_EEES6_PiJS6_EEE10hipError_tPvRmT3_T4_T5_T6_T7_T9_mT8_P12ihipStream_tbDpT10_ENKUlT_T0_E_clISt17integral_constantIbLb1EES1A_IbLb0EEEEDaS16_S17_EUlS16_E_NS1_11comp_targetILNS1_3genE5ELNS1_11target_archE942ELNS1_3gpuE9ELNS1_3repE0EEENS1_30default_config_static_selectorELNS0_4arch9wavefront6targetE0EEEvT1_
    .private_segment_fixed_size: 0
    .sgpr_count:     0
    .sgpr_spill_count: 0
    .symbol:         _ZN7rocprim17ROCPRIM_400000_NS6detail17trampoline_kernelINS0_14default_configENS1_25partition_config_selectorILNS1_17partition_subalgoE5ElNS0_10empty_typeEbEEZZNS1_14partition_implILS5_5ELb0ES3_mN6hipcub16HIPCUB_304000_NS21CountingInputIteratorIllEEPS6_NSA_22TransformInputIteratorIbN2at6native12_GLOBAL__N_19NonZeroOpIaEEPKalEENS0_5tupleIJPlS6_EEENSN_IJSD_SD_EEES6_PiJS6_EEE10hipError_tPvRmT3_T4_T5_T6_T7_T9_mT8_P12ihipStream_tbDpT10_ENKUlT_T0_E_clISt17integral_constantIbLb1EES1A_IbLb0EEEEDaS16_S17_EUlS16_E_NS1_11comp_targetILNS1_3genE5ELNS1_11target_archE942ELNS1_3gpuE9ELNS1_3repE0EEENS1_30default_config_static_selectorELNS0_4arch9wavefront6targetE0EEEvT1_.kd
    .uniform_work_group_size: 1
    .uses_dynamic_stack: false
    .vgpr_count:     0
    .vgpr_spill_count: 0
    .wavefront_size: 32
    .workgroup_processor_mode: 1
  - .args:
      - .offset:         0
        .size:           120
        .value_kind:     by_value
    .group_segment_fixed_size: 0
    .kernarg_segment_align: 8
    .kernarg_segment_size: 120
    .language:       OpenCL C
    .language_version:
      - 2
      - 0
    .max_flat_workgroup_size: 192
    .name:           _ZN7rocprim17ROCPRIM_400000_NS6detail17trampoline_kernelINS0_14default_configENS1_25partition_config_selectorILNS1_17partition_subalgoE5ElNS0_10empty_typeEbEEZZNS1_14partition_implILS5_5ELb0ES3_mN6hipcub16HIPCUB_304000_NS21CountingInputIteratorIllEEPS6_NSA_22TransformInputIteratorIbN2at6native12_GLOBAL__N_19NonZeroOpIaEEPKalEENS0_5tupleIJPlS6_EEENSN_IJSD_SD_EEES6_PiJS6_EEE10hipError_tPvRmT3_T4_T5_T6_T7_T9_mT8_P12ihipStream_tbDpT10_ENKUlT_T0_E_clISt17integral_constantIbLb1EES1A_IbLb0EEEEDaS16_S17_EUlS16_E_NS1_11comp_targetILNS1_3genE4ELNS1_11target_archE910ELNS1_3gpuE8ELNS1_3repE0EEENS1_30default_config_static_selectorELNS0_4arch9wavefront6targetE0EEEvT1_
    .private_segment_fixed_size: 0
    .sgpr_count:     0
    .sgpr_spill_count: 0
    .symbol:         _ZN7rocprim17ROCPRIM_400000_NS6detail17trampoline_kernelINS0_14default_configENS1_25partition_config_selectorILNS1_17partition_subalgoE5ElNS0_10empty_typeEbEEZZNS1_14partition_implILS5_5ELb0ES3_mN6hipcub16HIPCUB_304000_NS21CountingInputIteratorIllEEPS6_NSA_22TransformInputIteratorIbN2at6native12_GLOBAL__N_19NonZeroOpIaEEPKalEENS0_5tupleIJPlS6_EEENSN_IJSD_SD_EEES6_PiJS6_EEE10hipError_tPvRmT3_T4_T5_T6_T7_T9_mT8_P12ihipStream_tbDpT10_ENKUlT_T0_E_clISt17integral_constantIbLb1EES1A_IbLb0EEEEDaS16_S17_EUlS16_E_NS1_11comp_targetILNS1_3genE4ELNS1_11target_archE910ELNS1_3gpuE8ELNS1_3repE0EEENS1_30default_config_static_selectorELNS0_4arch9wavefront6targetE0EEEvT1_.kd
    .uniform_work_group_size: 1
    .uses_dynamic_stack: false
    .vgpr_count:     0
    .vgpr_spill_count: 0
    .wavefront_size: 32
    .workgroup_processor_mode: 1
  - .args:
      - .offset:         0
        .size:           120
        .value_kind:     by_value
    .group_segment_fixed_size: 0
    .kernarg_segment_align: 8
    .kernarg_segment_size: 120
    .language:       OpenCL C
    .language_version:
      - 2
      - 0
    .max_flat_workgroup_size: 128
    .name:           _ZN7rocprim17ROCPRIM_400000_NS6detail17trampoline_kernelINS0_14default_configENS1_25partition_config_selectorILNS1_17partition_subalgoE5ElNS0_10empty_typeEbEEZZNS1_14partition_implILS5_5ELb0ES3_mN6hipcub16HIPCUB_304000_NS21CountingInputIteratorIllEEPS6_NSA_22TransformInputIteratorIbN2at6native12_GLOBAL__N_19NonZeroOpIaEEPKalEENS0_5tupleIJPlS6_EEENSN_IJSD_SD_EEES6_PiJS6_EEE10hipError_tPvRmT3_T4_T5_T6_T7_T9_mT8_P12ihipStream_tbDpT10_ENKUlT_T0_E_clISt17integral_constantIbLb1EES1A_IbLb0EEEEDaS16_S17_EUlS16_E_NS1_11comp_targetILNS1_3genE3ELNS1_11target_archE908ELNS1_3gpuE7ELNS1_3repE0EEENS1_30default_config_static_selectorELNS0_4arch9wavefront6targetE0EEEvT1_
    .private_segment_fixed_size: 0
    .sgpr_count:     0
    .sgpr_spill_count: 0
    .symbol:         _ZN7rocprim17ROCPRIM_400000_NS6detail17trampoline_kernelINS0_14default_configENS1_25partition_config_selectorILNS1_17partition_subalgoE5ElNS0_10empty_typeEbEEZZNS1_14partition_implILS5_5ELb0ES3_mN6hipcub16HIPCUB_304000_NS21CountingInputIteratorIllEEPS6_NSA_22TransformInputIteratorIbN2at6native12_GLOBAL__N_19NonZeroOpIaEEPKalEENS0_5tupleIJPlS6_EEENSN_IJSD_SD_EEES6_PiJS6_EEE10hipError_tPvRmT3_T4_T5_T6_T7_T9_mT8_P12ihipStream_tbDpT10_ENKUlT_T0_E_clISt17integral_constantIbLb1EES1A_IbLb0EEEEDaS16_S17_EUlS16_E_NS1_11comp_targetILNS1_3genE3ELNS1_11target_archE908ELNS1_3gpuE7ELNS1_3repE0EEENS1_30default_config_static_selectorELNS0_4arch9wavefront6targetE0EEEvT1_.kd
    .uniform_work_group_size: 1
    .uses_dynamic_stack: false
    .vgpr_count:     0
    .vgpr_spill_count: 0
    .wavefront_size: 32
    .workgroup_processor_mode: 1
  - .args:
      - .offset:         0
        .size:           120
        .value_kind:     by_value
    .group_segment_fixed_size: 0
    .kernarg_segment_align: 8
    .kernarg_segment_size: 120
    .language:       OpenCL C
    .language_version:
      - 2
      - 0
    .max_flat_workgroup_size: 256
    .name:           _ZN7rocprim17ROCPRIM_400000_NS6detail17trampoline_kernelINS0_14default_configENS1_25partition_config_selectorILNS1_17partition_subalgoE5ElNS0_10empty_typeEbEEZZNS1_14partition_implILS5_5ELb0ES3_mN6hipcub16HIPCUB_304000_NS21CountingInputIteratorIllEEPS6_NSA_22TransformInputIteratorIbN2at6native12_GLOBAL__N_19NonZeroOpIaEEPKalEENS0_5tupleIJPlS6_EEENSN_IJSD_SD_EEES6_PiJS6_EEE10hipError_tPvRmT3_T4_T5_T6_T7_T9_mT8_P12ihipStream_tbDpT10_ENKUlT_T0_E_clISt17integral_constantIbLb1EES1A_IbLb0EEEEDaS16_S17_EUlS16_E_NS1_11comp_targetILNS1_3genE2ELNS1_11target_archE906ELNS1_3gpuE6ELNS1_3repE0EEENS1_30default_config_static_selectorELNS0_4arch9wavefront6targetE0EEEvT1_
    .private_segment_fixed_size: 0
    .sgpr_count:     0
    .sgpr_spill_count: 0
    .symbol:         _ZN7rocprim17ROCPRIM_400000_NS6detail17trampoline_kernelINS0_14default_configENS1_25partition_config_selectorILNS1_17partition_subalgoE5ElNS0_10empty_typeEbEEZZNS1_14partition_implILS5_5ELb0ES3_mN6hipcub16HIPCUB_304000_NS21CountingInputIteratorIllEEPS6_NSA_22TransformInputIteratorIbN2at6native12_GLOBAL__N_19NonZeroOpIaEEPKalEENS0_5tupleIJPlS6_EEENSN_IJSD_SD_EEES6_PiJS6_EEE10hipError_tPvRmT3_T4_T5_T6_T7_T9_mT8_P12ihipStream_tbDpT10_ENKUlT_T0_E_clISt17integral_constantIbLb1EES1A_IbLb0EEEEDaS16_S17_EUlS16_E_NS1_11comp_targetILNS1_3genE2ELNS1_11target_archE906ELNS1_3gpuE6ELNS1_3repE0EEENS1_30default_config_static_selectorELNS0_4arch9wavefront6targetE0EEEvT1_.kd
    .uniform_work_group_size: 1
    .uses_dynamic_stack: false
    .vgpr_count:     0
    .vgpr_spill_count: 0
    .wavefront_size: 32
    .workgroup_processor_mode: 1
  - .args:
      - .offset:         0
        .size:           120
        .value_kind:     by_value
    .group_segment_fixed_size: 0
    .kernarg_segment_align: 8
    .kernarg_segment_size: 120
    .language:       OpenCL C
    .language_version:
      - 2
      - 0
    .max_flat_workgroup_size: 256
    .name:           _ZN7rocprim17ROCPRIM_400000_NS6detail17trampoline_kernelINS0_14default_configENS1_25partition_config_selectorILNS1_17partition_subalgoE5ElNS0_10empty_typeEbEEZZNS1_14partition_implILS5_5ELb0ES3_mN6hipcub16HIPCUB_304000_NS21CountingInputIteratorIllEEPS6_NSA_22TransformInputIteratorIbN2at6native12_GLOBAL__N_19NonZeroOpIaEEPKalEENS0_5tupleIJPlS6_EEENSN_IJSD_SD_EEES6_PiJS6_EEE10hipError_tPvRmT3_T4_T5_T6_T7_T9_mT8_P12ihipStream_tbDpT10_ENKUlT_T0_E_clISt17integral_constantIbLb1EES1A_IbLb0EEEEDaS16_S17_EUlS16_E_NS1_11comp_targetILNS1_3genE10ELNS1_11target_archE1200ELNS1_3gpuE4ELNS1_3repE0EEENS1_30default_config_static_selectorELNS0_4arch9wavefront6targetE0EEEvT1_
    .private_segment_fixed_size: 0
    .sgpr_count:     0
    .sgpr_spill_count: 0
    .symbol:         _ZN7rocprim17ROCPRIM_400000_NS6detail17trampoline_kernelINS0_14default_configENS1_25partition_config_selectorILNS1_17partition_subalgoE5ElNS0_10empty_typeEbEEZZNS1_14partition_implILS5_5ELb0ES3_mN6hipcub16HIPCUB_304000_NS21CountingInputIteratorIllEEPS6_NSA_22TransformInputIteratorIbN2at6native12_GLOBAL__N_19NonZeroOpIaEEPKalEENS0_5tupleIJPlS6_EEENSN_IJSD_SD_EEES6_PiJS6_EEE10hipError_tPvRmT3_T4_T5_T6_T7_T9_mT8_P12ihipStream_tbDpT10_ENKUlT_T0_E_clISt17integral_constantIbLb1EES1A_IbLb0EEEEDaS16_S17_EUlS16_E_NS1_11comp_targetILNS1_3genE10ELNS1_11target_archE1200ELNS1_3gpuE4ELNS1_3repE0EEENS1_30default_config_static_selectorELNS0_4arch9wavefront6targetE0EEEvT1_.kd
    .uniform_work_group_size: 1
    .uses_dynamic_stack: false
    .vgpr_count:     0
    .vgpr_spill_count: 0
    .wavefront_size: 32
    .workgroup_processor_mode: 1
  - .args:
      - .offset:         0
        .size:           120
        .value_kind:     by_value
    .group_segment_fixed_size: 0
    .kernarg_segment_align: 8
    .kernarg_segment_size: 120
    .language:       OpenCL C
    .language_version:
      - 2
      - 0
    .max_flat_workgroup_size: 128
    .name:           _ZN7rocprim17ROCPRIM_400000_NS6detail17trampoline_kernelINS0_14default_configENS1_25partition_config_selectorILNS1_17partition_subalgoE5ElNS0_10empty_typeEbEEZZNS1_14partition_implILS5_5ELb0ES3_mN6hipcub16HIPCUB_304000_NS21CountingInputIteratorIllEEPS6_NSA_22TransformInputIteratorIbN2at6native12_GLOBAL__N_19NonZeroOpIaEEPKalEENS0_5tupleIJPlS6_EEENSN_IJSD_SD_EEES6_PiJS6_EEE10hipError_tPvRmT3_T4_T5_T6_T7_T9_mT8_P12ihipStream_tbDpT10_ENKUlT_T0_E_clISt17integral_constantIbLb1EES1A_IbLb0EEEEDaS16_S17_EUlS16_E_NS1_11comp_targetILNS1_3genE9ELNS1_11target_archE1100ELNS1_3gpuE3ELNS1_3repE0EEENS1_30default_config_static_selectorELNS0_4arch9wavefront6targetE0EEEvT1_
    .private_segment_fixed_size: 0
    .sgpr_count:     0
    .sgpr_spill_count: 0
    .symbol:         _ZN7rocprim17ROCPRIM_400000_NS6detail17trampoline_kernelINS0_14default_configENS1_25partition_config_selectorILNS1_17partition_subalgoE5ElNS0_10empty_typeEbEEZZNS1_14partition_implILS5_5ELb0ES3_mN6hipcub16HIPCUB_304000_NS21CountingInputIteratorIllEEPS6_NSA_22TransformInputIteratorIbN2at6native12_GLOBAL__N_19NonZeroOpIaEEPKalEENS0_5tupleIJPlS6_EEENSN_IJSD_SD_EEES6_PiJS6_EEE10hipError_tPvRmT3_T4_T5_T6_T7_T9_mT8_P12ihipStream_tbDpT10_ENKUlT_T0_E_clISt17integral_constantIbLb1EES1A_IbLb0EEEEDaS16_S17_EUlS16_E_NS1_11comp_targetILNS1_3genE9ELNS1_11target_archE1100ELNS1_3gpuE3ELNS1_3repE0EEENS1_30default_config_static_selectorELNS0_4arch9wavefront6targetE0EEEvT1_.kd
    .uniform_work_group_size: 1
    .uses_dynamic_stack: false
    .vgpr_count:     0
    .vgpr_spill_count: 0
    .wavefront_size: 32
    .workgroup_processor_mode: 1
  - .args:
      - .offset:         0
        .size:           120
        .value_kind:     by_value
    .group_segment_fixed_size: 0
    .kernarg_segment_align: 8
    .kernarg_segment_size: 120
    .language:       OpenCL C
    .language_version:
      - 2
      - 0
    .max_flat_workgroup_size: 512
    .name:           _ZN7rocprim17ROCPRIM_400000_NS6detail17trampoline_kernelINS0_14default_configENS1_25partition_config_selectorILNS1_17partition_subalgoE5ElNS0_10empty_typeEbEEZZNS1_14partition_implILS5_5ELb0ES3_mN6hipcub16HIPCUB_304000_NS21CountingInputIteratorIllEEPS6_NSA_22TransformInputIteratorIbN2at6native12_GLOBAL__N_19NonZeroOpIaEEPKalEENS0_5tupleIJPlS6_EEENSN_IJSD_SD_EEES6_PiJS6_EEE10hipError_tPvRmT3_T4_T5_T6_T7_T9_mT8_P12ihipStream_tbDpT10_ENKUlT_T0_E_clISt17integral_constantIbLb1EES1A_IbLb0EEEEDaS16_S17_EUlS16_E_NS1_11comp_targetILNS1_3genE8ELNS1_11target_archE1030ELNS1_3gpuE2ELNS1_3repE0EEENS1_30default_config_static_selectorELNS0_4arch9wavefront6targetE0EEEvT1_
    .private_segment_fixed_size: 0
    .sgpr_count:     0
    .sgpr_spill_count: 0
    .symbol:         _ZN7rocprim17ROCPRIM_400000_NS6detail17trampoline_kernelINS0_14default_configENS1_25partition_config_selectorILNS1_17partition_subalgoE5ElNS0_10empty_typeEbEEZZNS1_14partition_implILS5_5ELb0ES3_mN6hipcub16HIPCUB_304000_NS21CountingInputIteratorIllEEPS6_NSA_22TransformInputIteratorIbN2at6native12_GLOBAL__N_19NonZeroOpIaEEPKalEENS0_5tupleIJPlS6_EEENSN_IJSD_SD_EEES6_PiJS6_EEE10hipError_tPvRmT3_T4_T5_T6_T7_T9_mT8_P12ihipStream_tbDpT10_ENKUlT_T0_E_clISt17integral_constantIbLb1EES1A_IbLb0EEEEDaS16_S17_EUlS16_E_NS1_11comp_targetILNS1_3genE8ELNS1_11target_archE1030ELNS1_3gpuE2ELNS1_3repE0EEENS1_30default_config_static_selectorELNS0_4arch9wavefront6targetE0EEEvT1_.kd
    .uniform_work_group_size: 1
    .uses_dynamic_stack: false
    .vgpr_count:     0
    .vgpr_spill_count: 0
    .wavefront_size: 32
    .workgroup_processor_mode: 1
  - .args:
      - .offset:         0
        .size:           136
        .value_kind:     by_value
    .group_segment_fixed_size: 0
    .kernarg_segment_align: 8
    .kernarg_segment_size: 136
    .language:       OpenCL C
    .language_version:
      - 2
      - 0
    .max_flat_workgroup_size: 128
    .name:           _ZN7rocprim17ROCPRIM_400000_NS6detail17trampoline_kernelINS0_14default_configENS1_25partition_config_selectorILNS1_17partition_subalgoE5ElNS0_10empty_typeEbEEZZNS1_14partition_implILS5_5ELb0ES3_mN6hipcub16HIPCUB_304000_NS21CountingInputIteratorIllEEPS6_NSA_22TransformInputIteratorIbN2at6native12_GLOBAL__N_19NonZeroOpIaEEPKalEENS0_5tupleIJPlS6_EEENSN_IJSD_SD_EEES6_PiJS6_EEE10hipError_tPvRmT3_T4_T5_T6_T7_T9_mT8_P12ihipStream_tbDpT10_ENKUlT_T0_E_clISt17integral_constantIbLb0EES1A_IbLb1EEEEDaS16_S17_EUlS16_E_NS1_11comp_targetILNS1_3genE0ELNS1_11target_archE4294967295ELNS1_3gpuE0ELNS1_3repE0EEENS1_30default_config_static_selectorELNS0_4arch9wavefront6targetE0EEEvT1_
    .private_segment_fixed_size: 0
    .sgpr_count:     0
    .sgpr_spill_count: 0
    .symbol:         _ZN7rocprim17ROCPRIM_400000_NS6detail17trampoline_kernelINS0_14default_configENS1_25partition_config_selectorILNS1_17partition_subalgoE5ElNS0_10empty_typeEbEEZZNS1_14partition_implILS5_5ELb0ES3_mN6hipcub16HIPCUB_304000_NS21CountingInputIteratorIllEEPS6_NSA_22TransformInputIteratorIbN2at6native12_GLOBAL__N_19NonZeroOpIaEEPKalEENS0_5tupleIJPlS6_EEENSN_IJSD_SD_EEES6_PiJS6_EEE10hipError_tPvRmT3_T4_T5_T6_T7_T9_mT8_P12ihipStream_tbDpT10_ENKUlT_T0_E_clISt17integral_constantIbLb0EES1A_IbLb1EEEEDaS16_S17_EUlS16_E_NS1_11comp_targetILNS1_3genE0ELNS1_11target_archE4294967295ELNS1_3gpuE0ELNS1_3repE0EEENS1_30default_config_static_selectorELNS0_4arch9wavefront6targetE0EEEvT1_.kd
    .uniform_work_group_size: 1
    .uses_dynamic_stack: false
    .vgpr_count:     0
    .vgpr_spill_count: 0
    .wavefront_size: 32
    .workgroup_processor_mode: 1
  - .args:
      - .offset:         0
        .size:           136
        .value_kind:     by_value
    .group_segment_fixed_size: 0
    .kernarg_segment_align: 8
    .kernarg_segment_size: 136
    .language:       OpenCL C
    .language_version:
      - 2
      - 0
    .max_flat_workgroup_size: 512
    .name:           _ZN7rocprim17ROCPRIM_400000_NS6detail17trampoline_kernelINS0_14default_configENS1_25partition_config_selectorILNS1_17partition_subalgoE5ElNS0_10empty_typeEbEEZZNS1_14partition_implILS5_5ELb0ES3_mN6hipcub16HIPCUB_304000_NS21CountingInputIteratorIllEEPS6_NSA_22TransformInputIteratorIbN2at6native12_GLOBAL__N_19NonZeroOpIaEEPKalEENS0_5tupleIJPlS6_EEENSN_IJSD_SD_EEES6_PiJS6_EEE10hipError_tPvRmT3_T4_T5_T6_T7_T9_mT8_P12ihipStream_tbDpT10_ENKUlT_T0_E_clISt17integral_constantIbLb0EES1A_IbLb1EEEEDaS16_S17_EUlS16_E_NS1_11comp_targetILNS1_3genE5ELNS1_11target_archE942ELNS1_3gpuE9ELNS1_3repE0EEENS1_30default_config_static_selectorELNS0_4arch9wavefront6targetE0EEEvT1_
    .private_segment_fixed_size: 0
    .sgpr_count:     0
    .sgpr_spill_count: 0
    .symbol:         _ZN7rocprim17ROCPRIM_400000_NS6detail17trampoline_kernelINS0_14default_configENS1_25partition_config_selectorILNS1_17partition_subalgoE5ElNS0_10empty_typeEbEEZZNS1_14partition_implILS5_5ELb0ES3_mN6hipcub16HIPCUB_304000_NS21CountingInputIteratorIllEEPS6_NSA_22TransformInputIteratorIbN2at6native12_GLOBAL__N_19NonZeroOpIaEEPKalEENS0_5tupleIJPlS6_EEENSN_IJSD_SD_EEES6_PiJS6_EEE10hipError_tPvRmT3_T4_T5_T6_T7_T9_mT8_P12ihipStream_tbDpT10_ENKUlT_T0_E_clISt17integral_constantIbLb0EES1A_IbLb1EEEEDaS16_S17_EUlS16_E_NS1_11comp_targetILNS1_3genE5ELNS1_11target_archE942ELNS1_3gpuE9ELNS1_3repE0EEENS1_30default_config_static_selectorELNS0_4arch9wavefront6targetE0EEEvT1_.kd
    .uniform_work_group_size: 1
    .uses_dynamic_stack: false
    .vgpr_count:     0
    .vgpr_spill_count: 0
    .wavefront_size: 32
    .workgroup_processor_mode: 1
  - .args:
      - .offset:         0
        .size:           136
        .value_kind:     by_value
    .group_segment_fixed_size: 0
    .kernarg_segment_align: 8
    .kernarg_segment_size: 136
    .language:       OpenCL C
    .language_version:
      - 2
      - 0
    .max_flat_workgroup_size: 192
    .name:           _ZN7rocprim17ROCPRIM_400000_NS6detail17trampoline_kernelINS0_14default_configENS1_25partition_config_selectorILNS1_17partition_subalgoE5ElNS0_10empty_typeEbEEZZNS1_14partition_implILS5_5ELb0ES3_mN6hipcub16HIPCUB_304000_NS21CountingInputIteratorIllEEPS6_NSA_22TransformInputIteratorIbN2at6native12_GLOBAL__N_19NonZeroOpIaEEPKalEENS0_5tupleIJPlS6_EEENSN_IJSD_SD_EEES6_PiJS6_EEE10hipError_tPvRmT3_T4_T5_T6_T7_T9_mT8_P12ihipStream_tbDpT10_ENKUlT_T0_E_clISt17integral_constantIbLb0EES1A_IbLb1EEEEDaS16_S17_EUlS16_E_NS1_11comp_targetILNS1_3genE4ELNS1_11target_archE910ELNS1_3gpuE8ELNS1_3repE0EEENS1_30default_config_static_selectorELNS0_4arch9wavefront6targetE0EEEvT1_
    .private_segment_fixed_size: 0
    .sgpr_count:     0
    .sgpr_spill_count: 0
    .symbol:         _ZN7rocprim17ROCPRIM_400000_NS6detail17trampoline_kernelINS0_14default_configENS1_25partition_config_selectorILNS1_17partition_subalgoE5ElNS0_10empty_typeEbEEZZNS1_14partition_implILS5_5ELb0ES3_mN6hipcub16HIPCUB_304000_NS21CountingInputIteratorIllEEPS6_NSA_22TransformInputIteratorIbN2at6native12_GLOBAL__N_19NonZeroOpIaEEPKalEENS0_5tupleIJPlS6_EEENSN_IJSD_SD_EEES6_PiJS6_EEE10hipError_tPvRmT3_T4_T5_T6_T7_T9_mT8_P12ihipStream_tbDpT10_ENKUlT_T0_E_clISt17integral_constantIbLb0EES1A_IbLb1EEEEDaS16_S17_EUlS16_E_NS1_11comp_targetILNS1_3genE4ELNS1_11target_archE910ELNS1_3gpuE8ELNS1_3repE0EEENS1_30default_config_static_selectorELNS0_4arch9wavefront6targetE0EEEvT1_.kd
    .uniform_work_group_size: 1
    .uses_dynamic_stack: false
    .vgpr_count:     0
    .vgpr_spill_count: 0
    .wavefront_size: 32
    .workgroup_processor_mode: 1
  - .args:
      - .offset:         0
        .size:           136
        .value_kind:     by_value
    .group_segment_fixed_size: 0
    .kernarg_segment_align: 8
    .kernarg_segment_size: 136
    .language:       OpenCL C
    .language_version:
      - 2
      - 0
    .max_flat_workgroup_size: 128
    .name:           _ZN7rocprim17ROCPRIM_400000_NS6detail17trampoline_kernelINS0_14default_configENS1_25partition_config_selectorILNS1_17partition_subalgoE5ElNS0_10empty_typeEbEEZZNS1_14partition_implILS5_5ELb0ES3_mN6hipcub16HIPCUB_304000_NS21CountingInputIteratorIllEEPS6_NSA_22TransformInputIteratorIbN2at6native12_GLOBAL__N_19NonZeroOpIaEEPKalEENS0_5tupleIJPlS6_EEENSN_IJSD_SD_EEES6_PiJS6_EEE10hipError_tPvRmT3_T4_T5_T6_T7_T9_mT8_P12ihipStream_tbDpT10_ENKUlT_T0_E_clISt17integral_constantIbLb0EES1A_IbLb1EEEEDaS16_S17_EUlS16_E_NS1_11comp_targetILNS1_3genE3ELNS1_11target_archE908ELNS1_3gpuE7ELNS1_3repE0EEENS1_30default_config_static_selectorELNS0_4arch9wavefront6targetE0EEEvT1_
    .private_segment_fixed_size: 0
    .sgpr_count:     0
    .sgpr_spill_count: 0
    .symbol:         _ZN7rocprim17ROCPRIM_400000_NS6detail17trampoline_kernelINS0_14default_configENS1_25partition_config_selectorILNS1_17partition_subalgoE5ElNS0_10empty_typeEbEEZZNS1_14partition_implILS5_5ELb0ES3_mN6hipcub16HIPCUB_304000_NS21CountingInputIteratorIllEEPS6_NSA_22TransformInputIteratorIbN2at6native12_GLOBAL__N_19NonZeroOpIaEEPKalEENS0_5tupleIJPlS6_EEENSN_IJSD_SD_EEES6_PiJS6_EEE10hipError_tPvRmT3_T4_T5_T6_T7_T9_mT8_P12ihipStream_tbDpT10_ENKUlT_T0_E_clISt17integral_constantIbLb0EES1A_IbLb1EEEEDaS16_S17_EUlS16_E_NS1_11comp_targetILNS1_3genE3ELNS1_11target_archE908ELNS1_3gpuE7ELNS1_3repE0EEENS1_30default_config_static_selectorELNS0_4arch9wavefront6targetE0EEEvT1_.kd
    .uniform_work_group_size: 1
    .uses_dynamic_stack: false
    .vgpr_count:     0
    .vgpr_spill_count: 0
    .wavefront_size: 32
    .workgroup_processor_mode: 1
  - .args:
      - .offset:         0
        .size:           136
        .value_kind:     by_value
    .group_segment_fixed_size: 0
    .kernarg_segment_align: 8
    .kernarg_segment_size: 136
    .language:       OpenCL C
    .language_version:
      - 2
      - 0
    .max_flat_workgroup_size: 256
    .name:           _ZN7rocprim17ROCPRIM_400000_NS6detail17trampoline_kernelINS0_14default_configENS1_25partition_config_selectorILNS1_17partition_subalgoE5ElNS0_10empty_typeEbEEZZNS1_14partition_implILS5_5ELb0ES3_mN6hipcub16HIPCUB_304000_NS21CountingInputIteratorIllEEPS6_NSA_22TransformInputIteratorIbN2at6native12_GLOBAL__N_19NonZeroOpIaEEPKalEENS0_5tupleIJPlS6_EEENSN_IJSD_SD_EEES6_PiJS6_EEE10hipError_tPvRmT3_T4_T5_T6_T7_T9_mT8_P12ihipStream_tbDpT10_ENKUlT_T0_E_clISt17integral_constantIbLb0EES1A_IbLb1EEEEDaS16_S17_EUlS16_E_NS1_11comp_targetILNS1_3genE2ELNS1_11target_archE906ELNS1_3gpuE6ELNS1_3repE0EEENS1_30default_config_static_selectorELNS0_4arch9wavefront6targetE0EEEvT1_
    .private_segment_fixed_size: 0
    .sgpr_count:     0
    .sgpr_spill_count: 0
    .symbol:         _ZN7rocprim17ROCPRIM_400000_NS6detail17trampoline_kernelINS0_14default_configENS1_25partition_config_selectorILNS1_17partition_subalgoE5ElNS0_10empty_typeEbEEZZNS1_14partition_implILS5_5ELb0ES3_mN6hipcub16HIPCUB_304000_NS21CountingInputIteratorIllEEPS6_NSA_22TransformInputIteratorIbN2at6native12_GLOBAL__N_19NonZeroOpIaEEPKalEENS0_5tupleIJPlS6_EEENSN_IJSD_SD_EEES6_PiJS6_EEE10hipError_tPvRmT3_T4_T5_T6_T7_T9_mT8_P12ihipStream_tbDpT10_ENKUlT_T0_E_clISt17integral_constantIbLb0EES1A_IbLb1EEEEDaS16_S17_EUlS16_E_NS1_11comp_targetILNS1_3genE2ELNS1_11target_archE906ELNS1_3gpuE6ELNS1_3repE0EEENS1_30default_config_static_selectorELNS0_4arch9wavefront6targetE0EEEvT1_.kd
    .uniform_work_group_size: 1
    .uses_dynamic_stack: false
    .vgpr_count:     0
    .vgpr_spill_count: 0
    .wavefront_size: 32
    .workgroup_processor_mode: 1
  - .args:
      - .offset:         0
        .size:           136
        .value_kind:     by_value
    .group_segment_fixed_size: 8464
    .kernarg_segment_align: 8
    .kernarg_segment_size: 136
    .language:       OpenCL C
    .language_version:
      - 2
      - 0
    .max_flat_workgroup_size: 256
    .name:           _ZN7rocprim17ROCPRIM_400000_NS6detail17trampoline_kernelINS0_14default_configENS1_25partition_config_selectorILNS1_17partition_subalgoE5ElNS0_10empty_typeEbEEZZNS1_14partition_implILS5_5ELb0ES3_mN6hipcub16HIPCUB_304000_NS21CountingInputIteratorIllEEPS6_NSA_22TransformInputIteratorIbN2at6native12_GLOBAL__N_19NonZeroOpIaEEPKalEENS0_5tupleIJPlS6_EEENSN_IJSD_SD_EEES6_PiJS6_EEE10hipError_tPvRmT3_T4_T5_T6_T7_T9_mT8_P12ihipStream_tbDpT10_ENKUlT_T0_E_clISt17integral_constantIbLb0EES1A_IbLb1EEEEDaS16_S17_EUlS16_E_NS1_11comp_targetILNS1_3genE10ELNS1_11target_archE1200ELNS1_3gpuE4ELNS1_3repE0EEENS1_30default_config_static_selectorELNS0_4arch9wavefront6targetE0EEEvT1_
    .private_segment_fixed_size: 0
    .sgpr_count:     26
    .sgpr_spill_count: 0
    .symbol:         _ZN7rocprim17ROCPRIM_400000_NS6detail17trampoline_kernelINS0_14default_configENS1_25partition_config_selectorILNS1_17partition_subalgoE5ElNS0_10empty_typeEbEEZZNS1_14partition_implILS5_5ELb0ES3_mN6hipcub16HIPCUB_304000_NS21CountingInputIteratorIllEEPS6_NSA_22TransformInputIteratorIbN2at6native12_GLOBAL__N_19NonZeroOpIaEEPKalEENS0_5tupleIJPlS6_EEENSN_IJSD_SD_EEES6_PiJS6_EEE10hipError_tPvRmT3_T4_T5_T6_T7_T9_mT8_P12ihipStream_tbDpT10_ENKUlT_T0_E_clISt17integral_constantIbLb0EES1A_IbLb1EEEEDaS16_S17_EUlS16_E_NS1_11comp_targetILNS1_3genE10ELNS1_11target_archE1200ELNS1_3gpuE4ELNS1_3repE0EEENS1_30default_config_static_selectorELNS0_4arch9wavefront6targetE0EEEvT1_.kd
    .uniform_work_group_size: 1
    .uses_dynamic_stack: false
    .vgpr_count:     48
    .vgpr_spill_count: 0
    .wavefront_size: 32
    .workgroup_processor_mode: 1
  - .args:
      - .offset:         0
        .size:           136
        .value_kind:     by_value
    .group_segment_fixed_size: 0
    .kernarg_segment_align: 8
    .kernarg_segment_size: 136
    .language:       OpenCL C
    .language_version:
      - 2
      - 0
    .max_flat_workgroup_size: 128
    .name:           _ZN7rocprim17ROCPRIM_400000_NS6detail17trampoline_kernelINS0_14default_configENS1_25partition_config_selectorILNS1_17partition_subalgoE5ElNS0_10empty_typeEbEEZZNS1_14partition_implILS5_5ELb0ES3_mN6hipcub16HIPCUB_304000_NS21CountingInputIteratorIllEEPS6_NSA_22TransformInputIteratorIbN2at6native12_GLOBAL__N_19NonZeroOpIaEEPKalEENS0_5tupleIJPlS6_EEENSN_IJSD_SD_EEES6_PiJS6_EEE10hipError_tPvRmT3_T4_T5_T6_T7_T9_mT8_P12ihipStream_tbDpT10_ENKUlT_T0_E_clISt17integral_constantIbLb0EES1A_IbLb1EEEEDaS16_S17_EUlS16_E_NS1_11comp_targetILNS1_3genE9ELNS1_11target_archE1100ELNS1_3gpuE3ELNS1_3repE0EEENS1_30default_config_static_selectorELNS0_4arch9wavefront6targetE0EEEvT1_
    .private_segment_fixed_size: 0
    .sgpr_count:     0
    .sgpr_spill_count: 0
    .symbol:         _ZN7rocprim17ROCPRIM_400000_NS6detail17trampoline_kernelINS0_14default_configENS1_25partition_config_selectorILNS1_17partition_subalgoE5ElNS0_10empty_typeEbEEZZNS1_14partition_implILS5_5ELb0ES3_mN6hipcub16HIPCUB_304000_NS21CountingInputIteratorIllEEPS6_NSA_22TransformInputIteratorIbN2at6native12_GLOBAL__N_19NonZeroOpIaEEPKalEENS0_5tupleIJPlS6_EEENSN_IJSD_SD_EEES6_PiJS6_EEE10hipError_tPvRmT3_T4_T5_T6_T7_T9_mT8_P12ihipStream_tbDpT10_ENKUlT_T0_E_clISt17integral_constantIbLb0EES1A_IbLb1EEEEDaS16_S17_EUlS16_E_NS1_11comp_targetILNS1_3genE9ELNS1_11target_archE1100ELNS1_3gpuE3ELNS1_3repE0EEENS1_30default_config_static_selectorELNS0_4arch9wavefront6targetE0EEEvT1_.kd
    .uniform_work_group_size: 1
    .uses_dynamic_stack: false
    .vgpr_count:     0
    .vgpr_spill_count: 0
    .wavefront_size: 32
    .workgroup_processor_mode: 1
  - .args:
      - .offset:         0
        .size:           136
        .value_kind:     by_value
    .group_segment_fixed_size: 0
    .kernarg_segment_align: 8
    .kernarg_segment_size: 136
    .language:       OpenCL C
    .language_version:
      - 2
      - 0
    .max_flat_workgroup_size: 512
    .name:           _ZN7rocprim17ROCPRIM_400000_NS6detail17trampoline_kernelINS0_14default_configENS1_25partition_config_selectorILNS1_17partition_subalgoE5ElNS0_10empty_typeEbEEZZNS1_14partition_implILS5_5ELb0ES3_mN6hipcub16HIPCUB_304000_NS21CountingInputIteratorIllEEPS6_NSA_22TransformInputIteratorIbN2at6native12_GLOBAL__N_19NonZeroOpIaEEPKalEENS0_5tupleIJPlS6_EEENSN_IJSD_SD_EEES6_PiJS6_EEE10hipError_tPvRmT3_T4_T5_T6_T7_T9_mT8_P12ihipStream_tbDpT10_ENKUlT_T0_E_clISt17integral_constantIbLb0EES1A_IbLb1EEEEDaS16_S17_EUlS16_E_NS1_11comp_targetILNS1_3genE8ELNS1_11target_archE1030ELNS1_3gpuE2ELNS1_3repE0EEENS1_30default_config_static_selectorELNS0_4arch9wavefront6targetE0EEEvT1_
    .private_segment_fixed_size: 0
    .sgpr_count:     0
    .sgpr_spill_count: 0
    .symbol:         _ZN7rocprim17ROCPRIM_400000_NS6detail17trampoline_kernelINS0_14default_configENS1_25partition_config_selectorILNS1_17partition_subalgoE5ElNS0_10empty_typeEbEEZZNS1_14partition_implILS5_5ELb0ES3_mN6hipcub16HIPCUB_304000_NS21CountingInputIteratorIllEEPS6_NSA_22TransformInputIteratorIbN2at6native12_GLOBAL__N_19NonZeroOpIaEEPKalEENS0_5tupleIJPlS6_EEENSN_IJSD_SD_EEES6_PiJS6_EEE10hipError_tPvRmT3_T4_T5_T6_T7_T9_mT8_P12ihipStream_tbDpT10_ENKUlT_T0_E_clISt17integral_constantIbLb0EES1A_IbLb1EEEEDaS16_S17_EUlS16_E_NS1_11comp_targetILNS1_3genE8ELNS1_11target_archE1030ELNS1_3gpuE2ELNS1_3repE0EEENS1_30default_config_static_selectorELNS0_4arch9wavefront6targetE0EEEvT1_.kd
    .uniform_work_group_size: 1
    .uses_dynamic_stack: false
    .vgpr_count:     0
    .vgpr_spill_count: 0
    .wavefront_size: 32
    .workgroup_processor_mode: 1
  - .args:
      - .offset:         0
        .size:           56
        .value_kind:     by_value
    .group_segment_fixed_size: 0
    .kernarg_segment_align: 8
    .kernarg_segment_size: 56
    .language:       OpenCL C
    .language_version:
      - 2
      - 0
    .max_flat_workgroup_size: 256
    .name:           _ZN7rocprim17ROCPRIM_400000_NS6detail17trampoline_kernelINS0_14default_configENS1_22reduce_config_selectorIiEEZNS1_11reduce_implILb1ES3_PiS7_iN6hipcub16HIPCUB_304000_NS6detail34convert_binary_result_type_wrapperINS9_3SumENS9_22TransformInputIteratorIbN2at6native12_GLOBAL__N_19NonZeroOpIiEEPKilEEiEEEE10hipError_tPvRmT1_T2_T3_mT4_P12ihipStream_tbEUlT_E0_NS1_11comp_targetILNS1_3genE0ELNS1_11target_archE4294967295ELNS1_3gpuE0ELNS1_3repE0EEENS1_30default_config_static_selectorELNS0_4arch9wavefront6targetE0EEEvSQ_
    .private_segment_fixed_size: 0
    .sgpr_count:     0
    .sgpr_spill_count: 0
    .symbol:         _ZN7rocprim17ROCPRIM_400000_NS6detail17trampoline_kernelINS0_14default_configENS1_22reduce_config_selectorIiEEZNS1_11reduce_implILb1ES3_PiS7_iN6hipcub16HIPCUB_304000_NS6detail34convert_binary_result_type_wrapperINS9_3SumENS9_22TransformInputIteratorIbN2at6native12_GLOBAL__N_19NonZeroOpIiEEPKilEEiEEEE10hipError_tPvRmT1_T2_T3_mT4_P12ihipStream_tbEUlT_E0_NS1_11comp_targetILNS1_3genE0ELNS1_11target_archE4294967295ELNS1_3gpuE0ELNS1_3repE0EEENS1_30default_config_static_selectorELNS0_4arch9wavefront6targetE0EEEvSQ_.kd
    .uniform_work_group_size: 1
    .uses_dynamic_stack: false
    .vgpr_count:     0
    .vgpr_spill_count: 0
    .wavefront_size: 32
    .workgroup_processor_mode: 1
  - .args:
      - .offset:         0
        .size:           56
        .value_kind:     by_value
    .group_segment_fixed_size: 0
    .kernarg_segment_align: 8
    .kernarg_segment_size: 56
    .language:       OpenCL C
    .language_version:
      - 2
      - 0
    .max_flat_workgroup_size: 256
    .name:           _ZN7rocprim17ROCPRIM_400000_NS6detail17trampoline_kernelINS0_14default_configENS1_22reduce_config_selectorIiEEZNS1_11reduce_implILb1ES3_PiS7_iN6hipcub16HIPCUB_304000_NS6detail34convert_binary_result_type_wrapperINS9_3SumENS9_22TransformInputIteratorIbN2at6native12_GLOBAL__N_19NonZeroOpIiEEPKilEEiEEEE10hipError_tPvRmT1_T2_T3_mT4_P12ihipStream_tbEUlT_E0_NS1_11comp_targetILNS1_3genE5ELNS1_11target_archE942ELNS1_3gpuE9ELNS1_3repE0EEENS1_30default_config_static_selectorELNS0_4arch9wavefront6targetE0EEEvSQ_
    .private_segment_fixed_size: 0
    .sgpr_count:     0
    .sgpr_spill_count: 0
    .symbol:         _ZN7rocprim17ROCPRIM_400000_NS6detail17trampoline_kernelINS0_14default_configENS1_22reduce_config_selectorIiEEZNS1_11reduce_implILb1ES3_PiS7_iN6hipcub16HIPCUB_304000_NS6detail34convert_binary_result_type_wrapperINS9_3SumENS9_22TransformInputIteratorIbN2at6native12_GLOBAL__N_19NonZeroOpIiEEPKilEEiEEEE10hipError_tPvRmT1_T2_T3_mT4_P12ihipStream_tbEUlT_E0_NS1_11comp_targetILNS1_3genE5ELNS1_11target_archE942ELNS1_3gpuE9ELNS1_3repE0EEENS1_30default_config_static_selectorELNS0_4arch9wavefront6targetE0EEEvSQ_.kd
    .uniform_work_group_size: 1
    .uses_dynamic_stack: false
    .vgpr_count:     0
    .vgpr_spill_count: 0
    .wavefront_size: 32
    .workgroup_processor_mode: 1
  - .args:
      - .offset:         0
        .size:           56
        .value_kind:     by_value
    .group_segment_fixed_size: 0
    .kernarg_segment_align: 8
    .kernarg_segment_size: 56
    .language:       OpenCL C
    .language_version:
      - 2
      - 0
    .max_flat_workgroup_size: 128
    .name:           _ZN7rocprim17ROCPRIM_400000_NS6detail17trampoline_kernelINS0_14default_configENS1_22reduce_config_selectorIiEEZNS1_11reduce_implILb1ES3_PiS7_iN6hipcub16HIPCUB_304000_NS6detail34convert_binary_result_type_wrapperINS9_3SumENS9_22TransformInputIteratorIbN2at6native12_GLOBAL__N_19NonZeroOpIiEEPKilEEiEEEE10hipError_tPvRmT1_T2_T3_mT4_P12ihipStream_tbEUlT_E0_NS1_11comp_targetILNS1_3genE4ELNS1_11target_archE910ELNS1_3gpuE8ELNS1_3repE0EEENS1_30default_config_static_selectorELNS0_4arch9wavefront6targetE0EEEvSQ_
    .private_segment_fixed_size: 0
    .sgpr_count:     0
    .sgpr_spill_count: 0
    .symbol:         _ZN7rocprim17ROCPRIM_400000_NS6detail17trampoline_kernelINS0_14default_configENS1_22reduce_config_selectorIiEEZNS1_11reduce_implILb1ES3_PiS7_iN6hipcub16HIPCUB_304000_NS6detail34convert_binary_result_type_wrapperINS9_3SumENS9_22TransformInputIteratorIbN2at6native12_GLOBAL__N_19NonZeroOpIiEEPKilEEiEEEE10hipError_tPvRmT1_T2_T3_mT4_P12ihipStream_tbEUlT_E0_NS1_11comp_targetILNS1_3genE4ELNS1_11target_archE910ELNS1_3gpuE8ELNS1_3repE0EEENS1_30default_config_static_selectorELNS0_4arch9wavefront6targetE0EEEvSQ_.kd
    .uniform_work_group_size: 1
    .uses_dynamic_stack: false
    .vgpr_count:     0
    .vgpr_spill_count: 0
    .wavefront_size: 32
    .workgroup_processor_mode: 1
  - .args:
      - .offset:         0
        .size:           56
        .value_kind:     by_value
    .group_segment_fixed_size: 0
    .kernarg_segment_align: 8
    .kernarg_segment_size: 56
    .language:       OpenCL C
    .language_version:
      - 2
      - 0
    .max_flat_workgroup_size: 256
    .name:           _ZN7rocprim17ROCPRIM_400000_NS6detail17trampoline_kernelINS0_14default_configENS1_22reduce_config_selectorIiEEZNS1_11reduce_implILb1ES3_PiS7_iN6hipcub16HIPCUB_304000_NS6detail34convert_binary_result_type_wrapperINS9_3SumENS9_22TransformInputIteratorIbN2at6native12_GLOBAL__N_19NonZeroOpIiEEPKilEEiEEEE10hipError_tPvRmT1_T2_T3_mT4_P12ihipStream_tbEUlT_E0_NS1_11comp_targetILNS1_3genE3ELNS1_11target_archE908ELNS1_3gpuE7ELNS1_3repE0EEENS1_30default_config_static_selectorELNS0_4arch9wavefront6targetE0EEEvSQ_
    .private_segment_fixed_size: 0
    .sgpr_count:     0
    .sgpr_spill_count: 0
    .symbol:         _ZN7rocprim17ROCPRIM_400000_NS6detail17trampoline_kernelINS0_14default_configENS1_22reduce_config_selectorIiEEZNS1_11reduce_implILb1ES3_PiS7_iN6hipcub16HIPCUB_304000_NS6detail34convert_binary_result_type_wrapperINS9_3SumENS9_22TransformInputIteratorIbN2at6native12_GLOBAL__N_19NonZeroOpIiEEPKilEEiEEEE10hipError_tPvRmT1_T2_T3_mT4_P12ihipStream_tbEUlT_E0_NS1_11comp_targetILNS1_3genE3ELNS1_11target_archE908ELNS1_3gpuE7ELNS1_3repE0EEENS1_30default_config_static_selectorELNS0_4arch9wavefront6targetE0EEEvSQ_.kd
    .uniform_work_group_size: 1
    .uses_dynamic_stack: false
    .vgpr_count:     0
    .vgpr_spill_count: 0
    .wavefront_size: 32
    .workgroup_processor_mode: 1
  - .args:
      - .offset:         0
        .size:           56
        .value_kind:     by_value
    .group_segment_fixed_size: 0
    .kernarg_segment_align: 8
    .kernarg_segment_size: 56
    .language:       OpenCL C
    .language_version:
      - 2
      - 0
    .max_flat_workgroup_size: 256
    .name:           _ZN7rocprim17ROCPRIM_400000_NS6detail17trampoline_kernelINS0_14default_configENS1_22reduce_config_selectorIiEEZNS1_11reduce_implILb1ES3_PiS7_iN6hipcub16HIPCUB_304000_NS6detail34convert_binary_result_type_wrapperINS9_3SumENS9_22TransformInputIteratorIbN2at6native12_GLOBAL__N_19NonZeroOpIiEEPKilEEiEEEE10hipError_tPvRmT1_T2_T3_mT4_P12ihipStream_tbEUlT_E0_NS1_11comp_targetILNS1_3genE2ELNS1_11target_archE906ELNS1_3gpuE6ELNS1_3repE0EEENS1_30default_config_static_selectorELNS0_4arch9wavefront6targetE0EEEvSQ_
    .private_segment_fixed_size: 0
    .sgpr_count:     0
    .sgpr_spill_count: 0
    .symbol:         _ZN7rocprim17ROCPRIM_400000_NS6detail17trampoline_kernelINS0_14default_configENS1_22reduce_config_selectorIiEEZNS1_11reduce_implILb1ES3_PiS7_iN6hipcub16HIPCUB_304000_NS6detail34convert_binary_result_type_wrapperINS9_3SumENS9_22TransformInputIteratorIbN2at6native12_GLOBAL__N_19NonZeroOpIiEEPKilEEiEEEE10hipError_tPvRmT1_T2_T3_mT4_P12ihipStream_tbEUlT_E0_NS1_11comp_targetILNS1_3genE2ELNS1_11target_archE906ELNS1_3gpuE6ELNS1_3repE0EEENS1_30default_config_static_selectorELNS0_4arch9wavefront6targetE0EEEvSQ_.kd
    .uniform_work_group_size: 1
    .uses_dynamic_stack: false
    .vgpr_count:     0
    .vgpr_spill_count: 0
    .wavefront_size: 32
    .workgroup_processor_mode: 1
  - .args:
      - .offset:         0
        .size:           56
        .value_kind:     by_value
    .group_segment_fixed_size: 64
    .kernarg_segment_align: 8
    .kernarg_segment_size: 56
    .language:       OpenCL C
    .language_version:
      - 2
      - 0
    .max_flat_workgroup_size: 256
    .name:           _ZN7rocprim17ROCPRIM_400000_NS6detail17trampoline_kernelINS0_14default_configENS1_22reduce_config_selectorIiEEZNS1_11reduce_implILb1ES3_PiS7_iN6hipcub16HIPCUB_304000_NS6detail34convert_binary_result_type_wrapperINS9_3SumENS9_22TransformInputIteratorIbN2at6native12_GLOBAL__N_19NonZeroOpIiEEPKilEEiEEEE10hipError_tPvRmT1_T2_T3_mT4_P12ihipStream_tbEUlT_E0_NS1_11comp_targetILNS1_3genE10ELNS1_11target_archE1201ELNS1_3gpuE5ELNS1_3repE0EEENS1_30default_config_static_selectorELNS0_4arch9wavefront6targetE0EEEvSQ_
    .private_segment_fixed_size: 0
    .sgpr_count:     32
    .sgpr_spill_count: 0
    .symbol:         _ZN7rocprim17ROCPRIM_400000_NS6detail17trampoline_kernelINS0_14default_configENS1_22reduce_config_selectorIiEEZNS1_11reduce_implILb1ES3_PiS7_iN6hipcub16HIPCUB_304000_NS6detail34convert_binary_result_type_wrapperINS9_3SumENS9_22TransformInputIteratorIbN2at6native12_GLOBAL__N_19NonZeroOpIiEEPKilEEiEEEE10hipError_tPvRmT1_T2_T3_mT4_P12ihipStream_tbEUlT_E0_NS1_11comp_targetILNS1_3genE10ELNS1_11target_archE1201ELNS1_3gpuE5ELNS1_3repE0EEENS1_30default_config_static_selectorELNS0_4arch9wavefront6targetE0EEEvSQ_.kd
    .uniform_work_group_size: 1
    .uses_dynamic_stack: false
    .vgpr_count:     20
    .vgpr_spill_count: 0
    .wavefront_size: 32
    .workgroup_processor_mode: 1
  - .args:
      - .offset:         0
        .size:           56
        .value_kind:     by_value
    .group_segment_fixed_size: 0
    .kernarg_segment_align: 8
    .kernarg_segment_size: 56
    .language:       OpenCL C
    .language_version:
      - 2
      - 0
    .max_flat_workgroup_size: 256
    .name:           _ZN7rocprim17ROCPRIM_400000_NS6detail17trampoline_kernelINS0_14default_configENS1_22reduce_config_selectorIiEEZNS1_11reduce_implILb1ES3_PiS7_iN6hipcub16HIPCUB_304000_NS6detail34convert_binary_result_type_wrapperINS9_3SumENS9_22TransformInputIteratorIbN2at6native12_GLOBAL__N_19NonZeroOpIiEEPKilEEiEEEE10hipError_tPvRmT1_T2_T3_mT4_P12ihipStream_tbEUlT_E0_NS1_11comp_targetILNS1_3genE10ELNS1_11target_archE1200ELNS1_3gpuE4ELNS1_3repE0EEENS1_30default_config_static_selectorELNS0_4arch9wavefront6targetE0EEEvSQ_
    .private_segment_fixed_size: 0
    .sgpr_count:     0
    .sgpr_spill_count: 0
    .symbol:         _ZN7rocprim17ROCPRIM_400000_NS6detail17trampoline_kernelINS0_14default_configENS1_22reduce_config_selectorIiEEZNS1_11reduce_implILb1ES3_PiS7_iN6hipcub16HIPCUB_304000_NS6detail34convert_binary_result_type_wrapperINS9_3SumENS9_22TransformInputIteratorIbN2at6native12_GLOBAL__N_19NonZeroOpIiEEPKilEEiEEEE10hipError_tPvRmT1_T2_T3_mT4_P12ihipStream_tbEUlT_E0_NS1_11comp_targetILNS1_3genE10ELNS1_11target_archE1200ELNS1_3gpuE4ELNS1_3repE0EEENS1_30default_config_static_selectorELNS0_4arch9wavefront6targetE0EEEvSQ_.kd
    .uniform_work_group_size: 1
    .uses_dynamic_stack: false
    .vgpr_count:     0
    .vgpr_spill_count: 0
    .wavefront_size: 32
    .workgroup_processor_mode: 1
  - .args:
      - .offset:         0
        .size:           56
        .value_kind:     by_value
    .group_segment_fixed_size: 0
    .kernarg_segment_align: 8
    .kernarg_segment_size: 56
    .language:       OpenCL C
    .language_version:
      - 2
      - 0
    .max_flat_workgroup_size: 256
    .name:           _ZN7rocprim17ROCPRIM_400000_NS6detail17trampoline_kernelINS0_14default_configENS1_22reduce_config_selectorIiEEZNS1_11reduce_implILb1ES3_PiS7_iN6hipcub16HIPCUB_304000_NS6detail34convert_binary_result_type_wrapperINS9_3SumENS9_22TransformInputIteratorIbN2at6native12_GLOBAL__N_19NonZeroOpIiEEPKilEEiEEEE10hipError_tPvRmT1_T2_T3_mT4_P12ihipStream_tbEUlT_E0_NS1_11comp_targetILNS1_3genE9ELNS1_11target_archE1100ELNS1_3gpuE3ELNS1_3repE0EEENS1_30default_config_static_selectorELNS0_4arch9wavefront6targetE0EEEvSQ_
    .private_segment_fixed_size: 0
    .sgpr_count:     0
    .sgpr_spill_count: 0
    .symbol:         _ZN7rocprim17ROCPRIM_400000_NS6detail17trampoline_kernelINS0_14default_configENS1_22reduce_config_selectorIiEEZNS1_11reduce_implILb1ES3_PiS7_iN6hipcub16HIPCUB_304000_NS6detail34convert_binary_result_type_wrapperINS9_3SumENS9_22TransformInputIteratorIbN2at6native12_GLOBAL__N_19NonZeroOpIiEEPKilEEiEEEE10hipError_tPvRmT1_T2_T3_mT4_P12ihipStream_tbEUlT_E0_NS1_11comp_targetILNS1_3genE9ELNS1_11target_archE1100ELNS1_3gpuE3ELNS1_3repE0EEENS1_30default_config_static_selectorELNS0_4arch9wavefront6targetE0EEEvSQ_.kd
    .uniform_work_group_size: 1
    .uses_dynamic_stack: false
    .vgpr_count:     0
    .vgpr_spill_count: 0
    .wavefront_size: 32
    .workgroup_processor_mode: 1
  - .args:
      - .offset:         0
        .size:           56
        .value_kind:     by_value
    .group_segment_fixed_size: 0
    .kernarg_segment_align: 8
    .kernarg_segment_size: 56
    .language:       OpenCL C
    .language_version:
      - 2
      - 0
    .max_flat_workgroup_size: 256
    .name:           _ZN7rocprim17ROCPRIM_400000_NS6detail17trampoline_kernelINS0_14default_configENS1_22reduce_config_selectorIiEEZNS1_11reduce_implILb1ES3_PiS7_iN6hipcub16HIPCUB_304000_NS6detail34convert_binary_result_type_wrapperINS9_3SumENS9_22TransformInputIteratorIbN2at6native12_GLOBAL__N_19NonZeroOpIiEEPKilEEiEEEE10hipError_tPvRmT1_T2_T3_mT4_P12ihipStream_tbEUlT_E0_NS1_11comp_targetILNS1_3genE8ELNS1_11target_archE1030ELNS1_3gpuE2ELNS1_3repE0EEENS1_30default_config_static_selectorELNS0_4arch9wavefront6targetE0EEEvSQ_
    .private_segment_fixed_size: 0
    .sgpr_count:     0
    .sgpr_spill_count: 0
    .symbol:         _ZN7rocprim17ROCPRIM_400000_NS6detail17trampoline_kernelINS0_14default_configENS1_22reduce_config_selectorIiEEZNS1_11reduce_implILb1ES3_PiS7_iN6hipcub16HIPCUB_304000_NS6detail34convert_binary_result_type_wrapperINS9_3SumENS9_22TransformInputIteratorIbN2at6native12_GLOBAL__N_19NonZeroOpIiEEPKilEEiEEEE10hipError_tPvRmT1_T2_T3_mT4_P12ihipStream_tbEUlT_E0_NS1_11comp_targetILNS1_3genE8ELNS1_11target_archE1030ELNS1_3gpuE2ELNS1_3repE0EEENS1_30default_config_static_selectorELNS0_4arch9wavefront6targetE0EEEvSQ_.kd
    .uniform_work_group_size: 1
    .uses_dynamic_stack: false
    .vgpr_count:     0
    .vgpr_spill_count: 0
    .wavefront_size: 32
    .workgroup_processor_mode: 1
  - .args:
      - .offset:         0
        .size:           40
        .value_kind:     by_value
    .group_segment_fixed_size: 0
    .kernarg_segment_align: 8
    .kernarg_segment_size: 40
    .language:       OpenCL C
    .language_version:
      - 2
      - 0
    .max_flat_workgroup_size: 256
    .name:           _ZN7rocprim17ROCPRIM_400000_NS6detail17trampoline_kernelINS0_14default_configENS1_22reduce_config_selectorIiEEZNS1_11reduce_implILb1ES3_PiS7_iN6hipcub16HIPCUB_304000_NS6detail34convert_binary_result_type_wrapperINS9_3SumENS9_22TransformInputIteratorIbN2at6native12_GLOBAL__N_19NonZeroOpIiEEPKilEEiEEEE10hipError_tPvRmT1_T2_T3_mT4_P12ihipStream_tbEUlT_E1_NS1_11comp_targetILNS1_3genE0ELNS1_11target_archE4294967295ELNS1_3gpuE0ELNS1_3repE0EEENS1_30default_config_static_selectorELNS0_4arch9wavefront6targetE0EEEvSQ_
    .private_segment_fixed_size: 0
    .sgpr_count:     0
    .sgpr_spill_count: 0
    .symbol:         _ZN7rocprim17ROCPRIM_400000_NS6detail17trampoline_kernelINS0_14default_configENS1_22reduce_config_selectorIiEEZNS1_11reduce_implILb1ES3_PiS7_iN6hipcub16HIPCUB_304000_NS6detail34convert_binary_result_type_wrapperINS9_3SumENS9_22TransformInputIteratorIbN2at6native12_GLOBAL__N_19NonZeroOpIiEEPKilEEiEEEE10hipError_tPvRmT1_T2_T3_mT4_P12ihipStream_tbEUlT_E1_NS1_11comp_targetILNS1_3genE0ELNS1_11target_archE4294967295ELNS1_3gpuE0ELNS1_3repE0EEENS1_30default_config_static_selectorELNS0_4arch9wavefront6targetE0EEEvSQ_.kd
    .uniform_work_group_size: 1
    .uses_dynamic_stack: false
    .vgpr_count:     0
    .vgpr_spill_count: 0
    .wavefront_size: 32
    .workgroup_processor_mode: 1
  - .args:
      - .offset:         0
        .size:           40
        .value_kind:     by_value
    .group_segment_fixed_size: 0
    .kernarg_segment_align: 8
    .kernarg_segment_size: 40
    .language:       OpenCL C
    .language_version:
      - 2
      - 0
    .max_flat_workgroup_size: 256
    .name:           _ZN7rocprim17ROCPRIM_400000_NS6detail17trampoline_kernelINS0_14default_configENS1_22reduce_config_selectorIiEEZNS1_11reduce_implILb1ES3_PiS7_iN6hipcub16HIPCUB_304000_NS6detail34convert_binary_result_type_wrapperINS9_3SumENS9_22TransformInputIteratorIbN2at6native12_GLOBAL__N_19NonZeroOpIiEEPKilEEiEEEE10hipError_tPvRmT1_T2_T3_mT4_P12ihipStream_tbEUlT_E1_NS1_11comp_targetILNS1_3genE5ELNS1_11target_archE942ELNS1_3gpuE9ELNS1_3repE0EEENS1_30default_config_static_selectorELNS0_4arch9wavefront6targetE0EEEvSQ_
    .private_segment_fixed_size: 0
    .sgpr_count:     0
    .sgpr_spill_count: 0
    .symbol:         _ZN7rocprim17ROCPRIM_400000_NS6detail17trampoline_kernelINS0_14default_configENS1_22reduce_config_selectorIiEEZNS1_11reduce_implILb1ES3_PiS7_iN6hipcub16HIPCUB_304000_NS6detail34convert_binary_result_type_wrapperINS9_3SumENS9_22TransformInputIteratorIbN2at6native12_GLOBAL__N_19NonZeroOpIiEEPKilEEiEEEE10hipError_tPvRmT1_T2_T3_mT4_P12ihipStream_tbEUlT_E1_NS1_11comp_targetILNS1_3genE5ELNS1_11target_archE942ELNS1_3gpuE9ELNS1_3repE0EEENS1_30default_config_static_selectorELNS0_4arch9wavefront6targetE0EEEvSQ_.kd
    .uniform_work_group_size: 1
    .uses_dynamic_stack: false
    .vgpr_count:     0
    .vgpr_spill_count: 0
    .wavefront_size: 32
    .workgroup_processor_mode: 1
  - .args:
      - .offset:         0
        .size:           40
        .value_kind:     by_value
    .group_segment_fixed_size: 0
    .kernarg_segment_align: 8
    .kernarg_segment_size: 40
    .language:       OpenCL C
    .language_version:
      - 2
      - 0
    .max_flat_workgroup_size: 128
    .name:           _ZN7rocprim17ROCPRIM_400000_NS6detail17trampoline_kernelINS0_14default_configENS1_22reduce_config_selectorIiEEZNS1_11reduce_implILb1ES3_PiS7_iN6hipcub16HIPCUB_304000_NS6detail34convert_binary_result_type_wrapperINS9_3SumENS9_22TransformInputIteratorIbN2at6native12_GLOBAL__N_19NonZeroOpIiEEPKilEEiEEEE10hipError_tPvRmT1_T2_T3_mT4_P12ihipStream_tbEUlT_E1_NS1_11comp_targetILNS1_3genE4ELNS1_11target_archE910ELNS1_3gpuE8ELNS1_3repE0EEENS1_30default_config_static_selectorELNS0_4arch9wavefront6targetE0EEEvSQ_
    .private_segment_fixed_size: 0
    .sgpr_count:     0
    .sgpr_spill_count: 0
    .symbol:         _ZN7rocprim17ROCPRIM_400000_NS6detail17trampoline_kernelINS0_14default_configENS1_22reduce_config_selectorIiEEZNS1_11reduce_implILb1ES3_PiS7_iN6hipcub16HIPCUB_304000_NS6detail34convert_binary_result_type_wrapperINS9_3SumENS9_22TransformInputIteratorIbN2at6native12_GLOBAL__N_19NonZeroOpIiEEPKilEEiEEEE10hipError_tPvRmT1_T2_T3_mT4_P12ihipStream_tbEUlT_E1_NS1_11comp_targetILNS1_3genE4ELNS1_11target_archE910ELNS1_3gpuE8ELNS1_3repE0EEENS1_30default_config_static_selectorELNS0_4arch9wavefront6targetE0EEEvSQ_.kd
    .uniform_work_group_size: 1
    .uses_dynamic_stack: false
    .vgpr_count:     0
    .vgpr_spill_count: 0
    .wavefront_size: 32
    .workgroup_processor_mode: 1
  - .args:
      - .offset:         0
        .size:           40
        .value_kind:     by_value
    .group_segment_fixed_size: 0
    .kernarg_segment_align: 8
    .kernarg_segment_size: 40
    .language:       OpenCL C
    .language_version:
      - 2
      - 0
    .max_flat_workgroup_size: 256
    .name:           _ZN7rocprim17ROCPRIM_400000_NS6detail17trampoline_kernelINS0_14default_configENS1_22reduce_config_selectorIiEEZNS1_11reduce_implILb1ES3_PiS7_iN6hipcub16HIPCUB_304000_NS6detail34convert_binary_result_type_wrapperINS9_3SumENS9_22TransformInputIteratorIbN2at6native12_GLOBAL__N_19NonZeroOpIiEEPKilEEiEEEE10hipError_tPvRmT1_T2_T3_mT4_P12ihipStream_tbEUlT_E1_NS1_11comp_targetILNS1_3genE3ELNS1_11target_archE908ELNS1_3gpuE7ELNS1_3repE0EEENS1_30default_config_static_selectorELNS0_4arch9wavefront6targetE0EEEvSQ_
    .private_segment_fixed_size: 0
    .sgpr_count:     0
    .sgpr_spill_count: 0
    .symbol:         _ZN7rocprim17ROCPRIM_400000_NS6detail17trampoline_kernelINS0_14default_configENS1_22reduce_config_selectorIiEEZNS1_11reduce_implILb1ES3_PiS7_iN6hipcub16HIPCUB_304000_NS6detail34convert_binary_result_type_wrapperINS9_3SumENS9_22TransformInputIteratorIbN2at6native12_GLOBAL__N_19NonZeroOpIiEEPKilEEiEEEE10hipError_tPvRmT1_T2_T3_mT4_P12ihipStream_tbEUlT_E1_NS1_11comp_targetILNS1_3genE3ELNS1_11target_archE908ELNS1_3gpuE7ELNS1_3repE0EEENS1_30default_config_static_selectorELNS0_4arch9wavefront6targetE0EEEvSQ_.kd
    .uniform_work_group_size: 1
    .uses_dynamic_stack: false
    .vgpr_count:     0
    .vgpr_spill_count: 0
    .wavefront_size: 32
    .workgroup_processor_mode: 1
  - .args:
      - .offset:         0
        .size:           40
        .value_kind:     by_value
    .group_segment_fixed_size: 0
    .kernarg_segment_align: 8
    .kernarg_segment_size: 40
    .language:       OpenCL C
    .language_version:
      - 2
      - 0
    .max_flat_workgroup_size: 256
    .name:           _ZN7rocprim17ROCPRIM_400000_NS6detail17trampoline_kernelINS0_14default_configENS1_22reduce_config_selectorIiEEZNS1_11reduce_implILb1ES3_PiS7_iN6hipcub16HIPCUB_304000_NS6detail34convert_binary_result_type_wrapperINS9_3SumENS9_22TransformInputIteratorIbN2at6native12_GLOBAL__N_19NonZeroOpIiEEPKilEEiEEEE10hipError_tPvRmT1_T2_T3_mT4_P12ihipStream_tbEUlT_E1_NS1_11comp_targetILNS1_3genE2ELNS1_11target_archE906ELNS1_3gpuE6ELNS1_3repE0EEENS1_30default_config_static_selectorELNS0_4arch9wavefront6targetE0EEEvSQ_
    .private_segment_fixed_size: 0
    .sgpr_count:     0
    .sgpr_spill_count: 0
    .symbol:         _ZN7rocprim17ROCPRIM_400000_NS6detail17trampoline_kernelINS0_14default_configENS1_22reduce_config_selectorIiEEZNS1_11reduce_implILb1ES3_PiS7_iN6hipcub16HIPCUB_304000_NS6detail34convert_binary_result_type_wrapperINS9_3SumENS9_22TransformInputIteratorIbN2at6native12_GLOBAL__N_19NonZeroOpIiEEPKilEEiEEEE10hipError_tPvRmT1_T2_T3_mT4_P12ihipStream_tbEUlT_E1_NS1_11comp_targetILNS1_3genE2ELNS1_11target_archE906ELNS1_3gpuE6ELNS1_3repE0EEENS1_30default_config_static_selectorELNS0_4arch9wavefront6targetE0EEEvSQ_.kd
    .uniform_work_group_size: 1
    .uses_dynamic_stack: false
    .vgpr_count:     0
    .vgpr_spill_count: 0
    .wavefront_size: 32
    .workgroup_processor_mode: 1
  - .args:
      - .offset:         0
        .size:           40
        .value_kind:     by_value
    .group_segment_fixed_size: 224
    .kernarg_segment_align: 8
    .kernarg_segment_size: 40
    .language:       OpenCL C
    .language_version:
      - 2
      - 0
    .max_flat_workgroup_size: 256
    .name:           _ZN7rocprim17ROCPRIM_400000_NS6detail17trampoline_kernelINS0_14default_configENS1_22reduce_config_selectorIiEEZNS1_11reduce_implILb1ES3_PiS7_iN6hipcub16HIPCUB_304000_NS6detail34convert_binary_result_type_wrapperINS9_3SumENS9_22TransformInputIteratorIbN2at6native12_GLOBAL__N_19NonZeroOpIiEEPKilEEiEEEE10hipError_tPvRmT1_T2_T3_mT4_P12ihipStream_tbEUlT_E1_NS1_11comp_targetILNS1_3genE10ELNS1_11target_archE1201ELNS1_3gpuE5ELNS1_3repE0EEENS1_30default_config_static_selectorELNS0_4arch9wavefront6targetE0EEEvSQ_
    .private_segment_fixed_size: 0
    .sgpr_count:     47
    .sgpr_spill_count: 0
    .symbol:         _ZN7rocprim17ROCPRIM_400000_NS6detail17trampoline_kernelINS0_14default_configENS1_22reduce_config_selectorIiEEZNS1_11reduce_implILb1ES3_PiS7_iN6hipcub16HIPCUB_304000_NS6detail34convert_binary_result_type_wrapperINS9_3SumENS9_22TransformInputIteratorIbN2at6native12_GLOBAL__N_19NonZeroOpIiEEPKilEEiEEEE10hipError_tPvRmT1_T2_T3_mT4_P12ihipStream_tbEUlT_E1_NS1_11comp_targetILNS1_3genE10ELNS1_11target_archE1201ELNS1_3gpuE5ELNS1_3repE0EEENS1_30default_config_static_selectorELNS0_4arch9wavefront6targetE0EEEvSQ_.kd
    .uniform_work_group_size: 1
    .uses_dynamic_stack: false
    .vgpr_count:     34
    .vgpr_spill_count: 0
    .wavefront_size: 32
    .workgroup_processor_mode: 1
  - .args:
      - .offset:         0
        .size:           40
        .value_kind:     by_value
    .group_segment_fixed_size: 0
    .kernarg_segment_align: 8
    .kernarg_segment_size: 40
    .language:       OpenCL C
    .language_version:
      - 2
      - 0
    .max_flat_workgroup_size: 256
    .name:           _ZN7rocprim17ROCPRIM_400000_NS6detail17trampoline_kernelINS0_14default_configENS1_22reduce_config_selectorIiEEZNS1_11reduce_implILb1ES3_PiS7_iN6hipcub16HIPCUB_304000_NS6detail34convert_binary_result_type_wrapperINS9_3SumENS9_22TransformInputIteratorIbN2at6native12_GLOBAL__N_19NonZeroOpIiEEPKilEEiEEEE10hipError_tPvRmT1_T2_T3_mT4_P12ihipStream_tbEUlT_E1_NS1_11comp_targetILNS1_3genE10ELNS1_11target_archE1200ELNS1_3gpuE4ELNS1_3repE0EEENS1_30default_config_static_selectorELNS0_4arch9wavefront6targetE0EEEvSQ_
    .private_segment_fixed_size: 0
    .sgpr_count:     0
    .sgpr_spill_count: 0
    .symbol:         _ZN7rocprim17ROCPRIM_400000_NS6detail17trampoline_kernelINS0_14default_configENS1_22reduce_config_selectorIiEEZNS1_11reduce_implILb1ES3_PiS7_iN6hipcub16HIPCUB_304000_NS6detail34convert_binary_result_type_wrapperINS9_3SumENS9_22TransformInputIteratorIbN2at6native12_GLOBAL__N_19NonZeroOpIiEEPKilEEiEEEE10hipError_tPvRmT1_T2_T3_mT4_P12ihipStream_tbEUlT_E1_NS1_11comp_targetILNS1_3genE10ELNS1_11target_archE1200ELNS1_3gpuE4ELNS1_3repE0EEENS1_30default_config_static_selectorELNS0_4arch9wavefront6targetE0EEEvSQ_.kd
    .uniform_work_group_size: 1
    .uses_dynamic_stack: false
    .vgpr_count:     0
    .vgpr_spill_count: 0
    .wavefront_size: 32
    .workgroup_processor_mode: 1
  - .args:
      - .offset:         0
        .size:           40
        .value_kind:     by_value
    .group_segment_fixed_size: 0
    .kernarg_segment_align: 8
    .kernarg_segment_size: 40
    .language:       OpenCL C
    .language_version:
      - 2
      - 0
    .max_flat_workgroup_size: 256
    .name:           _ZN7rocprim17ROCPRIM_400000_NS6detail17trampoline_kernelINS0_14default_configENS1_22reduce_config_selectorIiEEZNS1_11reduce_implILb1ES3_PiS7_iN6hipcub16HIPCUB_304000_NS6detail34convert_binary_result_type_wrapperINS9_3SumENS9_22TransformInputIteratorIbN2at6native12_GLOBAL__N_19NonZeroOpIiEEPKilEEiEEEE10hipError_tPvRmT1_T2_T3_mT4_P12ihipStream_tbEUlT_E1_NS1_11comp_targetILNS1_3genE9ELNS1_11target_archE1100ELNS1_3gpuE3ELNS1_3repE0EEENS1_30default_config_static_selectorELNS0_4arch9wavefront6targetE0EEEvSQ_
    .private_segment_fixed_size: 0
    .sgpr_count:     0
    .sgpr_spill_count: 0
    .symbol:         _ZN7rocprim17ROCPRIM_400000_NS6detail17trampoline_kernelINS0_14default_configENS1_22reduce_config_selectorIiEEZNS1_11reduce_implILb1ES3_PiS7_iN6hipcub16HIPCUB_304000_NS6detail34convert_binary_result_type_wrapperINS9_3SumENS9_22TransformInputIteratorIbN2at6native12_GLOBAL__N_19NonZeroOpIiEEPKilEEiEEEE10hipError_tPvRmT1_T2_T3_mT4_P12ihipStream_tbEUlT_E1_NS1_11comp_targetILNS1_3genE9ELNS1_11target_archE1100ELNS1_3gpuE3ELNS1_3repE0EEENS1_30default_config_static_selectorELNS0_4arch9wavefront6targetE0EEEvSQ_.kd
    .uniform_work_group_size: 1
    .uses_dynamic_stack: false
    .vgpr_count:     0
    .vgpr_spill_count: 0
    .wavefront_size: 32
    .workgroup_processor_mode: 1
  - .args:
      - .offset:         0
        .size:           40
        .value_kind:     by_value
    .group_segment_fixed_size: 0
    .kernarg_segment_align: 8
    .kernarg_segment_size: 40
    .language:       OpenCL C
    .language_version:
      - 2
      - 0
    .max_flat_workgroup_size: 256
    .name:           _ZN7rocprim17ROCPRIM_400000_NS6detail17trampoline_kernelINS0_14default_configENS1_22reduce_config_selectorIiEEZNS1_11reduce_implILb1ES3_PiS7_iN6hipcub16HIPCUB_304000_NS6detail34convert_binary_result_type_wrapperINS9_3SumENS9_22TransformInputIteratorIbN2at6native12_GLOBAL__N_19NonZeroOpIiEEPKilEEiEEEE10hipError_tPvRmT1_T2_T3_mT4_P12ihipStream_tbEUlT_E1_NS1_11comp_targetILNS1_3genE8ELNS1_11target_archE1030ELNS1_3gpuE2ELNS1_3repE0EEENS1_30default_config_static_selectorELNS0_4arch9wavefront6targetE0EEEvSQ_
    .private_segment_fixed_size: 0
    .sgpr_count:     0
    .sgpr_spill_count: 0
    .symbol:         _ZN7rocprim17ROCPRIM_400000_NS6detail17trampoline_kernelINS0_14default_configENS1_22reduce_config_selectorIiEEZNS1_11reduce_implILb1ES3_PiS7_iN6hipcub16HIPCUB_304000_NS6detail34convert_binary_result_type_wrapperINS9_3SumENS9_22TransformInputIteratorIbN2at6native12_GLOBAL__N_19NonZeroOpIiEEPKilEEiEEEE10hipError_tPvRmT1_T2_T3_mT4_P12ihipStream_tbEUlT_E1_NS1_11comp_targetILNS1_3genE8ELNS1_11target_archE1030ELNS1_3gpuE2ELNS1_3repE0EEENS1_30default_config_static_selectorELNS0_4arch9wavefront6targetE0EEEvSQ_.kd
    .uniform_work_group_size: 1
    .uses_dynamic_stack: false
    .vgpr_count:     0
    .vgpr_spill_count: 0
    .wavefront_size: 32
    .workgroup_processor_mode: 1
  - .args:
      - .offset:         0
        .size:           64
        .value_kind:     by_value
    .group_segment_fixed_size: 0
    .kernarg_segment_align: 8
    .kernarg_segment_size: 64
    .language:       OpenCL C
    .language_version:
      - 2
      - 0
    .max_flat_workgroup_size: 256
    .name:           _ZN7rocprim17ROCPRIM_400000_NS6detail17trampoline_kernelINS0_14default_configENS1_22reduce_config_selectorIbEEZNS1_11reduce_implILb1ES3_N6hipcub16HIPCUB_304000_NS22TransformInputIteratorIbN2at6native12_GLOBAL__N_19NonZeroOpIiEEPKilEEPiiNS8_6detail34convert_binary_result_type_wrapperINS8_3SumESH_iEEEE10hipError_tPvRmT1_T2_T3_mT4_P12ihipStream_tbEUlT_E0_NS1_11comp_targetILNS1_3genE0ELNS1_11target_archE4294967295ELNS1_3gpuE0ELNS1_3repE0EEENS1_30default_config_static_selectorELNS0_4arch9wavefront6targetE0EEEvSQ_
    .private_segment_fixed_size: 0
    .sgpr_count:     0
    .sgpr_spill_count: 0
    .symbol:         _ZN7rocprim17ROCPRIM_400000_NS6detail17trampoline_kernelINS0_14default_configENS1_22reduce_config_selectorIbEEZNS1_11reduce_implILb1ES3_N6hipcub16HIPCUB_304000_NS22TransformInputIteratorIbN2at6native12_GLOBAL__N_19NonZeroOpIiEEPKilEEPiiNS8_6detail34convert_binary_result_type_wrapperINS8_3SumESH_iEEEE10hipError_tPvRmT1_T2_T3_mT4_P12ihipStream_tbEUlT_E0_NS1_11comp_targetILNS1_3genE0ELNS1_11target_archE4294967295ELNS1_3gpuE0ELNS1_3repE0EEENS1_30default_config_static_selectorELNS0_4arch9wavefront6targetE0EEEvSQ_.kd
    .uniform_work_group_size: 1
    .uses_dynamic_stack: false
    .vgpr_count:     0
    .vgpr_spill_count: 0
    .wavefront_size: 32
    .workgroup_processor_mode: 1
  - .args:
      - .offset:         0
        .size:           64
        .value_kind:     by_value
    .group_segment_fixed_size: 0
    .kernarg_segment_align: 8
    .kernarg_segment_size: 64
    .language:       OpenCL C
    .language_version:
      - 2
      - 0
    .max_flat_workgroup_size: 256
    .name:           _ZN7rocprim17ROCPRIM_400000_NS6detail17trampoline_kernelINS0_14default_configENS1_22reduce_config_selectorIbEEZNS1_11reduce_implILb1ES3_N6hipcub16HIPCUB_304000_NS22TransformInputIteratorIbN2at6native12_GLOBAL__N_19NonZeroOpIiEEPKilEEPiiNS8_6detail34convert_binary_result_type_wrapperINS8_3SumESH_iEEEE10hipError_tPvRmT1_T2_T3_mT4_P12ihipStream_tbEUlT_E0_NS1_11comp_targetILNS1_3genE5ELNS1_11target_archE942ELNS1_3gpuE9ELNS1_3repE0EEENS1_30default_config_static_selectorELNS0_4arch9wavefront6targetE0EEEvSQ_
    .private_segment_fixed_size: 0
    .sgpr_count:     0
    .sgpr_spill_count: 0
    .symbol:         _ZN7rocprim17ROCPRIM_400000_NS6detail17trampoline_kernelINS0_14default_configENS1_22reduce_config_selectorIbEEZNS1_11reduce_implILb1ES3_N6hipcub16HIPCUB_304000_NS22TransformInputIteratorIbN2at6native12_GLOBAL__N_19NonZeroOpIiEEPKilEEPiiNS8_6detail34convert_binary_result_type_wrapperINS8_3SumESH_iEEEE10hipError_tPvRmT1_T2_T3_mT4_P12ihipStream_tbEUlT_E0_NS1_11comp_targetILNS1_3genE5ELNS1_11target_archE942ELNS1_3gpuE9ELNS1_3repE0EEENS1_30default_config_static_selectorELNS0_4arch9wavefront6targetE0EEEvSQ_.kd
    .uniform_work_group_size: 1
    .uses_dynamic_stack: false
    .vgpr_count:     0
    .vgpr_spill_count: 0
    .wavefront_size: 32
    .workgroup_processor_mode: 1
  - .args:
      - .offset:         0
        .size:           64
        .value_kind:     by_value
    .group_segment_fixed_size: 0
    .kernarg_segment_align: 8
    .kernarg_segment_size: 64
    .language:       OpenCL C
    .language_version:
      - 2
      - 0
    .max_flat_workgroup_size: 128
    .name:           _ZN7rocprim17ROCPRIM_400000_NS6detail17trampoline_kernelINS0_14default_configENS1_22reduce_config_selectorIbEEZNS1_11reduce_implILb1ES3_N6hipcub16HIPCUB_304000_NS22TransformInputIteratorIbN2at6native12_GLOBAL__N_19NonZeroOpIiEEPKilEEPiiNS8_6detail34convert_binary_result_type_wrapperINS8_3SumESH_iEEEE10hipError_tPvRmT1_T2_T3_mT4_P12ihipStream_tbEUlT_E0_NS1_11comp_targetILNS1_3genE4ELNS1_11target_archE910ELNS1_3gpuE8ELNS1_3repE0EEENS1_30default_config_static_selectorELNS0_4arch9wavefront6targetE0EEEvSQ_
    .private_segment_fixed_size: 0
    .sgpr_count:     0
    .sgpr_spill_count: 0
    .symbol:         _ZN7rocprim17ROCPRIM_400000_NS6detail17trampoline_kernelINS0_14default_configENS1_22reduce_config_selectorIbEEZNS1_11reduce_implILb1ES3_N6hipcub16HIPCUB_304000_NS22TransformInputIteratorIbN2at6native12_GLOBAL__N_19NonZeroOpIiEEPKilEEPiiNS8_6detail34convert_binary_result_type_wrapperINS8_3SumESH_iEEEE10hipError_tPvRmT1_T2_T3_mT4_P12ihipStream_tbEUlT_E0_NS1_11comp_targetILNS1_3genE4ELNS1_11target_archE910ELNS1_3gpuE8ELNS1_3repE0EEENS1_30default_config_static_selectorELNS0_4arch9wavefront6targetE0EEEvSQ_.kd
    .uniform_work_group_size: 1
    .uses_dynamic_stack: false
    .vgpr_count:     0
    .vgpr_spill_count: 0
    .wavefront_size: 32
    .workgroup_processor_mode: 1
  - .args:
      - .offset:         0
        .size:           64
        .value_kind:     by_value
    .group_segment_fixed_size: 0
    .kernarg_segment_align: 8
    .kernarg_segment_size: 64
    .language:       OpenCL C
    .language_version:
      - 2
      - 0
    .max_flat_workgroup_size: 256
    .name:           _ZN7rocprim17ROCPRIM_400000_NS6detail17trampoline_kernelINS0_14default_configENS1_22reduce_config_selectorIbEEZNS1_11reduce_implILb1ES3_N6hipcub16HIPCUB_304000_NS22TransformInputIteratorIbN2at6native12_GLOBAL__N_19NonZeroOpIiEEPKilEEPiiNS8_6detail34convert_binary_result_type_wrapperINS8_3SumESH_iEEEE10hipError_tPvRmT1_T2_T3_mT4_P12ihipStream_tbEUlT_E0_NS1_11comp_targetILNS1_3genE3ELNS1_11target_archE908ELNS1_3gpuE7ELNS1_3repE0EEENS1_30default_config_static_selectorELNS0_4arch9wavefront6targetE0EEEvSQ_
    .private_segment_fixed_size: 0
    .sgpr_count:     0
    .sgpr_spill_count: 0
    .symbol:         _ZN7rocprim17ROCPRIM_400000_NS6detail17trampoline_kernelINS0_14default_configENS1_22reduce_config_selectorIbEEZNS1_11reduce_implILb1ES3_N6hipcub16HIPCUB_304000_NS22TransformInputIteratorIbN2at6native12_GLOBAL__N_19NonZeroOpIiEEPKilEEPiiNS8_6detail34convert_binary_result_type_wrapperINS8_3SumESH_iEEEE10hipError_tPvRmT1_T2_T3_mT4_P12ihipStream_tbEUlT_E0_NS1_11comp_targetILNS1_3genE3ELNS1_11target_archE908ELNS1_3gpuE7ELNS1_3repE0EEENS1_30default_config_static_selectorELNS0_4arch9wavefront6targetE0EEEvSQ_.kd
    .uniform_work_group_size: 1
    .uses_dynamic_stack: false
    .vgpr_count:     0
    .vgpr_spill_count: 0
    .wavefront_size: 32
    .workgroup_processor_mode: 1
  - .args:
      - .offset:         0
        .size:           64
        .value_kind:     by_value
    .group_segment_fixed_size: 0
    .kernarg_segment_align: 8
    .kernarg_segment_size: 64
    .language:       OpenCL C
    .language_version:
      - 2
      - 0
    .max_flat_workgroup_size: 128
    .name:           _ZN7rocprim17ROCPRIM_400000_NS6detail17trampoline_kernelINS0_14default_configENS1_22reduce_config_selectorIbEEZNS1_11reduce_implILb1ES3_N6hipcub16HIPCUB_304000_NS22TransformInputIteratorIbN2at6native12_GLOBAL__N_19NonZeroOpIiEEPKilEEPiiNS8_6detail34convert_binary_result_type_wrapperINS8_3SumESH_iEEEE10hipError_tPvRmT1_T2_T3_mT4_P12ihipStream_tbEUlT_E0_NS1_11comp_targetILNS1_3genE2ELNS1_11target_archE906ELNS1_3gpuE6ELNS1_3repE0EEENS1_30default_config_static_selectorELNS0_4arch9wavefront6targetE0EEEvSQ_
    .private_segment_fixed_size: 0
    .sgpr_count:     0
    .sgpr_spill_count: 0
    .symbol:         _ZN7rocprim17ROCPRIM_400000_NS6detail17trampoline_kernelINS0_14default_configENS1_22reduce_config_selectorIbEEZNS1_11reduce_implILb1ES3_N6hipcub16HIPCUB_304000_NS22TransformInputIteratorIbN2at6native12_GLOBAL__N_19NonZeroOpIiEEPKilEEPiiNS8_6detail34convert_binary_result_type_wrapperINS8_3SumESH_iEEEE10hipError_tPvRmT1_T2_T3_mT4_P12ihipStream_tbEUlT_E0_NS1_11comp_targetILNS1_3genE2ELNS1_11target_archE906ELNS1_3gpuE6ELNS1_3repE0EEENS1_30default_config_static_selectorELNS0_4arch9wavefront6targetE0EEEvSQ_.kd
    .uniform_work_group_size: 1
    .uses_dynamic_stack: false
    .vgpr_count:     0
    .vgpr_spill_count: 0
    .wavefront_size: 32
    .workgroup_processor_mode: 1
  - .args:
      - .offset:         0
        .size:           64
        .value_kind:     by_value
    .group_segment_fixed_size: 64
    .kernarg_segment_align: 8
    .kernarg_segment_size: 64
    .language:       OpenCL C
    .language_version:
      - 2
      - 0
    .max_flat_workgroup_size: 256
    .name:           _ZN7rocprim17ROCPRIM_400000_NS6detail17trampoline_kernelINS0_14default_configENS1_22reduce_config_selectorIbEEZNS1_11reduce_implILb1ES3_N6hipcub16HIPCUB_304000_NS22TransformInputIteratorIbN2at6native12_GLOBAL__N_19NonZeroOpIiEEPKilEEPiiNS8_6detail34convert_binary_result_type_wrapperINS8_3SumESH_iEEEE10hipError_tPvRmT1_T2_T3_mT4_P12ihipStream_tbEUlT_E0_NS1_11comp_targetILNS1_3genE10ELNS1_11target_archE1201ELNS1_3gpuE5ELNS1_3repE0EEENS1_30default_config_static_selectorELNS0_4arch9wavefront6targetE0EEEvSQ_
    .private_segment_fixed_size: 0
    .sgpr_count:     32
    .sgpr_spill_count: 0
    .symbol:         _ZN7rocprim17ROCPRIM_400000_NS6detail17trampoline_kernelINS0_14default_configENS1_22reduce_config_selectorIbEEZNS1_11reduce_implILb1ES3_N6hipcub16HIPCUB_304000_NS22TransformInputIteratorIbN2at6native12_GLOBAL__N_19NonZeroOpIiEEPKilEEPiiNS8_6detail34convert_binary_result_type_wrapperINS8_3SumESH_iEEEE10hipError_tPvRmT1_T2_T3_mT4_P12ihipStream_tbEUlT_E0_NS1_11comp_targetILNS1_3genE10ELNS1_11target_archE1201ELNS1_3gpuE5ELNS1_3repE0EEENS1_30default_config_static_selectorELNS0_4arch9wavefront6targetE0EEEvSQ_.kd
    .uniform_work_group_size: 1
    .uses_dynamic_stack: false
    .vgpr_count:     20
    .vgpr_spill_count: 0
    .wavefront_size: 32
    .workgroup_processor_mode: 1
  - .args:
      - .offset:         0
        .size:           64
        .value_kind:     by_value
    .group_segment_fixed_size: 0
    .kernarg_segment_align: 8
    .kernarg_segment_size: 64
    .language:       OpenCL C
    .language_version:
      - 2
      - 0
    .max_flat_workgroup_size: 256
    .name:           _ZN7rocprim17ROCPRIM_400000_NS6detail17trampoline_kernelINS0_14default_configENS1_22reduce_config_selectorIbEEZNS1_11reduce_implILb1ES3_N6hipcub16HIPCUB_304000_NS22TransformInputIteratorIbN2at6native12_GLOBAL__N_19NonZeroOpIiEEPKilEEPiiNS8_6detail34convert_binary_result_type_wrapperINS8_3SumESH_iEEEE10hipError_tPvRmT1_T2_T3_mT4_P12ihipStream_tbEUlT_E0_NS1_11comp_targetILNS1_3genE10ELNS1_11target_archE1200ELNS1_3gpuE4ELNS1_3repE0EEENS1_30default_config_static_selectorELNS0_4arch9wavefront6targetE0EEEvSQ_
    .private_segment_fixed_size: 0
    .sgpr_count:     0
    .sgpr_spill_count: 0
    .symbol:         _ZN7rocprim17ROCPRIM_400000_NS6detail17trampoline_kernelINS0_14default_configENS1_22reduce_config_selectorIbEEZNS1_11reduce_implILb1ES3_N6hipcub16HIPCUB_304000_NS22TransformInputIteratorIbN2at6native12_GLOBAL__N_19NonZeroOpIiEEPKilEEPiiNS8_6detail34convert_binary_result_type_wrapperINS8_3SumESH_iEEEE10hipError_tPvRmT1_T2_T3_mT4_P12ihipStream_tbEUlT_E0_NS1_11comp_targetILNS1_3genE10ELNS1_11target_archE1200ELNS1_3gpuE4ELNS1_3repE0EEENS1_30default_config_static_selectorELNS0_4arch9wavefront6targetE0EEEvSQ_.kd
    .uniform_work_group_size: 1
    .uses_dynamic_stack: false
    .vgpr_count:     0
    .vgpr_spill_count: 0
    .wavefront_size: 32
    .workgroup_processor_mode: 1
  - .args:
      - .offset:         0
        .size:           64
        .value_kind:     by_value
    .group_segment_fixed_size: 0
    .kernarg_segment_align: 8
    .kernarg_segment_size: 64
    .language:       OpenCL C
    .language_version:
      - 2
      - 0
    .max_flat_workgroup_size: 128
    .name:           _ZN7rocprim17ROCPRIM_400000_NS6detail17trampoline_kernelINS0_14default_configENS1_22reduce_config_selectorIbEEZNS1_11reduce_implILb1ES3_N6hipcub16HIPCUB_304000_NS22TransformInputIteratorIbN2at6native12_GLOBAL__N_19NonZeroOpIiEEPKilEEPiiNS8_6detail34convert_binary_result_type_wrapperINS8_3SumESH_iEEEE10hipError_tPvRmT1_T2_T3_mT4_P12ihipStream_tbEUlT_E0_NS1_11comp_targetILNS1_3genE9ELNS1_11target_archE1100ELNS1_3gpuE3ELNS1_3repE0EEENS1_30default_config_static_selectorELNS0_4arch9wavefront6targetE0EEEvSQ_
    .private_segment_fixed_size: 0
    .sgpr_count:     0
    .sgpr_spill_count: 0
    .symbol:         _ZN7rocprim17ROCPRIM_400000_NS6detail17trampoline_kernelINS0_14default_configENS1_22reduce_config_selectorIbEEZNS1_11reduce_implILb1ES3_N6hipcub16HIPCUB_304000_NS22TransformInputIteratorIbN2at6native12_GLOBAL__N_19NonZeroOpIiEEPKilEEPiiNS8_6detail34convert_binary_result_type_wrapperINS8_3SumESH_iEEEE10hipError_tPvRmT1_T2_T3_mT4_P12ihipStream_tbEUlT_E0_NS1_11comp_targetILNS1_3genE9ELNS1_11target_archE1100ELNS1_3gpuE3ELNS1_3repE0EEENS1_30default_config_static_selectorELNS0_4arch9wavefront6targetE0EEEvSQ_.kd
    .uniform_work_group_size: 1
    .uses_dynamic_stack: false
    .vgpr_count:     0
    .vgpr_spill_count: 0
    .wavefront_size: 32
    .workgroup_processor_mode: 1
  - .args:
      - .offset:         0
        .size:           64
        .value_kind:     by_value
    .group_segment_fixed_size: 0
    .kernarg_segment_align: 8
    .kernarg_segment_size: 64
    .language:       OpenCL C
    .language_version:
      - 2
      - 0
    .max_flat_workgroup_size: 256
    .name:           _ZN7rocprim17ROCPRIM_400000_NS6detail17trampoline_kernelINS0_14default_configENS1_22reduce_config_selectorIbEEZNS1_11reduce_implILb1ES3_N6hipcub16HIPCUB_304000_NS22TransformInputIteratorIbN2at6native12_GLOBAL__N_19NonZeroOpIiEEPKilEEPiiNS8_6detail34convert_binary_result_type_wrapperINS8_3SumESH_iEEEE10hipError_tPvRmT1_T2_T3_mT4_P12ihipStream_tbEUlT_E0_NS1_11comp_targetILNS1_3genE8ELNS1_11target_archE1030ELNS1_3gpuE2ELNS1_3repE0EEENS1_30default_config_static_selectorELNS0_4arch9wavefront6targetE0EEEvSQ_
    .private_segment_fixed_size: 0
    .sgpr_count:     0
    .sgpr_spill_count: 0
    .symbol:         _ZN7rocprim17ROCPRIM_400000_NS6detail17trampoline_kernelINS0_14default_configENS1_22reduce_config_selectorIbEEZNS1_11reduce_implILb1ES3_N6hipcub16HIPCUB_304000_NS22TransformInputIteratorIbN2at6native12_GLOBAL__N_19NonZeroOpIiEEPKilEEPiiNS8_6detail34convert_binary_result_type_wrapperINS8_3SumESH_iEEEE10hipError_tPvRmT1_T2_T3_mT4_P12ihipStream_tbEUlT_E0_NS1_11comp_targetILNS1_3genE8ELNS1_11target_archE1030ELNS1_3gpuE2ELNS1_3repE0EEENS1_30default_config_static_selectorELNS0_4arch9wavefront6targetE0EEEvSQ_.kd
    .uniform_work_group_size: 1
    .uses_dynamic_stack: false
    .vgpr_count:     0
    .vgpr_spill_count: 0
    .wavefront_size: 32
    .workgroup_processor_mode: 1
  - .args:
      - .offset:         0
        .size:           48
        .value_kind:     by_value
    .group_segment_fixed_size: 0
    .kernarg_segment_align: 8
    .kernarg_segment_size: 48
    .language:       OpenCL C
    .language_version:
      - 2
      - 0
    .max_flat_workgroup_size: 256
    .name:           _ZN7rocprim17ROCPRIM_400000_NS6detail17trampoline_kernelINS0_14default_configENS1_22reduce_config_selectorIbEEZNS1_11reduce_implILb1ES3_N6hipcub16HIPCUB_304000_NS22TransformInputIteratorIbN2at6native12_GLOBAL__N_19NonZeroOpIiEEPKilEEPiiNS8_6detail34convert_binary_result_type_wrapperINS8_3SumESH_iEEEE10hipError_tPvRmT1_T2_T3_mT4_P12ihipStream_tbEUlT_E1_NS1_11comp_targetILNS1_3genE0ELNS1_11target_archE4294967295ELNS1_3gpuE0ELNS1_3repE0EEENS1_30default_config_static_selectorELNS0_4arch9wavefront6targetE0EEEvSQ_
    .private_segment_fixed_size: 0
    .sgpr_count:     0
    .sgpr_spill_count: 0
    .symbol:         _ZN7rocprim17ROCPRIM_400000_NS6detail17trampoline_kernelINS0_14default_configENS1_22reduce_config_selectorIbEEZNS1_11reduce_implILb1ES3_N6hipcub16HIPCUB_304000_NS22TransformInputIteratorIbN2at6native12_GLOBAL__N_19NonZeroOpIiEEPKilEEPiiNS8_6detail34convert_binary_result_type_wrapperINS8_3SumESH_iEEEE10hipError_tPvRmT1_T2_T3_mT4_P12ihipStream_tbEUlT_E1_NS1_11comp_targetILNS1_3genE0ELNS1_11target_archE4294967295ELNS1_3gpuE0ELNS1_3repE0EEENS1_30default_config_static_selectorELNS0_4arch9wavefront6targetE0EEEvSQ_.kd
    .uniform_work_group_size: 1
    .uses_dynamic_stack: false
    .vgpr_count:     0
    .vgpr_spill_count: 0
    .wavefront_size: 32
    .workgroup_processor_mode: 1
  - .args:
      - .offset:         0
        .size:           48
        .value_kind:     by_value
    .group_segment_fixed_size: 0
    .kernarg_segment_align: 8
    .kernarg_segment_size: 48
    .language:       OpenCL C
    .language_version:
      - 2
      - 0
    .max_flat_workgroup_size: 256
    .name:           _ZN7rocprim17ROCPRIM_400000_NS6detail17trampoline_kernelINS0_14default_configENS1_22reduce_config_selectorIbEEZNS1_11reduce_implILb1ES3_N6hipcub16HIPCUB_304000_NS22TransformInputIteratorIbN2at6native12_GLOBAL__N_19NonZeroOpIiEEPKilEEPiiNS8_6detail34convert_binary_result_type_wrapperINS8_3SumESH_iEEEE10hipError_tPvRmT1_T2_T3_mT4_P12ihipStream_tbEUlT_E1_NS1_11comp_targetILNS1_3genE5ELNS1_11target_archE942ELNS1_3gpuE9ELNS1_3repE0EEENS1_30default_config_static_selectorELNS0_4arch9wavefront6targetE0EEEvSQ_
    .private_segment_fixed_size: 0
    .sgpr_count:     0
    .sgpr_spill_count: 0
    .symbol:         _ZN7rocprim17ROCPRIM_400000_NS6detail17trampoline_kernelINS0_14default_configENS1_22reduce_config_selectorIbEEZNS1_11reduce_implILb1ES3_N6hipcub16HIPCUB_304000_NS22TransformInputIteratorIbN2at6native12_GLOBAL__N_19NonZeroOpIiEEPKilEEPiiNS8_6detail34convert_binary_result_type_wrapperINS8_3SumESH_iEEEE10hipError_tPvRmT1_T2_T3_mT4_P12ihipStream_tbEUlT_E1_NS1_11comp_targetILNS1_3genE5ELNS1_11target_archE942ELNS1_3gpuE9ELNS1_3repE0EEENS1_30default_config_static_selectorELNS0_4arch9wavefront6targetE0EEEvSQ_.kd
    .uniform_work_group_size: 1
    .uses_dynamic_stack: false
    .vgpr_count:     0
    .vgpr_spill_count: 0
    .wavefront_size: 32
    .workgroup_processor_mode: 1
  - .args:
      - .offset:         0
        .size:           48
        .value_kind:     by_value
    .group_segment_fixed_size: 0
    .kernarg_segment_align: 8
    .kernarg_segment_size: 48
    .language:       OpenCL C
    .language_version:
      - 2
      - 0
    .max_flat_workgroup_size: 128
    .name:           _ZN7rocprim17ROCPRIM_400000_NS6detail17trampoline_kernelINS0_14default_configENS1_22reduce_config_selectorIbEEZNS1_11reduce_implILb1ES3_N6hipcub16HIPCUB_304000_NS22TransformInputIteratorIbN2at6native12_GLOBAL__N_19NonZeroOpIiEEPKilEEPiiNS8_6detail34convert_binary_result_type_wrapperINS8_3SumESH_iEEEE10hipError_tPvRmT1_T2_T3_mT4_P12ihipStream_tbEUlT_E1_NS1_11comp_targetILNS1_3genE4ELNS1_11target_archE910ELNS1_3gpuE8ELNS1_3repE0EEENS1_30default_config_static_selectorELNS0_4arch9wavefront6targetE0EEEvSQ_
    .private_segment_fixed_size: 0
    .sgpr_count:     0
    .sgpr_spill_count: 0
    .symbol:         _ZN7rocprim17ROCPRIM_400000_NS6detail17trampoline_kernelINS0_14default_configENS1_22reduce_config_selectorIbEEZNS1_11reduce_implILb1ES3_N6hipcub16HIPCUB_304000_NS22TransformInputIteratorIbN2at6native12_GLOBAL__N_19NonZeroOpIiEEPKilEEPiiNS8_6detail34convert_binary_result_type_wrapperINS8_3SumESH_iEEEE10hipError_tPvRmT1_T2_T3_mT4_P12ihipStream_tbEUlT_E1_NS1_11comp_targetILNS1_3genE4ELNS1_11target_archE910ELNS1_3gpuE8ELNS1_3repE0EEENS1_30default_config_static_selectorELNS0_4arch9wavefront6targetE0EEEvSQ_.kd
    .uniform_work_group_size: 1
    .uses_dynamic_stack: false
    .vgpr_count:     0
    .vgpr_spill_count: 0
    .wavefront_size: 32
    .workgroup_processor_mode: 1
  - .args:
      - .offset:         0
        .size:           48
        .value_kind:     by_value
    .group_segment_fixed_size: 0
    .kernarg_segment_align: 8
    .kernarg_segment_size: 48
    .language:       OpenCL C
    .language_version:
      - 2
      - 0
    .max_flat_workgroup_size: 256
    .name:           _ZN7rocprim17ROCPRIM_400000_NS6detail17trampoline_kernelINS0_14default_configENS1_22reduce_config_selectorIbEEZNS1_11reduce_implILb1ES3_N6hipcub16HIPCUB_304000_NS22TransformInputIteratorIbN2at6native12_GLOBAL__N_19NonZeroOpIiEEPKilEEPiiNS8_6detail34convert_binary_result_type_wrapperINS8_3SumESH_iEEEE10hipError_tPvRmT1_T2_T3_mT4_P12ihipStream_tbEUlT_E1_NS1_11comp_targetILNS1_3genE3ELNS1_11target_archE908ELNS1_3gpuE7ELNS1_3repE0EEENS1_30default_config_static_selectorELNS0_4arch9wavefront6targetE0EEEvSQ_
    .private_segment_fixed_size: 0
    .sgpr_count:     0
    .sgpr_spill_count: 0
    .symbol:         _ZN7rocprim17ROCPRIM_400000_NS6detail17trampoline_kernelINS0_14default_configENS1_22reduce_config_selectorIbEEZNS1_11reduce_implILb1ES3_N6hipcub16HIPCUB_304000_NS22TransformInputIteratorIbN2at6native12_GLOBAL__N_19NonZeroOpIiEEPKilEEPiiNS8_6detail34convert_binary_result_type_wrapperINS8_3SumESH_iEEEE10hipError_tPvRmT1_T2_T3_mT4_P12ihipStream_tbEUlT_E1_NS1_11comp_targetILNS1_3genE3ELNS1_11target_archE908ELNS1_3gpuE7ELNS1_3repE0EEENS1_30default_config_static_selectorELNS0_4arch9wavefront6targetE0EEEvSQ_.kd
    .uniform_work_group_size: 1
    .uses_dynamic_stack: false
    .vgpr_count:     0
    .vgpr_spill_count: 0
    .wavefront_size: 32
    .workgroup_processor_mode: 1
  - .args:
      - .offset:         0
        .size:           48
        .value_kind:     by_value
    .group_segment_fixed_size: 0
    .kernarg_segment_align: 8
    .kernarg_segment_size: 48
    .language:       OpenCL C
    .language_version:
      - 2
      - 0
    .max_flat_workgroup_size: 128
    .name:           _ZN7rocprim17ROCPRIM_400000_NS6detail17trampoline_kernelINS0_14default_configENS1_22reduce_config_selectorIbEEZNS1_11reduce_implILb1ES3_N6hipcub16HIPCUB_304000_NS22TransformInputIteratorIbN2at6native12_GLOBAL__N_19NonZeroOpIiEEPKilEEPiiNS8_6detail34convert_binary_result_type_wrapperINS8_3SumESH_iEEEE10hipError_tPvRmT1_T2_T3_mT4_P12ihipStream_tbEUlT_E1_NS1_11comp_targetILNS1_3genE2ELNS1_11target_archE906ELNS1_3gpuE6ELNS1_3repE0EEENS1_30default_config_static_selectorELNS0_4arch9wavefront6targetE0EEEvSQ_
    .private_segment_fixed_size: 0
    .sgpr_count:     0
    .sgpr_spill_count: 0
    .symbol:         _ZN7rocprim17ROCPRIM_400000_NS6detail17trampoline_kernelINS0_14default_configENS1_22reduce_config_selectorIbEEZNS1_11reduce_implILb1ES3_N6hipcub16HIPCUB_304000_NS22TransformInputIteratorIbN2at6native12_GLOBAL__N_19NonZeroOpIiEEPKilEEPiiNS8_6detail34convert_binary_result_type_wrapperINS8_3SumESH_iEEEE10hipError_tPvRmT1_T2_T3_mT4_P12ihipStream_tbEUlT_E1_NS1_11comp_targetILNS1_3genE2ELNS1_11target_archE906ELNS1_3gpuE6ELNS1_3repE0EEENS1_30default_config_static_selectorELNS0_4arch9wavefront6targetE0EEEvSQ_.kd
    .uniform_work_group_size: 1
    .uses_dynamic_stack: false
    .vgpr_count:     0
    .vgpr_spill_count: 0
    .wavefront_size: 32
    .workgroup_processor_mode: 1
  - .args:
      - .offset:         0
        .size:           48
        .value_kind:     by_value
    .group_segment_fixed_size: 288
    .kernarg_segment_align: 8
    .kernarg_segment_size: 48
    .language:       OpenCL C
    .language_version:
      - 2
      - 0
    .max_flat_workgroup_size: 256
    .name:           _ZN7rocprim17ROCPRIM_400000_NS6detail17trampoline_kernelINS0_14default_configENS1_22reduce_config_selectorIbEEZNS1_11reduce_implILb1ES3_N6hipcub16HIPCUB_304000_NS22TransformInputIteratorIbN2at6native12_GLOBAL__N_19NonZeroOpIiEEPKilEEPiiNS8_6detail34convert_binary_result_type_wrapperINS8_3SumESH_iEEEE10hipError_tPvRmT1_T2_T3_mT4_P12ihipStream_tbEUlT_E1_NS1_11comp_targetILNS1_3genE10ELNS1_11target_archE1201ELNS1_3gpuE5ELNS1_3repE0EEENS1_30default_config_static_selectorELNS0_4arch9wavefront6targetE0EEEvSQ_
    .private_segment_fixed_size: 0
    .sgpr_count:     49
    .sgpr_spill_count: 0
    .symbol:         _ZN7rocprim17ROCPRIM_400000_NS6detail17trampoline_kernelINS0_14default_configENS1_22reduce_config_selectorIbEEZNS1_11reduce_implILb1ES3_N6hipcub16HIPCUB_304000_NS22TransformInputIteratorIbN2at6native12_GLOBAL__N_19NonZeroOpIiEEPKilEEPiiNS8_6detail34convert_binary_result_type_wrapperINS8_3SumESH_iEEEE10hipError_tPvRmT1_T2_T3_mT4_P12ihipStream_tbEUlT_E1_NS1_11comp_targetILNS1_3genE10ELNS1_11target_archE1201ELNS1_3gpuE5ELNS1_3repE0EEENS1_30default_config_static_selectorELNS0_4arch9wavefront6targetE0EEEvSQ_.kd
    .uniform_work_group_size: 1
    .uses_dynamic_stack: false
    .vgpr_count:     129
    .vgpr_spill_count: 0
    .wavefront_size: 32
    .workgroup_processor_mode: 1
  - .args:
      - .offset:         0
        .size:           48
        .value_kind:     by_value
    .group_segment_fixed_size: 0
    .kernarg_segment_align: 8
    .kernarg_segment_size: 48
    .language:       OpenCL C
    .language_version:
      - 2
      - 0
    .max_flat_workgroup_size: 256
    .name:           _ZN7rocprim17ROCPRIM_400000_NS6detail17trampoline_kernelINS0_14default_configENS1_22reduce_config_selectorIbEEZNS1_11reduce_implILb1ES3_N6hipcub16HIPCUB_304000_NS22TransformInputIteratorIbN2at6native12_GLOBAL__N_19NonZeroOpIiEEPKilEEPiiNS8_6detail34convert_binary_result_type_wrapperINS8_3SumESH_iEEEE10hipError_tPvRmT1_T2_T3_mT4_P12ihipStream_tbEUlT_E1_NS1_11comp_targetILNS1_3genE10ELNS1_11target_archE1200ELNS1_3gpuE4ELNS1_3repE0EEENS1_30default_config_static_selectorELNS0_4arch9wavefront6targetE0EEEvSQ_
    .private_segment_fixed_size: 0
    .sgpr_count:     0
    .sgpr_spill_count: 0
    .symbol:         _ZN7rocprim17ROCPRIM_400000_NS6detail17trampoline_kernelINS0_14default_configENS1_22reduce_config_selectorIbEEZNS1_11reduce_implILb1ES3_N6hipcub16HIPCUB_304000_NS22TransformInputIteratorIbN2at6native12_GLOBAL__N_19NonZeroOpIiEEPKilEEPiiNS8_6detail34convert_binary_result_type_wrapperINS8_3SumESH_iEEEE10hipError_tPvRmT1_T2_T3_mT4_P12ihipStream_tbEUlT_E1_NS1_11comp_targetILNS1_3genE10ELNS1_11target_archE1200ELNS1_3gpuE4ELNS1_3repE0EEENS1_30default_config_static_selectorELNS0_4arch9wavefront6targetE0EEEvSQ_.kd
    .uniform_work_group_size: 1
    .uses_dynamic_stack: false
    .vgpr_count:     0
    .vgpr_spill_count: 0
    .wavefront_size: 32
    .workgroup_processor_mode: 1
  - .args:
      - .offset:         0
        .size:           48
        .value_kind:     by_value
    .group_segment_fixed_size: 0
    .kernarg_segment_align: 8
    .kernarg_segment_size: 48
    .language:       OpenCL C
    .language_version:
      - 2
      - 0
    .max_flat_workgroup_size: 128
    .name:           _ZN7rocprim17ROCPRIM_400000_NS6detail17trampoline_kernelINS0_14default_configENS1_22reduce_config_selectorIbEEZNS1_11reduce_implILb1ES3_N6hipcub16HIPCUB_304000_NS22TransformInputIteratorIbN2at6native12_GLOBAL__N_19NonZeroOpIiEEPKilEEPiiNS8_6detail34convert_binary_result_type_wrapperINS8_3SumESH_iEEEE10hipError_tPvRmT1_T2_T3_mT4_P12ihipStream_tbEUlT_E1_NS1_11comp_targetILNS1_3genE9ELNS1_11target_archE1100ELNS1_3gpuE3ELNS1_3repE0EEENS1_30default_config_static_selectorELNS0_4arch9wavefront6targetE0EEEvSQ_
    .private_segment_fixed_size: 0
    .sgpr_count:     0
    .sgpr_spill_count: 0
    .symbol:         _ZN7rocprim17ROCPRIM_400000_NS6detail17trampoline_kernelINS0_14default_configENS1_22reduce_config_selectorIbEEZNS1_11reduce_implILb1ES3_N6hipcub16HIPCUB_304000_NS22TransformInputIteratorIbN2at6native12_GLOBAL__N_19NonZeroOpIiEEPKilEEPiiNS8_6detail34convert_binary_result_type_wrapperINS8_3SumESH_iEEEE10hipError_tPvRmT1_T2_T3_mT4_P12ihipStream_tbEUlT_E1_NS1_11comp_targetILNS1_3genE9ELNS1_11target_archE1100ELNS1_3gpuE3ELNS1_3repE0EEENS1_30default_config_static_selectorELNS0_4arch9wavefront6targetE0EEEvSQ_.kd
    .uniform_work_group_size: 1
    .uses_dynamic_stack: false
    .vgpr_count:     0
    .vgpr_spill_count: 0
    .wavefront_size: 32
    .workgroup_processor_mode: 1
  - .args:
      - .offset:         0
        .size:           48
        .value_kind:     by_value
    .group_segment_fixed_size: 0
    .kernarg_segment_align: 8
    .kernarg_segment_size: 48
    .language:       OpenCL C
    .language_version:
      - 2
      - 0
    .max_flat_workgroup_size: 256
    .name:           _ZN7rocprim17ROCPRIM_400000_NS6detail17trampoline_kernelINS0_14default_configENS1_22reduce_config_selectorIbEEZNS1_11reduce_implILb1ES3_N6hipcub16HIPCUB_304000_NS22TransformInputIteratorIbN2at6native12_GLOBAL__N_19NonZeroOpIiEEPKilEEPiiNS8_6detail34convert_binary_result_type_wrapperINS8_3SumESH_iEEEE10hipError_tPvRmT1_T2_T3_mT4_P12ihipStream_tbEUlT_E1_NS1_11comp_targetILNS1_3genE8ELNS1_11target_archE1030ELNS1_3gpuE2ELNS1_3repE0EEENS1_30default_config_static_selectorELNS0_4arch9wavefront6targetE0EEEvSQ_
    .private_segment_fixed_size: 0
    .sgpr_count:     0
    .sgpr_spill_count: 0
    .symbol:         _ZN7rocprim17ROCPRIM_400000_NS6detail17trampoline_kernelINS0_14default_configENS1_22reduce_config_selectorIbEEZNS1_11reduce_implILb1ES3_N6hipcub16HIPCUB_304000_NS22TransformInputIteratorIbN2at6native12_GLOBAL__N_19NonZeroOpIiEEPKilEEPiiNS8_6detail34convert_binary_result_type_wrapperINS8_3SumESH_iEEEE10hipError_tPvRmT1_T2_T3_mT4_P12ihipStream_tbEUlT_E1_NS1_11comp_targetILNS1_3genE8ELNS1_11target_archE1030ELNS1_3gpuE2ELNS1_3repE0EEENS1_30default_config_static_selectorELNS0_4arch9wavefront6targetE0EEEvSQ_.kd
    .uniform_work_group_size: 1
    .uses_dynamic_stack: false
    .vgpr_count:     0
    .vgpr_spill_count: 0
    .wavefront_size: 32
    .workgroup_processor_mode: 1
  - .args:
      - .offset:         0
        .size:           120
        .value_kind:     by_value
    .group_segment_fixed_size: 0
    .kernarg_segment_align: 8
    .kernarg_segment_size: 120
    .language:       OpenCL C
    .language_version:
      - 2
      - 0
    .max_flat_workgroup_size: 128
    .name:           _ZN7rocprim17ROCPRIM_400000_NS6detail17trampoline_kernelINS0_14default_configENS1_25partition_config_selectorILNS1_17partition_subalgoE5ElNS0_10empty_typeEbEEZZNS1_14partition_implILS5_5ELb0ES3_mN6hipcub16HIPCUB_304000_NS21CountingInputIteratorIllEEPS6_NSA_22TransformInputIteratorIbN2at6native12_GLOBAL__N_19NonZeroOpIiEEPKilEENS0_5tupleIJPlS6_EEENSN_IJSD_SD_EEES6_PiJS6_EEE10hipError_tPvRmT3_T4_T5_T6_T7_T9_mT8_P12ihipStream_tbDpT10_ENKUlT_T0_E_clISt17integral_constantIbLb0EES1B_EEDaS16_S17_EUlS16_E_NS1_11comp_targetILNS1_3genE0ELNS1_11target_archE4294967295ELNS1_3gpuE0ELNS1_3repE0EEENS1_30default_config_static_selectorELNS0_4arch9wavefront6targetE0EEEvT1_
    .private_segment_fixed_size: 0
    .sgpr_count:     0
    .sgpr_spill_count: 0
    .symbol:         _ZN7rocprim17ROCPRIM_400000_NS6detail17trampoline_kernelINS0_14default_configENS1_25partition_config_selectorILNS1_17partition_subalgoE5ElNS0_10empty_typeEbEEZZNS1_14partition_implILS5_5ELb0ES3_mN6hipcub16HIPCUB_304000_NS21CountingInputIteratorIllEEPS6_NSA_22TransformInputIteratorIbN2at6native12_GLOBAL__N_19NonZeroOpIiEEPKilEENS0_5tupleIJPlS6_EEENSN_IJSD_SD_EEES6_PiJS6_EEE10hipError_tPvRmT3_T4_T5_T6_T7_T9_mT8_P12ihipStream_tbDpT10_ENKUlT_T0_E_clISt17integral_constantIbLb0EES1B_EEDaS16_S17_EUlS16_E_NS1_11comp_targetILNS1_3genE0ELNS1_11target_archE4294967295ELNS1_3gpuE0ELNS1_3repE0EEENS1_30default_config_static_selectorELNS0_4arch9wavefront6targetE0EEEvT1_.kd
    .uniform_work_group_size: 1
    .uses_dynamic_stack: false
    .vgpr_count:     0
    .vgpr_spill_count: 0
    .wavefront_size: 32
    .workgroup_processor_mode: 1
  - .args:
      - .offset:         0
        .size:           120
        .value_kind:     by_value
    .group_segment_fixed_size: 0
    .kernarg_segment_align: 8
    .kernarg_segment_size: 120
    .language:       OpenCL C
    .language_version:
      - 2
      - 0
    .max_flat_workgroup_size: 512
    .name:           _ZN7rocprim17ROCPRIM_400000_NS6detail17trampoline_kernelINS0_14default_configENS1_25partition_config_selectorILNS1_17partition_subalgoE5ElNS0_10empty_typeEbEEZZNS1_14partition_implILS5_5ELb0ES3_mN6hipcub16HIPCUB_304000_NS21CountingInputIteratorIllEEPS6_NSA_22TransformInputIteratorIbN2at6native12_GLOBAL__N_19NonZeroOpIiEEPKilEENS0_5tupleIJPlS6_EEENSN_IJSD_SD_EEES6_PiJS6_EEE10hipError_tPvRmT3_T4_T5_T6_T7_T9_mT8_P12ihipStream_tbDpT10_ENKUlT_T0_E_clISt17integral_constantIbLb0EES1B_EEDaS16_S17_EUlS16_E_NS1_11comp_targetILNS1_3genE5ELNS1_11target_archE942ELNS1_3gpuE9ELNS1_3repE0EEENS1_30default_config_static_selectorELNS0_4arch9wavefront6targetE0EEEvT1_
    .private_segment_fixed_size: 0
    .sgpr_count:     0
    .sgpr_spill_count: 0
    .symbol:         _ZN7rocprim17ROCPRIM_400000_NS6detail17trampoline_kernelINS0_14default_configENS1_25partition_config_selectorILNS1_17partition_subalgoE5ElNS0_10empty_typeEbEEZZNS1_14partition_implILS5_5ELb0ES3_mN6hipcub16HIPCUB_304000_NS21CountingInputIteratorIllEEPS6_NSA_22TransformInputIteratorIbN2at6native12_GLOBAL__N_19NonZeroOpIiEEPKilEENS0_5tupleIJPlS6_EEENSN_IJSD_SD_EEES6_PiJS6_EEE10hipError_tPvRmT3_T4_T5_T6_T7_T9_mT8_P12ihipStream_tbDpT10_ENKUlT_T0_E_clISt17integral_constantIbLb0EES1B_EEDaS16_S17_EUlS16_E_NS1_11comp_targetILNS1_3genE5ELNS1_11target_archE942ELNS1_3gpuE9ELNS1_3repE0EEENS1_30default_config_static_selectorELNS0_4arch9wavefront6targetE0EEEvT1_.kd
    .uniform_work_group_size: 1
    .uses_dynamic_stack: false
    .vgpr_count:     0
    .vgpr_spill_count: 0
    .wavefront_size: 32
    .workgroup_processor_mode: 1
  - .args:
      - .offset:         0
        .size:           120
        .value_kind:     by_value
    .group_segment_fixed_size: 0
    .kernarg_segment_align: 8
    .kernarg_segment_size: 120
    .language:       OpenCL C
    .language_version:
      - 2
      - 0
    .max_flat_workgroup_size: 192
    .name:           _ZN7rocprim17ROCPRIM_400000_NS6detail17trampoline_kernelINS0_14default_configENS1_25partition_config_selectorILNS1_17partition_subalgoE5ElNS0_10empty_typeEbEEZZNS1_14partition_implILS5_5ELb0ES3_mN6hipcub16HIPCUB_304000_NS21CountingInputIteratorIllEEPS6_NSA_22TransformInputIteratorIbN2at6native12_GLOBAL__N_19NonZeroOpIiEEPKilEENS0_5tupleIJPlS6_EEENSN_IJSD_SD_EEES6_PiJS6_EEE10hipError_tPvRmT3_T4_T5_T6_T7_T9_mT8_P12ihipStream_tbDpT10_ENKUlT_T0_E_clISt17integral_constantIbLb0EES1B_EEDaS16_S17_EUlS16_E_NS1_11comp_targetILNS1_3genE4ELNS1_11target_archE910ELNS1_3gpuE8ELNS1_3repE0EEENS1_30default_config_static_selectorELNS0_4arch9wavefront6targetE0EEEvT1_
    .private_segment_fixed_size: 0
    .sgpr_count:     0
    .sgpr_spill_count: 0
    .symbol:         _ZN7rocprim17ROCPRIM_400000_NS6detail17trampoline_kernelINS0_14default_configENS1_25partition_config_selectorILNS1_17partition_subalgoE5ElNS0_10empty_typeEbEEZZNS1_14partition_implILS5_5ELb0ES3_mN6hipcub16HIPCUB_304000_NS21CountingInputIteratorIllEEPS6_NSA_22TransformInputIteratorIbN2at6native12_GLOBAL__N_19NonZeroOpIiEEPKilEENS0_5tupleIJPlS6_EEENSN_IJSD_SD_EEES6_PiJS6_EEE10hipError_tPvRmT3_T4_T5_T6_T7_T9_mT8_P12ihipStream_tbDpT10_ENKUlT_T0_E_clISt17integral_constantIbLb0EES1B_EEDaS16_S17_EUlS16_E_NS1_11comp_targetILNS1_3genE4ELNS1_11target_archE910ELNS1_3gpuE8ELNS1_3repE0EEENS1_30default_config_static_selectorELNS0_4arch9wavefront6targetE0EEEvT1_.kd
    .uniform_work_group_size: 1
    .uses_dynamic_stack: false
    .vgpr_count:     0
    .vgpr_spill_count: 0
    .wavefront_size: 32
    .workgroup_processor_mode: 1
  - .args:
      - .offset:         0
        .size:           120
        .value_kind:     by_value
    .group_segment_fixed_size: 0
    .kernarg_segment_align: 8
    .kernarg_segment_size: 120
    .language:       OpenCL C
    .language_version:
      - 2
      - 0
    .max_flat_workgroup_size: 128
    .name:           _ZN7rocprim17ROCPRIM_400000_NS6detail17trampoline_kernelINS0_14default_configENS1_25partition_config_selectorILNS1_17partition_subalgoE5ElNS0_10empty_typeEbEEZZNS1_14partition_implILS5_5ELb0ES3_mN6hipcub16HIPCUB_304000_NS21CountingInputIteratorIllEEPS6_NSA_22TransformInputIteratorIbN2at6native12_GLOBAL__N_19NonZeroOpIiEEPKilEENS0_5tupleIJPlS6_EEENSN_IJSD_SD_EEES6_PiJS6_EEE10hipError_tPvRmT3_T4_T5_T6_T7_T9_mT8_P12ihipStream_tbDpT10_ENKUlT_T0_E_clISt17integral_constantIbLb0EES1B_EEDaS16_S17_EUlS16_E_NS1_11comp_targetILNS1_3genE3ELNS1_11target_archE908ELNS1_3gpuE7ELNS1_3repE0EEENS1_30default_config_static_selectorELNS0_4arch9wavefront6targetE0EEEvT1_
    .private_segment_fixed_size: 0
    .sgpr_count:     0
    .sgpr_spill_count: 0
    .symbol:         _ZN7rocprim17ROCPRIM_400000_NS6detail17trampoline_kernelINS0_14default_configENS1_25partition_config_selectorILNS1_17partition_subalgoE5ElNS0_10empty_typeEbEEZZNS1_14partition_implILS5_5ELb0ES3_mN6hipcub16HIPCUB_304000_NS21CountingInputIteratorIllEEPS6_NSA_22TransformInputIteratorIbN2at6native12_GLOBAL__N_19NonZeroOpIiEEPKilEENS0_5tupleIJPlS6_EEENSN_IJSD_SD_EEES6_PiJS6_EEE10hipError_tPvRmT3_T4_T5_T6_T7_T9_mT8_P12ihipStream_tbDpT10_ENKUlT_T0_E_clISt17integral_constantIbLb0EES1B_EEDaS16_S17_EUlS16_E_NS1_11comp_targetILNS1_3genE3ELNS1_11target_archE908ELNS1_3gpuE7ELNS1_3repE0EEENS1_30default_config_static_selectorELNS0_4arch9wavefront6targetE0EEEvT1_.kd
    .uniform_work_group_size: 1
    .uses_dynamic_stack: false
    .vgpr_count:     0
    .vgpr_spill_count: 0
    .wavefront_size: 32
    .workgroup_processor_mode: 1
  - .args:
      - .offset:         0
        .size:           120
        .value_kind:     by_value
    .group_segment_fixed_size: 0
    .kernarg_segment_align: 8
    .kernarg_segment_size: 120
    .language:       OpenCL C
    .language_version:
      - 2
      - 0
    .max_flat_workgroup_size: 256
    .name:           _ZN7rocprim17ROCPRIM_400000_NS6detail17trampoline_kernelINS0_14default_configENS1_25partition_config_selectorILNS1_17partition_subalgoE5ElNS0_10empty_typeEbEEZZNS1_14partition_implILS5_5ELb0ES3_mN6hipcub16HIPCUB_304000_NS21CountingInputIteratorIllEEPS6_NSA_22TransformInputIteratorIbN2at6native12_GLOBAL__N_19NonZeroOpIiEEPKilEENS0_5tupleIJPlS6_EEENSN_IJSD_SD_EEES6_PiJS6_EEE10hipError_tPvRmT3_T4_T5_T6_T7_T9_mT8_P12ihipStream_tbDpT10_ENKUlT_T0_E_clISt17integral_constantIbLb0EES1B_EEDaS16_S17_EUlS16_E_NS1_11comp_targetILNS1_3genE2ELNS1_11target_archE906ELNS1_3gpuE6ELNS1_3repE0EEENS1_30default_config_static_selectorELNS0_4arch9wavefront6targetE0EEEvT1_
    .private_segment_fixed_size: 0
    .sgpr_count:     0
    .sgpr_spill_count: 0
    .symbol:         _ZN7rocprim17ROCPRIM_400000_NS6detail17trampoline_kernelINS0_14default_configENS1_25partition_config_selectorILNS1_17partition_subalgoE5ElNS0_10empty_typeEbEEZZNS1_14partition_implILS5_5ELb0ES3_mN6hipcub16HIPCUB_304000_NS21CountingInputIteratorIllEEPS6_NSA_22TransformInputIteratorIbN2at6native12_GLOBAL__N_19NonZeroOpIiEEPKilEENS0_5tupleIJPlS6_EEENSN_IJSD_SD_EEES6_PiJS6_EEE10hipError_tPvRmT3_T4_T5_T6_T7_T9_mT8_P12ihipStream_tbDpT10_ENKUlT_T0_E_clISt17integral_constantIbLb0EES1B_EEDaS16_S17_EUlS16_E_NS1_11comp_targetILNS1_3genE2ELNS1_11target_archE906ELNS1_3gpuE6ELNS1_3repE0EEENS1_30default_config_static_selectorELNS0_4arch9wavefront6targetE0EEEvT1_.kd
    .uniform_work_group_size: 1
    .uses_dynamic_stack: false
    .vgpr_count:     0
    .vgpr_spill_count: 0
    .wavefront_size: 32
    .workgroup_processor_mode: 1
  - .args:
      - .offset:         0
        .size:           120
        .value_kind:     by_value
    .group_segment_fixed_size: 8464
    .kernarg_segment_align: 8
    .kernarg_segment_size: 120
    .language:       OpenCL C
    .language_version:
      - 2
      - 0
    .max_flat_workgroup_size: 256
    .name:           _ZN7rocprim17ROCPRIM_400000_NS6detail17trampoline_kernelINS0_14default_configENS1_25partition_config_selectorILNS1_17partition_subalgoE5ElNS0_10empty_typeEbEEZZNS1_14partition_implILS5_5ELb0ES3_mN6hipcub16HIPCUB_304000_NS21CountingInputIteratorIllEEPS6_NSA_22TransformInputIteratorIbN2at6native12_GLOBAL__N_19NonZeroOpIiEEPKilEENS0_5tupleIJPlS6_EEENSN_IJSD_SD_EEES6_PiJS6_EEE10hipError_tPvRmT3_T4_T5_T6_T7_T9_mT8_P12ihipStream_tbDpT10_ENKUlT_T0_E_clISt17integral_constantIbLb0EES1B_EEDaS16_S17_EUlS16_E_NS1_11comp_targetILNS1_3genE10ELNS1_11target_archE1200ELNS1_3gpuE4ELNS1_3repE0EEENS1_30default_config_static_selectorELNS0_4arch9wavefront6targetE0EEEvT1_
    .private_segment_fixed_size: 0
    .sgpr_count:     22
    .sgpr_spill_count: 0
    .symbol:         _ZN7rocprim17ROCPRIM_400000_NS6detail17trampoline_kernelINS0_14default_configENS1_25partition_config_selectorILNS1_17partition_subalgoE5ElNS0_10empty_typeEbEEZZNS1_14partition_implILS5_5ELb0ES3_mN6hipcub16HIPCUB_304000_NS21CountingInputIteratorIllEEPS6_NSA_22TransformInputIteratorIbN2at6native12_GLOBAL__N_19NonZeroOpIiEEPKilEENS0_5tupleIJPlS6_EEENSN_IJSD_SD_EEES6_PiJS6_EEE10hipError_tPvRmT3_T4_T5_T6_T7_T9_mT8_P12ihipStream_tbDpT10_ENKUlT_T0_E_clISt17integral_constantIbLb0EES1B_EEDaS16_S17_EUlS16_E_NS1_11comp_targetILNS1_3genE10ELNS1_11target_archE1200ELNS1_3gpuE4ELNS1_3repE0EEENS1_30default_config_static_selectorELNS0_4arch9wavefront6targetE0EEEvT1_.kd
    .uniform_work_group_size: 1
    .uses_dynamic_stack: false
    .vgpr_count:     46
    .vgpr_spill_count: 0
    .wavefront_size: 32
    .workgroup_processor_mode: 1
  - .args:
      - .offset:         0
        .size:           120
        .value_kind:     by_value
    .group_segment_fixed_size: 0
    .kernarg_segment_align: 8
    .kernarg_segment_size: 120
    .language:       OpenCL C
    .language_version:
      - 2
      - 0
    .max_flat_workgroup_size: 128
    .name:           _ZN7rocprim17ROCPRIM_400000_NS6detail17trampoline_kernelINS0_14default_configENS1_25partition_config_selectorILNS1_17partition_subalgoE5ElNS0_10empty_typeEbEEZZNS1_14partition_implILS5_5ELb0ES3_mN6hipcub16HIPCUB_304000_NS21CountingInputIteratorIllEEPS6_NSA_22TransformInputIteratorIbN2at6native12_GLOBAL__N_19NonZeroOpIiEEPKilEENS0_5tupleIJPlS6_EEENSN_IJSD_SD_EEES6_PiJS6_EEE10hipError_tPvRmT3_T4_T5_T6_T7_T9_mT8_P12ihipStream_tbDpT10_ENKUlT_T0_E_clISt17integral_constantIbLb0EES1B_EEDaS16_S17_EUlS16_E_NS1_11comp_targetILNS1_3genE9ELNS1_11target_archE1100ELNS1_3gpuE3ELNS1_3repE0EEENS1_30default_config_static_selectorELNS0_4arch9wavefront6targetE0EEEvT1_
    .private_segment_fixed_size: 0
    .sgpr_count:     0
    .sgpr_spill_count: 0
    .symbol:         _ZN7rocprim17ROCPRIM_400000_NS6detail17trampoline_kernelINS0_14default_configENS1_25partition_config_selectorILNS1_17partition_subalgoE5ElNS0_10empty_typeEbEEZZNS1_14partition_implILS5_5ELb0ES3_mN6hipcub16HIPCUB_304000_NS21CountingInputIteratorIllEEPS6_NSA_22TransformInputIteratorIbN2at6native12_GLOBAL__N_19NonZeroOpIiEEPKilEENS0_5tupleIJPlS6_EEENSN_IJSD_SD_EEES6_PiJS6_EEE10hipError_tPvRmT3_T4_T5_T6_T7_T9_mT8_P12ihipStream_tbDpT10_ENKUlT_T0_E_clISt17integral_constantIbLb0EES1B_EEDaS16_S17_EUlS16_E_NS1_11comp_targetILNS1_3genE9ELNS1_11target_archE1100ELNS1_3gpuE3ELNS1_3repE0EEENS1_30default_config_static_selectorELNS0_4arch9wavefront6targetE0EEEvT1_.kd
    .uniform_work_group_size: 1
    .uses_dynamic_stack: false
    .vgpr_count:     0
    .vgpr_spill_count: 0
    .wavefront_size: 32
    .workgroup_processor_mode: 1
  - .args:
      - .offset:         0
        .size:           120
        .value_kind:     by_value
    .group_segment_fixed_size: 0
    .kernarg_segment_align: 8
    .kernarg_segment_size: 120
    .language:       OpenCL C
    .language_version:
      - 2
      - 0
    .max_flat_workgroup_size: 512
    .name:           _ZN7rocprim17ROCPRIM_400000_NS6detail17trampoline_kernelINS0_14default_configENS1_25partition_config_selectorILNS1_17partition_subalgoE5ElNS0_10empty_typeEbEEZZNS1_14partition_implILS5_5ELb0ES3_mN6hipcub16HIPCUB_304000_NS21CountingInputIteratorIllEEPS6_NSA_22TransformInputIteratorIbN2at6native12_GLOBAL__N_19NonZeroOpIiEEPKilEENS0_5tupleIJPlS6_EEENSN_IJSD_SD_EEES6_PiJS6_EEE10hipError_tPvRmT3_T4_T5_T6_T7_T9_mT8_P12ihipStream_tbDpT10_ENKUlT_T0_E_clISt17integral_constantIbLb0EES1B_EEDaS16_S17_EUlS16_E_NS1_11comp_targetILNS1_3genE8ELNS1_11target_archE1030ELNS1_3gpuE2ELNS1_3repE0EEENS1_30default_config_static_selectorELNS0_4arch9wavefront6targetE0EEEvT1_
    .private_segment_fixed_size: 0
    .sgpr_count:     0
    .sgpr_spill_count: 0
    .symbol:         _ZN7rocprim17ROCPRIM_400000_NS6detail17trampoline_kernelINS0_14default_configENS1_25partition_config_selectorILNS1_17partition_subalgoE5ElNS0_10empty_typeEbEEZZNS1_14partition_implILS5_5ELb0ES3_mN6hipcub16HIPCUB_304000_NS21CountingInputIteratorIllEEPS6_NSA_22TransformInputIteratorIbN2at6native12_GLOBAL__N_19NonZeroOpIiEEPKilEENS0_5tupleIJPlS6_EEENSN_IJSD_SD_EEES6_PiJS6_EEE10hipError_tPvRmT3_T4_T5_T6_T7_T9_mT8_P12ihipStream_tbDpT10_ENKUlT_T0_E_clISt17integral_constantIbLb0EES1B_EEDaS16_S17_EUlS16_E_NS1_11comp_targetILNS1_3genE8ELNS1_11target_archE1030ELNS1_3gpuE2ELNS1_3repE0EEENS1_30default_config_static_selectorELNS0_4arch9wavefront6targetE0EEEvT1_.kd
    .uniform_work_group_size: 1
    .uses_dynamic_stack: false
    .vgpr_count:     0
    .vgpr_spill_count: 0
    .wavefront_size: 32
    .workgroup_processor_mode: 1
  - .args:
      - .offset:         0
        .size:           136
        .value_kind:     by_value
    .group_segment_fixed_size: 0
    .kernarg_segment_align: 8
    .kernarg_segment_size: 136
    .language:       OpenCL C
    .language_version:
      - 2
      - 0
    .max_flat_workgroup_size: 128
    .name:           _ZN7rocprim17ROCPRIM_400000_NS6detail17trampoline_kernelINS0_14default_configENS1_25partition_config_selectorILNS1_17partition_subalgoE5ElNS0_10empty_typeEbEEZZNS1_14partition_implILS5_5ELb0ES3_mN6hipcub16HIPCUB_304000_NS21CountingInputIteratorIllEEPS6_NSA_22TransformInputIteratorIbN2at6native12_GLOBAL__N_19NonZeroOpIiEEPKilEENS0_5tupleIJPlS6_EEENSN_IJSD_SD_EEES6_PiJS6_EEE10hipError_tPvRmT3_T4_T5_T6_T7_T9_mT8_P12ihipStream_tbDpT10_ENKUlT_T0_E_clISt17integral_constantIbLb1EES1B_EEDaS16_S17_EUlS16_E_NS1_11comp_targetILNS1_3genE0ELNS1_11target_archE4294967295ELNS1_3gpuE0ELNS1_3repE0EEENS1_30default_config_static_selectorELNS0_4arch9wavefront6targetE0EEEvT1_
    .private_segment_fixed_size: 0
    .sgpr_count:     0
    .sgpr_spill_count: 0
    .symbol:         _ZN7rocprim17ROCPRIM_400000_NS6detail17trampoline_kernelINS0_14default_configENS1_25partition_config_selectorILNS1_17partition_subalgoE5ElNS0_10empty_typeEbEEZZNS1_14partition_implILS5_5ELb0ES3_mN6hipcub16HIPCUB_304000_NS21CountingInputIteratorIllEEPS6_NSA_22TransformInputIteratorIbN2at6native12_GLOBAL__N_19NonZeroOpIiEEPKilEENS0_5tupleIJPlS6_EEENSN_IJSD_SD_EEES6_PiJS6_EEE10hipError_tPvRmT3_T4_T5_T6_T7_T9_mT8_P12ihipStream_tbDpT10_ENKUlT_T0_E_clISt17integral_constantIbLb1EES1B_EEDaS16_S17_EUlS16_E_NS1_11comp_targetILNS1_3genE0ELNS1_11target_archE4294967295ELNS1_3gpuE0ELNS1_3repE0EEENS1_30default_config_static_selectorELNS0_4arch9wavefront6targetE0EEEvT1_.kd
    .uniform_work_group_size: 1
    .uses_dynamic_stack: false
    .vgpr_count:     0
    .vgpr_spill_count: 0
    .wavefront_size: 32
    .workgroup_processor_mode: 1
  - .args:
      - .offset:         0
        .size:           136
        .value_kind:     by_value
    .group_segment_fixed_size: 0
    .kernarg_segment_align: 8
    .kernarg_segment_size: 136
    .language:       OpenCL C
    .language_version:
      - 2
      - 0
    .max_flat_workgroup_size: 512
    .name:           _ZN7rocprim17ROCPRIM_400000_NS6detail17trampoline_kernelINS0_14default_configENS1_25partition_config_selectorILNS1_17partition_subalgoE5ElNS0_10empty_typeEbEEZZNS1_14partition_implILS5_5ELb0ES3_mN6hipcub16HIPCUB_304000_NS21CountingInputIteratorIllEEPS6_NSA_22TransformInputIteratorIbN2at6native12_GLOBAL__N_19NonZeroOpIiEEPKilEENS0_5tupleIJPlS6_EEENSN_IJSD_SD_EEES6_PiJS6_EEE10hipError_tPvRmT3_T4_T5_T6_T7_T9_mT8_P12ihipStream_tbDpT10_ENKUlT_T0_E_clISt17integral_constantIbLb1EES1B_EEDaS16_S17_EUlS16_E_NS1_11comp_targetILNS1_3genE5ELNS1_11target_archE942ELNS1_3gpuE9ELNS1_3repE0EEENS1_30default_config_static_selectorELNS0_4arch9wavefront6targetE0EEEvT1_
    .private_segment_fixed_size: 0
    .sgpr_count:     0
    .sgpr_spill_count: 0
    .symbol:         _ZN7rocprim17ROCPRIM_400000_NS6detail17trampoline_kernelINS0_14default_configENS1_25partition_config_selectorILNS1_17partition_subalgoE5ElNS0_10empty_typeEbEEZZNS1_14partition_implILS5_5ELb0ES3_mN6hipcub16HIPCUB_304000_NS21CountingInputIteratorIllEEPS6_NSA_22TransformInputIteratorIbN2at6native12_GLOBAL__N_19NonZeroOpIiEEPKilEENS0_5tupleIJPlS6_EEENSN_IJSD_SD_EEES6_PiJS6_EEE10hipError_tPvRmT3_T4_T5_T6_T7_T9_mT8_P12ihipStream_tbDpT10_ENKUlT_T0_E_clISt17integral_constantIbLb1EES1B_EEDaS16_S17_EUlS16_E_NS1_11comp_targetILNS1_3genE5ELNS1_11target_archE942ELNS1_3gpuE9ELNS1_3repE0EEENS1_30default_config_static_selectorELNS0_4arch9wavefront6targetE0EEEvT1_.kd
    .uniform_work_group_size: 1
    .uses_dynamic_stack: false
    .vgpr_count:     0
    .vgpr_spill_count: 0
    .wavefront_size: 32
    .workgroup_processor_mode: 1
  - .args:
      - .offset:         0
        .size:           136
        .value_kind:     by_value
    .group_segment_fixed_size: 0
    .kernarg_segment_align: 8
    .kernarg_segment_size: 136
    .language:       OpenCL C
    .language_version:
      - 2
      - 0
    .max_flat_workgroup_size: 192
    .name:           _ZN7rocprim17ROCPRIM_400000_NS6detail17trampoline_kernelINS0_14default_configENS1_25partition_config_selectorILNS1_17partition_subalgoE5ElNS0_10empty_typeEbEEZZNS1_14partition_implILS5_5ELb0ES3_mN6hipcub16HIPCUB_304000_NS21CountingInputIteratorIllEEPS6_NSA_22TransformInputIteratorIbN2at6native12_GLOBAL__N_19NonZeroOpIiEEPKilEENS0_5tupleIJPlS6_EEENSN_IJSD_SD_EEES6_PiJS6_EEE10hipError_tPvRmT3_T4_T5_T6_T7_T9_mT8_P12ihipStream_tbDpT10_ENKUlT_T0_E_clISt17integral_constantIbLb1EES1B_EEDaS16_S17_EUlS16_E_NS1_11comp_targetILNS1_3genE4ELNS1_11target_archE910ELNS1_3gpuE8ELNS1_3repE0EEENS1_30default_config_static_selectorELNS0_4arch9wavefront6targetE0EEEvT1_
    .private_segment_fixed_size: 0
    .sgpr_count:     0
    .sgpr_spill_count: 0
    .symbol:         _ZN7rocprim17ROCPRIM_400000_NS6detail17trampoline_kernelINS0_14default_configENS1_25partition_config_selectorILNS1_17partition_subalgoE5ElNS0_10empty_typeEbEEZZNS1_14partition_implILS5_5ELb0ES3_mN6hipcub16HIPCUB_304000_NS21CountingInputIteratorIllEEPS6_NSA_22TransformInputIteratorIbN2at6native12_GLOBAL__N_19NonZeroOpIiEEPKilEENS0_5tupleIJPlS6_EEENSN_IJSD_SD_EEES6_PiJS6_EEE10hipError_tPvRmT3_T4_T5_T6_T7_T9_mT8_P12ihipStream_tbDpT10_ENKUlT_T0_E_clISt17integral_constantIbLb1EES1B_EEDaS16_S17_EUlS16_E_NS1_11comp_targetILNS1_3genE4ELNS1_11target_archE910ELNS1_3gpuE8ELNS1_3repE0EEENS1_30default_config_static_selectorELNS0_4arch9wavefront6targetE0EEEvT1_.kd
    .uniform_work_group_size: 1
    .uses_dynamic_stack: false
    .vgpr_count:     0
    .vgpr_spill_count: 0
    .wavefront_size: 32
    .workgroup_processor_mode: 1
  - .args:
      - .offset:         0
        .size:           136
        .value_kind:     by_value
    .group_segment_fixed_size: 0
    .kernarg_segment_align: 8
    .kernarg_segment_size: 136
    .language:       OpenCL C
    .language_version:
      - 2
      - 0
    .max_flat_workgroup_size: 128
    .name:           _ZN7rocprim17ROCPRIM_400000_NS6detail17trampoline_kernelINS0_14default_configENS1_25partition_config_selectorILNS1_17partition_subalgoE5ElNS0_10empty_typeEbEEZZNS1_14partition_implILS5_5ELb0ES3_mN6hipcub16HIPCUB_304000_NS21CountingInputIteratorIllEEPS6_NSA_22TransformInputIteratorIbN2at6native12_GLOBAL__N_19NonZeroOpIiEEPKilEENS0_5tupleIJPlS6_EEENSN_IJSD_SD_EEES6_PiJS6_EEE10hipError_tPvRmT3_T4_T5_T6_T7_T9_mT8_P12ihipStream_tbDpT10_ENKUlT_T0_E_clISt17integral_constantIbLb1EES1B_EEDaS16_S17_EUlS16_E_NS1_11comp_targetILNS1_3genE3ELNS1_11target_archE908ELNS1_3gpuE7ELNS1_3repE0EEENS1_30default_config_static_selectorELNS0_4arch9wavefront6targetE0EEEvT1_
    .private_segment_fixed_size: 0
    .sgpr_count:     0
    .sgpr_spill_count: 0
    .symbol:         _ZN7rocprim17ROCPRIM_400000_NS6detail17trampoline_kernelINS0_14default_configENS1_25partition_config_selectorILNS1_17partition_subalgoE5ElNS0_10empty_typeEbEEZZNS1_14partition_implILS5_5ELb0ES3_mN6hipcub16HIPCUB_304000_NS21CountingInputIteratorIllEEPS6_NSA_22TransformInputIteratorIbN2at6native12_GLOBAL__N_19NonZeroOpIiEEPKilEENS0_5tupleIJPlS6_EEENSN_IJSD_SD_EEES6_PiJS6_EEE10hipError_tPvRmT3_T4_T5_T6_T7_T9_mT8_P12ihipStream_tbDpT10_ENKUlT_T0_E_clISt17integral_constantIbLb1EES1B_EEDaS16_S17_EUlS16_E_NS1_11comp_targetILNS1_3genE3ELNS1_11target_archE908ELNS1_3gpuE7ELNS1_3repE0EEENS1_30default_config_static_selectorELNS0_4arch9wavefront6targetE0EEEvT1_.kd
    .uniform_work_group_size: 1
    .uses_dynamic_stack: false
    .vgpr_count:     0
    .vgpr_spill_count: 0
    .wavefront_size: 32
    .workgroup_processor_mode: 1
  - .args:
      - .offset:         0
        .size:           136
        .value_kind:     by_value
    .group_segment_fixed_size: 0
    .kernarg_segment_align: 8
    .kernarg_segment_size: 136
    .language:       OpenCL C
    .language_version:
      - 2
      - 0
    .max_flat_workgroup_size: 256
    .name:           _ZN7rocprim17ROCPRIM_400000_NS6detail17trampoline_kernelINS0_14default_configENS1_25partition_config_selectorILNS1_17partition_subalgoE5ElNS0_10empty_typeEbEEZZNS1_14partition_implILS5_5ELb0ES3_mN6hipcub16HIPCUB_304000_NS21CountingInputIteratorIllEEPS6_NSA_22TransformInputIteratorIbN2at6native12_GLOBAL__N_19NonZeroOpIiEEPKilEENS0_5tupleIJPlS6_EEENSN_IJSD_SD_EEES6_PiJS6_EEE10hipError_tPvRmT3_T4_T5_T6_T7_T9_mT8_P12ihipStream_tbDpT10_ENKUlT_T0_E_clISt17integral_constantIbLb1EES1B_EEDaS16_S17_EUlS16_E_NS1_11comp_targetILNS1_3genE2ELNS1_11target_archE906ELNS1_3gpuE6ELNS1_3repE0EEENS1_30default_config_static_selectorELNS0_4arch9wavefront6targetE0EEEvT1_
    .private_segment_fixed_size: 0
    .sgpr_count:     0
    .sgpr_spill_count: 0
    .symbol:         _ZN7rocprim17ROCPRIM_400000_NS6detail17trampoline_kernelINS0_14default_configENS1_25partition_config_selectorILNS1_17partition_subalgoE5ElNS0_10empty_typeEbEEZZNS1_14partition_implILS5_5ELb0ES3_mN6hipcub16HIPCUB_304000_NS21CountingInputIteratorIllEEPS6_NSA_22TransformInputIteratorIbN2at6native12_GLOBAL__N_19NonZeroOpIiEEPKilEENS0_5tupleIJPlS6_EEENSN_IJSD_SD_EEES6_PiJS6_EEE10hipError_tPvRmT3_T4_T5_T6_T7_T9_mT8_P12ihipStream_tbDpT10_ENKUlT_T0_E_clISt17integral_constantIbLb1EES1B_EEDaS16_S17_EUlS16_E_NS1_11comp_targetILNS1_3genE2ELNS1_11target_archE906ELNS1_3gpuE6ELNS1_3repE0EEENS1_30default_config_static_selectorELNS0_4arch9wavefront6targetE0EEEvT1_.kd
    .uniform_work_group_size: 1
    .uses_dynamic_stack: false
    .vgpr_count:     0
    .vgpr_spill_count: 0
    .wavefront_size: 32
    .workgroup_processor_mode: 1
  - .args:
      - .offset:         0
        .size:           136
        .value_kind:     by_value
    .group_segment_fixed_size: 0
    .kernarg_segment_align: 8
    .kernarg_segment_size: 136
    .language:       OpenCL C
    .language_version:
      - 2
      - 0
    .max_flat_workgroup_size: 256
    .name:           _ZN7rocprim17ROCPRIM_400000_NS6detail17trampoline_kernelINS0_14default_configENS1_25partition_config_selectorILNS1_17partition_subalgoE5ElNS0_10empty_typeEbEEZZNS1_14partition_implILS5_5ELb0ES3_mN6hipcub16HIPCUB_304000_NS21CountingInputIteratorIllEEPS6_NSA_22TransformInputIteratorIbN2at6native12_GLOBAL__N_19NonZeroOpIiEEPKilEENS0_5tupleIJPlS6_EEENSN_IJSD_SD_EEES6_PiJS6_EEE10hipError_tPvRmT3_T4_T5_T6_T7_T9_mT8_P12ihipStream_tbDpT10_ENKUlT_T0_E_clISt17integral_constantIbLb1EES1B_EEDaS16_S17_EUlS16_E_NS1_11comp_targetILNS1_3genE10ELNS1_11target_archE1200ELNS1_3gpuE4ELNS1_3repE0EEENS1_30default_config_static_selectorELNS0_4arch9wavefront6targetE0EEEvT1_
    .private_segment_fixed_size: 0
    .sgpr_count:     0
    .sgpr_spill_count: 0
    .symbol:         _ZN7rocprim17ROCPRIM_400000_NS6detail17trampoline_kernelINS0_14default_configENS1_25partition_config_selectorILNS1_17partition_subalgoE5ElNS0_10empty_typeEbEEZZNS1_14partition_implILS5_5ELb0ES3_mN6hipcub16HIPCUB_304000_NS21CountingInputIteratorIllEEPS6_NSA_22TransformInputIteratorIbN2at6native12_GLOBAL__N_19NonZeroOpIiEEPKilEENS0_5tupleIJPlS6_EEENSN_IJSD_SD_EEES6_PiJS6_EEE10hipError_tPvRmT3_T4_T5_T6_T7_T9_mT8_P12ihipStream_tbDpT10_ENKUlT_T0_E_clISt17integral_constantIbLb1EES1B_EEDaS16_S17_EUlS16_E_NS1_11comp_targetILNS1_3genE10ELNS1_11target_archE1200ELNS1_3gpuE4ELNS1_3repE0EEENS1_30default_config_static_selectorELNS0_4arch9wavefront6targetE0EEEvT1_.kd
    .uniform_work_group_size: 1
    .uses_dynamic_stack: false
    .vgpr_count:     0
    .vgpr_spill_count: 0
    .wavefront_size: 32
    .workgroup_processor_mode: 1
  - .args:
      - .offset:         0
        .size:           136
        .value_kind:     by_value
    .group_segment_fixed_size: 0
    .kernarg_segment_align: 8
    .kernarg_segment_size: 136
    .language:       OpenCL C
    .language_version:
      - 2
      - 0
    .max_flat_workgroup_size: 128
    .name:           _ZN7rocprim17ROCPRIM_400000_NS6detail17trampoline_kernelINS0_14default_configENS1_25partition_config_selectorILNS1_17partition_subalgoE5ElNS0_10empty_typeEbEEZZNS1_14partition_implILS5_5ELb0ES3_mN6hipcub16HIPCUB_304000_NS21CountingInputIteratorIllEEPS6_NSA_22TransformInputIteratorIbN2at6native12_GLOBAL__N_19NonZeroOpIiEEPKilEENS0_5tupleIJPlS6_EEENSN_IJSD_SD_EEES6_PiJS6_EEE10hipError_tPvRmT3_T4_T5_T6_T7_T9_mT8_P12ihipStream_tbDpT10_ENKUlT_T0_E_clISt17integral_constantIbLb1EES1B_EEDaS16_S17_EUlS16_E_NS1_11comp_targetILNS1_3genE9ELNS1_11target_archE1100ELNS1_3gpuE3ELNS1_3repE0EEENS1_30default_config_static_selectorELNS0_4arch9wavefront6targetE0EEEvT1_
    .private_segment_fixed_size: 0
    .sgpr_count:     0
    .sgpr_spill_count: 0
    .symbol:         _ZN7rocprim17ROCPRIM_400000_NS6detail17trampoline_kernelINS0_14default_configENS1_25partition_config_selectorILNS1_17partition_subalgoE5ElNS0_10empty_typeEbEEZZNS1_14partition_implILS5_5ELb0ES3_mN6hipcub16HIPCUB_304000_NS21CountingInputIteratorIllEEPS6_NSA_22TransformInputIteratorIbN2at6native12_GLOBAL__N_19NonZeroOpIiEEPKilEENS0_5tupleIJPlS6_EEENSN_IJSD_SD_EEES6_PiJS6_EEE10hipError_tPvRmT3_T4_T5_T6_T7_T9_mT8_P12ihipStream_tbDpT10_ENKUlT_T0_E_clISt17integral_constantIbLb1EES1B_EEDaS16_S17_EUlS16_E_NS1_11comp_targetILNS1_3genE9ELNS1_11target_archE1100ELNS1_3gpuE3ELNS1_3repE0EEENS1_30default_config_static_selectorELNS0_4arch9wavefront6targetE0EEEvT1_.kd
    .uniform_work_group_size: 1
    .uses_dynamic_stack: false
    .vgpr_count:     0
    .vgpr_spill_count: 0
    .wavefront_size: 32
    .workgroup_processor_mode: 1
  - .args:
      - .offset:         0
        .size:           136
        .value_kind:     by_value
    .group_segment_fixed_size: 0
    .kernarg_segment_align: 8
    .kernarg_segment_size: 136
    .language:       OpenCL C
    .language_version:
      - 2
      - 0
    .max_flat_workgroup_size: 512
    .name:           _ZN7rocprim17ROCPRIM_400000_NS6detail17trampoline_kernelINS0_14default_configENS1_25partition_config_selectorILNS1_17partition_subalgoE5ElNS0_10empty_typeEbEEZZNS1_14partition_implILS5_5ELb0ES3_mN6hipcub16HIPCUB_304000_NS21CountingInputIteratorIllEEPS6_NSA_22TransformInputIteratorIbN2at6native12_GLOBAL__N_19NonZeroOpIiEEPKilEENS0_5tupleIJPlS6_EEENSN_IJSD_SD_EEES6_PiJS6_EEE10hipError_tPvRmT3_T4_T5_T6_T7_T9_mT8_P12ihipStream_tbDpT10_ENKUlT_T0_E_clISt17integral_constantIbLb1EES1B_EEDaS16_S17_EUlS16_E_NS1_11comp_targetILNS1_3genE8ELNS1_11target_archE1030ELNS1_3gpuE2ELNS1_3repE0EEENS1_30default_config_static_selectorELNS0_4arch9wavefront6targetE0EEEvT1_
    .private_segment_fixed_size: 0
    .sgpr_count:     0
    .sgpr_spill_count: 0
    .symbol:         _ZN7rocprim17ROCPRIM_400000_NS6detail17trampoline_kernelINS0_14default_configENS1_25partition_config_selectorILNS1_17partition_subalgoE5ElNS0_10empty_typeEbEEZZNS1_14partition_implILS5_5ELb0ES3_mN6hipcub16HIPCUB_304000_NS21CountingInputIteratorIllEEPS6_NSA_22TransformInputIteratorIbN2at6native12_GLOBAL__N_19NonZeroOpIiEEPKilEENS0_5tupleIJPlS6_EEENSN_IJSD_SD_EEES6_PiJS6_EEE10hipError_tPvRmT3_T4_T5_T6_T7_T9_mT8_P12ihipStream_tbDpT10_ENKUlT_T0_E_clISt17integral_constantIbLb1EES1B_EEDaS16_S17_EUlS16_E_NS1_11comp_targetILNS1_3genE8ELNS1_11target_archE1030ELNS1_3gpuE2ELNS1_3repE0EEENS1_30default_config_static_selectorELNS0_4arch9wavefront6targetE0EEEvT1_.kd
    .uniform_work_group_size: 1
    .uses_dynamic_stack: false
    .vgpr_count:     0
    .vgpr_spill_count: 0
    .wavefront_size: 32
    .workgroup_processor_mode: 1
  - .args:
      - .offset:         0
        .size:           120
        .value_kind:     by_value
    .group_segment_fixed_size: 0
    .kernarg_segment_align: 8
    .kernarg_segment_size: 120
    .language:       OpenCL C
    .language_version:
      - 2
      - 0
    .max_flat_workgroup_size: 128
    .name:           _ZN7rocprim17ROCPRIM_400000_NS6detail17trampoline_kernelINS0_14default_configENS1_25partition_config_selectorILNS1_17partition_subalgoE5ElNS0_10empty_typeEbEEZZNS1_14partition_implILS5_5ELb0ES3_mN6hipcub16HIPCUB_304000_NS21CountingInputIteratorIllEEPS6_NSA_22TransformInputIteratorIbN2at6native12_GLOBAL__N_19NonZeroOpIiEEPKilEENS0_5tupleIJPlS6_EEENSN_IJSD_SD_EEES6_PiJS6_EEE10hipError_tPvRmT3_T4_T5_T6_T7_T9_mT8_P12ihipStream_tbDpT10_ENKUlT_T0_E_clISt17integral_constantIbLb1EES1A_IbLb0EEEEDaS16_S17_EUlS16_E_NS1_11comp_targetILNS1_3genE0ELNS1_11target_archE4294967295ELNS1_3gpuE0ELNS1_3repE0EEENS1_30default_config_static_selectorELNS0_4arch9wavefront6targetE0EEEvT1_
    .private_segment_fixed_size: 0
    .sgpr_count:     0
    .sgpr_spill_count: 0
    .symbol:         _ZN7rocprim17ROCPRIM_400000_NS6detail17trampoline_kernelINS0_14default_configENS1_25partition_config_selectorILNS1_17partition_subalgoE5ElNS0_10empty_typeEbEEZZNS1_14partition_implILS5_5ELb0ES3_mN6hipcub16HIPCUB_304000_NS21CountingInputIteratorIllEEPS6_NSA_22TransformInputIteratorIbN2at6native12_GLOBAL__N_19NonZeroOpIiEEPKilEENS0_5tupleIJPlS6_EEENSN_IJSD_SD_EEES6_PiJS6_EEE10hipError_tPvRmT3_T4_T5_T6_T7_T9_mT8_P12ihipStream_tbDpT10_ENKUlT_T0_E_clISt17integral_constantIbLb1EES1A_IbLb0EEEEDaS16_S17_EUlS16_E_NS1_11comp_targetILNS1_3genE0ELNS1_11target_archE4294967295ELNS1_3gpuE0ELNS1_3repE0EEENS1_30default_config_static_selectorELNS0_4arch9wavefront6targetE0EEEvT1_.kd
    .uniform_work_group_size: 1
    .uses_dynamic_stack: false
    .vgpr_count:     0
    .vgpr_spill_count: 0
    .wavefront_size: 32
    .workgroup_processor_mode: 1
  - .args:
      - .offset:         0
        .size:           120
        .value_kind:     by_value
    .group_segment_fixed_size: 0
    .kernarg_segment_align: 8
    .kernarg_segment_size: 120
    .language:       OpenCL C
    .language_version:
      - 2
      - 0
    .max_flat_workgroup_size: 512
    .name:           _ZN7rocprim17ROCPRIM_400000_NS6detail17trampoline_kernelINS0_14default_configENS1_25partition_config_selectorILNS1_17partition_subalgoE5ElNS0_10empty_typeEbEEZZNS1_14partition_implILS5_5ELb0ES3_mN6hipcub16HIPCUB_304000_NS21CountingInputIteratorIllEEPS6_NSA_22TransformInputIteratorIbN2at6native12_GLOBAL__N_19NonZeroOpIiEEPKilEENS0_5tupleIJPlS6_EEENSN_IJSD_SD_EEES6_PiJS6_EEE10hipError_tPvRmT3_T4_T5_T6_T7_T9_mT8_P12ihipStream_tbDpT10_ENKUlT_T0_E_clISt17integral_constantIbLb1EES1A_IbLb0EEEEDaS16_S17_EUlS16_E_NS1_11comp_targetILNS1_3genE5ELNS1_11target_archE942ELNS1_3gpuE9ELNS1_3repE0EEENS1_30default_config_static_selectorELNS0_4arch9wavefront6targetE0EEEvT1_
    .private_segment_fixed_size: 0
    .sgpr_count:     0
    .sgpr_spill_count: 0
    .symbol:         _ZN7rocprim17ROCPRIM_400000_NS6detail17trampoline_kernelINS0_14default_configENS1_25partition_config_selectorILNS1_17partition_subalgoE5ElNS0_10empty_typeEbEEZZNS1_14partition_implILS5_5ELb0ES3_mN6hipcub16HIPCUB_304000_NS21CountingInputIteratorIllEEPS6_NSA_22TransformInputIteratorIbN2at6native12_GLOBAL__N_19NonZeroOpIiEEPKilEENS0_5tupleIJPlS6_EEENSN_IJSD_SD_EEES6_PiJS6_EEE10hipError_tPvRmT3_T4_T5_T6_T7_T9_mT8_P12ihipStream_tbDpT10_ENKUlT_T0_E_clISt17integral_constantIbLb1EES1A_IbLb0EEEEDaS16_S17_EUlS16_E_NS1_11comp_targetILNS1_3genE5ELNS1_11target_archE942ELNS1_3gpuE9ELNS1_3repE0EEENS1_30default_config_static_selectorELNS0_4arch9wavefront6targetE0EEEvT1_.kd
    .uniform_work_group_size: 1
    .uses_dynamic_stack: false
    .vgpr_count:     0
    .vgpr_spill_count: 0
    .wavefront_size: 32
    .workgroup_processor_mode: 1
  - .args:
      - .offset:         0
        .size:           120
        .value_kind:     by_value
    .group_segment_fixed_size: 0
    .kernarg_segment_align: 8
    .kernarg_segment_size: 120
    .language:       OpenCL C
    .language_version:
      - 2
      - 0
    .max_flat_workgroup_size: 192
    .name:           _ZN7rocprim17ROCPRIM_400000_NS6detail17trampoline_kernelINS0_14default_configENS1_25partition_config_selectorILNS1_17partition_subalgoE5ElNS0_10empty_typeEbEEZZNS1_14partition_implILS5_5ELb0ES3_mN6hipcub16HIPCUB_304000_NS21CountingInputIteratorIllEEPS6_NSA_22TransformInputIteratorIbN2at6native12_GLOBAL__N_19NonZeroOpIiEEPKilEENS0_5tupleIJPlS6_EEENSN_IJSD_SD_EEES6_PiJS6_EEE10hipError_tPvRmT3_T4_T5_T6_T7_T9_mT8_P12ihipStream_tbDpT10_ENKUlT_T0_E_clISt17integral_constantIbLb1EES1A_IbLb0EEEEDaS16_S17_EUlS16_E_NS1_11comp_targetILNS1_3genE4ELNS1_11target_archE910ELNS1_3gpuE8ELNS1_3repE0EEENS1_30default_config_static_selectorELNS0_4arch9wavefront6targetE0EEEvT1_
    .private_segment_fixed_size: 0
    .sgpr_count:     0
    .sgpr_spill_count: 0
    .symbol:         _ZN7rocprim17ROCPRIM_400000_NS6detail17trampoline_kernelINS0_14default_configENS1_25partition_config_selectorILNS1_17partition_subalgoE5ElNS0_10empty_typeEbEEZZNS1_14partition_implILS5_5ELb0ES3_mN6hipcub16HIPCUB_304000_NS21CountingInputIteratorIllEEPS6_NSA_22TransformInputIteratorIbN2at6native12_GLOBAL__N_19NonZeroOpIiEEPKilEENS0_5tupleIJPlS6_EEENSN_IJSD_SD_EEES6_PiJS6_EEE10hipError_tPvRmT3_T4_T5_T6_T7_T9_mT8_P12ihipStream_tbDpT10_ENKUlT_T0_E_clISt17integral_constantIbLb1EES1A_IbLb0EEEEDaS16_S17_EUlS16_E_NS1_11comp_targetILNS1_3genE4ELNS1_11target_archE910ELNS1_3gpuE8ELNS1_3repE0EEENS1_30default_config_static_selectorELNS0_4arch9wavefront6targetE0EEEvT1_.kd
    .uniform_work_group_size: 1
    .uses_dynamic_stack: false
    .vgpr_count:     0
    .vgpr_spill_count: 0
    .wavefront_size: 32
    .workgroup_processor_mode: 1
  - .args:
      - .offset:         0
        .size:           120
        .value_kind:     by_value
    .group_segment_fixed_size: 0
    .kernarg_segment_align: 8
    .kernarg_segment_size: 120
    .language:       OpenCL C
    .language_version:
      - 2
      - 0
    .max_flat_workgroup_size: 128
    .name:           _ZN7rocprim17ROCPRIM_400000_NS6detail17trampoline_kernelINS0_14default_configENS1_25partition_config_selectorILNS1_17partition_subalgoE5ElNS0_10empty_typeEbEEZZNS1_14partition_implILS5_5ELb0ES3_mN6hipcub16HIPCUB_304000_NS21CountingInputIteratorIllEEPS6_NSA_22TransformInputIteratorIbN2at6native12_GLOBAL__N_19NonZeroOpIiEEPKilEENS0_5tupleIJPlS6_EEENSN_IJSD_SD_EEES6_PiJS6_EEE10hipError_tPvRmT3_T4_T5_T6_T7_T9_mT8_P12ihipStream_tbDpT10_ENKUlT_T0_E_clISt17integral_constantIbLb1EES1A_IbLb0EEEEDaS16_S17_EUlS16_E_NS1_11comp_targetILNS1_3genE3ELNS1_11target_archE908ELNS1_3gpuE7ELNS1_3repE0EEENS1_30default_config_static_selectorELNS0_4arch9wavefront6targetE0EEEvT1_
    .private_segment_fixed_size: 0
    .sgpr_count:     0
    .sgpr_spill_count: 0
    .symbol:         _ZN7rocprim17ROCPRIM_400000_NS6detail17trampoline_kernelINS0_14default_configENS1_25partition_config_selectorILNS1_17partition_subalgoE5ElNS0_10empty_typeEbEEZZNS1_14partition_implILS5_5ELb0ES3_mN6hipcub16HIPCUB_304000_NS21CountingInputIteratorIllEEPS6_NSA_22TransformInputIteratorIbN2at6native12_GLOBAL__N_19NonZeroOpIiEEPKilEENS0_5tupleIJPlS6_EEENSN_IJSD_SD_EEES6_PiJS6_EEE10hipError_tPvRmT3_T4_T5_T6_T7_T9_mT8_P12ihipStream_tbDpT10_ENKUlT_T0_E_clISt17integral_constantIbLb1EES1A_IbLb0EEEEDaS16_S17_EUlS16_E_NS1_11comp_targetILNS1_3genE3ELNS1_11target_archE908ELNS1_3gpuE7ELNS1_3repE0EEENS1_30default_config_static_selectorELNS0_4arch9wavefront6targetE0EEEvT1_.kd
    .uniform_work_group_size: 1
    .uses_dynamic_stack: false
    .vgpr_count:     0
    .vgpr_spill_count: 0
    .wavefront_size: 32
    .workgroup_processor_mode: 1
  - .args:
      - .offset:         0
        .size:           120
        .value_kind:     by_value
    .group_segment_fixed_size: 0
    .kernarg_segment_align: 8
    .kernarg_segment_size: 120
    .language:       OpenCL C
    .language_version:
      - 2
      - 0
    .max_flat_workgroup_size: 256
    .name:           _ZN7rocprim17ROCPRIM_400000_NS6detail17trampoline_kernelINS0_14default_configENS1_25partition_config_selectorILNS1_17partition_subalgoE5ElNS0_10empty_typeEbEEZZNS1_14partition_implILS5_5ELb0ES3_mN6hipcub16HIPCUB_304000_NS21CountingInputIteratorIllEEPS6_NSA_22TransformInputIteratorIbN2at6native12_GLOBAL__N_19NonZeroOpIiEEPKilEENS0_5tupleIJPlS6_EEENSN_IJSD_SD_EEES6_PiJS6_EEE10hipError_tPvRmT3_T4_T5_T6_T7_T9_mT8_P12ihipStream_tbDpT10_ENKUlT_T0_E_clISt17integral_constantIbLb1EES1A_IbLb0EEEEDaS16_S17_EUlS16_E_NS1_11comp_targetILNS1_3genE2ELNS1_11target_archE906ELNS1_3gpuE6ELNS1_3repE0EEENS1_30default_config_static_selectorELNS0_4arch9wavefront6targetE0EEEvT1_
    .private_segment_fixed_size: 0
    .sgpr_count:     0
    .sgpr_spill_count: 0
    .symbol:         _ZN7rocprim17ROCPRIM_400000_NS6detail17trampoline_kernelINS0_14default_configENS1_25partition_config_selectorILNS1_17partition_subalgoE5ElNS0_10empty_typeEbEEZZNS1_14partition_implILS5_5ELb0ES3_mN6hipcub16HIPCUB_304000_NS21CountingInputIteratorIllEEPS6_NSA_22TransformInputIteratorIbN2at6native12_GLOBAL__N_19NonZeroOpIiEEPKilEENS0_5tupleIJPlS6_EEENSN_IJSD_SD_EEES6_PiJS6_EEE10hipError_tPvRmT3_T4_T5_T6_T7_T9_mT8_P12ihipStream_tbDpT10_ENKUlT_T0_E_clISt17integral_constantIbLb1EES1A_IbLb0EEEEDaS16_S17_EUlS16_E_NS1_11comp_targetILNS1_3genE2ELNS1_11target_archE906ELNS1_3gpuE6ELNS1_3repE0EEENS1_30default_config_static_selectorELNS0_4arch9wavefront6targetE0EEEvT1_.kd
    .uniform_work_group_size: 1
    .uses_dynamic_stack: false
    .vgpr_count:     0
    .vgpr_spill_count: 0
    .wavefront_size: 32
    .workgroup_processor_mode: 1
  - .args:
      - .offset:         0
        .size:           120
        .value_kind:     by_value
    .group_segment_fixed_size: 0
    .kernarg_segment_align: 8
    .kernarg_segment_size: 120
    .language:       OpenCL C
    .language_version:
      - 2
      - 0
    .max_flat_workgroup_size: 256
    .name:           _ZN7rocprim17ROCPRIM_400000_NS6detail17trampoline_kernelINS0_14default_configENS1_25partition_config_selectorILNS1_17partition_subalgoE5ElNS0_10empty_typeEbEEZZNS1_14partition_implILS5_5ELb0ES3_mN6hipcub16HIPCUB_304000_NS21CountingInputIteratorIllEEPS6_NSA_22TransformInputIteratorIbN2at6native12_GLOBAL__N_19NonZeroOpIiEEPKilEENS0_5tupleIJPlS6_EEENSN_IJSD_SD_EEES6_PiJS6_EEE10hipError_tPvRmT3_T4_T5_T6_T7_T9_mT8_P12ihipStream_tbDpT10_ENKUlT_T0_E_clISt17integral_constantIbLb1EES1A_IbLb0EEEEDaS16_S17_EUlS16_E_NS1_11comp_targetILNS1_3genE10ELNS1_11target_archE1200ELNS1_3gpuE4ELNS1_3repE0EEENS1_30default_config_static_selectorELNS0_4arch9wavefront6targetE0EEEvT1_
    .private_segment_fixed_size: 0
    .sgpr_count:     0
    .sgpr_spill_count: 0
    .symbol:         _ZN7rocprim17ROCPRIM_400000_NS6detail17trampoline_kernelINS0_14default_configENS1_25partition_config_selectorILNS1_17partition_subalgoE5ElNS0_10empty_typeEbEEZZNS1_14partition_implILS5_5ELb0ES3_mN6hipcub16HIPCUB_304000_NS21CountingInputIteratorIllEEPS6_NSA_22TransformInputIteratorIbN2at6native12_GLOBAL__N_19NonZeroOpIiEEPKilEENS0_5tupleIJPlS6_EEENSN_IJSD_SD_EEES6_PiJS6_EEE10hipError_tPvRmT3_T4_T5_T6_T7_T9_mT8_P12ihipStream_tbDpT10_ENKUlT_T0_E_clISt17integral_constantIbLb1EES1A_IbLb0EEEEDaS16_S17_EUlS16_E_NS1_11comp_targetILNS1_3genE10ELNS1_11target_archE1200ELNS1_3gpuE4ELNS1_3repE0EEENS1_30default_config_static_selectorELNS0_4arch9wavefront6targetE0EEEvT1_.kd
    .uniform_work_group_size: 1
    .uses_dynamic_stack: false
    .vgpr_count:     0
    .vgpr_spill_count: 0
    .wavefront_size: 32
    .workgroup_processor_mode: 1
  - .args:
      - .offset:         0
        .size:           120
        .value_kind:     by_value
    .group_segment_fixed_size: 0
    .kernarg_segment_align: 8
    .kernarg_segment_size: 120
    .language:       OpenCL C
    .language_version:
      - 2
      - 0
    .max_flat_workgroup_size: 128
    .name:           _ZN7rocprim17ROCPRIM_400000_NS6detail17trampoline_kernelINS0_14default_configENS1_25partition_config_selectorILNS1_17partition_subalgoE5ElNS0_10empty_typeEbEEZZNS1_14partition_implILS5_5ELb0ES3_mN6hipcub16HIPCUB_304000_NS21CountingInputIteratorIllEEPS6_NSA_22TransformInputIteratorIbN2at6native12_GLOBAL__N_19NonZeroOpIiEEPKilEENS0_5tupleIJPlS6_EEENSN_IJSD_SD_EEES6_PiJS6_EEE10hipError_tPvRmT3_T4_T5_T6_T7_T9_mT8_P12ihipStream_tbDpT10_ENKUlT_T0_E_clISt17integral_constantIbLb1EES1A_IbLb0EEEEDaS16_S17_EUlS16_E_NS1_11comp_targetILNS1_3genE9ELNS1_11target_archE1100ELNS1_3gpuE3ELNS1_3repE0EEENS1_30default_config_static_selectorELNS0_4arch9wavefront6targetE0EEEvT1_
    .private_segment_fixed_size: 0
    .sgpr_count:     0
    .sgpr_spill_count: 0
    .symbol:         _ZN7rocprim17ROCPRIM_400000_NS6detail17trampoline_kernelINS0_14default_configENS1_25partition_config_selectorILNS1_17partition_subalgoE5ElNS0_10empty_typeEbEEZZNS1_14partition_implILS5_5ELb0ES3_mN6hipcub16HIPCUB_304000_NS21CountingInputIteratorIllEEPS6_NSA_22TransformInputIteratorIbN2at6native12_GLOBAL__N_19NonZeroOpIiEEPKilEENS0_5tupleIJPlS6_EEENSN_IJSD_SD_EEES6_PiJS6_EEE10hipError_tPvRmT3_T4_T5_T6_T7_T9_mT8_P12ihipStream_tbDpT10_ENKUlT_T0_E_clISt17integral_constantIbLb1EES1A_IbLb0EEEEDaS16_S17_EUlS16_E_NS1_11comp_targetILNS1_3genE9ELNS1_11target_archE1100ELNS1_3gpuE3ELNS1_3repE0EEENS1_30default_config_static_selectorELNS0_4arch9wavefront6targetE0EEEvT1_.kd
    .uniform_work_group_size: 1
    .uses_dynamic_stack: false
    .vgpr_count:     0
    .vgpr_spill_count: 0
    .wavefront_size: 32
    .workgroup_processor_mode: 1
  - .args:
      - .offset:         0
        .size:           120
        .value_kind:     by_value
    .group_segment_fixed_size: 0
    .kernarg_segment_align: 8
    .kernarg_segment_size: 120
    .language:       OpenCL C
    .language_version:
      - 2
      - 0
    .max_flat_workgroup_size: 512
    .name:           _ZN7rocprim17ROCPRIM_400000_NS6detail17trampoline_kernelINS0_14default_configENS1_25partition_config_selectorILNS1_17partition_subalgoE5ElNS0_10empty_typeEbEEZZNS1_14partition_implILS5_5ELb0ES3_mN6hipcub16HIPCUB_304000_NS21CountingInputIteratorIllEEPS6_NSA_22TransformInputIteratorIbN2at6native12_GLOBAL__N_19NonZeroOpIiEEPKilEENS0_5tupleIJPlS6_EEENSN_IJSD_SD_EEES6_PiJS6_EEE10hipError_tPvRmT3_T4_T5_T6_T7_T9_mT8_P12ihipStream_tbDpT10_ENKUlT_T0_E_clISt17integral_constantIbLb1EES1A_IbLb0EEEEDaS16_S17_EUlS16_E_NS1_11comp_targetILNS1_3genE8ELNS1_11target_archE1030ELNS1_3gpuE2ELNS1_3repE0EEENS1_30default_config_static_selectorELNS0_4arch9wavefront6targetE0EEEvT1_
    .private_segment_fixed_size: 0
    .sgpr_count:     0
    .sgpr_spill_count: 0
    .symbol:         _ZN7rocprim17ROCPRIM_400000_NS6detail17trampoline_kernelINS0_14default_configENS1_25partition_config_selectorILNS1_17partition_subalgoE5ElNS0_10empty_typeEbEEZZNS1_14partition_implILS5_5ELb0ES3_mN6hipcub16HIPCUB_304000_NS21CountingInputIteratorIllEEPS6_NSA_22TransformInputIteratorIbN2at6native12_GLOBAL__N_19NonZeroOpIiEEPKilEENS0_5tupleIJPlS6_EEENSN_IJSD_SD_EEES6_PiJS6_EEE10hipError_tPvRmT3_T4_T5_T6_T7_T9_mT8_P12ihipStream_tbDpT10_ENKUlT_T0_E_clISt17integral_constantIbLb1EES1A_IbLb0EEEEDaS16_S17_EUlS16_E_NS1_11comp_targetILNS1_3genE8ELNS1_11target_archE1030ELNS1_3gpuE2ELNS1_3repE0EEENS1_30default_config_static_selectorELNS0_4arch9wavefront6targetE0EEEvT1_.kd
    .uniform_work_group_size: 1
    .uses_dynamic_stack: false
    .vgpr_count:     0
    .vgpr_spill_count: 0
    .wavefront_size: 32
    .workgroup_processor_mode: 1
  - .args:
      - .offset:         0
        .size:           136
        .value_kind:     by_value
    .group_segment_fixed_size: 0
    .kernarg_segment_align: 8
    .kernarg_segment_size: 136
    .language:       OpenCL C
    .language_version:
      - 2
      - 0
    .max_flat_workgroup_size: 128
    .name:           _ZN7rocprim17ROCPRIM_400000_NS6detail17trampoline_kernelINS0_14default_configENS1_25partition_config_selectorILNS1_17partition_subalgoE5ElNS0_10empty_typeEbEEZZNS1_14partition_implILS5_5ELb0ES3_mN6hipcub16HIPCUB_304000_NS21CountingInputIteratorIllEEPS6_NSA_22TransformInputIteratorIbN2at6native12_GLOBAL__N_19NonZeroOpIiEEPKilEENS0_5tupleIJPlS6_EEENSN_IJSD_SD_EEES6_PiJS6_EEE10hipError_tPvRmT3_T4_T5_T6_T7_T9_mT8_P12ihipStream_tbDpT10_ENKUlT_T0_E_clISt17integral_constantIbLb0EES1A_IbLb1EEEEDaS16_S17_EUlS16_E_NS1_11comp_targetILNS1_3genE0ELNS1_11target_archE4294967295ELNS1_3gpuE0ELNS1_3repE0EEENS1_30default_config_static_selectorELNS0_4arch9wavefront6targetE0EEEvT1_
    .private_segment_fixed_size: 0
    .sgpr_count:     0
    .sgpr_spill_count: 0
    .symbol:         _ZN7rocprim17ROCPRIM_400000_NS6detail17trampoline_kernelINS0_14default_configENS1_25partition_config_selectorILNS1_17partition_subalgoE5ElNS0_10empty_typeEbEEZZNS1_14partition_implILS5_5ELb0ES3_mN6hipcub16HIPCUB_304000_NS21CountingInputIteratorIllEEPS6_NSA_22TransformInputIteratorIbN2at6native12_GLOBAL__N_19NonZeroOpIiEEPKilEENS0_5tupleIJPlS6_EEENSN_IJSD_SD_EEES6_PiJS6_EEE10hipError_tPvRmT3_T4_T5_T6_T7_T9_mT8_P12ihipStream_tbDpT10_ENKUlT_T0_E_clISt17integral_constantIbLb0EES1A_IbLb1EEEEDaS16_S17_EUlS16_E_NS1_11comp_targetILNS1_3genE0ELNS1_11target_archE4294967295ELNS1_3gpuE0ELNS1_3repE0EEENS1_30default_config_static_selectorELNS0_4arch9wavefront6targetE0EEEvT1_.kd
    .uniform_work_group_size: 1
    .uses_dynamic_stack: false
    .vgpr_count:     0
    .vgpr_spill_count: 0
    .wavefront_size: 32
    .workgroup_processor_mode: 1
  - .args:
      - .offset:         0
        .size:           136
        .value_kind:     by_value
    .group_segment_fixed_size: 0
    .kernarg_segment_align: 8
    .kernarg_segment_size: 136
    .language:       OpenCL C
    .language_version:
      - 2
      - 0
    .max_flat_workgroup_size: 512
    .name:           _ZN7rocprim17ROCPRIM_400000_NS6detail17trampoline_kernelINS0_14default_configENS1_25partition_config_selectorILNS1_17partition_subalgoE5ElNS0_10empty_typeEbEEZZNS1_14partition_implILS5_5ELb0ES3_mN6hipcub16HIPCUB_304000_NS21CountingInputIteratorIllEEPS6_NSA_22TransformInputIteratorIbN2at6native12_GLOBAL__N_19NonZeroOpIiEEPKilEENS0_5tupleIJPlS6_EEENSN_IJSD_SD_EEES6_PiJS6_EEE10hipError_tPvRmT3_T4_T5_T6_T7_T9_mT8_P12ihipStream_tbDpT10_ENKUlT_T0_E_clISt17integral_constantIbLb0EES1A_IbLb1EEEEDaS16_S17_EUlS16_E_NS1_11comp_targetILNS1_3genE5ELNS1_11target_archE942ELNS1_3gpuE9ELNS1_3repE0EEENS1_30default_config_static_selectorELNS0_4arch9wavefront6targetE0EEEvT1_
    .private_segment_fixed_size: 0
    .sgpr_count:     0
    .sgpr_spill_count: 0
    .symbol:         _ZN7rocprim17ROCPRIM_400000_NS6detail17trampoline_kernelINS0_14default_configENS1_25partition_config_selectorILNS1_17partition_subalgoE5ElNS0_10empty_typeEbEEZZNS1_14partition_implILS5_5ELb0ES3_mN6hipcub16HIPCUB_304000_NS21CountingInputIteratorIllEEPS6_NSA_22TransformInputIteratorIbN2at6native12_GLOBAL__N_19NonZeroOpIiEEPKilEENS0_5tupleIJPlS6_EEENSN_IJSD_SD_EEES6_PiJS6_EEE10hipError_tPvRmT3_T4_T5_T6_T7_T9_mT8_P12ihipStream_tbDpT10_ENKUlT_T0_E_clISt17integral_constantIbLb0EES1A_IbLb1EEEEDaS16_S17_EUlS16_E_NS1_11comp_targetILNS1_3genE5ELNS1_11target_archE942ELNS1_3gpuE9ELNS1_3repE0EEENS1_30default_config_static_selectorELNS0_4arch9wavefront6targetE0EEEvT1_.kd
    .uniform_work_group_size: 1
    .uses_dynamic_stack: false
    .vgpr_count:     0
    .vgpr_spill_count: 0
    .wavefront_size: 32
    .workgroup_processor_mode: 1
  - .args:
      - .offset:         0
        .size:           136
        .value_kind:     by_value
    .group_segment_fixed_size: 0
    .kernarg_segment_align: 8
    .kernarg_segment_size: 136
    .language:       OpenCL C
    .language_version:
      - 2
      - 0
    .max_flat_workgroup_size: 192
    .name:           _ZN7rocprim17ROCPRIM_400000_NS6detail17trampoline_kernelINS0_14default_configENS1_25partition_config_selectorILNS1_17partition_subalgoE5ElNS0_10empty_typeEbEEZZNS1_14partition_implILS5_5ELb0ES3_mN6hipcub16HIPCUB_304000_NS21CountingInputIteratorIllEEPS6_NSA_22TransformInputIteratorIbN2at6native12_GLOBAL__N_19NonZeroOpIiEEPKilEENS0_5tupleIJPlS6_EEENSN_IJSD_SD_EEES6_PiJS6_EEE10hipError_tPvRmT3_T4_T5_T6_T7_T9_mT8_P12ihipStream_tbDpT10_ENKUlT_T0_E_clISt17integral_constantIbLb0EES1A_IbLb1EEEEDaS16_S17_EUlS16_E_NS1_11comp_targetILNS1_3genE4ELNS1_11target_archE910ELNS1_3gpuE8ELNS1_3repE0EEENS1_30default_config_static_selectorELNS0_4arch9wavefront6targetE0EEEvT1_
    .private_segment_fixed_size: 0
    .sgpr_count:     0
    .sgpr_spill_count: 0
    .symbol:         _ZN7rocprim17ROCPRIM_400000_NS6detail17trampoline_kernelINS0_14default_configENS1_25partition_config_selectorILNS1_17partition_subalgoE5ElNS0_10empty_typeEbEEZZNS1_14partition_implILS5_5ELb0ES3_mN6hipcub16HIPCUB_304000_NS21CountingInputIteratorIllEEPS6_NSA_22TransformInputIteratorIbN2at6native12_GLOBAL__N_19NonZeroOpIiEEPKilEENS0_5tupleIJPlS6_EEENSN_IJSD_SD_EEES6_PiJS6_EEE10hipError_tPvRmT3_T4_T5_T6_T7_T9_mT8_P12ihipStream_tbDpT10_ENKUlT_T0_E_clISt17integral_constantIbLb0EES1A_IbLb1EEEEDaS16_S17_EUlS16_E_NS1_11comp_targetILNS1_3genE4ELNS1_11target_archE910ELNS1_3gpuE8ELNS1_3repE0EEENS1_30default_config_static_selectorELNS0_4arch9wavefront6targetE0EEEvT1_.kd
    .uniform_work_group_size: 1
    .uses_dynamic_stack: false
    .vgpr_count:     0
    .vgpr_spill_count: 0
    .wavefront_size: 32
    .workgroup_processor_mode: 1
  - .args:
      - .offset:         0
        .size:           136
        .value_kind:     by_value
    .group_segment_fixed_size: 0
    .kernarg_segment_align: 8
    .kernarg_segment_size: 136
    .language:       OpenCL C
    .language_version:
      - 2
      - 0
    .max_flat_workgroup_size: 128
    .name:           _ZN7rocprim17ROCPRIM_400000_NS6detail17trampoline_kernelINS0_14default_configENS1_25partition_config_selectorILNS1_17partition_subalgoE5ElNS0_10empty_typeEbEEZZNS1_14partition_implILS5_5ELb0ES3_mN6hipcub16HIPCUB_304000_NS21CountingInputIteratorIllEEPS6_NSA_22TransformInputIteratorIbN2at6native12_GLOBAL__N_19NonZeroOpIiEEPKilEENS0_5tupleIJPlS6_EEENSN_IJSD_SD_EEES6_PiJS6_EEE10hipError_tPvRmT3_T4_T5_T6_T7_T9_mT8_P12ihipStream_tbDpT10_ENKUlT_T0_E_clISt17integral_constantIbLb0EES1A_IbLb1EEEEDaS16_S17_EUlS16_E_NS1_11comp_targetILNS1_3genE3ELNS1_11target_archE908ELNS1_3gpuE7ELNS1_3repE0EEENS1_30default_config_static_selectorELNS0_4arch9wavefront6targetE0EEEvT1_
    .private_segment_fixed_size: 0
    .sgpr_count:     0
    .sgpr_spill_count: 0
    .symbol:         _ZN7rocprim17ROCPRIM_400000_NS6detail17trampoline_kernelINS0_14default_configENS1_25partition_config_selectorILNS1_17partition_subalgoE5ElNS0_10empty_typeEbEEZZNS1_14partition_implILS5_5ELb0ES3_mN6hipcub16HIPCUB_304000_NS21CountingInputIteratorIllEEPS6_NSA_22TransformInputIteratorIbN2at6native12_GLOBAL__N_19NonZeroOpIiEEPKilEENS0_5tupleIJPlS6_EEENSN_IJSD_SD_EEES6_PiJS6_EEE10hipError_tPvRmT3_T4_T5_T6_T7_T9_mT8_P12ihipStream_tbDpT10_ENKUlT_T0_E_clISt17integral_constantIbLb0EES1A_IbLb1EEEEDaS16_S17_EUlS16_E_NS1_11comp_targetILNS1_3genE3ELNS1_11target_archE908ELNS1_3gpuE7ELNS1_3repE0EEENS1_30default_config_static_selectorELNS0_4arch9wavefront6targetE0EEEvT1_.kd
    .uniform_work_group_size: 1
    .uses_dynamic_stack: false
    .vgpr_count:     0
    .vgpr_spill_count: 0
    .wavefront_size: 32
    .workgroup_processor_mode: 1
  - .args:
      - .offset:         0
        .size:           136
        .value_kind:     by_value
    .group_segment_fixed_size: 0
    .kernarg_segment_align: 8
    .kernarg_segment_size: 136
    .language:       OpenCL C
    .language_version:
      - 2
      - 0
    .max_flat_workgroup_size: 256
    .name:           _ZN7rocprim17ROCPRIM_400000_NS6detail17trampoline_kernelINS0_14default_configENS1_25partition_config_selectorILNS1_17partition_subalgoE5ElNS0_10empty_typeEbEEZZNS1_14partition_implILS5_5ELb0ES3_mN6hipcub16HIPCUB_304000_NS21CountingInputIteratorIllEEPS6_NSA_22TransformInputIteratorIbN2at6native12_GLOBAL__N_19NonZeroOpIiEEPKilEENS0_5tupleIJPlS6_EEENSN_IJSD_SD_EEES6_PiJS6_EEE10hipError_tPvRmT3_T4_T5_T6_T7_T9_mT8_P12ihipStream_tbDpT10_ENKUlT_T0_E_clISt17integral_constantIbLb0EES1A_IbLb1EEEEDaS16_S17_EUlS16_E_NS1_11comp_targetILNS1_3genE2ELNS1_11target_archE906ELNS1_3gpuE6ELNS1_3repE0EEENS1_30default_config_static_selectorELNS0_4arch9wavefront6targetE0EEEvT1_
    .private_segment_fixed_size: 0
    .sgpr_count:     0
    .sgpr_spill_count: 0
    .symbol:         _ZN7rocprim17ROCPRIM_400000_NS6detail17trampoline_kernelINS0_14default_configENS1_25partition_config_selectorILNS1_17partition_subalgoE5ElNS0_10empty_typeEbEEZZNS1_14partition_implILS5_5ELb0ES3_mN6hipcub16HIPCUB_304000_NS21CountingInputIteratorIllEEPS6_NSA_22TransformInputIteratorIbN2at6native12_GLOBAL__N_19NonZeroOpIiEEPKilEENS0_5tupleIJPlS6_EEENSN_IJSD_SD_EEES6_PiJS6_EEE10hipError_tPvRmT3_T4_T5_T6_T7_T9_mT8_P12ihipStream_tbDpT10_ENKUlT_T0_E_clISt17integral_constantIbLb0EES1A_IbLb1EEEEDaS16_S17_EUlS16_E_NS1_11comp_targetILNS1_3genE2ELNS1_11target_archE906ELNS1_3gpuE6ELNS1_3repE0EEENS1_30default_config_static_selectorELNS0_4arch9wavefront6targetE0EEEvT1_.kd
    .uniform_work_group_size: 1
    .uses_dynamic_stack: false
    .vgpr_count:     0
    .vgpr_spill_count: 0
    .wavefront_size: 32
    .workgroup_processor_mode: 1
  - .args:
      - .offset:         0
        .size:           136
        .value_kind:     by_value
    .group_segment_fixed_size: 8464
    .kernarg_segment_align: 8
    .kernarg_segment_size: 136
    .language:       OpenCL C
    .language_version:
      - 2
      - 0
    .max_flat_workgroup_size: 256
    .name:           _ZN7rocprim17ROCPRIM_400000_NS6detail17trampoline_kernelINS0_14default_configENS1_25partition_config_selectorILNS1_17partition_subalgoE5ElNS0_10empty_typeEbEEZZNS1_14partition_implILS5_5ELb0ES3_mN6hipcub16HIPCUB_304000_NS21CountingInputIteratorIllEEPS6_NSA_22TransformInputIteratorIbN2at6native12_GLOBAL__N_19NonZeroOpIiEEPKilEENS0_5tupleIJPlS6_EEENSN_IJSD_SD_EEES6_PiJS6_EEE10hipError_tPvRmT3_T4_T5_T6_T7_T9_mT8_P12ihipStream_tbDpT10_ENKUlT_T0_E_clISt17integral_constantIbLb0EES1A_IbLb1EEEEDaS16_S17_EUlS16_E_NS1_11comp_targetILNS1_3genE10ELNS1_11target_archE1200ELNS1_3gpuE4ELNS1_3repE0EEENS1_30default_config_static_selectorELNS0_4arch9wavefront6targetE0EEEvT1_
    .private_segment_fixed_size: 0
    .sgpr_count:     26
    .sgpr_spill_count: 0
    .symbol:         _ZN7rocprim17ROCPRIM_400000_NS6detail17trampoline_kernelINS0_14default_configENS1_25partition_config_selectorILNS1_17partition_subalgoE5ElNS0_10empty_typeEbEEZZNS1_14partition_implILS5_5ELb0ES3_mN6hipcub16HIPCUB_304000_NS21CountingInputIteratorIllEEPS6_NSA_22TransformInputIteratorIbN2at6native12_GLOBAL__N_19NonZeroOpIiEEPKilEENS0_5tupleIJPlS6_EEENSN_IJSD_SD_EEES6_PiJS6_EEE10hipError_tPvRmT3_T4_T5_T6_T7_T9_mT8_P12ihipStream_tbDpT10_ENKUlT_T0_E_clISt17integral_constantIbLb0EES1A_IbLb1EEEEDaS16_S17_EUlS16_E_NS1_11comp_targetILNS1_3genE10ELNS1_11target_archE1200ELNS1_3gpuE4ELNS1_3repE0EEENS1_30default_config_static_selectorELNS0_4arch9wavefront6targetE0EEEvT1_.kd
    .uniform_work_group_size: 1
    .uses_dynamic_stack: false
    .vgpr_count:     48
    .vgpr_spill_count: 0
    .wavefront_size: 32
    .workgroup_processor_mode: 1
  - .args:
      - .offset:         0
        .size:           136
        .value_kind:     by_value
    .group_segment_fixed_size: 0
    .kernarg_segment_align: 8
    .kernarg_segment_size: 136
    .language:       OpenCL C
    .language_version:
      - 2
      - 0
    .max_flat_workgroup_size: 128
    .name:           _ZN7rocprim17ROCPRIM_400000_NS6detail17trampoline_kernelINS0_14default_configENS1_25partition_config_selectorILNS1_17partition_subalgoE5ElNS0_10empty_typeEbEEZZNS1_14partition_implILS5_5ELb0ES3_mN6hipcub16HIPCUB_304000_NS21CountingInputIteratorIllEEPS6_NSA_22TransformInputIteratorIbN2at6native12_GLOBAL__N_19NonZeroOpIiEEPKilEENS0_5tupleIJPlS6_EEENSN_IJSD_SD_EEES6_PiJS6_EEE10hipError_tPvRmT3_T4_T5_T6_T7_T9_mT8_P12ihipStream_tbDpT10_ENKUlT_T0_E_clISt17integral_constantIbLb0EES1A_IbLb1EEEEDaS16_S17_EUlS16_E_NS1_11comp_targetILNS1_3genE9ELNS1_11target_archE1100ELNS1_3gpuE3ELNS1_3repE0EEENS1_30default_config_static_selectorELNS0_4arch9wavefront6targetE0EEEvT1_
    .private_segment_fixed_size: 0
    .sgpr_count:     0
    .sgpr_spill_count: 0
    .symbol:         _ZN7rocprim17ROCPRIM_400000_NS6detail17trampoline_kernelINS0_14default_configENS1_25partition_config_selectorILNS1_17partition_subalgoE5ElNS0_10empty_typeEbEEZZNS1_14partition_implILS5_5ELb0ES3_mN6hipcub16HIPCUB_304000_NS21CountingInputIteratorIllEEPS6_NSA_22TransformInputIteratorIbN2at6native12_GLOBAL__N_19NonZeroOpIiEEPKilEENS0_5tupleIJPlS6_EEENSN_IJSD_SD_EEES6_PiJS6_EEE10hipError_tPvRmT3_T4_T5_T6_T7_T9_mT8_P12ihipStream_tbDpT10_ENKUlT_T0_E_clISt17integral_constantIbLb0EES1A_IbLb1EEEEDaS16_S17_EUlS16_E_NS1_11comp_targetILNS1_3genE9ELNS1_11target_archE1100ELNS1_3gpuE3ELNS1_3repE0EEENS1_30default_config_static_selectorELNS0_4arch9wavefront6targetE0EEEvT1_.kd
    .uniform_work_group_size: 1
    .uses_dynamic_stack: false
    .vgpr_count:     0
    .vgpr_spill_count: 0
    .wavefront_size: 32
    .workgroup_processor_mode: 1
  - .args:
      - .offset:         0
        .size:           136
        .value_kind:     by_value
    .group_segment_fixed_size: 0
    .kernarg_segment_align: 8
    .kernarg_segment_size: 136
    .language:       OpenCL C
    .language_version:
      - 2
      - 0
    .max_flat_workgroup_size: 512
    .name:           _ZN7rocprim17ROCPRIM_400000_NS6detail17trampoline_kernelINS0_14default_configENS1_25partition_config_selectorILNS1_17partition_subalgoE5ElNS0_10empty_typeEbEEZZNS1_14partition_implILS5_5ELb0ES3_mN6hipcub16HIPCUB_304000_NS21CountingInputIteratorIllEEPS6_NSA_22TransformInputIteratorIbN2at6native12_GLOBAL__N_19NonZeroOpIiEEPKilEENS0_5tupleIJPlS6_EEENSN_IJSD_SD_EEES6_PiJS6_EEE10hipError_tPvRmT3_T4_T5_T6_T7_T9_mT8_P12ihipStream_tbDpT10_ENKUlT_T0_E_clISt17integral_constantIbLb0EES1A_IbLb1EEEEDaS16_S17_EUlS16_E_NS1_11comp_targetILNS1_3genE8ELNS1_11target_archE1030ELNS1_3gpuE2ELNS1_3repE0EEENS1_30default_config_static_selectorELNS0_4arch9wavefront6targetE0EEEvT1_
    .private_segment_fixed_size: 0
    .sgpr_count:     0
    .sgpr_spill_count: 0
    .symbol:         _ZN7rocprim17ROCPRIM_400000_NS6detail17trampoline_kernelINS0_14default_configENS1_25partition_config_selectorILNS1_17partition_subalgoE5ElNS0_10empty_typeEbEEZZNS1_14partition_implILS5_5ELb0ES3_mN6hipcub16HIPCUB_304000_NS21CountingInputIteratorIllEEPS6_NSA_22TransformInputIteratorIbN2at6native12_GLOBAL__N_19NonZeroOpIiEEPKilEENS0_5tupleIJPlS6_EEENSN_IJSD_SD_EEES6_PiJS6_EEE10hipError_tPvRmT3_T4_T5_T6_T7_T9_mT8_P12ihipStream_tbDpT10_ENKUlT_T0_E_clISt17integral_constantIbLb0EES1A_IbLb1EEEEDaS16_S17_EUlS16_E_NS1_11comp_targetILNS1_3genE8ELNS1_11target_archE1030ELNS1_3gpuE2ELNS1_3repE0EEENS1_30default_config_static_selectorELNS0_4arch9wavefront6targetE0EEEvT1_.kd
    .uniform_work_group_size: 1
    .uses_dynamic_stack: false
    .vgpr_count:     0
    .vgpr_spill_count: 0
    .wavefront_size: 32
    .workgroup_processor_mode: 1
  - .args:
      - .offset:         0
        .size:           56
        .value_kind:     by_value
    .group_segment_fixed_size: 0
    .kernarg_segment_align: 8
    .kernarg_segment_size: 56
    .language:       OpenCL C
    .language_version:
      - 2
      - 0
    .max_flat_workgroup_size: 256
    .name:           _ZN7rocprim17ROCPRIM_400000_NS6detail17trampoline_kernelINS0_14default_configENS1_22reduce_config_selectorIiEEZNS1_11reduce_implILb1ES3_PiS7_iN6hipcub16HIPCUB_304000_NS6detail34convert_binary_result_type_wrapperINS9_3SumENS9_22TransformInputIteratorIbN2at6native12_GLOBAL__N_19NonZeroOpIlEEPKllEEiEEEE10hipError_tPvRmT1_T2_T3_mT4_P12ihipStream_tbEUlT_E0_NS1_11comp_targetILNS1_3genE0ELNS1_11target_archE4294967295ELNS1_3gpuE0ELNS1_3repE0EEENS1_30default_config_static_selectorELNS0_4arch9wavefront6targetE0EEEvSQ_
    .private_segment_fixed_size: 0
    .sgpr_count:     0
    .sgpr_spill_count: 0
    .symbol:         _ZN7rocprim17ROCPRIM_400000_NS6detail17trampoline_kernelINS0_14default_configENS1_22reduce_config_selectorIiEEZNS1_11reduce_implILb1ES3_PiS7_iN6hipcub16HIPCUB_304000_NS6detail34convert_binary_result_type_wrapperINS9_3SumENS9_22TransformInputIteratorIbN2at6native12_GLOBAL__N_19NonZeroOpIlEEPKllEEiEEEE10hipError_tPvRmT1_T2_T3_mT4_P12ihipStream_tbEUlT_E0_NS1_11comp_targetILNS1_3genE0ELNS1_11target_archE4294967295ELNS1_3gpuE0ELNS1_3repE0EEENS1_30default_config_static_selectorELNS0_4arch9wavefront6targetE0EEEvSQ_.kd
    .uniform_work_group_size: 1
    .uses_dynamic_stack: false
    .vgpr_count:     0
    .vgpr_spill_count: 0
    .wavefront_size: 32
    .workgroup_processor_mode: 1
  - .args:
      - .offset:         0
        .size:           56
        .value_kind:     by_value
    .group_segment_fixed_size: 0
    .kernarg_segment_align: 8
    .kernarg_segment_size: 56
    .language:       OpenCL C
    .language_version:
      - 2
      - 0
    .max_flat_workgroup_size: 256
    .name:           _ZN7rocprim17ROCPRIM_400000_NS6detail17trampoline_kernelINS0_14default_configENS1_22reduce_config_selectorIiEEZNS1_11reduce_implILb1ES3_PiS7_iN6hipcub16HIPCUB_304000_NS6detail34convert_binary_result_type_wrapperINS9_3SumENS9_22TransformInputIteratorIbN2at6native12_GLOBAL__N_19NonZeroOpIlEEPKllEEiEEEE10hipError_tPvRmT1_T2_T3_mT4_P12ihipStream_tbEUlT_E0_NS1_11comp_targetILNS1_3genE5ELNS1_11target_archE942ELNS1_3gpuE9ELNS1_3repE0EEENS1_30default_config_static_selectorELNS0_4arch9wavefront6targetE0EEEvSQ_
    .private_segment_fixed_size: 0
    .sgpr_count:     0
    .sgpr_spill_count: 0
    .symbol:         _ZN7rocprim17ROCPRIM_400000_NS6detail17trampoline_kernelINS0_14default_configENS1_22reduce_config_selectorIiEEZNS1_11reduce_implILb1ES3_PiS7_iN6hipcub16HIPCUB_304000_NS6detail34convert_binary_result_type_wrapperINS9_3SumENS9_22TransformInputIteratorIbN2at6native12_GLOBAL__N_19NonZeroOpIlEEPKllEEiEEEE10hipError_tPvRmT1_T2_T3_mT4_P12ihipStream_tbEUlT_E0_NS1_11comp_targetILNS1_3genE5ELNS1_11target_archE942ELNS1_3gpuE9ELNS1_3repE0EEENS1_30default_config_static_selectorELNS0_4arch9wavefront6targetE0EEEvSQ_.kd
    .uniform_work_group_size: 1
    .uses_dynamic_stack: false
    .vgpr_count:     0
    .vgpr_spill_count: 0
    .wavefront_size: 32
    .workgroup_processor_mode: 1
  - .args:
      - .offset:         0
        .size:           56
        .value_kind:     by_value
    .group_segment_fixed_size: 0
    .kernarg_segment_align: 8
    .kernarg_segment_size: 56
    .language:       OpenCL C
    .language_version:
      - 2
      - 0
    .max_flat_workgroup_size: 128
    .name:           _ZN7rocprim17ROCPRIM_400000_NS6detail17trampoline_kernelINS0_14default_configENS1_22reduce_config_selectorIiEEZNS1_11reduce_implILb1ES3_PiS7_iN6hipcub16HIPCUB_304000_NS6detail34convert_binary_result_type_wrapperINS9_3SumENS9_22TransformInputIteratorIbN2at6native12_GLOBAL__N_19NonZeroOpIlEEPKllEEiEEEE10hipError_tPvRmT1_T2_T3_mT4_P12ihipStream_tbEUlT_E0_NS1_11comp_targetILNS1_3genE4ELNS1_11target_archE910ELNS1_3gpuE8ELNS1_3repE0EEENS1_30default_config_static_selectorELNS0_4arch9wavefront6targetE0EEEvSQ_
    .private_segment_fixed_size: 0
    .sgpr_count:     0
    .sgpr_spill_count: 0
    .symbol:         _ZN7rocprim17ROCPRIM_400000_NS6detail17trampoline_kernelINS0_14default_configENS1_22reduce_config_selectorIiEEZNS1_11reduce_implILb1ES3_PiS7_iN6hipcub16HIPCUB_304000_NS6detail34convert_binary_result_type_wrapperINS9_3SumENS9_22TransformInputIteratorIbN2at6native12_GLOBAL__N_19NonZeroOpIlEEPKllEEiEEEE10hipError_tPvRmT1_T2_T3_mT4_P12ihipStream_tbEUlT_E0_NS1_11comp_targetILNS1_3genE4ELNS1_11target_archE910ELNS1_3gpuE8ELNS1_3repE0EEENS1_30default_config_static_selectorELNS0_4arch9wavefront6targetE0EEEvSQ_.kd
    .uniform_work_group_size: 1
    .uses_dynamic_stack: false
    .vgpr_count:     0
    .vgpr_spill_count: 0
    .wavefront_size: 32
    .workgroup_processor_mode: 1
  - .args:
      - .offset:         0
        .size:           56
        .value_kind:     by_value
    .group_segment_fixed_size: 0
    .kernarg_segment_align: 8
    .kernarg_segment_size: 56
    .language:       OpenCL C
    .language_version:
      - 2
      - 0
    .max_flat_workgroup_size: 256
    .name:           _ZN7rocprim17ROCPRIM_400000_NS6detail17trampoline_kernelINS0_14default_configENS1_22reduce_config_selectorIiEEZNS1_11reduce_implILb1ES3_PiS7_iN6hipcub16HIPCUB_304000_NS6detail34convert_binary_result_type_wrapperINS9_3SumENS9_22TransformInputIteratorIbN2at6native12_GLOBAL__N_19NonZeroOpIlEEPKllEEiEEEE10hipError_tPvRmT1_T2_T3_mT4_P12ihipStream_tbEUlT_E0_NS1_11comp_targetILNS1_3genE3ELNS1_11target_archE908ELNS1_3gpuE7ELNS1_3repE0EEENS1_30default_config_static_selectorELNS0_4arch9wavefront6targetE0EEEvSQ_
    .private_segment_fixed_size: 0
    .sgpr_count:     0
    .sgpr_spill_count: 0
    .symbol:         _ZN7rocprim17ROCPRIM_400000_NS6detail17trampoline_kernelINS0_14default_configENS1_22reduce_config_selectorIiEEZNS1_11reduce_implILb1ES3_PiS7_iN6hipcub16HIPCUB_304000_NS6detail34convert_binary_result_type_wrapperINS9_3SumENS9_22TransformInputIteratorIbN2at6native12_GLOBAL__N_19NonZeroOpIlEEPKllEEiEEEE10hipError_tPvRmT1_T2_T3_mT4_P12ihipStream_tbEUlT_E0_NS1_11comp_targetILNS1_3genE3ELNS1_11target_archE908ELNS1_3gpuE7ELNS1_3repE0EEENS1_30default_config_static_selectorELNS0_4arch9wavefront6targetE0EEEvSQ_.kd
    .uniform_work_group_size: 1
    .uses_dynamic_stack: false
    .vgpr_count:     0
    .vgpr_spill_count: 0
    .wavefront_size: 32
    .workgroup_processor_mode: 1
  - .args:
      - .offset:         0
        .size:           56
        .value_kind:     by_value
    .group_segment_fixed_size: 0
    .kernarg_segment_align: 8
    .kernarg_segment_size: 56
    .language:       OpenCL C
    .language_version:
      - 2
      - 0
    .max_flat_workgroup_size: 256
    .name:           _ZN7rocprim17ROCPRIM_400000_NS6detail17trampoline_kernelINS0_14default_configENS1_22reduce_config_selectorIiEEZNS1_11reduce_implILb1ES3_PiS7_iN6hipcub16HIPCUB_304000_NS6detail34convert_binary_result_type_wrapperINS9_3SumENS9_22TransformInputIteratorIbN2at6native12_GLOBAL__N_19NonZeroOpIlEEPKllEEiEEEE10hipError_tPvRmT1_T2_T3_mT4_P12ihipStream_tbEUlT_E0_NS1_11comp_targetILNS1_3genE2ELNS1_11target_archE906ELNS1_3gpuE6ELNS1_3repE0EEENS1_30default_config_static_selectorELNS0_4arch9wavefront6targetE0EEEvSQ_
    .private_segment_fixed_size: 0
    .sgpr_count:     0
    .sgpr_spill_count: 0
    .symbol:         _ZN7rocprim17ROCPRIM_400000_NS6detail17trampoline_kernelINS0_14default_configENS1_22reduce_config_selectorIiEEZNS1_11reduce_implILb1ES3_PiS7_iN6hipcub16HIPCUB_304000_NS6detail34convert_binary_result_type_wrapperINS9_3SumENS9_22TransformInputIteratorIbN2at6native12_GLOBAL__N_19NonZeroOpIlEEPKllEEiEEEE10hipError_tPvRmT1_T2_T3_mT4_P12ihipStream_tbEUlT_E0_NS1_11comp_targetILNS1_3genE2ELNS1_11target_archE906ELNS1_3gpuE6ELNS1_3repE0EEENS1_30default_config_static_selectorELNS0_4arch9wavefront6targetE0EEEvSQ_.kd
    .uniform_work_group_size: 1
    .uses_dynamic_stack: false
    .vgpr_count:     0
    .vgpr_spill_count: 0
    .wavefront_size: 32
    .workgroup_processor_mode: 1
  - .args:
      - .offset:         0
        .size:           56
        .value_kind:     by_value
    .group_segment_fixed_size: 64
    .kernarg_segment_align: 8
    .kernarg_segment_size: 56
    .language:       OpenCL C
    .language_version:
      - 2
      - 0
    .max_flat_workgroup_size: 256
    .name:           _ZN7rocprim17ROCPRIM_400000_NS6detail17trampoline_kernelINS0_14default_configENS1_22reduce_config_selectorIiEEZNS1_11reduce_implILb1ES3_PiS7_iN6hipcub16HIPCUB_304000_NS6detail34convert_binary_result_type_wrapperINS9_3SumENS9_22TransformInputIteratorIbN2at6native12_GLOBAL__N_19NonZeroOpIlEEPKllEEiEEEE10hipError_tPvRmT1_T2_T3_mT4_P12ihipStream_tbEUlT_E0_NS1_11comp_targetILNS1_3genE10ELNS1_11target_archE1201ELNS1_3gpuE5ELNS1_3repE0EEENS1_30default_config_static_selectorELNS0_4arch9wavefront6targetE0EEEvSQ_
    .private_segment_fixed_size: 0
    .sgpr_count:     32
    .sgpr_spill_count: 0
    .symbol:         _ZN7rocprim17ROCPRIM_400000_NS6detail17trampoline_kernelINS0_14default_configENS1_22reduce_config_selectorIiEEZNS1_11reduce_implILb1ES3_PiS7_iN6hipcub16HIPCUB_304000_NS6detail34convert_binary_result_type_wrapperINS9_3SumENS9_22TransformInputIteratorIbN2at6native12_GLOBAL__N_19NonZeroOpIlEEPKllEEiEEEE10hipError_tPvRmT1_T2_T3_mT4_P12ihipStream_tbEUlT_E0_NS1_11comp_targetILNS1_3genE10ELNS1_11target_archE1201ELNS1_3gpuE5ELNS1_3repE0EEENS1_30default_config_static_selectorELNS0_4arch9wavefront6targetE0EEEvSQ_.kd
    .uniform_work_group_size: 1
    .uses_dynamic_stack: false
    .vgpr_count:     20
    .vgpr_spill_count: 0
    .wavefront_size: 32
    .workgroup_processor_mode: 1
  - .args:
      - .offset:         0
        .size:           56
        .value_kind:     by_value
    .group_segment_fixed_size: 0
    .kernarg_segment_align: 8
    .kernarg_segment_size: 56
    .language:       OpenCL C
    .language_version:
      - 2
      - 0
    .max_flat_workgroup_size: 256
    .name:           _ZN7rocprim17ROCPRIM_400000_NS6detail17trampoline_kernelINS0_14default_configENS1_22reduce_config_selectorIiEEZNS1_11reduce_implILb1ES3_PiS7_iN6hipcub16HIPCUB_304000_NS6detail34convert_binary_result_type_wrapperINS9_3SumENS9_22TransformInputIteratorIbN2at6native12_GLOBAL__N_19NonZeroOpIlEEPKllEEiEEEE10hipError_tPvRmT1_T2_T3_mT4_P12ihipStream_tbEUlT_E0_NS1_11comp_targetILNS1_3genE10ELNS1_11target_archE1200ELNS1_3gpuE4ELNS1_3repE0EEENS1_30default_config_static_selectorELNS0_4arch9wavefront6targetE0EEEvSQ_
    .private_segment_fixed_size: 0
    .sgpr_count:     0
    .sgpr_spill_count: 0
    .symbol:         _ZN7rocprim17ROCPRIM_400000_NS6detail17trampoline_kernelINS0_14default_configENS1_22reduce_config_selectorIiEEZNS1_11reduce_implILb1ES3_PiS7_iN6hipcub16HIPCUB_304000_NS6detail34convert_binary_result_type_wrapperINS9_3SumENS9_22TransformInputIteratorIbN2at6native12_GLOBAL__N_19NonZeroOpIlEEPKllEEiEEEE10hipError_tPvRmT1_T2_T3_mT4_P12ihipStream_tbEUlT_E0_NS1_11comp_targetILNS1_3genE10ELNS1_11target_archE1200ELNS1_3gpuE4ELNS1_3repE0EEENS1_30default_config_static_selectorELNS0_4arch9wavefront6targetE0EEEvSQ_.kd
    .uniform_work_group_size: 1
    .uses_dynamic_stack: false
    .vgpr_count:     0
    .vgpr_spill_count: 0
    .wavefront_size: 32
    .workgroup_processor_mode: 1
  - .args:
      - .offset:         0
        .size:           56
        .value_kind:     by_value
    .group_segment_fixed_size: 0
    .kernarg_segment_align: 8
    .kernarg_segment_size: 56
    .language:       OpenCL C
    .language_version:
      - 2
      - 0
    .max_flat_workgroup_size: 256
    .name:           _ZN7rocprim17ROCPRIM_400000_NS6detail17trampoline_kernelINS0_14default_configENS1_22reduce_config_selectorIiEEZNS1_11reduce_implILb1ES3_PiS7_iN6hipcub16HIPCUB_304000_NS6detail34convert_binary_result_type_wrapperINS9_3SumENS9_22TransformInputIteratorIbN2at6native12_GLOBAL__N_19NonZeroOpIlEEPKllEEiEEEE10hipError_tPvRmT1_T2_T3_mT4_P12ihipStream_tbEUlT_E0_NS1_11comp_targetILNS1_3genE9ELNS1_11target_archE1100ELNS1_3gpuE3ELNS1_3repE0EEENS1_30default_config_static_selectorELNS0_4arch9wavefront6targetE0EEEvSQ_
    .private_segment_fixed_size: 0
    .sgpr_count:     0
    .sgpr_spill_count: 0
    .symbol:         _ZN7rocprim17ROCPRIM_400000_NS6detail17trampoline_kernelINS0_14default_configENS1_22reduce_config_selectorIiEEZNS1_11reduce_implILb1ES3_PiS7_iN6hipcub16HIPCUB_304000_NS6detail34convert_binary_result_type_wrapperINS9_3SumENS9_22TransformInputIteratorIbN2at6native12_GLOBAL__N_19NonZeroOpIlEEPKllEEiEEEE10hipError_tPvRmT1_T2_T3_mT4_P12ihipStream_tbEUlT_E0_NS1_11comp_targetILNS1_3genE9ELNS1_11target_archE1100ELNS1_3gpuE3ELNS1_3repE0EEENS1_30default_config_static_selectorELNS0_4arch9wavefront6targetE0EEEvSQ_.kd
    .uniform_work_group_size: 1
    .uses_dynamic_stack: false
    .vgpr_count:     0
    .vgpr_spill_count: 0
    .wavefront_size: 32
    .workgroup_processor_mode: 1
  - .args:
      - .offset:         0
        .size:           56
        .value_kind:     by_value
    .group_segment_fixed_size: 0
    .kernarg_segment_align: 8
    .kernarg_segment_size: 56
    .language:       OpenCL C
    .language_version:
      - 2
      - 0
    .max_flat_workgroup_size: 256
    .name:           _ZN7rocprim17ROCPRIM_400000_NS6detail17trampoline_kernelINS0_14default_configENS1_22reduce_config_selectorIiEEZNS1_11reduce_implILb1ES3_PiS7_iN6hipcub16HIPCUB_304000_NS6detail34convert_binary_result_type_wrapperINS9_3SumENS9_22TransformInputIteratorIbN2at6native12_GLOBAL__N_19NonZeroOpIlEEPKllEEiEEEE10hipError_tPvRmT1_T2_T3_mT4_P12ihipStream_tbEUlT_E0_NS1_11comp_targetILNS1_3genE8ELNS1_11target_archE1030ELNS1_3gpuE2ELNS1_3repE0EEENS1_30default_config_static_selectorELNS0_4arch9wavefront6targetE0EEEvSQ_
    .private_segment_fixed_size: 0
    .sgpr_count:     0
    .sgpr_spill_count: 0
    .symbol:         _ZN7rocprim17ROCPRIM_400000_NS6detail17trampoline_kernelINS0_14default_configENS1_22reduce_config_selectorIiEEZNS1_11reduce_implILb1ES3_PiS7_iN6hipcub16HIPCUB_304000_NS6detail34convert_binary_result_type_wrapperINS9_3SumENS9_22TransformInputIteratorIbN2at6native12_GLOBAL__N_19NonZeroOpIlEEPKllEEiEEEE10hipError_tPvRmT1_T2_T3_mT4_P12ihipStream_tbEUlT_E0_NS1_11comp_targetILNS1_3genE8ELNS1_11target_archE1030ELNS1_3gpuE2ELNS1_3repE0EEENS1_30default_config_static_selectorELNS0_4arch9wavefront6targetE0EEEvSQ_.kd
    .uniform_work_group_size: 1
    .uses_dynamic_stack: false
    .vgpr_count:     0
    .vgpr_spill_count: 0
    .wavefront_size: 32
    .workgroup_processor_mode: 1
  - .args:
      - .offset:         0
        .size:           40
        .value_kind:     by_value
    .group_segment_fixed_size: 0
    .kernarg_segment_align: 8
    .kernarg_segment_size: 40
    .language:       OpenCL C
    .language_version:
      - 2
      - 0
    .max_flat_workgroup_size: 256
    .name:           _ZN7rocprim17ROCPRIM_400000_NS6detail17trampoline_kernelINS0_14default_configENS1_22reduce_config_selectorIiEEZNS1_11reduce_implILb1ES3_PiS7_iN6hipcub16HIPCUB_304000_NS6detail34convert_binary_result_type_wrapperINS9_3SumENS9_22TransformInputIteratorIbN2at6native12_GLOBAL__N_19NonZeroOpIlEEPKllEEiEEEE10hipError_tPvRmT1_T2_T3_mT4_P12ihipStream_tbEUlT_E1_NS1_11comp_targetILNS1_3genE0ELNS1_11target_archE4294967295ELNS1_3gpuE0ELNS1_3repE0EEENS1_30default_config_static_selectorELNS0_4arch9wavefront6targetE0EEEvSQ_
    .private_segment_fixed_size: 0
    .sgpr_count:     0
    .sgpr_spill_count: 0
    .symbol:         _ZN7rocprim17ROCPRIM_400000_NS6detail17trampoline_kernelINS0_14default_configENS1_22reduce_config_selectorIiEEZNS1_11reduce_implILb1ES3_PiS7_iN6hipcub16HIPCUB_304000_NS6detail34convert_binary_result_type_wrapperINS9_3SumENS9_22TransformInputIteratorIbN2at6native12_GLOBAL__N_19NonZeroOpIlEEPKllEEiEEEE10hipError_tPvRmT1_T2_T3_mT4_P12ihipStream_tbEUlT_E1_NS1_11comp_targetILNS1_3genE0ELNS1_11target_archE4294967295ELNS1_3gpuE0ELNS1_3repE0EEENS1_30default_config_static_selectorELNS0_4arch9wavefront6targetE0EEEvSQ_.kd
    .uniform_work_group_size: 1
    .uses_dynamic_stack: false
    .vgpr_count:     0
    .vgpr_spill_count: 0
    .wavefront_size: 32
    .workgroup_processor_mode: 1
  - .args:
      - .offset:         0
        .size:           40
        .value_kind:     by_value
    .group_segment_fixed_size: 0
    .kernarg_segment_align: 8
    .kernarg_segment_size: 40
    .language:       OpenCL C
    .language_version:
      - 2
      - 0
    .max_flat_workgroup_size: 256
    .name:           _ZN7rocprim17ROCPRIM_400000_NS6detail17trampoline_kernelINS0_14default_configENS1_22reduce_config_selectorIiEEZNS1_11reduce_implILb1ES3_PiS7_iN6hipcub16HIPCUB_304000_NS6detail34convert_binary_result_type_wrapperINS9_3SumENS9_22TransformInputIteratorIbN2at6native12_GLOBAL__N_19NonZeroOpIlEEPKllEEiEEEE10hipError_tPvRmT1_T2_T3_mT4_P12ihipStream_tbEUlT_E1_NS1_11comp_targetILNS1_3genE5ELNS1_11target_archE942ELNS1_3gpuE9ELNS1_3repE0EEENS1_30default_config_static_selectorELNS0_4arch9wavefront6targetE0EEEvSQ_
    .private_segment_fixed_size: 0
    .sgpr_count:     0
    .sgpr_spill_count: 0
    .symbol:         _ZN7rocprim17ROCPRIM_400000_NS6detail17trampoline_kernelINS0_14default_configENS1_22reduce_config_selectorIiEEZNS1_11reduce_implILb1ES3_PiS7_iN6hipcub16HIPCUB_304000_NS6detail34convert_binary_result_type_wrapperINS9_3SumENS9_22TransformInputIteratorIbN2at6native12_GLOBAL__N_19NonZeroOpIlEEPKllEEiEEEE10hipError_tPvRmT1_T2_T3_mT4_P12ihipStream_tbEUlT_E1_NS1_11comp_targetILNS1_3genE5ELNS1_11target_archE942ELNS1_3gpuE9ELNS1_3repE0EEENS1_30default_config_static_selectorELNS0_4arch9wavefront6targetE0EEEvSQ_.kd
    .uniform_work_group_size: 1
    .uses_dynamic_stack: false
    .vgpr_count:     0
    .vgpr_spill_count: 0
    .wavefront_size: 32
    .workgroup_processor_mode: 1
  - .args:
      - .offset:         0
        .size:           40
        .value_kind:     by_value
    .group_segment_fixed_size: 0
    .kernarg_segment_align: 8
    .kernarg_segment_size: 40
    .language:       OpenCL C
    .language_version:
      - 2
      - 0
    .max_flat_workgroup_size: 128
    .name:           _ZN7rocprim17ROCPRIM_400000_NS6detail17trampoline_kernelINS0_14default_configENS1_22reduce_config_selectorIiEEZNS1_11reduce_implILb1ES3_PiS7_iN6hipcub16HIPCUB_304000_NS6detail34convert_binary_result_type_wrapperINS9_3SumENS9_22TransformInputIteratorIbN2at6native12_GLOBAL__N_19NonZeroOpIlEEPKllEEiEEEE10hipError_tPvRmT1_T2_T3_mT4_P12ihipStream_tbEUlT_E1_NS1_11comp_targetILNS1_3genE4ELNS1_11target_archE910ELNS1_3gpuE8ELNS1_3repE0EEENS1_30default_config_static_selectorELNS0_4arch9wavefront6targetE0EEEvSQ_
    .private_segment_fixed_size: 0
    .sgpr_count:     0
    .sgpr_spill_count: 0
    .symbol:         _ZN7rocprim17ROCPRIM_400000_NS6detail17trampoline_kernelINS0_14default_configENS1_22reduce_config_selectorIiEEZNS1_11reduce_implILb1ES3_PiS7_iN6hipcub16HIPCUB_304000_NS6detail34convert_binary_result_type_wrapperINS9_3SumENS9_22TransformInputIteratorIbN2at6native12_GLOBAL__N_19NonZeroOpIlEEPKllEEiEEEE10hipError_tPvRmT1_T2_T3_mT4_P12ihipStream_tbEUlT_E1_NS1_11comp_targetILNS1_3genE4ELNS1_11target_archE910ELNS1_3gpuE8ELNS1_3repE0EEENS1_30default_config_static_selectorELNS0_4arch9wavefront6targetE0EEEvSQ_.kd
    .uniform_work_group_size: 1
    .uses_dynamic_stack: false
    .vgpr_count:     0
    .vgpr_spill_count: 0
    .wavefront_size: 32
    .workgroup_processor_mode: 1
  - .args:
      - .offset:         0
        .size:           40
        .value_kind:     by_value
    .group_segment_fixed_size: 0
    .kernarg_segment_align: 8
    .kernarg_segment_size: 40
    .language:       OpenCL C
    .language_version:
      - 2
      - 0
    .max_flat_workgroup_size: 256
    .name:           _ZN7rocprim17ROCPRIM_400000_NS6detail17trampoline_kernelINS0_14default_configENS1_22reduce_config_selectorIiEEZNS1_11reduce_implILb1ES3_PiS7_iN6hipcub16HIPCUB_304000_NS6detail34convert_binary_result_type_wrapperINS9_3SumENS9_22TransformInputIteratorIbN2at6native12_GLOBAL__N_19NonZeroOpIlEEPKllEEiEEEE10hipError_tPvRmT1_T2_T3_mT4_P12ihipStream_tbEUlT_E1_NS1_11comp_targetILNS1_3genE3ELNS1_11target_archE908ELNS1_3gpuE7ELNS1_3repE0EEENS1_30default_config_static_selectorELNS0_4arch9wavefront6targetE0EEEvSQ_
    .private_segment_fixed_size: 0
    .sgpr_count:     0
    .sgpr_spill_count: 0
    .symbol:         _ZN7rocprim17ROCPRIM_400000_NS6detail17trampoline_kernelINS0_14default_configENS1_22reduce_config_selectorIiEEZNS1_11reduce_implILb1ES3_PiS7_iN6hipcub16HIPCUB_304000_NS6detail34convert_binary_result_type_wrapperINS9_3SumENS9_22TransformInputIteratorIbN2at6native12_GLOBAL__N_19NonZeroOpIlEEPKllEEiEEEE10hipError_tPvRmT1_T2_T3_mT4_P12ihipStream_tbEUlT_E1_NS1_11comp_targetILNS1_3genE3ELNS1_11target_archE908ELNS1_3gpuE7ELNS1_3repE0EEENS1_30default_config_static_selectorELNS0_4arch9wavefront6targetE0EEEvSQ_.kd
    .uniform_work_group_size: 1
    .uses_dynamic_stack: false
    .vgpr_count:     0
    .vgpr_spill_count: 0
    .wavefront_size: 32
    .workgroup_processor_mode: 1
  - .args:
      - .offset:         0
        .size:           40
        .value_kind:     by_value
    .group_segment_fixed_size: 0
    .kernarg_segment_align: 8
    .kernarg_segment_size: 40
    .language:       OpenCL C
    .language_version:
      - 2
      - 0
    .max_flat_workgroup_size: 256
    .name:           _ZN7rocprim17ROCPRIM_400000_NS6detail17trampoline_kernelINS0_14default_configENS1_22reduce_config_selectorIiEEZNS1_11reduce_implILb1ES3_PiS7_iN6hipcub16HIPCUB_304000_NS6detail34convert_binary_result_type_wrapperINS9_3SumENS9_22TransformInputIteratorIbN2at6native12_GLOBAL__N_19NonZeroOpIlEEPKllEEiEEEE10hipError_tPvRmT1_T2_T3_mT4_P12ihipStream_tbEUlT_E1_NS1_11comp_targetILNS1_3genE2ELNS1_11target_archE906ELNS1_3gpuE6ELNS1_3repE0EEENS1_30default_config_static_selectorELNS0_4arch9wavefront6targetE0EEEvSQ_
    .private_segment_fixed_size: 0
    .sgpr_count:     0
    .sgpr_spill_count: 0
    .symbol:         _ZN7rocprim17ROCPRIM_400000_NS6detail17trampoline_kernelINS0_14default_configENS1_22reduce_config_selectorIiEEZNS1_11reduce_implILb1ES3_PiS7_iN6hipcub16HIPCUB_304000_NS6detail34convert_binary_result_type_wrapperINS9_3SumENS9_22TransformInputIteratorIbN2at6native12_GLOBAL__N_19NonZeroOpIlEEPKllEEiEEEE10hipError_tPvRmT1_T2_T3_mT4_P12ihipStream_tbEUlT_E1_NS1_11comp_targetILNS1_3genE2ELNS1_11target_archE906ELNS1_3gpuE6ELNS1_3repE0EEENS1_30default_config_static_selectorELNS0_4arch9wavefront6targetE0EEEvSQ_.kd
    .uniform_work_group_size: 1
    .uses_dynamic_stack: false
    .vgpr_count:     0
    .vgpr_spill_count: 0
    .wavefront_size: 32
    .workgroup_processor_mode: 1
  - .args:
      - .offset:         0
        .size:           40
        .value_kind:     by_value
    .group_segment_fixed_size: 224
    .kernarg_segment_align: 8
    .kernarg_segment_size: 40
    .language:       OpenCL C
    .language_version:
      - 2
      - 0
    .max_flat_workgroup_size: 256
    .name:           _ZN7rocprim17ROCPRIM_400000_NS6detail17trampoline_kernelINS0_14default_configENS1_22reduce_config_selectorIiEEZNS1_11reduce_implILb1ES3_PiS7_iN6hipcub16HIPCUB_304000_NS6detail34convert_binary_result_type_wrapperINS9_3SumENS9_22TransformInputIteratorIbN2at6native12_GLOBAL__N_19NonZeroOpIlEEPKllEEiEEEE10hipError_tPvRmT1_T2_T3_mT4_P12ihipStream_tbEUlT_E1_NS1_11comp_targetILNS1_3genE10ELNS1_11target_archE1201ELNS1_3gpuE5ELNS1_3repE0EEENS1_30default_config_static_selectorELNS0_4arch9wavefront6targetE0EEEvSQ_
    .private_segment_fixed_size: 0
    .sgpr_count:     47
    .sgpr_spill_count: 0
    .symbol:         _ZN7rocprim17ROCPRIM_400000_NS6detail17trampoline_kernelINS0_14default_configENS1_22reduce_config_selectorIiEEZNS1_11reduce_implILb1ES3_PiS7_iN6hipcub16HIPCUB_304000_NS6detail34convert_binary_result_type_wrapperINS9_3SumENS9_22TransformInputIteratorIbN2at6native12_GLOBAL__N_19NonZeroOpIlEEPKllEEiEEEE10hipError_tPvRmT1_T2_T3_mT4_P12ihipStream_tbEUlT_E1_NS1_11comp_targetILNS1_3genE10ELNS1_11target_archE1201ELNS1_3gpuE5ELNS1_3repE0EEENS1_30default_config_static_selectorELNS0_4arch9wavefront6targetE0EEEvSQ_.kd
    .uniform_work_group_size: 1
    .uses_dynamic_stack: false
    .vgpr_count:     34
    .vgpr_spill_count: 0
    .wavefront_size: 32
    .workgroup_processor_mode: 1
  - .args:
      - .offset:         0
        .size:           40
        .value_kind:     by_value
    .group_segment_fixed_size: 0
    .kernarg_segment_align: 8
    .kernarg_segment_size: 40
    .language:       OpenCL C
    .language_version:
      - 2
      - 0
    .max_flat_workgroup_size: 256
    .name:           _ZN7rocprim17ROCPRIM_400000_NS6detail17trampoline_kernelINS0_14default_configENS1_22reduce_config_selectorIiEEZNS1_11reduce_implILb1ES3_PiS7_iN6hipcub16HIPCUB_304000_NS6detail34convert_binary_result_type_wrapperINS9_3SumENS9_22TransformInputIteratorIbN2at6native12_GLOBAL__N_19NonZeroOpIlEEPKllEEiEEEE10hipError_tPvRmT1_T2_T3_mT4_P12ihipStream_tbEUlT_E1_NS1_11comp_targetILNS1_3genE10ELNS1_11target_archE1200ELNS1_3gpuE4ELNS1_3repE0EEENS1_30default_config_static_selectorELNS0_4arch9wavefront6targetE0EEEvSQ_
    .private_segment_fixed_size: 0
    .sgpr_count:     0
    .sgpr_spill_count: 0
    .symbol:         _ZN7rocprim17ROCPRIM_400000_NS6detail17trampoline_kernelINS0_14default_configENS1_22reduce_config_selectorIiEEZNS1_11reduce_implILb1ES3_PiS7_iN6hipcub16HIPCUB_304000_NS6detail34convert_binary_result_type_wrapperINS9_3SumENS9_22TransformInputIteratorIbN2at6native12_GLOBAL__N_19NonZeroOpIlEEPKllEEiEEEE10hipError_tPvRmT1_T2_T3_mT4_P12ihipStream_tbEUlT_E1_NS1_11comp_targetILNS1_3genE10ELNS1_11target_archE1200ELNS1_3gpuE4ELNS1_3repE0EEENS1_30default_config_static_selectorELNS0_4arch9wavefront6targetE0EEEvSQ_.kd
    .uniform_work_group_size: 1
    .uses_dynamic_stack: false
    .vgpr_count:     0
    .vgpr_spill_count: 0
    .wavefront_size: 32
    .workgroup_processor_mode: 1
  - .args:
      - .offset:         0
        .size:           40
        .value_kind:     by_value
    .group_segment_fixed_size: 0
    .kernarg_segment_align: 8
    .kernarg_segment_size: 40
    .language:       OpenCL C
    .language_version:
      - 2
      - 0
    .max_flat_workgroup_size: 256
    .name:           _ZN7rocprim17ROCPRIM_400000_NS6detail17trampoline_kernelINS0_14default_configENS1_22reduce_config_selectorIiEEZNS1_11reduce_implILb1ES3_PiS7_iN6hipcub16HIPCUB_304000_NS6detail34convert_binary_result_type_wrapperINS9_3SumENS9_22TransformInputIteratorIbN2at6native12_GLOBAL__N_19NonZeroOpIlEEPKllEEiEEEE10hipError_tPvRmT1_T2_T3_mT4_P12ihipStream_tbEUlT_E1_NS1_11comp_targetILNS1_3genE9ELNS1_11target_archE1100ELNS1_3gpuE3ELNS1_3repE0EEENS1_30default_config_static_selectorELNS0_4arch9wavefront6targetE0EEEvSQ_
    .private_segment_fixed_size: 0
    .sgpr_count:     0
    .sgpr_spill_count: 0
    .symbol:         _ZN7rocprim17ROCPRIM_400000_NS6detail17trampoline_kernelINS0_14default_configENS1_22reduce_config_selectorIiEEZNS1_11reduce_implILb1ES3_PiS7_iN6hipcub16HIPCUB_304000_NS6detail34convert_binary_result_type_wrapperINS9_3SumENS9_22TransformInputIteratorIbN2at6native12_GLOBAL__N_19NonZeroOpIlEEPKllEEiEEEE10hipError_tPvRmT1_T2_T3_mT4_P12ihipStream_tbEUlT_E1_NS1_11comp_targetILNS1_3genE9ELNS1_11target_archE1100ELNS1_3gpuE3ELNS1_3repE0EEENS1_30default_config_static_selectorELNS0_4arch9wavefront6targetE0EEEvSQ_.kd
    .uniform_work_group_size: 1
    .uses_dynamic_stack: false
    .vgpr_count:     0
    .vgpr_spill_count: 0
    .wavefront_size: 32
    .workgroup_processor_mode: 1
  - .args:
      - .offset:         0
        .size:           40
        .value_kind:     by_value
    .group_segment_fixed_size: 0
    .kernarg_segment_align: 8
    .kernarg_segment_size: 40
    .language:       OpenCL C
    .language_version:
      - 2
      - 0
    .max_flat_workgroup_size: 256
    .name:           _ZN7rocprim17ROCPRIM_400000_NS6detail17trampoline_kernelINS0_14default_configENS1_22reduce_config_selectorIiEEZNS1_11reduce_implILb1ES3_PiS7_iN6hipcub16HIPCUB_304000_NS6detail34convert_binary_result_type_wrapperINS9_3SumENS9_22TransformInputIteratorIbN2at6native12_GLOBAL__N_19NonZeroOpIlEEPKllEEiEEEE10hipError_tPvRmT1_T2_T3_mT4_P12ihipStream_tbEUlT_E1_NS1_11comp_targetILNS1_3genE8ELNS1_11target_archE1030ELNS1_3gpuE2ELNS1_3repE0EEENS1_30default_config_static_selectorELNS0_4arch9wavefront6targetE0EEEvSQ_
    .private_segment_fixed_size: 0
    .sgpr_count:     0
    .sgpr_spill_count: 0
    .symbol:         _ZN7rocprim17ROCPRIM_400000_NS6detail17trampoline_kernelINS0_14default_configENS1_22reduce_config_selectorIiEEZNS1_11reduce_implILb1ES3_PiS7_iN6hipcub16HIPCUB_304000_NS6detail34convert_binary_result_type_wrapperINS9_3SumENS9_22TransformInputIteratorIbN2at6native12_GLOBAL__N_19NonZeroOpIlEEPKllEEiEEEE10hipError_tPvRmT1_T2_T3_mT4_P12ihipStream_tbEUlT_E1_NS1_11comp_targetILNS1_3genE8ELNS1_11target_archE1030ELNS1_3gpuE2ELNS1_3repE0EEENS1_30default_config_static_selectorELNS0_4arch9wavefront6targetE0EEEvSQ_.kd
    .uniform_work_group_size: 1
    .uses_dynamic_stack: false
    .vgpr_count:     0
    .vgpr_spill_count: 0
    .wavefront_size: 32
    .workgroup_processor_mode: 1
  - .args:
      - .offset:         0
        .size:           64
        .value_kind:     by_value
    .group_segment_fixed_size: 0
    .kernarg_segment_align: 8
    .kernarg_segment_size: 64
    .language:       OpenCL C
    .language_version:
      - 2
      - 0
    .max_flat_workgroup_size: 256
    .name:           _ZN7rocprim17ROCPRIM_400000_NS6detail17trampoline_kernelINS0_14default_configENS1_22reduce_config_selectorIbEEZNS1_11reduce_implILb1ES3_N6hipcub16HIPCUB_304000_NS22TransformInputIteratorIbN2at6native12_GLOBAL__N_19NonZeroOpIlEEPKllEEPiiNS8_6detail34convert_binary_result_type_wrapperINS8_3SumESH_iEEEE10hipError_tPvRmT1_T2_T3_mT4_P12ihipStream_tbEUlT_E0_NS1_11comp_targetILNS1_3genE0ELNS1_11target_archE4294967295ELNS1_3gpuE0ELNS1_3repE0EEENS1_30default_config_static_selectorELNS0_4arch9wavefront6targetE0EEEvSQ_
    .private_segment_fixed_size: 0
    .sgpr_count:     0
    .sgpr_spill_count: 0
    .symbol:         _ZN7rocprim17ROCPRIM_400000_NS6detail17trampoline_kernelINS0_14default_configENS1_22reduce_config_selectorIbEEZNS1_11reduce_implILb1ES3_N6hipcub16HIPCUB_304000_NS22TransformInputIteratorIbN2at6native12_GLOBAL__N_19NonZeroOpIlEEPKllEEPiiNS8_6detail34convert_binary_result_type_wrapperINS8_3SumESH_iEEEE10hipError_tPvRmT1_T2_T3_mT4_P12ihipStream_tbEUlT_E0_NS1_11comp_targetILNS1_3genE0ELNS1_11target_archE4294967295ELNS1_3gpuE0ELNS1_3repE0EEENS1_30default_config_static_selectorELNS0_4arch9wavefront6targetE0EEEvSQ_.kd
    .uniform_work_group_size: 1
    .uses_dynamic_stack: false
    .vgpr_count:     0
    .vgpr_spill_count: 0
    .wavefront_size: 32
    .workgroup_processor_mode: 1
  - .args:
      - .offset:         0
        .size:           64
        .value_kind:     by_value
    .group_segment_fixed_size: 0
    .kernarg_segment_align: 8
    .kernarg_segment_size: 64
    .language:       OpenCL C
    .language_version:
      - 2
      - 0
    .max_flat_workgroup_size: 256
    .name:           _ZN7rocprim17ROCPRIM_400000_NS6detail17trampoline_kernelINS0_14default_configENS1_22reduce_config_selectorIbEEZNS1_11reduce_implILb1ES3_N6hipcub16HIPCUB_304000_NS22TransformInputIteratorIbN2at6native12_GLOBAL__N_19NonZeroOpIlEEPKllEEPiiNS8_6detail34convert_binary_result_type_wrapperINS8_3SumESH_iEEEE10hipError_tPvRmT1_T2_T3_mT4_P12ihipStream_tbEUlT_E0_NS1_11comp_targetILNS1_3genE5ELNS1_11target_archE942ELNS1_3gpuE9ELNS1_3repE0EEENS1_30default_config_static_selectorELNS0_4arch9wavefront6targetE0EEEvSQ_
    .private_segment_fixed_size: 0
    .sgpr_count:     0
    .sgpr_spill_count: 0
    .symbol:         _ZN7rocprim17ROCPRIM_400000_NS6detail17trampoline_kernelINS0_14default_configENS1_22reduce_config_selectorIbEEZNS1_11reduce_implILb1ES3_N6hipcub16HIPCUB_304000_NS22TransformInputIteratorIbN2at6native12_GLOBAL__N_19NonZeroOpIlEEPKllEEPiiNS8_6detail34convert_binary_result_type_wrapperINS8_3SumESH_iEEEE10hipError_tPvRmT1_T2_T3_mT4_P12ihipStream_tbEUlT_E0_NS1_11comp_targetILNS1_3genE5ELNS1_11target_archE942ELNS1_3gpuE9ELNS1_3repE0EEENS1_30default_config_static_selectorELNS0_4arch9wavefront6targetE0EEEvSQ_.kd
    .uniform_work_group_size: 1
    .uses_dynamic_stack: false
    .vgpr_count:     0
    .vgpr_spill_count: 0
    .wavefront_size: 32
    .workgroup_processor_mode: 1
  - .args:
      - .offset:         0
        .size:           64
        .value_kind:     by_value
    .group_segment_fixed_size: 0
    .kernarg_segment_align: 8
    .kernarg_segment_size: 64
    .language:       OpenCL C
    .language_version:
      - 2
      - 0
    .max_flat_workgroup_size: 128
    .name:           _ZN7rocprim17ROCPRIM_400000_NS6detail17trampoline_kernelINS0_14default_configENS1_22reduce_config_selectorIbEEZNS1_11reduce_implILb1ES3_N6hipcub16HIPCUB_304000_NS22TransformInputIteratorIbN2at6native12_GLOBAL__N_19NonZeroOpIlEEPKllEEPiiNS8_6detail34convert_binary_result_type_wrapperINS8_3SumESH_iEEEE10hipError_tPvRmT1_T2_T3_mT4_P12ihipStream_tbEUlT_E0_NS1_11comp_targetILNS1_3genE4ELNS1_11target_archE910ELNS1_3gpuE8ELNS1_3repE0EEENS1_30default_config_static_selectorELNS0_4arch9wavefront6targetE0EEEvSQ_
    .private_segment_fixed_size: 0
    .sgpr_count:     0
    .sgpr_spill_count: 0
    .symbol:         _ZN7rocprim17ROCPRIM_400000_NS6detail17trampoline_kernelINS0_14default_configENS1_22reduce_config_selectorIbEEZNS1_11reduce_implILb1ES3_N6hipcub16HIPCUB_304000_NS22TransformInputIteratorIbN2at6native12_GLOBAL__N_19NonZeroOpIlEEPKllEEPiiNS8_6detail34convert_binary_result_type_wrapperINS8_3SumESH_iEEEE10hipError_tPvRmT1_T2_T3_mT4_P12ihipStream_tbEUlT_E0_NS1_11comp_targetILNS1_3genE4ELNS1_11target_archE910ELNS1_3gpuE8ELNS1_3repE0EEENS1_30default_config_static_selectorELNS0_4arch9wavefront6targetE0EEEvSQ_.kd
    .uniform_work_group_size: 1
    .uses_dynamic_stack: false
    .vgpr_count:     0
    .vgpr_spill_count: 0
    .wavefront_size: 32
    .workgroup_processor_mode: 1
  - .args:
      - .offset:         0
        .size:           64
        .value_kind:     by_value
    .group_segment_fixed_size: 0
    .kernarg_segment_align: 8
    .kernarg_segment_size: 64
    .language:       OpenCL C
    .language_version:
      - 2
      - 0
    .max_flat_workgroup_size: 256
    .name:           _ZN7rocprim17ROCPRIM_400000_NS6detail17trampoline_kernelINS0_14default_configENS1_22reduce_config_selectorIbEEZNS1_11reduce_implILb1ES3_N6hipcub16HIPCUB_304000_NS22TransformInputIteratorIbN2at6native12_GLOBAL__N_19NonZeroOpIlEEPKllEEPiiNS8_6detail34convert_binary_result_type_wrapperINS8_3SumESH_iEEEE10hipError_tPvRmT1_T2_T3_mT4_P12ihipStream_tbEUlT_E0_NS1_11comp_targetILNS1_3genE3ELNS1_11target_archE908ELNS1_3gpuE7ELNS1_3repE0EEENS1_30default_config_static_selectorELNS0_4arch9wavefront6targetE0EEEvSQ_
    .private_segment_fixed_size: 0
    .sgpr_count:     0
    .sgpr_spill_count: 0
    .symbol:         _ZN7rocprim17ROCPRIM_400000_NS6detail17trampoline_kernelINS0_14default_configENS1_22reduce_config_selectorIbEEZNS1_11reduce_implILb1ES3_N6hipcub16HIPCUB_304000_NS22TransformInputIteratorIbN2at6native12_GLOBAL__N_19NonZeroOpIlEEPKllEEPiiNS8_6detail34convert_binary_result_type_wrapperINS8_3SumESH_iEEEE10hipError_tPvRmT1_T2_T3_mT4_P12ihipStream_tbEUlT_E0_NS1_11comp_targetILNS1_3genE3ELNS1_11target_archE908ELNS1_3gpuE7ELNS1_3repE0EEENS1_30default_config_static_selectorELNS0_4arch9wavefront6targetE0EEEvSQ_.kd
    .uniform_work_group_size: 1
    .uses_dynamic_stack: false
    .vgpr_count:     0
    .vgpr_spill_count: 0
    .wavefront_size: 32
    .workgroup_processor_mode: 1
  - .args:
      - .offset:         0
        .size:           64
        .value_kind:     by_value
    .group_segment_fixed_size: 0
    .kernarg_segment_align: 8
    .kernarg_segment_size: 64
    .language:       OpenCL C
    .language_version:
      - 2
      - 0
    .max_flat_workgroup_size: 128
    .name:           _ZN7rocprim17ROCPRIM_400000_NS6detail17trampoline_kernelINS0_14default_configENS1_22reduce_config_selectorIbEEZNS1_11reduce_implILb1ES3_N6hipcub16HIPCUB_304000_NS22TransformInputIteratorIbN2at6native12_GLOBAL__N_19NonZeroOpIlEEPKllEEPiiNS8_6detail34convert_binary_result_type_wrapperINS8_3SumESH_iEEEE10hipError_tPvRmT1_T2_T3_mT4_P12ihipStream_tbEUlT_E0_NS1_11comp_targetILNS1_3genE2ELNS1_11target_archE906ELNS1_3gpuE6ELNS1_3repE0EEENS1_30default_config_static_selectorELNS0_4arch9wavefront6targetE0EEEvSQ_
    .private_segment_fixed_size: 0
    .sgpr_count:     0
    .sgpr_spill_count: 0
    .symbol:         _ZN7rocprim17ROCPRIM_400000_NS6detail17trampoline_kernelINS0_14default_configENS1_22reduce_config_selectorIbEEZNS1_11reduce_implILb1ES3_N6hipcub16HIPCUB_304000_NS22TransformInputIteratorIbN2at6native12_GLOBAL__N_19NonZeroOpIlEEPKllEEPiiNS8_6detail34convert_binary_result_type_wrapperINS8_3SumESH_iEEEE10hipError_tPvRmT1_T2_T3_mT4_P12ihipStream_tbEUlT_E0_NS1_11comp_targetILNS1_3genE2ELNS1_11target_archE906ELNS1_3gpuE6ELNS1_3repE0EEENS1_30default_config_static_selectorELNS0_4arch9wavefront6targetE0EEEvSQ_.kd
    .uniform_work_group_size: 1
    .uses_dynamic_stack: false
    .vgpr_count:     0
    .vgpr_spill_count: 0
    .wavefront_size: 32
    .workgroup_processor_mode: 1
  - .args:
      - .offset:         0
        .size:           64
        .value_kind:     by_value
    .group_segment_fixed_size: 64
    .kernarg_segment_align: 8
    .kernarg_segment_size: 64
    .language:       OpenCL C
    .language_version:
      - 2
      - 0
    .max_flat_workgroup_size: 256
    .name:           _ZN7rocprim17ROCPRIM_400000_NS6detail17trampoline_kernelINS0_14default_configENS1_22reduce_config_selectorIbEEZNS1_11reduce_implILb1ES3_N6hipcub16HIPCUB_304000_NS22TransformInputIteratorIbN2at6native12_GLOBAL__N_19NonZeroOpIlEEPKllEEPiiNS8_6detail34convert_binary_result_type_wrapperINS8_3SumESH_iEEEE10hipError_tPvRmT1_T2_T3_mT4_P12ihipStream_tbEUlT_E0_NS1_11comp_targetILNS1_3genE10ELNS1_11target_archE1201ELNS1_3gpuE5ELNS1_3repE0EEENS1_30default_config_static_selectorELNS0_4arch9wavefront6targetE0EEEvSQ_
    .private_segment_fixed_size: 0
    .sgpr_count:     32
    .sgpr_spill_count: 0
    .symbol:         _ZN7rocprim17ROCPRIM_400000_NS6detail17trampoline_kernelINS0_14default_configENS1_22reduce_config_selectorIbEEZNS1_11reduce_implILb1ES3_N6hipcub16HIPCUB_304000_NS22TransformInputIteratorIbN2at6native12_GLOBAL__N_19NonZeroOpIlEEPKllEEPiiNS8_6detail34convert_binary_result_type_wrapperINS8_3SumESH_iEEEE10hipError_tPvRmT1_T2_T3_mT4_P12ihipStream_tbEUlT_E0_NS1_11comp_targetILNS1_3genE10ELNS1_11target_archE1201ELNS1_3gpuE5ELNS1_3repE0EEENS1_30default_config_static_selectorELNS0_4arch9wavefront6targetE0EEEvSQ_.kd
    .uniform_work_group_size: 1
    .uses_dynamic_stack: false
    .vgpr_count:     36
    .vgpr_spill_count: 0
    .wavefront_size: 32
    .workgroup_processor_mode: 1
  - .args:
      - .offset:         0
        .size:           64
        .value_kind:     by_value
    .group_segment_fixed_size: 0
    .kernarg_segment_align: 8
    .kernarg_segment_size: 64
    .language:       OpenCL C
    .language_version:
      - 2
      - 0
    .max_flat_workgroup_size: 256
    .name:           _ZN7rocprim17ROCPRIM_400000_NS6detail17trampoline_kernelINS0_14default_configENS1_22reduce_config_selectorIbEEZNS1_11reduce_implILb1ES3_N6hipcub16HIPCUB_304000_NS22TransformInputIteratorIbN2at6native12_GLOBAL__N_19NonZeroOpIlEEPKllEEPiiNS8_6detail34convert_binary_result_type_wrapperINS8_3SumESH_iEEEE10hipError_tPvRmT1_T2_T3_mT4_P12ihipStream_tbEUlT_E0_NS1_11comp_targetILNS1_3genE10ELNS1_11target_archE1200ELNS1_3gpuE4ELNS1_3repE0EEENS1_30default_config_static_selectorELNS0_4arch9wavefront6targetE0EEEvSQ_
    .private_segment_fixed_size: 0
    .sgpr_count:     0
    .sgpr_spill_count: 0
    .symbol:         _ZN7rocprim17ROCPRIM_400000_NS6detail17trampoline_kernelINS0_14default_configENS1_22reduce_config_selectorIbEEZNS1_11reduce_implILb1ES3_N6hipcub16HIPCUB_304000_NS22TransformInputIteratorIbN2at6native12_GLOBAL__N_19NonZeroOpIlEEPKllEEPiiNS8_6detail34convert_binary_result_type_wrapperINS8_3SumESH_iEEEE10hipError_tPvRmT1_T2_T3_mT4_P12ihipStream_tbEUlT_E0_NS1_11comp_targetILNS1_3genE10ELNS1_11target_archE1200ELNS1_3gpuE4ELNS1_3repE0EEENS1_30default_config_static_selectorELNS0_4arch9wavefront6targetE0EEEvSQ_.kd
    .uniform_work_group_size: 1
    .uses_dynamic_stack: false
    .vgpr_count:     0
    .vgpr_spill_count: 0
    .wavefront_size: 32
    .workgroup_processor_mode: 1
  - .args:
      - .offset:         0
        .size:           64
        .value_kind:     by_value
    .group_segment_fixed_size: 0
    .kernarg_segment_align: 8
    .kernarg_segment_size: 64
    .language:       OpenCL C
    .language_version:
      - 2
      - 0
    .max_flat_workgroup_size: 128
    .name:           _ZN7rocprim17ROCPRIM_400000_NS6detail17trampoline_kernelINS0_14default_configENS1_22reduce_config_selectorIbEEZNS1_11reduce_implILb1ES3_N6hipcub16HIPCUB_304000_NS22TransformInputIteratorIbN2at6native12_GLOBAL__N_19NonZeroOpIlEEPKllEEPiiNS8_6detail34convert_binary_result_type_wrapperINS8_3SumESH_iEEEE10hipError_tPvRmT1_T2_T3_mT4_P12ihipStream_tbEUlT_E0_NS1_11comp_targetILNS1_3genE9ELNS1_11target_archE1100ELNS1_3gpuE3ELNS1_3repE0EEENS1_30default_config_static_selectorELNS0_4arch9wavefront6targetE0EEEvSQ_
    .private_segment_fixed_size: 0
    .sgpr_count:     0
    .sgpr_spill_count: 0
    .symbol:         _ZN7rocprim17ROCPRIM_400000_NS6detail17trampoline_kernelINS0_14default_configENS1_22reduce_config_selectorIbEEZNS1_11reduce_implILb1ES3_N6hipcub16HIPCUB_304000_NS22TransformInputIteratorIbN2at6native12_GLOBAL__N_19NonZeroOpIlEEPKllEEPiiNS8_6detail34convert_binary_result_type_wrapperINS8_3SumESH_iEEEE10hipError_tPvRmT1_T2_T3_mT4_P12ihipStream_tbEUlT_E0_NS1_11comp_targetILNS1_3genE9ELNS1_11target_archE1100ELNS1_3gpuE3ELNS1_3repE0EEENS1_30default_config_static_selectorELNS0_4arch9wavefront6targetE0EEEvSQ_.kd
    .uniform_work_group_size: 1
    .uses_dynamic_stack: false
    .vgpr_count:     0
    .vgpr_spill_count: 0
    .wavefront_size: 32
    .workgroup_processor_mode: 1
  - .args:
      - .offset:         0
        .size:           64
        .value_kind:     by_value
    .group_segment_fixed_size: 0
    .kernarg_segment_align: 8
    .kernarg_segment_size: 64
    .language:       OpenCL C
    .language_version:
      - 2
      - 0
    .max_flat_workgroup_size: 256
    .name:           _ZN7rocprim17ROCPRIM_400000_NS6detail17trampoline_kernelINS0_14default_configENS1_22reduce_config_selectorIbEEZNS1_11reduce_implILb1ES3_N6hipcub16HIPCUB_304000_NS22TransformInputIteratorIbN2at6native12_GLOBAL__N_19NonZeroOpIlEEPKllEEPiiNS8_6detail34convert_binary_result_type_wrapperINS8_3SumESH_iEEEE10hipError_tPvRmT1_T2_T3_mT4_P12ihipStream_tbEUlT_E0_NS1_11comp_targetILNS1_3genE8ELNS1_11target_archE1030ELNS1_3gpuE2ELNS1_3repE0EEENS1_30default_config_static_selectorELNS0_4arch9wavefront6targetE0EEEvSQ_
    .private_segment_fixed_size: 0
    .sgpr_count:     0
    .sgpr_spill_count: 0
    .symbol:         _ZN7rocprim17ROCPRIM_400000_NS6detail17trampoline_kernelINS0_14default_configENS1_22reduce_config_selectorIbEEZNS1_11reduce_implILb1ES3_N6hipcub16HIPCUB_304000_NS22TransformInputIteratorIbN2at6native12_GLOBAL__N_19NonZeroOpIlEEPKllEEPiiNS8_6detail34convert_binary_result_type_wrapperINS8_3SumESH_iEEEE10hipError_tPvRmT1_T2_T3_mT4_P12ihipStream_tbEUlT_E0_NS1_11comp_targetILNS1_3genE8ELNS1_11target_archE1030ELNS1_3gpuE2ELNS1_3repE0EEENS1_30default_config_static_selectorELNS0_4arch9wavefront6targetE0EEEvSQ_.kd
    .uniform_work_group_size: 1
    .uses_dynamic_stack: false
    .vgpr_count:     0
    .vgpr_spill_count: 0
    .wavefront_size: 32
    .workgroup_processor_mode: 1
  - .args:
      - .offset:         0
        .size:           48
        .value_kind:     by_value
    .group_segment_fixed_size: 0
    .kernarg_segment_align: 8
    .kernarg_segment_size: 48
    .language:       OpenCL C
    .language_version:
      - 2
      - 0
    .max_flat_workgroup_size: 256
    .name:           _ZN7rocprim17ROCPRIM_400000_NS6detail17trampoline_kernelINS0_14default_configENS1_22reduce_config_selectorIbEEZNS1_11reduce_implILb1ES3_N6hipcub16HIPCUB_304000_NS22TransformInputIteratorIbN2at6native12_GLOBAL__N_19NonZeroOpIlEEPKllEEPiiNS8_6detail34convert_binary_result_type_wrapperINS8_3SumESH_iEEEE10hipError_tPvRmT1_T2_T3_mT4_P12ihipStream_tbEUlT_E1_NS1_11comp_targetILNS1_3genE0ELNS1_11target_archE4294967295ELNS1_3gpuE0ELNS1_3repE0EEENS1_30default_config_static_selectorELNS0_4arch9wavefront6targetE0EEEvSQ_
    .private_segment_fixed_size: 0
    .sgpr_count:     0
    .sgpr_spill_count: 0
    .symbol:         _ZN7rocprim17ROCPRIM_400000_NS6detail17trampoline_kernelINS0_14default_configENS1_22reduce_config_selectorIbEEZNS1_11reduce_implILb1ES3_N6hipcub16HIPCUB_304000_NS22TransformInputIteratorIbN2at6native12_GLOBAL__N_19NonZeroOpIlEEPKllEEPiiNS8_6detail34convert_binary_result_type_wrapperINS8_3SumESH_iEEEE10hipError_tPvRmT1_T2_T3_mT4_P12ihipStream_tbEUlT_E1_NS1_11comp_targetILNS1_3genE0ELNS1_11target_archE4294967295ELNS1_3gpuE0ELNS1_3repE0EEENS1_30default_config_static_selectorELNS0_4arch9wavefront6targetE0EEEvSQ_.kd
    .uniform_work_group_size: 1
    .uses_dynamic_stack: false
    .vgpr_count:     0
    .vgpr_spill_count: 0
    .wavefront_size: 32
    .workgroup_processor_mode: 1
  - .args:
      - .offset:         0
        .size:           48
        .value_kind:     by_value
    .group_segment_fixed_size: 0
    .kernarg_segment_align: 8
    .kernarg_segment_size: 48
    .language:       OpenCL C
    .language_version:
      - 2
      - 0
    .max_flat_workgroup_size: 256
    .name:           _ZN7rocprim17ROCPRIM_400000_NS6detail17trampoline_kernelINS0_14default_configENS1_22reduce_config_selectorIbEEZNS1_11reduce_implILb1ES3_N6hipcub16HIPCUB_304000_NS22TransformInputIteratorIbN2at6native12_GLOBAL__N_19NonZeroOpIlEEPKllEEPiiNS8_6detail34convert_binary_result_type_wrapperINS8_3SumESH_iEEEE10hipError_tPvRmT1_T2_T3_mT4_P12ihipStream_tbEUlT_E1_NS1_11comp_targetILNS1_3genE5ELNS1_11target_archE942ELNS1_3gpuE9ELNS1_3repE0EEENS1_30default_config_static_selectorELNS0_4arch9wavefront6targetE0EEEvSQ_
    .private_segment_fixed_size: 0
    .sgpr_count:     0
    .sgpr_spill_count: 0
    .symbol:         _ZN7rocprim17ROCPRIM_400000_NS6detail17trampoline_kernelINS0_14default_configENS1_22reduce_config_selectorIbEEZNS1_11reduce_implILb1ES3_N6hipcub16HIPCUB_304000_NS22TransformInputIteratorIbN2at6native12_GLOBAL__N_19NonZeroOpIlEEPKllEEPiiNS8_6detail34convert_binary_result_type_wrapperINS8_3SumESH_iEEEE10hipError_tPvRmT1_T2_T3_mT4_P12ihipStream_tbEUlT_E1_NS1_11comp_targetILNS1_3genE5ELNS1_11target_archE942ELNS1_3gpuE9ELNS1_3repE0EEENS1_30default_config_static_selectorELNS0_4arch9wavefront6targetE0EEEvSQ_.kd
    .uniform_work_group_size: 1
    .uses_dynamic_stack: false
    .vgpr_count:     0
    .vgpr_spill_count: 0
    .wavefront_size: 32
    .workgroup_processor_mode: 1
  - .args:
      - .offset:         0
        .size:           48
        .value_kind:     by_value
    .group_segment_fixed_size: 0
    .kernarg_segment_align: 8
    .kernarg_segment_size: 48
    .language:       OpenCL C
    .language_version:
      - 2
      - 0
    .max_flat_workgroup_size: 128
    .name:           _ZN7rocprim17ROCPRIM_400000_NS6detail17trampoline_kernelINS0_14default_configENS1_22reduce_config_selectorIbEEZNS1_11reduce_implILb1ES3_N6hipcub16HIPCUB_304000_NS22TransformInputIteratorIbN2at6native12_GLOBAL__N_19NonZeroOpIlEEPKllEEPiiNS8_6detail34convert_binary_result_type_wrapperINS8_3SumESH_iEEEE10hipError_tPvRmT1_T2_T3_mT4_P12ihipStream_tbEUlT_E1_NS1_11comp_targetILNS1_3genE4ELNS1_11target_archE910ELNS1_3gpuE8ELNS1_3repE0EEENS1_30default_config_static_selectorELNS0_4arch9wavefront6targetE0EEEvSQ_
    .private_segment_fixed_size: 0
    .sgpr_count:     0
    .sgpr_spill_count: 0
    .symbol:         _ZN7rocprim17ROCPRIM_400000_NS6detail17trampoline_kernelINS0_14default_configENS1_22reduce_config_selectorIbEEZNS1_11reduce_implILb1ES3_N6hipcub16HIPCUB_304000_NS22TransformInputIteratorIbN2at6native12_GLOBAL__N_19NonZeroOpIlEEPKllEEPiiNS8_6detail34convert_binary_result_type_wrapperINS8_3SumESH_iEEEE10hipError_tPvRmT1_T2_T3_mT4_P12ihipStream_tbEUlT_E1_NS1_11comp_targetILNS1_3genE4ELNS1_11target_archE910ELNS1_3gpuE8ELNS1_3repE0EEENS1_30default_config_static_selectorELNS0_4arch9wavefront6targetE0EEEvSQ_.kd
    .uniform_work_group_size: 1
    .uses_dynamic_stack: false
    .vgpr_count:     0
    .vgpr_spill_count: 0
    .wavefront_size: 32
    .workgroup_processor_mode: 1
  - .args:
      - .offset:         0
        .size:           48
        .value_kind:     by_value
    .group_segment_fixed_size: 0
    .kernarg_segment_align: 8
    .kernarg_segment_size: 48
    .language:       OpenCL C
    .language_version:
      - 2
      - 0
    .max_flat_workgroup_size: 256
    .name:           _ZN7rocprim17ROCPRIM_400000_NS6detail17trampoline_kernelINS0_14default_configENS1_22reduce_config_selectorIbEEZNS1_11reduce_implILb1ES3_N6hipcub16HIPCUB_304000_NS22TransformInputIteratorIbN2at6native12_GLOBAL__N_19NonZeroOpIlEEPKllEEPiiNS8_6detail34convert_binary_result_type_wrapperINS8_3SumESH_iEEEE10hipError_tPvRmT1_T2_T3_mT4_P12ihipStream_tbEUlT_E1_NS1_11comp_targetILNS1_3genE3ELNS1_11target_archE908ELNS1_3gpuE7ELNS1_3repE0EEENS1_30default_config_static_selectorELNS0_4arch9wavefront6targetE0EEEvSQ_
    .private_segment_fixed_size: 0
    .sgpr_count:     0
    .sgpr_spill_count: 0
    .symbol:         _ZN7rocprim17ROCPRIM_400000_NS6detail17trampoline_kernelINS0_14default_configENS1_22reduce_config_selectorIbEEZNS1_11reduce_implILb1ES3_N6hipcub16HIPCUB_304000_NS22TransformInputIteratorIbN2at6native12_GLOBAL__N_19NonZeroOpIlEEPKllEEPiiNS8_6detail34convert_binary_result_type_wrapperINS8_3SumESH_iEEEE10hipError_tPvRmT1_T2_T3_mT4_P12ihipStream_tbEUlT_E1_NS1_11comp_targetILNS1_3genE3ELNS1_11target_archE908ELNS1_3gpuE7ELNS1_3repE0EEENS1_30default_config_static_selectorELNS0_4arch9wavefront6targetE0EEEvSQ_.kd
    .uniform_work_group_size: 1
    .uses_dynamic_stack: false
    .vgpr_count:     0
    .vgpr_spill_count: 0
    .wavefront_size: 32
    .workgroup_processor_mode: 1
  - .args:
      - .offset:         0
        .size:           48
        .value_kind:     by_value
    .group_segment_fixed_size: 0
    .kernarg_segment_align: 8
    .kernarg_segment_size: 48
    .language:       OpenCL C
    .language_version:
      - 2
      - 0
    .max_flat_workgroup_size: 128
    .name:           _ZN7rocprim17ROCPRIM_400000_NS6detail17trampoline_kernelINS0_14default_configENS1_22reduce_config_selectorIbEEZNS1_11reduce_implILb1ES3_N6hipcub16HIPCUB_304000_NS22TransformInputIteratorIbN2at6native12_GLOBAL__N_19NonZeroOpIlEEPKllEEPiiNS8_6detail34convert_binary_result_type_wrapperINS8_3SumESH_iEEEE10hipError_tPvRmT1_T2_T3_mT4_P12ihipStream_tbEUlT_E1_NS1_11comp_targetILNS1_3genE2ELNS1_11target_archE906ELNS1_3gpuE6ELNS1_3repE0EEENS1_30default_config_static_selectorELNS0_4arch9wavefront6targetE0EEEvSQ_
    .private_segment_fixed_size: 0
    .sgpr_count:     0
    .sgpr_spill_count: 0
    .symbol:         _ZN7rocprim17ROCPRIM_400000_NS6detail17trampoline_kernelINS0_14default_configENS1_22reduce_config_selectorIbEEZNS1_11reduce_implILb1ES3_N6hipcub16HIPCUB_304000_NS22TransformInputIteratorIbN2at6native12_GLOBAL__N_19NonZeroOpIlEEPKllEEPiiNS8_6detail34convert_binary_result_type_wrapperINS8_3SumESH_iEEEE10hipError_tPvRmT1_T2_T3_mT4_P12ihipStream_tbEUlT_E1_NS1_11comp_targetILNS1_3genE2ELNS1_11target_archE906ELNS1_3gpuE6ELNS1_3repE0EEENS1_30default_config_static_selectorELNS0_4arch9wavefront6targetE0EEEvSQ_.kd
    .uniform_work_group_size: 1
    .uses_dynamic_stack: false
    .vgpr_count:     0
    .vgpr_spill_count: 0
    .wavefront_size: 32
    .workgroup_processor_mode: 1
  - .args:
      - .offset:         0
        .size:           48
        .value_kind:     by_value
    .group_segment_fixed_size: 288
    .kernarg_segment_align: 8
    .kernarg_segment_size: 48
    .language:       OpenCL C
    .language_version:
      - 2
      - 0
    .max_flat_workgroup_size: 256
    .name:           _ZN7rocprim17ROCPRIM_400000_NS6detail17trampoline_kernelINS0_14default_configENS1_22reduce_config_selectorIbEEZNS1_11reduce_implILb1ES3_N6hipcub16HIPCUB_304000_NS22TransformInputIteratorIbN2at6native12_GLOBAL__N_19NonZeroOpIlEEPKllEEPiiNS8_6detail34convert_binary_result_type_wrapperINS8_3SumESH_iEEEE10hipError_tPvRmT1_T2_T3_mT4_P12ihipStream_tbEUlT_E1_NS1_11comp_targetILNS1_3genE10ELNS1_11target_archE1201ELNS1_3gpuE5ELNS1_3repE0EEENS1_30default_config_static_selectorELNS0_4arch9wavefront6targetE0EEEvSQ_
    .private_segment_fixed_size: 0
    .sgpr_count:     49
    .sgpr_spill_count: 0
    .symbol:         _ZN7rocprim17ROCPRIM_400000_NS6detail17trampoline_kernelINS0_14default_configENS1_22reduce_config_selectorIbEEZNS1_11reduce_implILb1ES3_N6hipcub16HIPCUB_304000_NS22TransformInputIteratorIbN2at6native12_GLOBAL__N_19NonZeroOpIlEEPKllEEPiiNS8_6detail34convert_binary_result_type_wrapperINS8_3SumESH_iEEEE10hipError_tPvRmT1_T2_T3_mT4_P12ihipStream_tbEUlT_E1_NS1_11comp_targetILNS1_3genE10ELNS1_11target_archE1201ELNS1_3gpuE5ELNS1_3repE0EEENS1_30default_config_static_selectorELNS0_4arch9wavefront6targetE0EEEvSQ_.kd
    .uniform_work_group_size: 1
    .uses_dynamic_stack: false
    .vgpr_count:     141
    .vgpr_spill_count: 0
    .wavefront_size: 32
    .workgroup_processor_mode: 1
  - .args:
      - .offset:         0
        .size:           48
        .value_kind:     by_value
    .group_segment_fixed_size: 0
    .kernarg_segment_align: 8
    .kernarg_segment_size: 48
    .language:       OpenCL C
    .language_version:
      - 2
      - 0
    .max_flat_workgroup_size: 256
    .name:           _ZN7rocprim17ROCPRIM_400000_NS6detail17trampoline_kernelINS0_14default_configENS1_22reduce_config_selectorIbEEZNS1_11reduce_implILb1ES3_N6hipcub16HIPCUB_304000_NS22TransformInputIteratorIbN2at6native12_GLOBAL__N_19NonZeroOpIlEEPKllEEPiiNS8_6detail34convert_binary_result_type_wrapperINS8_3SumESH_iEEEE10hipError_tPvRmT1_T2_T3_mT4_P12ihipStream_tbEUlT_E1_NS1_11comp_targetILNS1_3genE10ELNS1_11target_archE1200ELNS1_3gpuE4ELNS1_3repE0EEENS1_30default_config_static_selectorELNS0_4arch9wavefront6targetE0EEEvSQ_
    .private_segment_fixed_size: 0
    .sgpr_count:     0
    .sgpr_spill_count: 0
    .symbol:         _ZN7rocprim17ROCPRIM_400000_NS6detail17trampoline_kernelINS0_14default_configENS1_22reduce_config_selectorIbEEZNS1_11reduce_implILb1ES3_N6hipcub16HIPCUB_304000_NS22TransformInputIteratorIbN2at6native12_GLOBAL__N_19NonZeroOpIlEEPKllEEPiiNS8_6detail34convert_binary_result_type_wrapperINS8_3SumESH_iEEEE10hipError_tPvRmT1_T2_T3_mT4_P12ihipStream_tbEUlT_E1_NS1_11comp_targetILNS1_3genE10ELNS1_11target_archE1200ELNS1_3gpuE4ELNS1_3repE0EEENS1_30default_config_static_selectorELNS0_4arch9wavefront6targetE0EEEvSQ_.kd
    .uniform_work_group_size: 1
    .uses_dynamic_stack: false
    .vgpr_count:     0
    .vgpr_spill_count: 0
    .wavefront_size: 32
    .workgroup_processor_mode: 1
  - .args:
      - .offset:         0
        .size:           48
        .value_kind:     by_value
    .group_segment_fixed_size: 0
    .kernarg_segment_align: 8
    .kernarg_segment_size: 48
    .language:       OpenCL C
    .language_version:
      - 2
      - 0
    .max_flat_workgroup_size: 128
    .name:           _ZN7rocprim17ROCPRIM_400000_NS6detail17trampoline_kernelINS0_14default_configENS1_22reduce_config_selectorIbEEZNS1_11reduce_implILb1ES3_N6hipcub16HIPCUB_304000_NS22TransformInputIteratorIbN2at6native12_GLOBAL__N_19NonZeroOpIlEEPKllEEPiiNS8_6detail34convert_binary_result_type_wrapperINS8_3SumESH_iEEEE10hipError_tPvRmT1_T2_T3_mT4_P12ihipStream_tbEUlT_E1_NS1_11comp_targetILNS1_3genE9ELNS1_11target_archE1100ELNS1_3gpuE3ELNS1_3repE0EEENS1_30default_config_static_selectorELNS0_4arch9wavefront6targetE0EEEvSQ_
    .private_segment_fixed_size: 0
    .sgpr_count:     0
    .sgpr_spill_count: 0
    .symbol:         _ZN7rocprim17ROCPRIM_400000_NS6detail17trampoline_kernelINS0_14default_configENS1_22reduce_config_selectorIbEEZNS1_11reduce_implILb1ES3_N6hipcub16HIPCUB_304000_NS22TransformInputIteratorIbN2at6native12_GLOBAL__N_19NonZeroOpIlEEPKllEEPiiNS8_6detail34convert_binary_result_type_wrapperINS8_3SumESH_iEEEE10hipError_tPvRmT1_T2_T3_mT4_P12ihipStream_tbEUlT_E1_NS1_11comp_targetILNS1_3genE9ELNS1_11target_archE1100ELNS1_3gpuE3ELNS1_3repE0EEENS1_30default_config_static_selectorELNS0_4arch9wavefront6targetE0EEEvSQ_.kd
    .uniform_work_group_size: 1
    .uses_dynamic_stack: false
    .vgpr_count:     0
    .vgpr_spill_count: 0
    .wavefront_size: 32
    .workgroup_processor_mode: 1
  - .args:
      - .offset:         0
        .size:           48
        .value_kind:     by_value
    .group_segment_fixed_size: 0
    .kernarg_segment_align: 8
    .kernarg_segment_size: 48
    .language:       OpenCL C
    .language_version:
      - 2
      - 0
    .max_flat_workgroup_size: 256
    .name:           _ZN7rocprim17ROCPRIM_400000_NS6detail17trampoline_kernelINS0_14default_configENS1_22reduce_config_selectorIbEEZNS1_11reduce_implILb1ES3_N6hipcub16HIPCUB_304000_NS22TransformInputIteratorIbN2at6native12_GLOBAL__N_19NonZeroOpIlEEPKllEEPiiNS8_6detail34convert_binary_result_type_wrapperINS8_3SumESH_iEEEE10hipError_tPvRmT1_T2_T3_mT4_P12ihipStream_tbEUlT_E1_NS1_11comp_targetILNS1_3genE8ELNS1_11target_archE1030ELNS1_3gpuE2ELNS1_3repE0EEENS1_30default_config_static_selectorELNS0_4arch9wavefront6targetE0EEEvSQ_
    .private_segment_fixed_size: 0
    .sgpr_count:     0
    .sgpr_spill_count: 0
    .symbol:         _ZN7rocprim17ROCPRIM_400000_NS6detail17trampoline_kernelINS0_14default_configENS1_22reduce_config_selectorIbEEZNS1_11reduce_implILb1ES3_N6hipcub16HIPCUB_304000_NS22TransformInputIteratorIbN2at6native12_GLOBAL__N_19NonZeroOpIlEEPKllEEPiiNS8_6detail34convert_binary_result_type_wrapperINS8_3SumESH_iEEEE10hipError_tPvRmT1_T2_T3_mT4_P12ihipStream_tbEUlT_E1_NS1_11comp_targetILNS1_3genE8ELNS1_11target_archE1030ELNS1_3gpuE2ELNS1_3repE0EEENS1_30default_config_static_selectorELNS0_4arch9wavefront6targetE0EEEvSQ_.kd
    .uniform_work_group_size: 1
    .uses_dynamic_stack: false
    .vgpr_count:     0
    .vgpr_spill_count: 0
    .wavefront_size: 32
    .workgroup_processor_mode: 1
  - .args:
      - .offset:         0
        .size:           120
        .value_kind:     by_value
    .group_segment_fixed_size: 0
    .kernarg_segment_align: 8
    .kernarg_segment_size: 120
    .language:       OpenCL C
    .language_version:
      - 2
      - 0
    .max_flat_workgroup_size: 128
    .name:           _ZN7rocprim17ROCPRIM_400000_NS6detail17trampoline_kernelINS0_14default_configENS1_25partition_config_selectorILNS1_17partition_subalgoE5ElNS0_10empty_typeEbEEZZNS1_14partition_implILS5_5ELb0ES3_mN6hipcub16HIPCUB_304000_NS21CountingInputIteratorIllEEPS6_NSA_22TransformInputIteratorIbN2at6native12_GLOBAL__N_19NonZeroOpIlEEPKllEENS0_5tupleIJPlS6_EEENSN_IJSD_SD_EEES6_PiJS6_EEE10hipError_tPvRmT3_T4_T5_T6_T7_T9_mT8_P12ihipStream_tbDpT10_ENKUlT_T0_E_clISt17integral_constantIbLb0EES1B_EEDaS16_S17_EUlS16_E_NS1_11comp_targetILNS1_3genE0ELNS1_11target_archE4294967295ELNS1_3gpuE0ELNS1_3repE0EEENS1_30default_config_static_selectorELNS0_4arch9wavefront6targetE0EEEvT1_
    .private_segment_fixed_size: 0
    .sgpr_count:     0
    .sgpr_spill_count: 0
    .symbol:         _ZN7rocprim17ROCPRIM_400000_NS6detail17trampoline_kernelINS0_14default_configENS1_25partition_config_selectorILNS1_17partition_subalgoE5ElNS0_10empty_typeEbEEZZNS1_14partition_implILS5_5ELb0ES3_mN6hipcub16HIPCUB_304000_NS21CountingInputIteratorIllEEPS6_NSA_22TransformInputIteratorIbN2at6native12_GLOBAL__N_19NonZeroOpIlEEPKllEENS0_5tupleIJPlS6_EEENSN_IJSD_SD_EEES6_PiJS6_EEE10hipError_tPvRmT3_T4_T5_T6_T7_T9_mT8_P12ihipStream_tbDpT10_ENKUlT_T0_E_clISt17integral_constantIbLb0EES1B_EEDaS16_S17_EUlS16_E_NS1_11comp_targetILNS1_3genE0ELNS1_11target_archE4294967295ELNS1_3gpuE0ELNS1_3repE0EEENS1_30default_config_static_selectorELNS0_4arch9wavefront6targetE0EEEvT1_.kd
    .uniform_work_group_size: 1
    .uses_dynamic_stack: false
    .vgpr_count:     0
    .vgpr_spill_count: 0
    .wavefront_size: 32
    .workgroup_processor_mode: 1
  - .args:
      - .offset:         0
        .size:           120
        .value_kind:     by_value
    .group_segment_fixed_size: 0
    .kernarg_segment_align: 8
    .kernarg_segment_size: 120
    .language:       OpenCL C
    .language_version:
      - 2
      - 0
    .max_flat_workgroup_size: 512
    .name:           _ZN7rocprim17ROCPRIM_400000_NS6detail17trampoline_kernelINS0_14default_configENS1_25partition_config_selectorILNS1_17partition_subalgoE5ElNS0_10empty_typeEbEEZZNS1_14partition_implILS5_5ELb0ES3_mN6hipcub16HIPCUB_304000_NS21CountingInputIteratorIllEEPS6_NSA_22TransformInputIteratorIbN2at6native12_GLOBAL__N_19NonZeroOpIlEEPKllEENS0_5tupleIJPlS6_EEENSN_IJSD_SD_EEES6_PiJS6_EEE10hipError_tPvRmT3_T4_T5_T6_T7_T9_mT8_P12ihipStream_tbDpT10_ENKUlT_T0_E_clISt17integral_constantIbLb0EES1B_EEDaS16_S17_EUlS16_E_NS1_11comp_targetILNS1_3genE5ELNS1_11target_archE942ELNS1_3gpuE9ELNS1_3repE0EEENS1_30default_config_static_selectorELNS0_4arch9wavefront6targetE0EEEvT1_
    .private_segment_fixed_size: 0
    .sgpr_count:     0
    .sgpr_spill_count: 0
    .symbol:         _ZN7rocprim17ROCPRIM_400000_NS6detail17trampoline_kernelINS0_14default_configENS1_25partition_config_selectorILNS1_17partition_subalgoE5ElNS0_10empty_typeEbEEZZNS1_14partition_implILS5_5ELb0ES3_mN6hipcub16HIPCUB_304000_NS21CountingInputIteratorIllEEPS6_NSA_22TransformInputIteratorIbN2at6native12_GLOBAL__N_19NonZeroOpIlEEPKllEENS0_5tupleIJPlS6_EEENSN_IJSD_SD_EEES6_PiJS6_EEE10hipError_tPvRmT3_T4_T5_T6_T7_T9_mT8_P12ihipStream_tbDpT10_ENKUlT_T0_E_clISt17integral_constantIbLb0EES1B_EEDaS16_S17_EUlS16_E_NS1_11comp_targetILNS1_3genE5ELNS1_11target_archE942ELNS1_3gpuE9ELNS1_3repE0EEENS1_30default_config_static_selectorELNS0_4arch9wavefront6targetE0EEEvT1_.kd
    .uniform_work_group_size: 1
    .uses_dynamic_stack: false
    .vgpr_count:     0
    .vgpr_spill_count: 0
    .wavefront_size: 32
    .workgroup_processor_mode: 1
  - .args:
      - .offset:         0
        .size:           120
        .value_kind:     by_value
    .group_segment_fixed_size: 0
    .kernarg_segment_align: 8
    .kernarg_segment_size: 120
    .language:       OpenCL C
    .language_version:
      - 2
      - 0
    .max_flat_workgroup_size: 192
    .name:           _ZN7rocprim17ROCPRIM_400000_NS6detail17trampoline_kernelINS0_14default_configENS1_25partition_config_selectorILNS1_17partition_subalgoE5ElNS0_10empty_typeEbEEZZNS1_14partition_implILS5_5ELb0ES3_mN6hipcub16HIPCUB_304000_NS21CountingInputIteratorIllEEPS6_NSA_22TransformInputIteratorIbN2at6native12_GLOBAL__N_19NonZeroOpIlEEPKllEENS0_5tupleIJPlS6_EEENSN_IJSD_SD_EEES6_PiJS6_EEE10hipError_tPvRmT3_T4_T5_T6_T7_T9_mT8_P12ihipStream_tbDpT10_ENKUlT_T0_E_clISt17integral_constantIbLb0EES1B_EEDaS16_S17_EUlS16_E_NS1_11comp_targetILNS1_3genE4ELNS1_11target_archE910ELNS1_3gpuE8ELNS1_3repE0EEENS1_30default_config_static_selectorELNS0_4arch9wavefront6targetE0EEEvT1_
    .private_segment_fixed_size: 0
    .sgpr_count:     0
    .sgpr_spill_count: 0
    .symbol:         _ZN7rocprim17ROCPRIM_400000_NS6detail17trampoline_kernelINS0_14default_configENS1_25partition_config_selectorILNS1_17partition_subalgoE5ElNS0_10empty_typeEbEEZZNS1_14partition_implILS5_5ELb0ES3_mN6hipcub16HIPCUB_304000_NS21CountingInputIteratorIllEEPS6_NSA_22TransformInputIteratorIbN2at6native12_GLOBAL__N_19NonZeroOpIlEEPKllEENS0_5tupleIJPlS6_EEENSN_IJSD_SD_EEES6_PiJS6_EEE10hipError_tPvRmT3_T4_T5_T6_T7_T9_mT8_P12ihipStream_tbDpT10_ENKUlT_T0_E_clISt17integral_constantIbLb0EES1B_EEDaS16_S17_EUlS16_E_NS1_11comp_targetILNS1_3genE4ELNS1_11target_archE910ELNS1_3gpuE8ELNS1_3repE0EEENS1_30default_config_static_selectorELNS0_4arch9wavefront6targetE0EEEvT1_.kd
    .uniform_work_group_size: 1
    .uses_dynamic_stack: false
    .vgpr_count:     0
    .vgpr_spill_count: 0
    .wavefront_size: 32
    .workgroup_processor_mode: 1
  - .args:
      - .offset:         0
        .size:           120
        .value_kind:     by_value
    .group_segment_fixed_size: 0
    .kernarg_segment_align: 8
    .kernarg_segment_size: 120
    .language:       OpenCL C
    .language_version:
      - 2
      - 0
    .max_flat_workgroup_size: 128
    .name:           _ZN7rocprim17ROCPRIM_400000_NS6detail17trampoline_kernelINS0_14default_configENS1_25partition_config_selectorILNS1_17partition_subalgoE5ElNS0_10empty_typeEbEEZZNS1_14partition_implILS5_5ELb0ES3_mN6hipcub16HIPCUB_304000_NS21CountingInputIteratorIllEEPS6_NSA_22TransformInputIteratorIbN2at6native12_GLOBAL__N_19NonZeroOpIlEEPKllEENS0_5tupleIJPlS6_EEENSN_IJSD_SD_EEES6_PiJS6_EEE10hipError_tPvRmT3_T4_T5_T6_T7_T9_mT8_P12ihipStream_tbDpT10_ENKUlT_T0_E_clISt17integral_constantIbLb0EES1B_EEDaS16_S17_EUlS16_E_NS1_11comp_targetILNS1_3genE3ELNS1_11target_archE908ELNS1_3gpuE7ELNS1_3repE0EEENS1_30default_config_static_selectorELNS0_4arch9wavefront6targetE0EEEvT1_
    .private_segment_fixed_size: 0
    .sgpr_count:     0
    .sgpr_spill_count: 0
    .symbol:         _ZN7rocprim17ROCPRIM_400000_NS6detail17trampoline_kernelINS0_14default_configENS1_25partition_config_selectorILNS1_17partition_subalgoE5ElNS0_10empty_typeEbEEZZNS1_14partition_implILS5_5ELb0ES3_mN6hipcub16HIPCUB_304000_NS21CountingInputIteratorIllEEPS6_NSA_22TransformInputIteratorIbN2at6native12_GLOBAL__N_19NonZeroOpIlEEPKllEENS0_5tupleIJPlS6_EEENSN_IJSD_SD_EEES6_PiJS6_EEE10hipError_tPvRmT3_T4_T5_T6_T7_T9_mT8_P12ihipStream_tbDpT10_ENKUlT_T0_E_clISt17integral_constantIbLb0EES1B_EEDaS16_S17_EUlS16_E_NS1_11comp_targetILNS1_3genE3ELNS1_11target_archE908ELNS1_3gpuE7ELNS1_3repE0EEENS1_30default_config_static_selectorELNS0_4arch9wavefront6targetE0EEEvT1_.kd
    .uniform_work_group_size: 1
    .uses_dynamic_stack: false
    .vgpr_count:     0
    .vgpr_spill_count: 0
    .wavefront_size: 32
    .workgroup_processor_mode: 1
  - .args:
      - .offset:         0
        .size:           120
        .value_kind:     by_value
    .group_segment_fixed_size: 0
    .kernarg_segment_align: 8
    .kernarg_segment_size: 120
    .language:       OpenCL C
    .language_version:
      - 2
      - 0
    .max_flat_workgroup_size: 256
    .name:           _ZN7rocprim17ROCPRIM_400000_NS6detail17trampoline_kernelINS0_14default_configENS1_25partition_config_selectorILNS1_17partition_subalgoE5ElNS0_10empty_typeEbEEZZNS1_14partition_implILS5_5ELb0ES3_mN6hipcub16HIPCUB_304000_NS21CountingInputIteratorIllEEPS6_NSA_22TransformInputIteratorIbN2at6native12_GLOBAL__N_19NonZeroOpIlEEPKllEENS0_5tupleIJPlS6_EEENSN_IJSD_SD_EEES6_PiJS6_EEE10hipError_tPvRmT3_T4_T5_T6_T7_T9_mT8_P12ihipStream_tbDpT10_ENKUlT_T0_E_clISt17integral_constantIbLb0EES1B_EEDaS16_S17_EUlS16_E_NS1_11comp_targetILNS1_3genE2ELNS1_11target_archE906ELNS1_3gpuE6ELNS1_3repE0EEENS1_30default_config_static_selectorELNS0_4arch9wavefront6targetE0EEEvT1_
    .private_segment_fixed_size: 0
    .sgpr_count:     0
    .sgpr_spill_count: 0
    .symbol:         _ZN7rocprim17ROCPRIM_400000_NS6detail17trampoline_kernelINS0_14default_configENS1_25partition_config_selectorILNS1_17partition_subalgoE5ElNS0_10empty_typeEbEEZZNS1_14partition_implILS5_5ELb0ES3_mN6hipcub16HIPCUB_304000_NS21CountingInputIteratorIllEEPS6_NSA_22TransformInputIteratorIbN2at6native12_GLOBAL__N_19NonZeroOpIlEEPKllEENS0_5tupleIJPlS6_EEENSN_IJSD_SD_EEES6_PiJS6_EEE10hipError_tPvRmT3_T4_T5_T6_T7_T9_mT8_P12ihipStream_tbDpT10_ENKUlT_T0_E_clISt17integral_constantIbLb0EES1B_EEDaS16_S17_EUlS16_E_NS1_11comp_targetILNS1_3genE2ELNS1_11target_archE906ELNS1_3gpuE6ELNS1_3repE0EEENS1_30default_config_static_selectorELNS0_4arch9wavefront6targetE0EEEvT1_.kd
    .uniform_work_group_size: 1
    .uses_dynamic_stack: false
    .vgpr_count:     0
    .vgpr_spill_count: 0
    .wavefront_size: 32
    .workgroup_processor_mode: 1
  - .args:
      - .offset:         0
        .size:           120
        .value_kind:     by_value
    .group_segment_fixed_size: 8464
    .kernarg_segment_align: 8
    .kernarg_segment_size: 120
    .language:       OpenCL C
    .language_version:
      - 2
      - 0
    .max_flat_workgroup_size: 256
    .name:           _ZN7rocprim17ROCPRIM_400000_NS6detail17trampoline_kernelINS0_14default_configENS1_25partition_config_selectorILNS1_17partition_subalgoE5ElNS0_10empty_typeEbEEZZNS1_14partition_implILS5_5ELb0ES3_mN6hipcub16HIPCUB_304000_NS21CountingInputIteratorIllEEPS6_NSA_22TransformInputIteratorIbN2at6native12_GLOBAL__N_19NonZeroOpIlEEPKllEENS0_5tupleIJPlS6_EEENSN_IJSD_SD_EEES6_PiJS6_EEE10hipError_tPvRmT3_T4_T5_T6_T7_T9_mT8_P12ihipStream_tbDpT10_ENKUlT_T0_E_clISt17integral_constantIbLb0EES1B_EEDaS16_S17_EUlS16_E_NS1_11comp_targetILNS1_3genE10ELNS1_11target_archE1200ELNS1_3gpuE4ELNS1_3repE0EEENS1_30default_config_static_selectorELNS0_4arch9wavefront6targetE0EEEvT1_
    .private_segment_fixed_size: 0
    .sgpr_count:     22
    .sgpr_spill_count: 0
    .symbol:         _ZN7rocprim17ROCPRIM_400000_NS6detail17trampoline_kernelINS0_14default_configENS1_25partition_config_selectorILNS1_17partition_subalgoE5ElNS0_10empty_typeEbEEZZNS1_14partition_implILS5_5ELb0ES3_mN6hipcub16HIPCUB_304000_NS21CountingInputIteratorIllEEPS6_NSA_22TransformInputIteratorIbN2at6native12_GLOBAL__N_19NonZeroOpIlEEPKllEENS0_5tupleIJPlS6_EEENSN_IJSD_SD_EEES6_PiJS6_EEE10hipError_tPvRmT3_T4_T5_T6_T7_T9_mT8_P12ihipStream_tbDpT10_ENKUlT_T0_E_clISt17integral_constantIbLb0EES1B_EEDaS16_S17_EUlS16_E_NS1_11comp_targetILNS1_3genE10ELNS1_11target_archE1200ELNS1_3gpuE4ELNS1_3repE0EEENS1_30default_config_static_selectorELNS0_4arch9wavefront6targetE0EEEvT1_.kd
    .uniform_work_group_size: 1
    .uses_dynamic_stack: false
    .vgpr_count:     46
    .vgpr_spill_count: 0
    .wavefront_size: 32
    .workgroup_processor_mode: 1
  - .args:
      - .offset:         0
        .size:           120
        .value_kind:     by_value
    .group_segment_fixed_size: 0
    .kernarg_segment_align: 8
    .kernarg_segment_size: 120
    .language:       OpenCL C
    .language_version:
      - 2
      - 0
    .max_flat_workgroup_size: 128
    .name:           _ZN7rocprim17ROCPRIM_400000_NS6detail17trampoline_kernelINS0_14default_configENS1_25partition_config_selectorILNS1_17partition_subalgoE5ElNS0_10empty_typeEbEEZZNS1_14partition_implILS5_5ELb0ES3_mN6hipcub16HIPCUB_304000_NS21CountingInputIteratorIllEEPS6_NSA_22TransformInputIteratorIbN2at6native12_GLOBAL__N_19NonZeroOpIlEEPKllEENS0_5tupleIJPlS6_EEENSN_IJSD_SD_EEES6_PiJS6_EEE10hipError_tPvRmT3_T4_T5_T6_T7_T9_mT8_P12ihipStream_tbDpT10_ENKUlT_T0_E_clISt17integral_constantIbLb0EES1B_EEDaS16_S17_EUlS16_E_NS1_11comp_targetILNS1_3genE9ELNS1_11target_archE1100ELNS1_3gpuE3ELNS1_3repE0EEENS1_30default_config_static_selectorELNS0_4arch9wavefront6targetE0EEEvT1_
    .private_segment_fixed_size: 0
    .sgpr_count:     0
    .sgpr_spill_count: 0
    .symbol:         _ZN7rocprim17ROCPRIM_400000_NS6detail17trampoline_kernelINS0_14default_configENS1_25partition_config_selectorILNS1_17partition_subalgoE5ElNS0_10empty_typeEbEEZZNS1_14partition_implILS5_5ELb0ES3_mN6hipcub16HIPCUB_304000_NS21CountingInputIteratorIllEEPS6_NSA_22TransformInputIteratorIbN2at6native12_GLOBAL__N_19NonZeroOpIlEEPKllEENS0_5tupleIJPlS6_EEENSN_IJSD_SD_EEES6_PiJS6_EEE10hipError_tPvRmT3_T4_T5_T6_T7_T9_mT8_P12ihipStream_tbDpT10_ENKUlT_T0_E_clISt17integral_constantIbLb0EES1B_EEDaS16_S17_EUlS16_E_NS1_11comp_targetILNS1_3genE9ELNS1_11target_archE1100ELNS1_3gpuE3ELNS1_3repE0EEENS1_30default_config_static_selectorELNS0_4arch9wavefront6targetE0EEEvT1_.kd
    .uniform_work_group_size: 1
    .uses_dynamic_stack: false
    .vgpr_count:     0
    .vgpr_spill_count: 0
    .wavefront_size: 32
    .workgroup_processor_mode: 1
  - .args:
      - .offset:         0
        .size:           120
        .value_kind:     by_value
    .group_segment_fixed_size: 0
    .kernarg_segment_align: 8
    .kernarg_segment_size: 120
    .language:       OpenCL C
    .language_version:
      - 2
      - 0
    .max_flat_workgroup_size: 512
    .name:           _ZN7rocprim17ROCPRIM_400000_NS6detail17trampoline_kernelINS0_14default_configENS1_25partition_config_selectorILNS1_17partition_subalgoE5ElNS0_10empty_typeEbEEZZNS1_14partition_implILS5_5ELb0ES3_mN6hipcub16HIPCUB_304000_NS21CountingInputIteratorIllEEPS6_NSA_22TransformInputIteratorIbN2at6native12_GLOBAL__N_19NonZeroOpIlEEPKllEENS0_5tupleIJPlS6_EEENSN_IJSD_SD_EEES6_PiJS6_EEE10hipError_tPvRmT3_T4_T5_T6_T7_T9_mT8_P12ihipStream_tbDpT10_ENKUlT_T0_E_clISt17integral_constantIbLb0EES1B_EEDaS16_S17_EUlS16_E_NS1_11comp_targetILNS1_3genE8ELNS1_11target_archE1030ELNS1_3gpuE2ELNS1_3repE0EEENS1_30default_config_static_selectorELNS0_4arch9wavefront6targetE0EEEvT1_
    .private_segment_fixed_size: 0
    .sgpr_count:     0
    .sgpr_spill_count: 0
    .symbol:         _ZN7rocprim17ROCPRIM_400000_NS6detail17trampoline_kernelINS0_14default_configENS1_25partition_config_selectorILNS1_17partition_subalgoE5ElNS0_10empty_typeEbEEZZNS1_14partition_implILS5_5ELb0ES3_mN6hipcub16HIPCUB_304000_NS21CountingInputIteratorIllEEPS6_NSA_22TransformInputIteratorIbN2at6native12_GLOBAL__N_19NonZeroOpIlEEPKllEENS0_5tupleIJPlS6_EEENSN_IJSD_SD_EEES6_PiJS6_EEE10hipError_tPvRmT3_T4_T5_T6_T7_T9_mT8_P12ihipStream_tbDpT10_ENKUlT_T0_E_clISt17integral_constantIbLb0EES1B_EEDaS16_S17_EUlS16_E_NS1_11comp_targetILNS1_3genE8ELNS1_11target_archE1030ELNS1_3gpuE2ELNS1_3repE0EEENS1_30default_config_static_selectorELNS0_4arch9wavefront6targetE0EEEvT1_.kd
    .uniform_work_group_size: 1
    .uses_dynamic_stack: false
    .vgpr_count:     0
    .vgpr_spill_count: 0
    .wavefront_size: 32
    .workgroup_processor_mode: 1
  - .args:
      - .offset:         0
        .size:           136
        .value_kind:     by_value
    .group_segment_fixed_size: 0
    .kernarg_segment_align: 8
    .kernarg_segment_size: 136
    .language:       OpenCL C
    .language_version:
      - 2
      - 0
    .max_flat_workgroup_size: 128
    .name:           _ZN7rocprim17ROCPRIM_400000_NS6detail17trampoline_kernelINS0_14default_configENS1_25partition_config_selectorILNS1_17partition_subalgoE5ElNS0_10empty_typeEbEEZZNS1_14partition_implILS5_5ELb0ES3_mN6hipcub16HIPCUB_304000_NS21CountingInputIteratorIllEEPS6_NSA_22TransformInputIteratorIbN2at6native12_GLOBAL__N_19NonZeroOpIlEEPKllEENS0_5tupleIJPlS6_EEENSN_IJSD_SD_EEES6_PiJS6_EEE10hipError_tPvRmT3_T4_T5_T6_T7_T9_mT8_P12ihipStream_tbDpT10_ENKUlT_T0_E_clISt17integral_constantIbLb1EES1B_EEDaS16_S17_EUlS16_E_NS1_11comp_targetILNS1_3genE0ELNS1_11target_archE4294967295ELNS1_3gpuE0ELNS1_3repE0EEENS1_30default_config_static_selectorELNS0_4arch9wavefront6targetE0EEEvT1_
    .private_segment_fixed_size: 0
    .sgpr_count:     0
    .sgpr_spill_count: 0
    .symbol:         _ZN7rocprim17ROCPRIM_400000_NS6detail17trampoline_kernelINS0_14default_configENS1_25partition_config_selectorILNS1_17partition_subalgoE5ElNS0_10empty_typeEbEEZZNS1_14partition_implILS5_5ELb0ES3_mN6hipcub16HIPCUB_304000_NS21CountingInputIteratorIllEEPS6_NSA_22TransformInputIteratorIbN2at6native12_GLOBAL__N_19NonZeroOpIlEEPKllEENS0_5tupleIJPlS6_EEENSN_IJSD_SD_EEES6_PiJS6_EEE10hipError_tPvRmT3_T4_T5_T6_T7_T9_mT8_P12ihipStream_tbDpT10_ENKUlT_T0_E_clISt17integral_constantIbLb1EES1B_EEDaS16_S17_EUlS16_E_NS1_11comp_targetILNS1_3genE0ELNS1_11target_archE4294967295ELNS1_3gpuE0ELNS1_3repE0EEENS1_30default_config_static_selectorELNS0_4arch9wavefront6targetE0EEEvT1_.kd
    .uniform_work_group_size: 1
    .uses_dynamic_stack: false
    .vgpr_count:     0
    .vgpr_spill_count: 0
    .wavefront_size: 32
    .workgroup_processor_mode: 1
  - .args:
      - .offset:         0
        .size:           136
        .value_kind:     by_value
    .group_segment_fixed_size: 0
    .kernarg_segment_align: 8
    .kernarg_segment_size: 136
    .language:       OpenCL C
    .language_version:
      - 2
      - 0
    .max_flat_workgroup_size: 512
    .name:           _ZN7rocprim17ROCPRIM_400000_NS6detail17trampoline_kernelINS0_14default_configENS1_25partition_config_selectorILNS1_17partition_subalgoE5ElNS0_10empty_typeEbEEZZNS1_14partition_implILS5_5ELb0ES3_mN6hipcub16HIPCUB_304000_NS21CountingInputIteratorIllEEPS6_NSA_22TransformInputIteratorIbN2at6native12_GLOBAL__N_19NonZeroOpIlEEPKllEENS0_5tupleIJPlS6_EEENSN_IJSD_SD_EEES6_PiJS6_EEE10hipError_tPvRmT3_T4_T5_T6_T7_T9_mT8_P12ihipStream_tbDpT10_ENKUlT_T0_E_clISt17integral_constantIbLb1EES1B_EEDaS16_S17_EUlS16_E_NS1_11comp_targetILNS1_3genE5ELNS1_11target_archE942ELNS1_3gpuE9ELNS1_3repE0EEENS1_30default_config_static_selectorELNS0_4arch9wavefront6targetE0EEEvT1_
    .private_segment_fixed_size: 0
    .sgpr_count:     0
    .sgpr_spill_count: 0
    .symbol:         _ZN7rocprim17ROCPRIM_400000_NS6detail17trampoline_kernelINS0_14default_configENS1_25partition_config_selectorILNS1_17partition_subalgoE5ElNS0_10empty_typeEbEEZZNS1_14partition_implILS5_5ELb0ES3_mN6hipcub16HIPCUB_304000_NS21CountingInputIteratorIllEEPS6_NSA_22TransformInputIteratorIbN2at6native12_GLOBAL__N_19NonZeroOpIlEEPKllEENS0_5tupleIJPlS6_EEENSN_IJSD_SD_EEES6_PiJS6_EEE10hipError_tPvRmT3_T4_T5_T6_T7_T9_mT8_P12ihipStream_tbDpT10_ENKUlT_T0_E_clISt17integral_constantIbLb1EES1B_EEDaS16_S17_EUlS16_E_NS1_11comp_targetILNS1_3genE5ELNS1_11target_archE942ELNS1_3gpuE9ELNS1_3repE0EEENS1_30default_config_static_selectorELNS0_4arch9wavefront6targetE0EEEvT1_.kd
    .uniform_work_group_size: 1
    .uses_dynamic_stack: false
    .vgpr_count:     0
    .vgpr_spill_count: 0
    .wavefront_size: 32
    .workgroup_processor_mode: 1
  - .args:
      - .offset:         0
        .size:           136
        .value_kind:     by_value
    .group_segment_fixed_size: 0
    .kernarg_segment_align: 8
    .kernarg_segment_size: 136
    .language:       OpenCL C
    .language_version:
      - 2
      - 0
    .max_flat_workgroup_size: 192
    .name:           _ZN7rocprim17ROCPRIM_400000_NS6detail17trampoline_kernelINS0_14default_configENS1_25partition_config_selectorILNS1_17partition_subalgoE5ElNS0_10empty_typeEbEEZZNS1_14partition_implILS5_5ELb0ES3_mN6hipcub16HIPCUB_304000_NS21CountingInputIteratorIllEEPS6_NSA_22TransformInputIteratorIbN2at6native12_GLOBAL__N_19NonZeroOpIlEEPKllEENS0_5tupleIJPlS6_EEENSN_IJSD_SD_EEES6_PiJS6_EEE10hipError_tPvRmT3_T4_T5_T6_T7_T9_mT8_P12ihipStream_tbDpT10_ENKUlT_T0_E_clISt17integral_constantIbLb1EES1B_EEDaS16_S17_EUlS16_E_NS1_11comp_targetILNS1_3genE4ELNS1_11target_archE910ELNS1_3gpuE8ELNS1_3repE0EEENS1_30default_config_static_selectorELNS0_4arch9wavefront6targetE0EEEvT1_
    .private_segment_fixed_size: 0
    .sgpr_count:     0
    .sgpr_spill_count: 0
    .symbol:         _ZN7rocprim17ROCPRIM_400000_NS6detail17trampoline_kernelINS0_14default_configENS1_25partition_config_selectorILNS1_17partition_subalgoE5ElNS0_10empty_typeEbEEZZNS1_14partition_implILS5_5ELb0ES3_mN6hipcub16HIPCUB_304000_NS21CountingInputIteratorIllEEPS6_NSA_22TransformInputIteratorIbN2at6native12_GLOBAL__N_19NonZeroOpIlEEPKllEENS0_5tupleIJPlS6_EEENSN_IJSD_SD_EEES6_PiJS6_EEE10hipError_tPvRmT3_T4_T5_T6_T7_T9_mT8_P12ihipStream_tbDpT10_ENKUlT_T0_E_clISt17integral_constantIbLb1EES1B_EEDaS16_S17_EUlS16_E_NS1_11comp_targetILNS1_3genE4ELNS1_11target_archE910ELNS1_3gpuE8ELNS1_3repE0EEENS1_30default_config_static_selectorELNS0_4arch9wavefront6targetE0EEEvT1_.kd
    .uniform_work_group_size: 1
    .uses_dynamic_stack: false
    .vgpr_count:     0
    .vgpr_spill_count: 0
    .wavefront_size: 32
    .workgroup_processor_mode: 1
  - .args:
      - .offset:         0
        .size:           136
        .value_kind:     by_value
    .group_segment_fixed_size: 0
    .kernarg_segment_align: 8
    .kernarg_segment_size: 136
    .language:       OpenCL C
    .language_version:
      - 2
      - 0
    .max_flat_workgroup_size: 128
    .name:           _ZN7rocprim17ROCPRIM_400000_NS6detail17trampoline_kernelINS0_14default_configENS1_25partition_config_selectorILNS1_17partition_subalgoE5ElNS0_10empty_typeEbEEZZNS1_14partition_implILS5_5ELb0ES3_mN6hipcub16HIPCUB_304000_NS21CountingInputIteratorIllEEPS6_NSA_22TransformInputIteratorIbN2at6native12_GLOBAL__N_19NonZeroOpIlEEPKllEENS0_5tupleIJPlS6_EEENSN_IJSD_SD_EEES6_PiJS6_EEE10hipError_tPvRmT3_T4_T5_T6_T7_T9_mT8_P12ihipStream_tbDpT10_ENKUlT_T0_E_clISt17integral_constantIbLb1EES1B_EEDaS16_S17_EUlS16_E_NS1_11comp_targetILNS1_3genE3ELNS1_11target_archE908ELNS1_3gpuE7ELNS1_3repE0EEENS1_30default_config_static_selectorELNS0_4arch9wavefront6targetE0EEEvT1_
    .private_segment_fixed_size: 0
    .sgpr_count:     0
    .sgpr_spill_count: 0
    .symbol:         _ZN7rocprim17ROCPRIM_400000_NS6detail17trampoline_kernelINS0_14default_configENS1_25partition_config_selectorILNS1_17partition_subalgoE5ElNS0_10empty_typeEbEEZZNS1_14partition_implILS5_5ELb0ES3_mN6hipcub16HIPCUB_304000_NS21CountingInputIteratorIllEEPS6_NSA_22TransformInputIteratorIbN2at6native12_GLOBAL__N_19NonZeroOpIlEEPKllEENS0_5tupleIJPlS6_EEENSN_IJSD_SD_EEES6_PiJS6_EEE10hipError_tPvRmT3_T4_T5_T6_T7_T9_mT8_P12ihipStream_tbDpT10_ENKUlT_T0_E_clISt17integral_constantIbLb1EES1B_EEDaS16_S17_EUlS16_E_NS1_11comp_targetILNS1_3genE3ELNS1_11target_archE908ELNS1_3gpuE7ELNS1_3repE0EEENS1_30default_config_static_selectorELNS0_4arch9wavefront6targetE0EEEvT1_.kd
    .uniform_work_group_size: 1
    .uses_dynamic_stack: false
    .vgpr_count:     0
    .vgpr_spill_count: 0
    .wavefront_size: 32
    .workgroup_processor_mode: 1
  - .args:
      - .offset:         0
        .size:           136
        .value_kind:     by_value
    .group_segment_fixed_size: 0
    .kernarg_segment_align: 8
    .kernarg_segment_size: 136
    .language:       OpenCL C
    .language_version:
      - 2
      - 0
    .max_flat_workgroup_size: 256
    .name:           _ZN7rocprim17ROCPRIM_400000_NS6detail17trampoline_kernelINS0_14default_configENS1_25partition_config_selectorILNS1_17partition_subalgoE5ElNS0_10empty_typeEbEEZZNS1_14partition_implILS5_5ELb0ES3_mN6hipcub16HIPCUB_304000_NS21CountingInputIteratorIllEEPS6_NSA_22TransformInputIteratorIbN2at6native12_GLOBAL__N_19NonZeroOpIlEEPKllEENS0_5tupleIJPlS6_EEENSN_IJSD_SD_EEES6_PiJS6_EEE10hipError_tPvRmT3_T4_T5_T6_T7_T9_mT8_P12ihipStream_tbDpT10_ENKUlT_T0_E_clISt17integral_constantIbLb1EES1B_EEDaS16_S17_EUlS16_E_NS1_11comp_targetILNS1_3genE2ELNS1_11target_archE906ELNS1_3gpuE6ELNS1_3repE0EEENS1_30default_config_static_selectorELNS0_4arch9wavefront6targetE0EEEvT1_
    .private_segment_fixed_size: 0
    .sgpr_count:     0
    .sgpr_spill_count: 0
    .symbol:         _ZN7rocprim17ROCPRIM_400000_NS6detail17trampoline_kernelINS0_14default_configENS1_25partition_config_selectorILNS1_17partition_subalgoE5ElNS0_10empty_typeEbEEZZNS1_14partition_implILS5_5ELb0ES3_mN6hipcub16HIPCUB_304000_NS21CountingInputIteratorIllEEPS6_NSA_22TransformInputIteratorIbN2at6native12_GLOBAL__N_19NonZeroOpIlEEPKllEENS0_5tupleIJPlS6_EEENSN_IJSD_SD_EEES6_PiJS6_EEE10hipError_tPvRmT3_T4_T5_T6_T7_T9_mT8_P12ihipStream_tbDpT10_ENKUlT_T0_E_clISt17integral_constantIbLb1EES1B_EEDaS16_S17_EUlS16_E_NS1_11comp_targetILNS1_3genE2ELNS1_11target_archE906ELNS1_3gpuE6ELNS1_3repE0EEENS1_30default_config_static_selectorELNS0_4arch9wavefront6targetE0EEEvT1_.kd
    .uniform_work_group_size: 1
    .uses_dynamic_stack: false
    .vgpr_count:     0
    .vgpr_spill_count: 0
    .wavefront_size: 32
    .workgroup_processor_mode: 1
  - .args:
      - .offset:         0
        .size:           136
        .value_kind:     by_value
    .group_segment_fixed_size: 0
    .kernarg_segment_align: 8
    .kernarg_segment_size: 136
    .language:       OpenCL C
    .language_version:
      - 2
      - 0
    .max_flat_workgroup_size: 256
    .name:           _ZN7rocprim17ROCPRIM_400000_NS6detail17trampoline_kernelINS0_14default_configENS1_25partition_config_selectorILNS1_17partition_subalgoE5ElNS0_10empty_typeEbEEZZNS1_14partition_implILS5_5ELb0ES3_mN6hipcub16HIPCUB_304000_NS21CountingInputIteratorIllEEPS6_NSA_22TransformInputIteratorIbN2at6native12_GLOBAL__N_19NonZeroOpIlEEPKllEENS0_5tupleIJPlS6_EEENSN_IJSD_SD_EEES6_PiJS6_EEE10hipError_tPvRmT3_T4_T5_T6_T7_T9_mT8_P12ihipStream_tbDpT10_ENKUlT_T0_E_clISt17integral_constantIbLb1EES1B_EEDaS16_S17_EUlS16_E_NS1_11comp_targetILNS1_3genE10ELNS1_11target_archE1200ELNS1_3gpuE4ELNS1_3repE0EEENS1_30default_config_static_selectorELNS0_4arch9wavefront6targetE0EEEvT1_
    .private_segment_fixed_size: 0
    .sgpr_count:     0
    .sgpr_spill_count: 0
    .symbol:         _ZN7rocprim17ROCPRIM_400000_NS6detail17trampoline_kernelINS0_14default_configENS1_25partition_config_selectorILNS1_17partition_subalgoE5ElNS0_10empty_typeEbEEZZNS1_14partition_implILS5_5ELb0ES3_mN6hipcub16HIPCUB_304000_NS21CountingInputIteratorIllEEPS6_NSA_22TransformInputIteratorIbN2at6native12_GLOBAL__N_19NonZeroOpIlEEPKllEENS0_5tupleIJPlS6_EEENSN_IJSD_SD_EEES6_PiJS6_EEE10hipError_tPvRmT3_T4_T5_T6_T7_T9_mT8_P12ihipStream_tbDpT10_ENKUlT_T0_E_clISt17integral_constantIbLb1EES1B_EEDaS16_S17_EUlS16_E_NS1_11comp_targetILNS1_3genE10ELNS1_11target_archE1200ELNS1_3gpuE4ELNS1_3repE0EEENS1_30default_config_static_selectorELNS0_4arch9wavefront6targetE0EEEvT1_.kd
    .uniform_work_group_size: 1
    .uses_dynamic_stack: false
    .vgpr_count:     0
    .vgpr_spill_count: 0
    .wavefront_size: 32
    .workgroup_processor_mode: 1
  - .args:
      - .offset:         0
        .size:           136
        .value_kind:     by_value
    .group_segment_fixed_size: 0
    .kernarg_segment_align: 8
    .kernarg_segment_size: 136
    .language:       OpenCL C
    .language_version:
      - 2
      - 0
    .max_flat_workgroup_size: 128
    .name:           _ZN7rocprim17ROCPRIM_400000_NS6detail17trampoline_kernelINS0_14default_configENS1_25partition_config_selectorILNS1_17partition_subalgoE5ElNS0_10empty_typeEbEEZZNS1_14partition_implILS5_5ELb0ES3_mN6hipcub16HIPCUB_304000_NS21CountingInputIteratorIllEEPS6_NSA_22TransformInputIteratorIbN2at6native12_GLOBAL__N_19NonZeroOpIlEEPKllEENS0_5tupleIJPlS6_EEENSN_IJSD_SD_EEES6_PiJS6_EEE10hipError_tPvRmT3_T4_T5_T6_T7_T9_mT8_P12ihipStream_tbDpT10_ENKUlT_T0_E_clISt17integral_constantIbLb1EES1B_EEDaS16_S17_EUlS16_E_NS1_11comp_targetILNS1_3genE9ELNS1_11target_archE1100ELNS1_3gpuE3ELNS1_3repE0EEENS1_30default_config_static_selectorELNS0_4arch9wavefront6targetE0EEEvT1_
    .private_segment_fixed_size: 0
    .sgpr_count:     0
    .sgpr_spill_count: 0
    .symbol:         _ZN7rocprim17ROCPRIM_400000_NS6detail17trampoline_kernelINS0_14default_configENS1_25partition_config_selectorILNS1_17partition_subalgoE5ElNS0_10empty_typeEbEEZZNS1_14partition_implILS5_5ELb0ES3_mN6hipcub16HIPCUB_304000_NS21CountingInputIteratorIllEEPS6_NSA_22TransformInputIteratorIbN2at6native12_GLOBAL__N_19NonZeroOpIlEEPKllEENS0_5tupleIJPlS6_EEENSN_IJSD_SD_EEES6_PiJS6_EEE10hipError_tPvRmT3_T4_T5_T6_T7_T9_mT8_P12ihipStream_tbDpT10_ENKUlT_T0_E_clISt17integral_constantIbLb1EES1B_EEDaS16_S17_EUlS16_E_NS1_11comp_targetILNS1_3genE9ELNS1_11target_archE1100ELNS1_3gpuE3ELNS1_3repE0EEENS1_30default_config_static_selectorELNS0_4arch9wavefront6targetE0EEEvT1_.kd
    .uniform_work_group_size: 1
    .uses_dynamic_stack: false
    .vgpr_count:     0
    .vgpr_spill_count: 0
    .wavefront_size: 32
    .workgroup_processor_mode: 1
  - .args:
      - .offset:         0
        .size:           136
        .value_kind:     by_value
    .group_segment_fixed_size: 0
    .kernarg_segment_align: 8
    .kernarg_segment_size: 136
    .language:       OpenCL C
    .language_version:
      - 2
      - 0
    .max_flat_workgroup_size: 512
    .name:           _ZN7rocprim17ROCPRIM_400000_NS6detail17trampoline_kernelINS0_14default_configENS1_25partition_config_selectorILNS1_17partition_subalgoE5ElNS0_10empty_typeEbEEZZNS1_14partition_implILS5_5ELb0ES3_mN6hipcub16HIPCUB_304000_NS21CountingInputIteratorIllEEPS6_NSA_22TransformInputIteratorIbN2at6native12_GLOBAL__N_19NonZeroOpIlEEPKllEENS0_5tupleIJPlS6_EEENSN_IJSD_SD_EEES6_PiJS6_EEE10hipError_tPvRmT3_T4_T5_T6_T7_T9_mT8_P12ihipStream_tbDpT10_ENKUlT_T0_E_clISt17integral_constantIbLb1EES1B_EEDaS16_S17_EUlS16_E_NS1_11comp_targetILNS1_3genE8ELNS1_11target_archE1030ELNS1_3gpuE2ELNS1_3repE0EEENS1_30default_config_static_selectorELNS0_4arch9wavefront6targetE0EEEvT1_
    .private_segment_fixed_size: 0
    .sgpr_count:     0
    .sgpr_spill_count: 0
    .symbol:         _ZN7rocprim17ROCPRIM_400000_NS6detail17trampoline_kernelINS0_14default_configENS1_25partition_config_selectorILNS1_17partition_subalgoE5ElNS0_10empty_typeEbEEZZNS1_14partition_implILS5_5ELb0ES3_mN6hipcub16HIPCUB_304000_NS21CountingInputIteratorIllEEPS6_NSA_22TransformInputIteratorIbN2at6native12_GLOBAL__N_19NonZeroOpIlEEPKllEENS0_5tupleIJPlS6_EEENSN_IJSD_SD_EEES6_PiJS6_EEE10hipError_tPvRmT3_T4_T5_T6_T7_T9_mT8_P12ihipStream_tbDpT10_ENKUlT_T0_E_clISt17integral_constantIbLb1EES1B_EEDaS16_S17_EUlS16_E_NS1_11comp_targetILNS1_3genE8ELNS1_11target_archE1030ELNS1_3gpuE2ELNS1_3repE0EEENS1_30default_config_static_selectorELNS0_4arch9wavefront6targetE0EEEvT1_.kd
    .uniform_work_group_size: 1
    .uses_dynamic_stack: false
    .vgpr_count:     0
    .vgpr_spill_count: 0
    .wavefront_size: 32
    .workgroup_processor_mode: 1
  - .args:
      - .offset:         0
        .size:           120
        .value_kind:     by_value
    .group_segment_fixed_size: 0
    .kernarg_segment_align: 8
    .kernarg_segment_size: 120
    .language:       OpenCL C
    .language_version:
      - 2
      - 0
    .max_flat_workgroup_size: 128
    .name:           _ZN7rocprim17ROCPRIM_400000_NS6detail17trampoline_kernelINS0_14default_configENS1_25partition_config_selectorILNS1_17partition_subalgoE5ElNS0_10empty_typeEbEEZZNS1_14partition_implILS5_5ELb0ES3_mN6hipcub16HIPCUB_304000_NS21CountingInputIteratorIllEEPS6_NSA_22TransformInputIteratorIbN2at6native12_GLOBAL__N_19NonZeroOpIlEEPKllEENS0_5tupleIJPlS6_EEENSN_IJSD_SD_EEES6_PiJS6_EEE10hipError_tPvRmT3_T4_T5_T6_T7_T9_mT8_P12ihipStream_tbDpT10_ENKUlT_T0_E_clISt17integral_constantIbLb1EES1A_IbLb0EEEEDaS16_S17_EUlS16_E_NS1_11comp_targetILNS1_3genE0ELNS1_11target_archE4294967295ELNS1_3gpuE0ELNS1_3repE0EEENS1_30default_config_static_selectorELNS0_4arch9wavefront6targetE0EEEvT1_
    .private_segment_fixed_size: 0
    .sgpr_count:     0
    .sgpr_spill_count: 0
    .symbol:         _ZN7rocprim17ROCPRIM_400000_NS6detail17trampoline_kernelINS0_14default_configENS1_25partition_config_selectorILNS1_17partition_subalgoE5ElNS0_10empty_typeEbEEZZNS1_14partition_implILS5_5ELb0ES3_mN6hipcub16HIPCUB_304000_NS21CountingInputIteratorIllEEPS6_NSA_22TransformInputIteratorIbN2at6native12_GLOBAL__N_19NonZeroOpIlEEPKllEENS0_5tupleIJPlS6_EEENSN_IJSD_SD_EEES6_PiJS6_EEE10hipError_tPvRmT3_T4_T5_T6_T7_T9_mT8_P12ihipStream_tbDpT10_ENKUlT_T0_E_clISt17integral_constantIbLb1EES1A_IbLb0EEEEDaS16_S17_EUlS16_E_NS1_11comp_targetILNS1_3genE0ELNS1_11target_archE4294967295ELNS1_3gpuE0ELNS1_3repE0EEENS1_30default_config_static_selectorELNS0_4arch9wavefront6targetE0EEEvT1_.kd
    .uniform_work_group_size: 1
    .uses_dynamic_stack: false
    .vgpr_count:     0
    .vgpr_spill_count: 0
    .wavefront_size: 32
    .workgroup_processor_mode: 1
  - .args:
      - .offset:         0
        .size:           120
        .value_kind:     by_value
    .group_segment_fixed_size: 0
    .kernarg_segment_align: 8
    .kernarg_segment_size: 120
    .language:       OpenCL C
    .language_version:
      - 2
      - 0
    .max_flat_workgroup_size: 512
    .name:           _ZN7rocprim17ROCPRIM_400000_NS6detail17trampoline_kernelINS0_14default_configENS1_25partition_config_selectorILNS1_17partition_subalgoE5ElNS0_10empty_typeEbEEZZNS1_14partition_implILS5_5ELb0ES3_mN6hipcub16HIPCUB_304000_NS21CountingInputIteratorIllEEPS6_NSA_22TransformInputIteratorIbN2at6native12_GLOBAL__N_19NonZeroOpIlEEPKllEENS0_5tupleIJPlS6_EEENSN_IJSD_SD_EEES6_PiJS6_EEE10hipError_tPvRmT3_T4_T5_T6_T7_T9_mT8_P12ihipStream_tbDpT10_ENKUlT_T0_E_clISt17integral_constantIbLb1EES1A_IbLb0EEEEDaS16_S17_EUlS16_E_NS1_11comp_targetILNS1_3genE5ELNS1_11target_archE942ELNS1_3gpuE9ELNS1_3repE0EEENS1_30default_config_static_selectorELNS0_4arch9wavefront6targetE0EEEvT1_
    .private_segment_fixed_size: 0
    .sgpr_count:     0
    .sgpr_spill_count: 0
    .symbol:         _ZN7rocprim17ROCPRIM_400000_NS6detail17trampoline_kernelINS0_14default_configENS1_25partition_config_selectorILNS1_17partition_subalgoE5ElNS0_10empty_typeEbEEZZNS1_14partition_implILS5_5ELb0ES3_mN6hipcub16HIPCUB_304000_NS21CountingInputIteratorIllEEPS6_NSA_22TransformInputIteratorIbN2at6native12_GLOBAL__N_19NonZeroOpIlEEPKllEENS0_5tupleIJPlS6_EEENSN_IJSD_SD_EEES6_PiJS6_EEE10hipError_tPvRmT3_T4_T5_T6_T7_T9_mT8_P12ihipStream_tbDpT10_ENKUlT_T0_E_clISt17integral_constantIbLb1EES1A_IbLb0EEEEDaS16_S17_EUlS16_E_NS1_11comp_targetILNS1_3genE5ELNS1_11target_archE942ELNS1_3gpuE9ELNS1_3repE0EEENS1_30default_config_static_selectorELNS0_4arch9wavefront6targetE0EEEvT1_.kd
    .uniform_work_group_size: 1
    .uses_dynamic_stack: false
    .vgpr_count:     0
    .vgpr_spill_count: 0
    .wavefront_size: 32
    .workgroup_processor_mode: 1
  - .args:
      - .offset:         0
        .size:           120
        .value_kind:     by_value
    .group_segment_fixed_size: 0
    .kernarg_segment_align: 8
    .kernarg_segment_size: 120
    .language:       OpenCL C
    .language_version:
      - 2
      - 0
    .max_flat_workgroup_size: 192
    .name:           _ZN7rocprim17ROCPRIM_400000_NS6detail17trampoline_kernelINS0_14default_configENS1_25partition_config_selectorILNS1_17partition_subalgoE5ElNS0_10empty_typeEbEEZZNS1_14partition_implILS5_5ELb0ES3_mN6hipcub16HIPCUB_304000_NS21CountingInputIteratorIllEEPS6_NSA_22TransformInputIteratorIbN2at6native12_GLOBAL__N_19NonZeroOpIlEEPKllEENS0_5tupleIJPlS6_EEENSN_IJSD_SD_EEES6_PiJS6_EEE10hipError_tPvRmT3_T4_T5_T6_T7_T9_mT8_P12ihipStream_tbDpT10_ENKUlT_T0_E_clISt17integral_constantIbLb1EES1A_IbLb0EEEEDaS16_S17_EUlS16_E_NS1_11comp_targetILNS1_3genE4ELNS1_11target_archE910ELNS1_3gpuE8ELNS1_3repE0EEENS1_30default_config_static_selectorELNS0_4arch9wavefront6targetE0EEEvT1_
    .private_segment_fixed_size: 0
    .sgpr_count:     0
    .sgpr_spill_count: 0
    .symbol:         _ZN7rocprim17ROCPRIM_400000_NS6detail17trampoline_kernelINS0_14default_configENS1_25partition_config_selectorILNS1_17partition_subalgoE5ElNS0_10empty_typeEbEEZZNS1_14partition_implILS5_5ELb0ES3_mN6hipcub16HIPCUB_304000_NS21CountingInputIteratorIllEEPS6_NSA_22TransformInputIteratorIbN2at6native12_GLOBAL__N_19NonZeroOpIlEEPKllEENS0_5tupleIJPlS6_EEENSN_IJSD_SD_EEES6_PiJS6_EEE10hipError_tPvRmT3_T4_T5_T6_T7_T9_mT8_P12ihipStream_tbDpT10_ENKUlT_T0_E_clISt17integral_constantIbLb1EES1A_IbLb0EEEEDaS16_S17_EUlS16_E_NS1_11comp_targetILNS1_3genE4ELNS1_11target_archE910ELNS1_3gpuE8ELNS1_3repE0EEENS1_30default_config_static_selectorELNS0_4arch9wavefront6targetE0EEEvT1_.kd
    .uniform_work_group_size: 1
    .uses_dynamic_stack: false
    .vgpr_count:     0
    .vgpr_spill_count: 0
    .wavefront_size: 32
    .workgroup_processor_mode: 1
  - .args:
      - .offset:         0
        .size:           120
        .value_kind:     by_value
    .group_segment_fixed_size: 0
    .kernarg_segment_align: 8
    .kernarg_segment_size: 120
    .language:       OpenCL C
    .language_version:
      - 2
      - 0
    .max_flat_workgroup_size: 128
    .name:           _ZN7rocprim17ROCPRIM_400000_NS6detail17trampoline_kernelINS0_14default_configENS1_25partition_config_selectorILNS1_17partition_subalgoE5ElNS0_10empty_typeEbEEZZNS1_14partition_implILS5_5ELb0ES3_mN6hipcub16HIPCUB_304000_NS21CountingInputIteratorIllEEPS6_NSA_22TransformInputIteratorIbN2at6native12_GLOBAL__N_19NonZeroOpIlEEPKllEENS0_5tupleIJPlS6_EEENSN_IJSD_SD_EEES6_PiJS6_EEE10hipError_tPvRmT3_T4_T5_T6_T7_T9_mT8_P12ihipStream_tbDpT10_ENKUlT_T0_E_clISt17integral_constantIbLb1EES1A_IbLb0EEEEDaS16_S17_EUlS16_E_NS1_11comp_targetILNS1_3genE3ELNS1_11target_archE908ELNS1_3gpuE7ELNS1_3repE0EEENS1_30default_config_static_selectorELNS0_4arch9wavefront6targetE0EEEvT1_
    .private_segment_fixed_size: 0
    .sgpr_count:     0
    .sgpr_spill_count: 0
    .symbol:         _ZN7rocprim17ROCPRIM_400000_NS6detail17trampoline_kernelINS0_14default_configENS1_25partition_config_selectorILNS1_17partition_subalgoE5ElNS0_10empty_typeEbEEZZNS1_14partition_implILS5_5ELb0ES3_mN6hipcub16HIPCUB_304000_NS21CountingInputIteratorIllEEPS6_NSA_22TransformInputIteratorIbN2at6native12_GLOBAL__N_19NonZeroOpIlEEPKllEENS0_5tupleIJPlS6_EEENSN_IJSD_SD_EEES6_PiJS6_EEE10hipError_tPvRmT3_T4_T5_T6_T7_T9_mT8_P12ihipStream_tbDpT10_ENKUlT_T0_E_clISt17integral_constantIbLb1EES1A_IbLb0EEEEDaS16_S17_EUlS16_E_NS1_11comp_targetILNS1_3genE3ELNS1_11target_archE908ELNS1_3gpuE7ELNS1_3repE0EEENS1_30default_config_static_selectorELNS0_4arch9wavefront6targetE0EEEvT1_.kd
    .uniform_work_group_size: 1
    .uses_dynamic_stack: false
    .vgpr_count:     0
    .vgpr_spill_count: 0
    .wavefront_size: 32
    .workgroup_processor_mode: 1
  - .args:
      - .offset:         0
        .size:           120
        .value_kind:     by_value
    .group_segment_fixed_size: 0
    .kernarg_segment_align: 8
    .kernarg_segment_size: 120
    .language:       OpenCL C
    .language_version:
      - 2
      - 0
    .max_flat_workgroup_size: 256
    .name:           _ZN7rocprim17ROCPRIM_400000_NS6detail17trampoline_kernelINS0_14default_configENS1_25partition_config_selectorILNS1_17partition_subalgoE5ElNS0_10empty_typeEbEEZZNS1_14partition_implILS5_5ELb0ES3_mN6hipcub16HIPCUB_304000_NS21CountingInputIteratorIllEEPS6_NSA_22TransformInputIteratorIbN2at6native12_GLOBAL__N_19NonZeroOpIlEEPKllEENS0_5tupleIJPlS6_EEENSN_IJSD_SD_EEES6_PiJS6_EEE10hipError_tPvRmT3_T4_T5_T6_T7_T9_mT8_P12ihipStream_tbDpT10_ENKUlT_T0_E_clISt17integral_constantIbLb1EES1A_IbLb0EEEEDaS16_S17_EUlS16_E_NS1_11comp_targetILNS1_3genE2ELNS1_11target_archE906ELNS1_3gpuE6ELNS1_3repE0EEENS1_30default_config_static_selectorELNS0_4arch9wavefront6targetE0EEEvT1_
    .private_segment_fixed_size: 0
    .sgpr_count:     0
    .sgpr_spill_count: 0
    .symbol:         _ZN7rocprim17ROCPRIM_400000_NS6detail17trampoline_kernelINS0_14default_configENS1_25partition_config_selectorILNS1_17partition_subalgoE5ElNS0_10empty_typeEbEEZZNS1_14partition_implILS5_5ELb0ES3_mN6hipcub16HIPCUB_304000_NS21CountingInputIteratorIllEEPS6_NSA_22TransformInputIteratorIbN2at6native12_GLOBAL__N_19NonZeroOpIlEEPKllEENS0_5tupleIJPlS6_EEENSN_IJSD_SD_EEES6_PiJS6_EEE10hipError_tPvRmT3_T4_T5_T6_T7_T9_mT8_P12ihipStream_tbDpT10_ENKUlT_T0_E_clISt17integral_constantIbLb1EES1A_IbLb0EEEEDaS16_S17_EUlS16_E_NS1_11comp_targetILNS1_3genE2ELNS1_11target_archE906ELNS1_3gpuE6ELNS1_3repE0EEENS1_30default_config_static_selectorELNS0_4arch9wavefront6targetE0EEEvT1_.kd
    .uniform_work_group_size: 1
    .uses_dynamic_stack: false
    .vgpr_count:     0
    .vgpr_spill_count: 0
    .wavefront_size: 32
    .workgroup_processor_mode: 1
  - .args:
      - .offset:         0
        .size:           120
        .value_kind:     by_value
    .group_segment_fixed_size: 0
    .kernarg_segment_align: 8
    .kernarg_segment_size: 120
    .language:       OpenCL C
    .language_version:
      - 2
      - 0
    .max_flat_workgroup_size: 256
    .name:           _ZN7rocprim17ROCPRIM_400000_NS6detail17trampoline_kernelINS0_14default_configENS1_25partition_config_selectorILNS1_17partition_subalgoE5ElNS0_10empty_typeEbEEZZNS1_14partition_implILS5_5ELb0ES3_mN6hipcub16HIPCUB_304000_NS21CountingInputIteratorIllEEPS6_NSA_22TransformInputIteratorIbN2at6native12_GLOBAL__N_19NonZeroOpIlEEPKllEENS0_5tupleIJPlS6_EEENSN_IJSD_SD_EEES6_PiJS6_EEE10hipError_tPvRmT3_T4_T5_T6_T7_T9_mT8_P12ihipStream_tbDpT10_ENKUlT_T0_E_clISt17integral_constantIbLb1EES1A_IbLb0EEEEDaS16_S17_EUlS16_E_NS1_11comp_targetILNS1_3genE10ELNS1_11target_archE1200ELNS1_3gpuE4ELNS1_3repE0EEENS1_30default_config_static_selectorELNS0_4arch9wavefront6targetE0EEEvT1_
    .private_segment_fixed_size: 0
    .sgpr_count:     0
    .sgpr_spill_count: 0
    .symbol:         _ZN7rocprim17ROCPRIM_400000_NS6detail17trampoline_kernelINS0_14default_configENS1_25partition_config_selectorILNS1_17partition_subalgoE5ElNS0_10empty_typeEbEEZZNS1_14partition_implILS5_5ELb0ES3_mN6hipcub16HIPCUB_304000_NS21CountingInputIteratorIllEEPS6_NSA_22TransformInputIteratorIbN2at6native12_GLOBAL__N_19NonZeroOpIlEEPKllEENS0_5tupleIJPlS6_EEENSN_IJSD_SD_EEES6_PiJS6_EEE10hipError_tPvRmT3_T4_T5_T6_T7_T9_mT8_P12ihipStream_tbDpT10_ENKUlT_T0_E_clISt17integral_constantIbLb1EES1A_IbLb0EEEEDaS16_S17_EUlS16_E_NS1_11comp_targetILNS1_3genE10ELNS1_11target_archE1200ELNS1_3gpuE4ELNS1_3repE0EEENS1_30default_config_static_selectorELNS0_4arch9wavefront6targetE0EEEvT1_.kd
    .uniform_work_group_size: 1
    .uses_dynamic_stack: false
    .vgpr_count:     0
    .vgpr_spill_count: 0
    .wavefront_size: 32
    .workgroup_processor_mode: 1
  - .args:
      - .offset:         0
        .size:           120
        .value_kind:     by_value
    .group_segment_fixed_size: 0
    .kernarg_segment_align: 8
    .kernarg_segment_size: 120
    .language:       OpenCL C
    .language_version:
      - 2
      - 0
    .max_flat_workgroup_size: 128
    .name:           _ZN7rocprim17ROCPRIM_400000_NS6detail17trampoline_kernelINS0_14default_configENS1_25partition_config_selectorILNS1_17partition_subalgoE5ElNS0_10empty_typeEbEEZZNS1_14partition_implILS5_5ELb0ES3_mN6hipcub16HIPCUB_304000_NS21CountingInputIteratorIllEEPS6_NSA_22TransformInputIteratorIbN2at6native12_GLOBAL__N_19NonZeroOpIlEEPKllEENS0_5tupleIJPlS6_EEENSN_IJSD_SD_EEES6_PiJS6_EEE10hipError_tPvRmT3_T4_T5_T6_T7_T9_mT8_P12ihipStream_tbDpT10_ENKUlT_T0_E_clISt17integral_constantIbLb1EES1A_IbLb0EEEEDaS16_S17_EUlS16_E_NS1_11comp_targetILNS1_3genE9ELNS1_11target_archE1100ELNS1_3gpuE3ELNS1_3repE0EEENS1_30default_config_static_selectorELNS0_4arch9wavefront6targetE0EEEvT1_
    .private_segment_fixed_size: 0
    .sgpr_count:     0
    .sgpr_spill_count: 0
    .symbol:         _ZN7rocprim17ROCPRIM_400000_NS6detail17trampoline_kernelINS0_14default_configENS1_25partition_config_selectorILNS1_17partition_subalgoE5ElNS0_10empty_typeEbEEZZNS1_14partition_implILS5_5ELb0ES3_mN6hipcub16HIPCUB_304000_NS21CountingInputIteratorIllEEPS6_NSA_22TransformInputIteratorIbN2at6native12_GLOBAL__N_19NonZeroOpIlEEPKllEENS0_5tupleIJPlS6_EEENSN_IJSD_SD_EEES6_PiJS6_EEE10hipError_tPvRmT3_T4_T5_T6_T7_T9_mT8_P12ihipStream_tbDpT10_ENKUlT_T0_E_clISt17integral_constantIbLb1EES1A_IbLb0EEEEDaS16_S17_EUlS16_E_NS1_11comp_targetILNS1_3genE9ELNS1_11target_archE1100ELNS1_3gpuE3ELNS1_3repE0EEENS1_30default_config_static_selectorELNS0_4arch9wavefront6targetE0EEEvT1_.kd
    .uniform_work_group_size: 1
    .uses_dynamic_stack: false
    .vgpr_count:     0
    .vgpr_spill_count: 0
    .wavefront_size: 32
    .workgroup_processor_mode: 1
  - .args:
      - .offset:         0
        .size:           120
        .value_kind:     by_value
    .group_segment_fixed_size: 0
    .kernarg_segment_align: 8
    .kernarg_segment_size: 120
    .language:       OpenCL C
    .language_version:
      - 2
      - 0
    .max_flat_workgroup_size: 512
    .name:           _ZN7rocprim17ROCPRIM_400000_NS6detail17trampoline_kernelINS0_14default_configENS1_25partition_config_selectorILNS1_17partition_subalgoE5ElNS0_10empty_typeEbEEZZNS1_14partition_implILS5_5ELb0ES3_mN6hipcub16HIPCUB_304000_NS21CountingInputIteratorIllEEPS6_NSA_22TransformInputIteratorIbN2at6native12_GLOBAL__N_19NonZeroOpIlEEPKllEENS0_5tupleIJPlS6_EEENSN_IJSD_SD_EEES6_PiJS6_EEE10hipError_tPvRmT3_T4_T5_T6_T7_T9_mT8_P12ihipStream_tbDpT10_ENKUlT_T0_E_clISt17integral_constantIbLb1EES1A_IbLb0EEEEDaS16_S17_EUlS16_E_NS1_11comp_targetILNS1_3genE8ELNS1_11target_archE1030ELNS1_3gpuE2ELNS1_3repE0EEENS1_30default_config_static_selectorELNS0_4arch9wavefront6targetE0EEEvT1_
    .private_segment_fixed_size: 0
    .sgpr_count:     0
    .sgpr_spill_count: 0
    .symbol:         _ZN7rocprim17ROCPRIM_400000_NS6detail17trampoline_kernelINS0_14default_configENS1_25partition_config_selectorILNS1_17partition_subalgoE5ElNS0_10empty_typeEbEEZZNS1_14partition_implILS5_5ELb0ES3_mN6hipcub16HIPCUB_304000_NS21CountingInputIteratorIllEEPS6_NSA_22TransformInputIteratorIbN2at6native12_GLOBAL__N_19NonZeroOpIlEEPKllEENS0_5tupleIJPlS6_EEENSN_IJSD_SD_EEES6_PiJS6_EEE10hipError_tPvRmT3_T4_T5_T6_T7_T9_mT8_P12ihipStream_tbDpT10_ENKUlT_T0_E_clISt17integral_constantIbLb1EES1A_IbLb0EEEEDaS16_S17_EUlS16_E_NS1_11comp_targetILNS1_3genE8ELNS1_11target_archE1030ELNS1_3gpuE2ELNS1_3repE0EEENS1_30default_config_static_selectorELNS0_4arch9wavefront6targetE0EEEvT1_.kd
    .uniform_work_group_size: 1
    .uses_dynamic_stack: false
    .vgpr_count:     0
    .vgpr_spill_count: 0
    .wavefront_size: 32
    .workgroup_processor_mode: 1
  - .args:
      - .offset:         0
        .size:           136
        .value_kind:     by_value
    .group_segment_fixed_size: 0
    .kernarg_segment_align: 8
    .kernarg_segment_size: 136
    .language:       OpenCL C
    .language_version:
      - 2
      - 0
    .max_flat_workgroup_size: 128
    .name:           _ZN7rocprim17ROCPRIM_400000_NS6detail17trampoline_kernelINS0_14default_configENS1_25partition_config_selectorILNS1_17partition_subalgoE5ElNS0_10empty_typeEbEEZZNS1_14partition_implILS5_5ELb0ES3_mN6hipcub16HIPCUB_304000_NS21CountingInputIteratorIllEEPS6_NSA_22TransformInputIteratorIbN2at6native12_GLOBAL__N_19NonZeroOpIlEEPKllEENS0_5tupleIJPlS6_EEENSN_IJSD_SD_EEES6_PiJS6_EEE10hipError_tPvRmT3_T4_T5_T6_T7_T9_mT8_P12ihipStream_tbDpT10_ENKUlT_T0_E_clISt17integral_constantIbLb0EES1A_IbLb1EEEEDaS16_S17_EUlS16_E_NS1_11comp_targetILNS1_3genE0ELNS1_11target_archE4294967295ELNS1_3gpuE0ELNS1_3repE0EEENS1_30default_config_static_selectorELNS0_4arch9wavefront6targetE0EEEvT1_
    .private_segment_fixed_size: 0
    .sgpr_count:     0
    .sgpr_spill_count: 0
    .symbol:         _ZN7rocprim17ROCPRIM_400000_NS6detail17trampoline_kernelINS0_14default_configENS1_25partition_config_selectorILNS1_17partition_subalgoE5ElNS0_10empty_typeEbEEZZNS1_14partition_implILS5_5ELb0ES3_mN6hipcub16HIPCUB_304000_NS21CountingInputIteratorIllEEPS6_NSA_22TransformInputIteratorIbN2at6native12_GLOBAL__N_19NonZeroOpIlEEPKllEENS0_5tupleIJPlS6_EEENSN_IJSD_SD_EEES6_PiJS6_EEE10hipError_tPvRmT3_T4_T5_T6_T7_T9_mT8_P12ihipStream_tbDpT10_ENKUlT_T0_E_clISt17integral_constantIbLb0EES1A_IbLb1EEEEDaS16_S17_EUlS16_E_NS1_11comp_targetILNS1_3genE0ELNS1_11target_archE4294967295ELNS1_3gpuE0ELNS1_3repE0EEENS1_30default_config_static_selectorELNS0_4arch9wavefront6targetE0EEEvT1_.kd
    .uniform_work_group_size: 1
    .uses_dynamic_stack: false
    .vgpr_count:     0
    .vgpr_spill_count: 0
    .wavefront_size: 32
    .workgroup_processor_mode: 1
  - .args:
      - .offset:         0
        .size:           136
        .value_kind:     by_value
    .group_segment_fixed_size: 0
    .kernarg_segment_align: 8
    .kernarg_segment_size: 136
    .language:       OpenCL C
    .language_version:
      - 2
      - 0
    .max_flat_workgroup_size: 512
    .name:           _ZN7rocprim17ROCPRIM_400000_NS6detail17trampoline_kernelINS0_14default_configENS1_25partition_config_selectorILNS1_17partition_subalgoE5ElNS0_10empty_typeEbEEZZNS1_14partition_implILS5_5ELb0ES3_mN6hipcub16HIPCUB_304000_NS21CountingInputIteratorIllEEPS6_NSA_22TransformInputIteratorIbN2at6native12_GLOBAL__N_19NonZeroOpIlEEPKllEENS0_5tupleIJPlS6_EEENSN_IJSD_SD_EEES6_PiJS6_EEE10hipError_tPvRmT3_T4_T5_T6_T7_T9_mT8_P12ihipStream_tbDpT10_ENKUlT_T0_E_clISt17integral_constantIbLb0EES1A_IbLb1EEEEDaS16_S17_EUlS16_E_NS1_11comp_targetILNS1_3genE5ELNS1_11target_archE942ELNS1_3gpuE9ELNS1_3repE0EEENS1_30default_config_static_selectorELNS0_4arch9wavefront6targetE0EEEvT1_
    .private_segment_fixed_size: 0
    .sgpr_count:     0
    .sgpr_spill_count: 0
    .symbol:         _ZN7rocprim17ROCPRIM_400000_NS6detail17trampoline_kernelINS0_14default_configENS1_25partition_config_selectorILNS1_17partition_subalgoE5ElNS0_10empty_typeEbEEZZNS1_14partition_implILS5_5ELb0ES3_mN6hipcub16HIPCUB_304000_NS21CountingInputIteratorIllEEPS6_NSA_22TransformInputIteratorIbN2at6native12_GLOBAL__N_19NonZeroOpIlEEPKllEENS0_5tupleIJPlS6_EEENSN_IJSD_SD_EEES6_PiJS6_EEE10hipError_tPvRmT3_T4_T5_T6_T7_T9_mT8_P12ihipStream_tbDpT10_ENKUlT_T0_E_clISt17integral_constantIbLb0EES1A_IbLb1EEEEDaS16_S17_EUlS16_E_NS1_11comp_targetILNS1_3genE5ELNS1_11target_archE942ELNS1_3gpuE9ELNS1_3repE0EEENS1_30default_config_static_selectorELNS0_4arch9wavefront6targetE0EEEvT1_.kd
    .uniform_work_group_size: 1
    .uses_dynamic_stack: false
    .vgpr_count:     0
    .vgpr_spill_count: 0
    .wavefront_size: 32
    .workgroup_processor_mode: 1
  - .args:
      - .offset:         0
        .size:           136
        .value_kind:     by_value
    .group_segment_fixed_size: 0
    .kernarg_segment_align: 8
    .kernarg_segment_size: 136
    .language:       OpenCL C
    .language_version:
      - 2
      - 0
    .max_flat_workgroup_size: 192
    .name:           _ZN7rocprim17ROCPRIM_400000_NS6detail17trampoline_kernelINS0_14default_configENS1_25partition_config_selectorILNS1_17partition_subalgoE5ElNS0_10empty_typeEbEEZZNS1_14partition_implILS5_5ELb0ES3_mN6hipcub16HIPCUB_304000_NS21CountingInputIteratorIllEEPS6_NSA_22TransformInputIteratorIbN2at6native12_GLOBAL__N_19NonZeroOpIlEEPKllEENS0_5tupleIJPlS6_EEENSN_IJSD_SD_EEES6_PiJS6_EEE10hipError_tPvRmT3_T4_T5_T6_T7_T9_mT8_P12ihipStream_tbDpT10_ENKUlT_T0_E_clISt17integral_constantIbLb0EES1A_IbLb1EEEEDaS16_S17_EUlS16_E_NS1_11comp_targetILNS1_3genE4ELNS1_11target_archE910ELNS1_3gpuE8ELNS1_3repE0EEENS1_30default_config_static_selectorELNS0_4arch9wavefront6targetE0EEEvT1_
    .private_segment_fixed_size: 0
    .sgpr_count:     0
    .sgpr_spill_count: 0
    .symbol:         _ZN7rocprim17ROCPRIM_400000_NS6detail17trampoline_kernelINS0_14default_configENS1_25partition_config_selectorILNS1_17partition_subalgoE5ElNS0_10empty_typeEbEEZZNS1_14partition_implILS5_5ELb0ES3_mN6hipcub16HIPCUB_304000_NS21CountingInputIteratorIllEEPS6_NSA_22TransformInputIteratorIbN2at6native12_GLOBAL__N_19NonZeroOpIlEEPKllEENS0_5tupleIJPlS6_EEENSN_IJSD_SD_EEES6_PiJS6_EEE10hipError_tPvRmT3_T4_T5_T6_T7_T9_mT8_P12ihipStream_tbDpT10_ENKUlT_T0_E_clISt17integral_constantIbLb0EES1A_IbLb1EEEEDaS16_S17_EUlS16_E_NS1_11comp_targetILNS1_3genE4ELNS1_11target_archE910ELNS1_3gpuE8ELNS1_3repE0EEENS1_30default_config_static_selectorELNS0_4arch9wavefront6targetE0EEEvT1_.kd
    .uniform_work_group_size: 1
    .uses_dynamic_stack: false
    .vgpr_count:     0
    .vgpr_spill_count: 0
    .wavefront_size: 32
    .workgroup_processor_mode: 1
  - .args:
      - .offset:         0
        .size:           136
        .value_kind:     by_value
    .group_segment_fixed_size: 0
    .kernarg_segment_align: 8
    .kernarg_segment_size: 136
    .language:       OpenCL C
    .language_version:
      - 2
      - 0
    .max_flat_workgroup_size: 128
    .name:           _ZN7rocprim17ROCPRIM_400000_NS6detail17trampoline_kernelINS0_14default_configENS1_25partition_config_selectorILNS1_17partition_subalgoE5ElNS0_10empty_typeEbEEZZNS1_14partition_implILS5_5ELb0ES3_mN6hipcub16HIPCUB_304000_NS21CountingInputIteratorIllEEPS6_NSA_22TransformInputIteratorIbN2at6native12_GLOBAL__N_19NonZeroOpIlEEPKllEENS0_5tupleIJPlS6_EEENSN_IJSD_SD_EEES6_PiJS6_EEE10hipError_tPvRmT3_T4_T5_T6_T7_T9_mT8_P12ihipStream_tbDpT10_ENKUlT_T0_E_clISt17integral_constantIbLb0EES1A_IbLb1EEEEDaS16_S17_EUlS16_E_NS1_11comp_targetILNS1_3genE3ELNS1_11target_archE908ELNS1_3gpuE7ELNS1_3repE0EEENS1_30default_config_static_selectorELNS0_4arch9wavefront6targetE0EEEvT1_
    .private_segment_fixed_size: 0
    .sgpr_count:     0
    .sgpr_spill_count: 0
    .symbol:         _ZN7rocprim17ROCPRIM_400000_NS6detail17trampoline_kernelINS0_14default_configENS1_25partition_config_selectorILNS1_17partition_subalgoE5ElNS0_10empty_typeEbEEZZNS1_14partition_implILS5_5ELb0ES3_mN6hipcub16HIPCUB_304000_NS21CountingInputIteratorIllEEPS6_NSA_22TransformInputIteratorIbN2at6native12_GLOBAL__N_19NonZeroOpIlEEPKllEENS0_5tupleIJPlS6_EEENSN_IJSD_SD_EEES6_PiJS6_EEE10hipError_tPvRmT3_T4_T5_T6_T7_T9_mT8_P12ihipStream_tbDpT10_ENKUlT_T0_E_clISt17integral_constantIbLb0EES1A_IbLb1EEEEDaS16_S17_EUlS16_E_NS1_11comp_targetILNS1_3genE3ELNS1_11target_archE908ELNS1_3gpuE7ELNS1_3repE0EEENS1_30default_config_static_selectorELNS0_4arch9wavefront6targetE0EEEvT1_.kd
    .uniform_work_group_size: 1
    .uses_dynamic_stack: false
    .vgpr_count:     0
    .vgpr_spill_count: 0
    .wavefront_size: 32
    .workgroup_processor_mode: 1
  - .args:
      - .offset:         0
        .size:           136
        .value_kind:     by_value
    .group_segment_fixed_size: 0
    .kernarg_segment_align: 8
    .kernarg_segment_size: 136
    .language:       OpenCL C
    .language_version:
      - 2
      - 0
    .max_flat_workgroup_size: 256
    .name:           _ZN7rocprim17ROCPRIM_400000_NS6detail17trampoline_kernelINS0_14default_configENS1_25partition_config_selectorILNS1_17partition_subalgoE5ElNS0_10empty_typeEbEEZZNS1_14partition_implILS5_5ELb0ES3_mN6hipcub16HIPCUB_304000_NS21CountingInputIteratorIllEEPS6_NSA_22TransformInputIteratorIbN2at6native12_GLOBAL__N_19NonZeroOpIlEEPKllEENS0_5tupleIJPlS6_EEENSN_IJSD_SD_EEES6_PiJS6_EEE10hipError_tPvRmT3_T4_T5_T6_T7_T9_mT8_P12ihipStream_tbDpT10_ENKUlT_T0_E_clISt17integral_constantIbLb0EES1A_IbLb1EEEEDaS16_S17_EUlS16_E_NS1_11comp_targetILNS1_3genE2ELNS1_11target_archE906ELNS1_3gpuE6ELNS1_3repE0EEENS1_30default_config_static_selectorELNS0_4arch9wavefront6targetE0EEEvT1_
    .private_segment_fixed_size: 0
    .sgpr_count:     0
    .sgpr_spill_count: 0
    .symbol:         _ZN7rocprim17ROCPRIM_400000_NS6detail17trampoline_kernelINS0_14default_configENS1_25partition_config_selectorILNS1_17partition_subalgoE5ElNS0_10empty_typeEbEEZZNS1_14partition_implILS5_5ELb0ES3_mN6hipcub16HIPCUB_304000_NS21CountingInputIteratorIllEEPS6_NSA_22TransformInputIteratorIbN2at6native12_GLOBAL__N_19NonZeroOpIlEEPKllEENS0_5tupleIJPlS6_EEENSN_IJSD_SD_EEES6_PiJS6_EEE10hipError_tPvRmT3_T4_T5_T6_T7_T9_mT8_P12ihipStream_tbDpT10_ENKUlT_T0_E_clISt17integral_constantIbLb0EES1A_IbLb1EEEEDaS16_S17_EUlS16_E_NS1_11comp_targetILNS1_3genE2ELNS1_11target_archE906ELNS1_3gpuE6ELNS1_3repE0EEENS1_30default_config_static_selectorELNS0_4arch9wavefront6targetE0EEEvT1_.kd
    .uniform_work_group_size: 1
    .uses_dynamic_stack: false
    .vgpr_count:     0
    .vgpr_spill_count: 0
    .wavefront_size: 32
    .workgroup_processor_mode: 1
  - .args:
      - .offset:         0
        .size:           136
        .value_kind:     by_value
    .group_segment_fixed_size: 8464
    .kernarg_segment_align: 8
    .kernarg_segment_size: 136
    .language:       OpenCL C
    .language_version:
      - 2
      - 0
    .max_flat_workgroup_size: 256
    .name:           _ZN7rocprim17ROCPRIM_400000_NS6detail17trampoline_kernelINS0_14default_configENS1_25partition_config_selectorILNS1_17partition_subalgoE5ElNS0_10empty_typeEbEEZZNS1_14partition_implILS5_5ELb0ES3_mN6hipcub16HIPCUB_304000_NS21CountingInputIteratorIllEEPS6_NSA_22TransformInputIteratorIbN2at6native12_GLOBAL__N_19NonZeroOpIlEEPKllEENS0_5tupleIJPlS6_EEENSN_IJSD_SD_EEES6_PiJS6_EEE10hipError_tPvRmT3_T4_T5_T6_T7_T9_mT8_P12ihipStream_tbDpT10_ENKUlT_T0_E_clISt17integral_constantIbLb0EES1A_IbLb1EEEEDaS16_S17_EUlS16_E_NS1_11comp_targetILNS1_3genE10ELNS1_11target_archE1200ELNS1_3gpuE4ELNS1_3repE0EEENS1_30default_config_static_selectorELNS0_4arch9wavefront6targetE0EEEvT1_
    .private_segment_fixed_size: 0
    .sgpr_count:     26
    .sgpr_spill_count: 0
    .symbol:         _ZN7rocprim17ROCPRIM_400000_NS6detail17trampoline_kernelINS0_14default_configENS1_25partition_config_selectorILNS1_17partition_subalgoE5ElNS0_10empty_typeEbEEZZNS1_14partition_implILS5_5ELb0ES3_mN6hipcub16HIPCUB_304000_NS21CountingInputIteratorIllEEPS6_NSA_22TransformInputIteratorIbN2at6native12_GLOBAL__N_19NonZeroOpIlEEPKllEENS0_5tupleIJPlS6_EEENSN_IJSD_SD_EEES6_PiJS6_EEE10hipError_tPvRmT3_T4_T5_T6_T7_T9_mT8_P12ihipStream_tbDpT10_ENKUlT_T0_E_clISt17integral_constantIbLb0EES1A_IbLb1EEEEDaS16_S17_EUlS16_E_NS1_11comp_targetILNS1_3genE10ELNS1_11target_archE1200ELNS1_3gpuE4ELNS1_3repE0EEENS1_30default_config_static_selectorELNS0_4arch9wavefront6targetE0EEEvT1_.kd
    .uniform_work_group_size: 1
    .uses_dynamic_stack: false
    .vgpr_count:     48
    .vgpr_spill_count: 0
    .wavefront_size: 32
    .workgroup_processor_mode: 1
  - .args:
      - .offset:         0
        .size:           136
        .value_kind:     by_value
    .group_segment_fixed_size: 0
    .kernarg_segment_align: 8
    .kernarg_segment_size: 136
    .language:       OpenCL C
    .language_version:
      - 2
      - 0
    .max_flat_workgroup_size: 128
    .name:           _ZN7rocprim17ROCPRIM_400000_NS6detail17trampoline_kernelINS0_14default_configENS1_25partition_config_selectorILNS1_17partition_subalgoE5ElNS0_10empty_typeEbEEZZNS1_14partition_implILS5_5ELb0ES3_mN6hipcub16HIPCUB_304000_NS21CountingInputIteratorIllEEPS6_NSA_22TransformInputIteratorIbN2at6native12_GLOBAL__N_19NonZeroOpIlEEPKllEENS0_5tupleIJPlS6_EEENSN_IJSD_SD_EEES6_PiJS6_EEE10hipError_tPvRmT3_T4_T5_T6_T7_T9_mT8_P12ihipStream_tbDpT10_ENKUlT_T0_E_clISt17integral_constantIbLb0EES1A_IbLb1EEEEDaS16_S17_EUlS16_E_NS1_11comp_targetILNS1_3genE9ELNS1_11target_archE1100ELNS1_3gpuE3ELNS1_3repE0EEENS1_30default_config_static_selectorELNS0_4arch9wavefront6targetE0EEEvT1_
    .private_segment_fixed_size: 0
    .sgpr_count:     0
    .sgpr_spill_count: 0
    .symbol:         _ZN7rocprim17ROCPRIM_400000_NS6detail17trampoline_kernelINS0_14default_configENS1_25partition_config_selectorILNS1_17partition_subalgoE5ElNS0_10empty_typeEbEEZZNS1_14partition_implILS5_5ELb0ES3_mN6hipcub16HIPCUB_304000_NS21CountingInputIteratorIllEEPS6_NSA_22TransformInputIteratorIbN2at6native12_GLOBAL__N_19NonZeroOpIlEEPKllEENS0_5tupleIJPlS6_EEENSN_IJSD_SD_EEES6_PiJS6_EEE10hipError_tPvRmT3_T4_T5_T6_T7_T9_mT8_P12ihipStream_tbDpT10_ENKUlT_T0_E_clISt17integral_constantIbLb0EES1A_IbLb1EEEEDaS16_S17_EUlS16_E_NS1_11comp_targetILNS1_3genE9ELNS1_11target_archE1100ELNS1_3gpuE3ELNS1_3repE0EEENS1_30default_config_static_selectorELNS0_4arch9wavefront6targetE0EEEvT1_.kd
    .uniform_work_group_size: 1
    .uses_dynamic_stack: false
    .vgpr_count:     0
    .vgpr_spill_count: 0
    .wavefront_size: 32
    .workgroup_processor_mode: 1
  - .args:
      - .offset:         0
        .size:           136
        .value_kind:     by_value
    .group_segment_fixed_size: 0
    .kernarg_segment_align: 8
    .kernarg_segment_size: 136
    .language:       OpenCL C
    .language_version:
      - 2
      - 0
    .max_flat_workgroup_size: 512
    .name:           _ZN7rocprim17ROCPRIM_400000_NS6detail17trampoline_kernelINS0_14default_configENS1_25partition_config_selectorILNS1_17partition_subalgoE5ElNS0_10empty_typeEbEEZZNS1_14partition_implILS5_5ELb0ES3_mN6hipcub16HIPCUB_304000_NS21CountingInputIteratorIllEEPS6_NSA_22TransformInputIteratorIbN2at6native12_GLOBAL__N_19NonZeroOpIlEEPKllEENS0_5tupleIJPlS6_EEENSN_IJSD_SD_EEES6_PiJS6_EEE10hipError_tPvRmT3_T4_T5_T6_T7_T9_mT8_P12ihipStream_tbDpT10_ENKUlT_T0_E_clISt17integral_constantIbLb0EES1A_IbLb1EEEEDaS16_S17_EUlS16_E_NS1_11comp_targetILNS1_3genE8ELNS1_11target_archE1030ELNS1_3gpuE2ELNS1_3repE0EEENS1_30default_config_static_selectorELNS0_4arch9wavefront6targetE0EEEvT1_
    .private_segment_fixed_size: 0
    .sgpr_count:     0
    .sgpr_spill_count: 0
    .symbol:         _ZN7rocprim17ROCPRIM_400000_NS6detail17trampoline_kernelINS0_14default_configENS1_25partition_config_selectorILNS1_17partition_subalgoE5ElNS0_10empty_typeEbEEZZNS1_14partition_implILS5_5ELb0ES3_mN6hipcub16HIPCUB_304000_NS21CountingInputIteratorIllEEPS6_NSA_22TransformInputIteratorIbN2at6native12_GLOBAL__N_19NonZeroOpIlEEPKllEENS0_5tupleIJPlS6_EEENSN_IJSD_SD_EEES6_PiJS6_EEE10hipError_tPvRmT3_T4_T5_T6_T7_T9_mT8_P12ihipStream_tbDpT10_ENKUlT_T0_E_clISt17integral_constantIbLb0EES1A_IbLb1EEEEDaS16_S17_EUlS16_E_NS1_11comp_targetILNS1_3genE8ELNS1_11target_archE1030ELNS1_3gpuE2ELNS1_3repE0EEENS1_30default_config_static_selectorELNS0_4arch9wavefront6targetE0EEEvT1_.kd
    .uniform_work_group_size: 1
    .uses_dynamic_stack: false
    .vgpr_count:     0
    .vgpr_spill_count: 0
    .wavefront_size: 32
    .workgroup_processor_mode: 1
  - .args:
      - .offset:         0
        .size:           56
        .value_kind:     by_value
    .group_segment_fixed_size: 0
    .kernarg_segment_align: 8
    .kernarg_segment_size: 56
    .language:       OpenCL C
    .language_version:
      - 2
      - 0
    .max_flat_workgroup_size: 256
    .name:           _ZN7rocprim17ROCPRIM_400000_NS6detail17trampoline_kernelINS0_14default_configENS1_22reduce_config_selectorIiEEZNS1_11reduce_implILb1ES3_PiS7_iN6hipcub16HIPCUB_304000_NS6detail34convert_binary_result_type_wrapperINS9_3SumENS9_22TransformInputIteratorIbN2at6native12_GLOBAL__N_19NonZeroOpIsEEPKslEEiEEEE10hipError_tPvRmT1_T2_T3_mT4_P12ihipStream_tbEUlT_E0_NS1_11comp_targetILNS1_3genE0ELNS1_11target_archE4294967295ELNS1_3gpuE0ELNS1_3repE0EEENS1_30default_config_static_selectorELNS0_4arch9wavefront6targetE0EEEvSQ_
    .private_segment_fixed_size: 0
    .sgpr_count:     0
    .sgpr_spill_count: 0
    .symbol:         _ZN7rocprim17ROCPRIM_400000_NS6detail17trampoline_kernelINS0_14default_configENS1_22reduce_config_selectorIiEEZNS1_11reduce_implILb1ES3_PiS7_iN6hipcub16HIPCUB_304000_NS6detail34convert_binary_result_type_wrapperINS9_3SumENS9_22TransformInputIteratorIbN2at6native12_GLOBAL__N_19NonZeroOpIsEEPKslEEiEEEE10hipError_tPvRmT1_T2_T3_mT4_P12ihipStream_tbEUlT_E0_NS1_11comp_targetILNS1_3genE0ELNS1_11target_archE4294967295ELNS1_3gpuE0ELNS1_3repE0EEENS1_30default_config_static_selectorELNS0_4arch9wavefront6targetE0EEEvSQ_.kd
    .uniform_work_group_size: 1
    .uses_dynamic_stack: false
    .vgpr_count:     0
    .vgpr_spill_count: 0
    .wavefront_size: 32
    .workgroup_processor_mode: 1
  - .args:
      - .offset:         0
        .size:           56
        .value_kind:     by_value
    .group_segment_fixed_size: 0
    .kernarg_segment_align: 8
    .kernarg_segment_size: 56
    .language:       OpenCL C
    .language_version:
      - 2
      - 0
    .max_flat_workgroup_size: 256
    .name:           _ZN7rocprim17ROCPRIM_400000_NS6detail17trampoline_kernelINS0_14default_configENS1_22reduce_config_selectorIiEEZNS1_11reduce_implILb1ES3_PiS7_iN6hipcub16HIPCUB_304000_NS6detail34convert_binary_result_type_wrapperINS9_3SumENS9_22TransformInputIteratorIbN2at6native12_GLOBAL__N_19NonZeroOpIsEEPKslEEiEEEE10hipError_tPvRmT1_T2_T3_mT4_P12ihipStream_tbEUlT_E0_NS1_11comp_targetILNS1_3genE5ELNS1_11target_archE942ELNS1_3gpuE9ELNS1_3repE0EEENS1_30default_config_static_selectorELNS0_4arch9wavefront6targetE0EEEvSQ_
    .private_segment_fixed_size: 0
    .sgpr_count:     0
    .sgpr_spill_count: 0
    .symbol:         _ZN7rocprim17ROCPRIM_400000_NS6detail17trampoline_kernelINS0_14default_configENS1_22reduce_config_selectorIiEEZNS1_11reduce_implILb1ES3_PiS7_iN6hipcub16HIPCUB_304000_NS6detail34convert_binary_result_type_wrapperINS9_3SumENS9_22TransformInputIteratorIbN2at6native12_GLOBAL__N_19NonZeroOpIsEEPKslEEiEEEE10hipError_tPvRmT1_T2_T3_mT4_P12ihipStream_tbEUlT_E0_NS1_11comp_targetILNS1_3genE5ELNS1_11target_archE942ELNS1_3gpuE9ELNS1_3repE0EEENS1_30default_config_static_selectorELNS0_4arch9wavefront6targetE0EEEvSQ_.kd
    .uniform_work_group_size: 1
    .uses_dynamic_stack: false
    .vgpr_count:     0
    .vgpr_spill_count: 0
    .wavefront_size: 32
    .workgroup_processor_mode: 1
  - .args:
      - .offset:         0
        .size:           56
        .value_kind:     by_value
    .group_segment_fixed_size: 0
    .kernarg_segment_align: 8
    .kernarg_segment_size: 56
    .language:       OpenCL C
    .language_version:
      - 2
      - 0
    .max_flat_workgroup_size: 128
    .name:           _ZN7rocprim17ROCPRIM_400000_NS6detail17trampoline_kernelINS0_14default_configENS1_22reduce_config_selectorIiEEZNS1_11reduce_implILb1ES3_PiS7_iN6hipcub16HIPCUB_304000_NS6detail34convert_binary_result_type_wrapperINS9_3SumENS9_22TransformInputIteratorIbN2at6native12_GLOBAL__N_19NonZeroOpIsEEPKslEEiEEEE10hipError_tPvRmT1_T2_T3_mT4_P12ihipStream_tbEUlT_E0_NS1_11comp_targetILNS1_3genE4ELNS1_11target_archE910ELNS1_3gpuE8ELNS1_3repE0EEENS1_30default_config_static_selectorELNS0_4arch9wavefront6targetE0EEEvSQ_
    .private_segment_fixed_size: 0
    .sgpr_count:     0
    .sgpr_spill_count: 0
    .symbol:         _ZN7rocprim17ROCPRIM_400000_NS6detail17trampoline_kernelINS0_14default_configENS1_22reduce_config_selectorIiEEZNS1_11reduce_implILb1ES3_PiS7_iN6hipcub16HIPCUB_304000_NS6detail34convert_binary_result_type_wrapperINS9_3SumENS9_22TransformInputIteratorIbN2at6native12_GLOBAL__N_19NonZeroOpIsEEPKslEEiEEEE10hipError_tPvRmT1_T2_T3_mT4_P12ihipStream_tbEUlT_E0_NS1_11comp_targetILNS1_3genE4ELNS1_11target_archE910ELNS1_3gpuE8ELNS1_3repE0EEENS1_30default_config_static_selectorELNS0_4arch9wavefront6targetE0EEEvSQ_.kd
    .uniform_work_group_size: 1
    .uses_dynamic_stack: false
    .vgpr_count:     0
    .vgpr_spill_count: 0
    .wavefront_size: 32
    .workgroup_processor_mode: 1
  - .args:
      - .offset:         0
        .size:           56
        .value_kind:     by_value
    .group_segment_fixed_size: 0
    .kernarg_segment_align: 8
    .kernarg_segment_size: 56
    .language:       OpenCL C
    .language_version:
      - 2
      - 0
    .max_flat_workgroup_size: 256
    .name:           _ZN7rocprim17ROCPRIM_400000_NS6detail17trampoline_kernelINS0_14default_configENS1_22reduce_config_selectorIiEEZNS1_11reduce_implILb1ES3_PiS7_iN6hipcub16HIPCUB_304000_NS6detail34convert_binary_result_type_wrapperINS9_3SumENS9_22TransformInputIteratorIbN2at6native12_GLOBAL__N_19NonZeroOpIsEEPKslEEiEEEE10hipError_tPvRmT1_T2_T3_mT4_P12ihipStream_tbEUlT_E0_NS1_11comp_targetILNS1_3genE3ELNS1_11target_archE908ELNS1_3gpuE7ELNS1_3repE0EEENS1_30default_config_static_selectorELNS0_4arch9wavefront6targetE0EEEvSQ_
    .private_segment_fixed_size: 0
    .sgpr_count:     0
    .sgpr_spill_count: 0
    .symbol:         _ZN7rocprim17ROCPRIM_400000_NS6detail17trampoline_kernelINS0_14default_configENS1_22reduce_config_selectorIiEEZNS1_11reduce_implILb1ES3_PiS7_iN6hipcub16HIPCUB_304000_NS6detail34convert_binary_result_type_wrapperINS9_3SumENS9_22TransformInputIteratorIbN2at6native12_GLOBAL__N_19NonZeroOpIsEEPKslEEiEEEE10hipError_tPvRmT1_T2_T3_mT4_P12ihipStream_tbEUlT_E0_NS1_11comp_targetILNS1_3genE3ELNS1_11target_archE908ELNS1_3gpuE7ELNS1_3repE0EEENS1_30default_config_static_selectorELNS0_4arch9wavefront6targetE0EEEvSQ_.kd
    .uniform_work_group_size: 1
    .uses_dynamic_stack: false
    .vgpr_count:     0
    .vgpr_spill_count: 0
    .wavefront_size: 32
    .workgroup_processor_mode: 1
  - .args:
      - .offset:         0
        .size:           56
        .value_kind:     by_value
    .group_segment_fixed_size: 0
    .kernarg_segment_align: 8
    .kernarg_segment_size: 56
    .language:       OpenCL C
    .language_version:
      - 2
      - 0
    .max_flat_workgroup_size: 256
    .name:           _ZN7rocprim17ROCPRIM_400000_NS6detail17trampoline_kernelINS0_14default_configENS1_22reduce_config_selectorIiEEZNS1_11reduce_implILb1ES3_PiS7_iN6hipcub16HIPCUB_304000_NS6detail34convert_binary_result_type_wrapperINS9_3SumENS9_22TransformInputIteratorIbN2at6native12_GLOBAL__N_19NonZeroOpIsEEPKslEEiEEEE10hipError_tPvRmT1_T2_T3_mT4_P12ihipStream_tbEUlT_E0_NS1_11comp_targetILNS1_3genE2ELNS1_11target_archE906ELNS1_3gpuE6ELNS1_3repE0EEENS1_30default_config_static_selectorELNS0_4arch9wavefront6targetE0EEEvSQ_
    .private_segment_fixed_size: 0
    .sgpr_count:     0
    .sgpr_spill_count: 0
    .symbol:         _ZN7rocprim17ROCPRIM_400000_NS6detail17trampoline_kernelINS0_14default_configENS1_22reduce_config_selectorIiEEZNS1_11reduce_implILb1ES3_PiS7_iN6hipcub16HIPCUB_304000_NS6detail34convert_binary_result_type_wrapperINS9_3SumENS9_22TransformInputIteratorIbN2at6native12_GLOBAL__N_19NonZeroOpIsEEPKslEEiEEEE10hipError_tPvRmT1_T2_T3_mT4_P12ihipStream_tbEUlT_E0_NS1_11comp_targetILNS1_3genE2ELNS1_11target_archE906ELNS1_3gpuE6ELNS1_3repE0EEENS1_30default_config_static_selectorELNS0_4arch9wavefront6targetE0EEEvSQ_.kd
    .uniform_work_group_size: 1
    .uses_dynamic_stack: false
    .vgpr_count:     0
    .vgpr_spill_count: 0
    .wavefront_size: 32
    .workgroup_processor_mode: 1
  - .args:
      - .offset:         0
        .size:           56
        .value_kind:     by_value
    .group_segment_fixed_size: 64
    .kernarg_segment_align: 8
    .kernarg_segment_size: 56
    .language:       OpenCL C
    .language_version:
      - 2
      - 0
    .max_flat_workgroup_size: 256
    .name:           _ZN7rocprim17ROCPRIM_400000_NS6detail17trampoline_kernelINS0_14default_configENS1_22reduce_config_selectorIiEEZNS1_11reduce_implILb1ES3_PiS7_iN6hipcub16HIPCUB_304000_NS6detail34convert_binary_result_type_wrapperINS9_3SumENS9_22TransformInputIteratorIbN2at6native12_GLOBAL__N_19NonZeroOpIsEEPKslEEiEEEE10hipError_tPvRmT1_T2_T3_mT4_P12ihipStream_tbEUlT_E0_NS1_11comp_targetILNS1_3genE10ELNS1_11target_archE1201ELNS1_3gpuE5ELNS1_3repE0EEENS1_30default_config_static_selectorELNS0_4arch9wavefront6targetE0EEEvSQ_
    .private_segment_fixed_size: 0
    .sgpr_count:     32
    .sgpr_spill_count: 0
    .symbol:         _ZN7rocprim17ROCPRIM_400000_NS6detail17trampoline_kernelINS0_14default_configENS1_22reduce_config_selectorIiEEZNS1_11reduce_implILb1ES3_PiS7_iN6hipcub16HIPCUB_304000_NS6detail34convert_binary_result_type_wrapperINS9_3SumENS9_22TransformInputIteratorIbN2at6native12_GLOBAL__N_19NonZeroOpIsEEPKslEEiEEEE10hipError_tPvRmT1_T2_T3_mT4_P12ihipStream_tbEUlT_E0_NS1_11comp_targetILNS1_3genE10ELNS1_11target_archE1201ELNS1_3gpuE5ELNS1_3repE0EEENS1_30default_config_static_selectorELNS0_4arch9wavefront6targetE0EEEvSQ_.kd
    .uniform_work_group_size: 1
    .uses_dynamic_stack: false
    .vgpr_count:     20
    .vgpr_spill_count: 0
    .wavefront_size: 32
    .workgroup_processor_mode: 1
  - .args:
      - .offset:         0
        .size:           56
        .value_kind:     by_value
    .group_segment_fixed_size: 0
    .kernarg_segment_align: 8
    .kernarg_segment_size: 56
    .language:       OpenCL C
    .language_version:
      - 2
      - 0
    .max_flat_workgroup_size: 256
    .name:           _ZN7rocprim17ROCPRIM_400000_NS6detail17trampoline_kernelINS0_14default_configENS1_22reduce_config_selectorIiEEZNS1_11reduce_implILb1ES3_PiS7_iN6hipcub16HIPCUB_304000_NS6detail34convert_binary_result_type_wrapperINS9_3SumENS9_22TransformInputIteratorIbN2at6native12_GLOBAL__N_19NonZeroOpIsEEPKslEEiEEEE10hipError_tPvRmT1_T2_T3_mT4_P12ihipStream_tbEUlT_E0_NS1_11comp_targetILNS1_3genE10ELNS1_11target_archE1200ELNS1_3gpuE4ELNS1_3repE0EEENS1_30default_config_static_selectorELNS0_4arch9wavefront6targetE0EEEvSQ_
    .private_segment_fixed_size: 0
    .sgpr_count:     0
    .sgpr_spill_count: 0
    .symbol:         _ZN7rocprim17ROCPRIM_400000_NS6detail17trampoline_kernelINS0_14default_configENS1_22reduce_config_selectorIiEEZNS1_11reduce_implILb1ES3_PiS7_iN6hipcub16HIPCUB_304000_NS6detail34convert_binary_result_type_wrapperINS9_3SumENS9_22TransformInputIteratorIbN2at6native12_GLOBAL__N_19NonZeroOpIsEEPKslEEiEEEE10hipError_tPvRmT1_T2_T3_mT4_P12ihipStream_tbEUlT_E0_NS1_11comp_targetILNS1_3genE10ELNS1_11target_archE1200ELNS1_3gpuE4ELNS1_3repE0EEENS1_30default_config_static_selectorELNS0_4arch9wavefront6targetE0EEEvSQ_.kd
    .uniform_work_group_size: 1
    .uses_dynamic_stack: false
    .vgpr_count:     0
    .vgpr_spill_count: 0
    .wavefront_size: 32
    .workgroup_processor_mode: 1
  - .args:
      - .offset:         0
        .size:           56
        .value_kind:     by_value
    .group_segment_fixed_size: 0
    .kernarg_segment_align: 8
    .kernarg_segment_size: 56
    .language:       OpenCL C
    .language_version:
      - 2
      - 0
    .max_flat_workgroup_size: 256
    .name:           _ZN7rocprim17ROCPRIM_400000_NS6detail17trampoline_kernelINS0_14default_configENS1_22reduce_config_selectorIiEEZNS1_11reduce_implILb1ES3_PiS7_iN6hipcub16HIPCUB_304000_NS6detail34convert_binary_result_type_wrapperINS9_3SumENS9_22TransformInputIteratorIbN2at6native12_GLOBAL__N_19NonZeroOpIsEEPKslEEiEEEE10hipError_tPvRmT1_T2_T3_mT4_P12ihipStream_tbEUlT_E0_NS1_11comp_targetILNS1_3genE9ELNS1_11target_archE1100ELNS1_3gpuE3ELNS1_3repE0EEENS1_30default_config_static_selectorELNS0_4arch9wavefront6targetE0EEEvSQ_
    .private_segment_fixed_size: 0
    .sgpr_count:     0
    .sgpr_spill_count: 0
    .symbol:         _ZN7rocprim17ROCPRIM_400000_NS6detail17trampoline_kernelINS0_14default_configENS1_22reduce_config_selectorIiEEZNS1_11reduce_implILb1ES3_PiS7_iN6hipcub16HIPCUB_304000_NS6detail34convert_binary_result_type_wrapperINS9_3SumENS9_22TransformInputIteratorIbN2at6native12_GLOBAL__N_19NonZeroOpIsEEPKslEEiEEEE10hipError_tPvRmT1_T2_T3_mT4_P12ihipStream_tbEUlT_E0_NS1_11comp_targetILNS1_3genE9ELNS1_11target_archE1100ELNS1_3gpuE3ELNS1_3repE0EEENS1_30default_config_static_selectorELNS0_4arch9wavefront6targetE0EEEvSQ_.kd
    .uniform_work_group_size: 1
    .uses_dynamic_stack: false
    .vgpr_count:     0
    .vgpr_spill_count: 0
    .wavefront_size: 32
    .workgroup_processor_mode: 1
  - .args:
      - .offset:         0
        .size:           56
        .value_kind:     by_value
    .group_segment_fixed_size: 0
    .kernarg_segment_align: 8
    .kernarg_segment_size: 56
    .language:       OpenCL C
    .language_version:
      - 2
      - 0
    .max_flat_workgroup_size: 256
    .name:           _ZN7rocprim17ROCPRIM_400000_NS6detail17trampoline_kernelINS0_14default_configENS1_22reduce_config_selectorIiEEZNS1_11reduce_implILb1ES3_PiS7_iN6hipcub16HIPCUB_304000_NS6detail34convert_binary_result_type_wrapperINS9_3SumENS9_22TransformInputIteratorIbN2at6native12_GLOBAL__N_19NonZeroOpIsEEPKslEEiEEEE10hipError_tPvRmT1_T2_T3_mT4_P12ihipStream_tbEUlT_E0_NS1_11comp_targetILNS1_3genE8ELNS1_11target_archE1030ELNS1_3gpuE2ELNS1_3repE0EEENS1_30default_config_static_selectorELNS0_4arch9wavefront6targetE0EEEvSQ_
    .private_segment_fixed_size: 0
    .sgpr_count:     0
    .sgpr_spill_count: 0
    .symbol:         _ZN7rocprim17ROCPRIM_400000_NS6detail17trampoline_kernelINS0_14default_configENS1_22reduce_config_selectorIiEEZNS1_11reduce_implILb1ES3_PiS7_iN6hipcub16HIPCUB_304000_NS6detail34convert_binary_result_type_wrapperINS9_3SumENS9_22TransformInputIteratorIbN2at6native12_GLOBAL__N_19NonZeroOpIsEEPKslEEiEEEE10hipError_tPvRmT1_T2_T3_mT4_P12ihipStream_tbEUlT_E0_NS1_11comp_targetILNS1_3genE8ELNS1_11target_archE1030ELNS1_3gpuE2ELNS1_3repE0EEENS1_30default_config_static_selectorELNS0_4arch9wavefront6targetE0EEEvSQ_.kd
    .uniform_work_group_size: 1
    .uses_dynamic_stack: false
    .vgpr_count:     0
    .vgpr_spill_count: 0
    .wavefront_size: 32
    .workgroup_processor_mode: 1
  - .args:
      - .offset:         0
        .size:           40
        .value_kind:     by_value
    .group_segment_fixed_size: 0
    .kernarg_segment_align: 8
    .kernarg_segment_size: 40
    .language:       OpenCL C
    .language_version:
      - 2
      - 0
    .max_flat_workgroup_size: 256
    .name:           _ZN7rocprim17ROCPRIM_400000_NS6detail17trampoline_kernelINS0_14default_configENS1_22reduce_config_selectorIiEEZNS1_11reduce_implILb1ES3_PiS7_iN6hipcub16HIPCUB_304000_NS6detail34convert_binary_result_type_wrapperINS9_3SumENS9_22TransformInputIteratorIbN2at6native12_GLOBAL__N_19NonZeroOpIsEEPKslEEiEEEE10hipError_tPvRmT1_T2_T3_mT4_P12ihipStream_tbEUlT_E1_NS1_11comp_targetILNS1_3genE0ELNS1_11target_archE4294967295ELNS1_3gpuE0ELNS1_3repE0EEENS1_30default_config_static_selectorELNS0_4arch9wavefront6targetE0EEEvSQ_
    .private_segment_fixed_size: 0
    .sgpr_count:     0
    .sgpr_spill_count: 0
    .symbol:         _ZN7rocprim17ROCPRIM_400000_NS6detail17trampoline_kernelINS0_14default_configENS1_22reduce_config_selectorIiEEZNS1_11reduce_implILb1ES3_PiS7_iN6hipcub16HIPCUB_304000_NS6detail34convert_binary_result_type_wrapperINS9_3SumENS9_22TransformInputIteratorIbN2at6native12_GLOBAL__N_19NonZeroOpIsEEPKslEEiEEEE10hipError_tPvRmT1_T2_T3_mT4_P12ihipStream_tbEUlT_E1_NS1_11comp_targetILNS1_3genE0ELNS1_11target_archE4294967295ELNS1_3gpuE0ELNS1_3repE0EEENS1_30default_config_static_selectorELNS0_4arch9wavefront6targetE0EEEvSQ_.kd
    .uniform_work_group_size: 1
    .uses_dynamic_stack: false
    .vgpr_count:     0
    .vgpr_spill_count: 0
    .wavefront_size: 32
    .workgroup_processor_mode: 1
  - .args:
      - .offset:         0
        .size:           40
        .value_kind:     by_value
    .group_segment_fixed_size: 0
    .kernarg_segment_align: 8
    .kernarg_segment_size: 40
    .language:       OpenCL C
    .language_version:
      - 2
      - 0
    .max_flat_workgroup_size: 256
    .name:           _ZN7rocprim17ROCPRIM_400000_NS6detail17trampoline_kernelINS0_14default_configENS1_22reduce_config_selectorIiEEZNS1_11reduce_implILb1ES3_PiS7_iN6hipcub16HIPCUB_304000_NS6detail34convert_binary_result_type_wrapperINS9_3SumENS9_22TransformInputIteratorIbN2at6native12_GLOBAL__N_19NonZeroOpIsEEPKslEEiEEEE10hipError_tPvRmT1_T2_T3_mT4_P12ihipStream_tbEUlT_E1_NS1_11comp_targetILNS1_3genE5ELNS1_11target_archE942ELNS1_3gpuE9ELNS1_3repE0EEENS1_30default_config_static_selectorELNS0_4arch9wavefront6targetE0EEEvSQ_
    .private_segment_fixed_size: 0
    .sgpr_count:     0
    .sgpr_spill_count: 0
    .symbol:         _ZN7rocprim17ROCPRIM_400000_NS6detail17trampoline_kernelINS0_14default_configENS1_22reduce_config_selectorIiEEZNS1_11reduce_implILb1ES3_PiS7_iN6hipcub16HIPCUB_304000_NS6detail34convert_binary_result_type_wrapperINS9_3SumENS9_22TransformInputIteratorIbN2at6native12_GLOBAL__N_19NonZeroOpIsEEPKslEEiEEEE10hipError_tPvRmT1_T2_T3_mT4_P12ihipStream_tbEUlT_E1_NS1_11comp_targetILNS1_3genE5ELNS1_11target_archE942ELNS1_3gpuE9ELNS1_3repE0EEENS1_30default_config_static_selectorELNS0_4arch9wavefront6targetE0EEEvSQ_.kd
    .uniform_work_group_size: 1
    .uses_dynamic_stack: false
    .vgpr_count:     0
    .vgpr_spill_count: 0
    .wavefront_size: 32
    .workgroup_processor_mode: 1
  - .args:
      - .offset:         0
        .size:           40
        .value_kind:     by_value
    .group_segment_fixed_size: 0
    .kernarg_segment_align: 8
    .kernarg_segment_size: 40
    .language:       OpenCL C
    .language_version:
      - 2
      - 0
    .max_flat_workgroup_size: 128
    .name:           _ZN7rocprim17ROCPRIM_400000_NS6detail17trampoline_kernelINS0_14default_configENS1_22reduce_config_selectorIiEEZNS1_11reduce_implILb1ES3_PiS7_iN6hipcub16HIPCUB_304000_NS6detail34convert_binary_result_type_wrapperINS9_3SumENS9_22TransformInputIteratorIbN2at6native12_GLOBAL__N_19NonZeroOpIsEEPKslEEiEEEE10hipError_tPvRmT1_T2_T3_mT4_P12ihipStream_tbEUlT_E1_NS1_11comp_targetILNS1_3genE4ELNS1_11target_archE910ELNS1_3gpuE8ELNS1_3repE0EEENS1_30default_config_static_selectorELNS0_4arch9wavefront6targetE0EEEvSQ_
    .private_segment_fixed_size: 0
    .sgpr_count:     0
    .sgpr_spill_count: 0
    .symbol:         _ZN7rocprim17ROCPRIM_400000_NS6detail17trampoline_kernelINS0_14default_configENS1_22reduce_config_selectorIiEEZNS1_11reduce_implILb1ES3_PiS7_iN6hipcub16HIPCUB_304000_NS6detail34convert_binary_result_type_wrapperINS9_3SumENS9_22TransformInputIteratorIbN2at6native12_GLOBAL__N_19NonZeroOpIsEEPKslEEiEEEE10hipError_tPvRmT1_T2_T3_mT4_P12ihipStream_tbEUlT_E1_NS1_11comp_targetILNS1_3genE4ELNS1_11target_archE910ELNS1_3gpuE8ELNS1_3repE0EEENS1_30default_config_static_selectorELNS0_4arch9wavefront6targetE0EEEvSQ_.kd
    .uniform_work_group_size: 1
    .uses_dynamic_stack: false
    .vgpr_count:     0
    .vgpr_spill_count: 0
    .wavefront_size: 32
    .workgroup_processor_mode: 1
  - .args:
      - .offset:         0
        .size:           40
        .value_kind:     by_value
    .group_segment_fixed_size: 0
    .kernarg_segment_align: 8
    .kernarg_segment_size: 40
    .language:       OpenCL C
    .language_version:
      - 2
      - 0
    .max_flat_workgroup_size: 256
    .name:           _ZN7rocprim17ROCPRIM_400000_NS6detail17trampoline_kernelINS0_14default_configENS1_22reduce_config_selectorIiEEZNS1_11reduce_implILb1ES3_PiS7_iN6hipcub16HIPCUB_304000_NS6detail34convert_binary_result_type_wrapperINS9_3SumENS9_22TransformInputIteratorIbN2at6native12_GLOBAL__N_19NonZeroOpIsEEPKslEEiEEEE10hipError_tPvRmT1_T2_T3_mT4_P12ihipStream_tbEUlT_E1_NS1_11comp_targetILNS1_3genE3ELNS1_11target_archE908ELNS1_3gpuE7ELNS1_3repE0EEENS1_30default_config_static_selectorELNS0_4arch9wavefront6targetE0EEEvSQ_
    .private_segment_fixed_size: 0
    .sgpr_count:     0
    .sgpr_spill_count: 0
    .symbol:         _ZN7rocprim17ROCPRIM_400000_NS6detail17trampoline_kernelINS0_14default_configENS1_22reduce_config_selectorIiEEZNS1_11reduce_implILb1ES3_PiS7_iN6hipcub16HIPCUB_304000_NS6detail34convert_binary_result_type_wrapperINS9_3SumENS9_22TransformInputIteratorIbN2at6native12_GLOBAL__N_19NonZeroOpIsEEPKslEEiEEEE10hipError_tPvRmT1_T2_T3_mT4_P12ihipStream_tbEUlT_E1_NS1_11comp_targetILNS1_3genE3ELNS1_11target_archE908ELNS1_3gpuE7ELNS1_3repE0EEENS1_30default_config_static_selectorELNS0_4arch9wavefront6targetE0EEEvSQ_.kd
    .uniform_work_group_size: 1
    .uses_dynamic_stack: false
    .vgpr_count:     0
    .vgpr_spill_count: 0
    .wavefront_size: 32
    .workgroup_processor_mode: 1
  - .args:
      - .offset:         0
        .size:           40
        .value_kind:     by_value
    .group_segment_fixed_size: 0
    .kernarg_segment_align: 8
    .kernarg_segment_size: 40
    .language:       OpenCL C
    .language_version:
      - 2
      - 0
    .max_flat_workgroup_size: 256
    .name:           _ZN7rocprim17ROCPRIM_400000_NS6detail17trampoline_kernelINS0_14default_configENS1_22reduce_config_selectorIiEEZNS1_11reduce_implILb1ES3_PiS7_iN6hipcub16HIPCUB_304000_NS6detail34convert_binary_result_type_wrapperINS9_3SumENS9_22TransformInputIteratorIbN2at6native12_GLOBAL__N_19NonZeroOpIsEEPKslEEiEEEE10hipError_tPvRmT1_T2_T3_mT4_P12ihipStream_tbEUlT_E1_NS1_11comp_targetILNS1_3genE2ELNS1_11target_archE906ELNS1_3gpuE6ELNS1_3repE0EEENS1_30default_config_static_selectorELNS0_4arch9wavefront6targetE0EEEvSQ_
    .private_segment_fixed_size: 0
    .sgpr_count:     0
    .sgpr_spill_count: 0
    .symbol:         _ZN7rocprim17ROCPRIM_400000_NS6detail17trampoline_kernelINS0_14default_configENS1_22reduce_config_selectorIiEEZNS1_11reduce_implILb1ES3_PiS7_iN6hipcub16HIPCUB_304000_NS6detail34convert_binary_result_type_wrapperINS9_3SumENS9_22TransformInputIteratorIbN2at6native12_GLOBAL__N_19NonZeroOpIsEEPKslEEiEEEE10hipError_tPvRmT1_T2_T3_mT4_P12ihipStream_tbEUlT_E1_NS1_11comp_targetILNS1_3genE2ELNS1_11target_archE906ELNS1_3gpuE6ELNS1_3repE0EEENS1_30default_config_static_selectorELNS0_4arch9wavefront6targetE0EEEvSQ_.kd
    .uniform_work_group_size: 1
    .uses_dynamic_stack: false
    .vgpr_count:     0
    .vgpr_spill_count: 0
    .wavefront_size: 32
    .workgroup_processor_mode: 1
  - .args:
      - .offset:         0
        .size:           40
        .value_kind:     by_value
    .group_segment_fixed_size: 224
    .kernarg_segment_align: 8
    .kernarg_segment_size: 40
    .language:       OpenCL C
    .language_version:
      - 2
      - 0
    .max_flat_workgroup_size: 256
    .name:           _ZN7rocprim17ROCPRIM_400000_NS6detail17trampoline_kernelINS0_14default_configENS1_22reduce_config_selectorIiEEZNS1_11reduce_implILb1ES3_PiS7_iN6hipcub16HIPCUB_304000_NS6detail34convert_binary_result_type_wrapperINS9_3SumENS9_22TransformInputIteratorIbN2at6native12_GLOBAL__N_19NonZeroOpIsEEPKslEEiEEEE10hipError_tPvRmT1_T2_T3_mT4_P12ihipStream_tbEUlT_E1_NS1_11comp_targetILNS1_3genE10ELNS1_11target_archE1201ELNS1_3gpuE5ELNS1_3repE0EEENS1_30default_config_static_selectorELNS0_4arch9wavefront6targetE0EEEvSQ_
    .private_segment_fixed_size: 0
    .sgpr_count:     47
    .sgpr_spill_count: 0
    .symbol:         _ZN7rocprim17ROCPRIM_400000_NS6detail17trampoline_kernelINS0_14default_configENS1_22reduce_config_selectorIiEEZNS1_11reduce_implILb1ES3_PiS7_iN6hipcub16HIPCUB_304000_NS6detail34convert_binary_result_type_wrapperINS9_3SumENS9_22TransformInputIteratorIbN2at6native12_GLOBAL__N_19NonZeroOpIsEEPKslEEiEEEE10hipError_tPvRmT1_T2_T3_mT4_P12ihipStream_tbEUlT_E1_NS1_11comp_targetILNS1_3genE10ELNS1_11target_archE1201ELNS1_3gpuE5ELNS1_3repE0EEENS1_30default_config_static_selectorELNS0_4arch9wavefront6targetE0EEEvSQ_.kd
    .uniform_work_group_size: 1
    .uses_dynamic_stack: false
    .vgpr_count:     34
    .vgpr_spill_count: 0
    .wavefront_size: 32
    .workgroup_processor_mode: 1
  - .args:
      - .offset:         0
        .size:           40
        .value_kind:     by_value
    .group_segment_fixed_size: 0
    .kernarg_segment_align: 8
    .kernarg_segment_size: 40
    .language:       OpenCL C
    .language_version:
      - 2
      - 0
    .max_flat_workgroup_size: 256
    .name:           _ZN7rocprim17ROCPRIM_400000_NS6detail17trampoline_kernelINS0_14default_configENS1_22reduce_config_selectorIiEEZNS1_11reduce_implILb1ES3_PiS7_iN6hipcub16HIPCUB_304000_NS6detail34convert_binary_result_type_wrapperINS9_3SumENS9_22TransformInputIteratorIbN2at6native12_GLOBAL__N_19NonZeroOpIsEEPKslEEiEEEE10hipError_tPvRmT1_T2_T3_mT4_P12ihipStream_tbEUlT_E1_NS1_11comp_targetILNS1_3genE10ELNS1_11target_archE1200ELNS1_3gpuE4ELNS1_3repE0EEENS1_30default_config_static_selectorELNS0_4arch9wavefront6targetE0EEEvSQ_
    .private_segment_fixed_size: 0
    .sgpr_count:     0
    .sgpr_spill_count: 0
    .symbol:         _ZN7rocprim17ROCPRIM_400000_NS6detail17trampoline_kernelINS0_14default_configENS1_22reduce_config_selectorIiEEZNS1_11reduce_implILb1ES3_PiS7_iN6hipcub16HIPCUB_304000_NS6detail34convert_binary_result_type_wrapperINS9_3SumENS9_22TransformInputIteratorIbN2at6native12_GLOBAL__N_19NonZeroOpIsEEPKslEEiEEEE10hipError_tPvRmT1_T2_T3_mT4_P12ihipStream_tbEUlT_E1_NS1_11comp_targetILNS1_3genE10ELNS1_11target_archE1200ELNS1_3gpuE4ELNS1_3repE0EEENS1_30default_config_static_selectorELNS0_4arch9wavefront6targetE0EEEvSQ_.kd
    .uniform_work_group_size: 1
    .uses_dynamic_stack: false
    .vgpr_count:     0
    .vgpr_spill_count: 0
    .wavefront_size: 32
    .workgroup_processor_mode: 1
  - .args:
      - .offset:         0
        .size:           40
        .value_kind:     by_value
    .group_segment_fixed_size: 0
    .kernarg_segment_align: 8
    .kernarg_segment_size: 40
    .language:       OpenCL C
    .language_version:
      - 2
      - 0
    .max_flat_workgroup_size: 256
    .name:           _ZN7rocprim17ROCPRIM_400000_NS6detail17trampoline_kernelINS0_14default_configENS1_22reduce_config_selectorIiEEZNS1_11reduce_implILb1ES3_PiS7_iN6hipcub16HIPCUB_304000_NS6detail34convert_binary_result_type_wrapperINS9_3SumENS9_22TransformInputIteratorIbN2at6native12_GLOBAL__N_19NonZeroOpIsEEPKslEEiEEEE10hipError_tPvRmT1_T2_T3_mT4_P12ihipStream_tbEUlT_E1_NS1_11comp_targetILNS1_3genE9ELNS1_11target_archE1100ELNS1_3gpuE3ELNS1_3repE0EEENS1_30default_config_static_selectorELNS0_4arch9wavefront6targetE0EEEvSQ_
    .private_segment_fixed_size: 0
    .sgpr_count:     0
    .sgpr_spill_count: 0
    .symbol:         _ZN7rocprim17ROCPRIM_400000_NS6detail17trampoline_kernelINS0_14default_configENS1_22reduce_config_selectorIiEEZNS1_11reduce_implILb1ES3_PiS7_iN6hipcub16HIPCUB_304000_NS6detail34convert_binary_result_type_wrapperINS9_3SumENS9_22TransformInputIteratorIbN2at6native12_GLOBAL__N_19NonZeroOpIsEEPKslEEiEEEE10hipError_tPvRmT1_T2_T3_mT4_P12ihipStream_tbEUlT_E1_NS1_11comp_targetILNS1_3genE9ELNS1_11target_archE1100ELNS1_3gpuE3ELNS1_3repE0EEENS1_30default_config_static_selectorELNS0_4arch9wavefront6targetE0EEEvSQ_.kd
    .uniform_work_group_size: 1
    .uses_dynamic_stack: false
    .vgpr_count:     0
    .vgpr_spill_count: 0
    .wavefront_size: 32
    .workgroup_processor_mode: 1
  - .args:
      - .offset:         0
        .size:           40
        .value_kind:     by_value
    .group_segment_fixed_size: 0
    .kernarg_segment_align: 8
    .kernarg_segment_size: 40
    .language:       OpenCL C
    .language_version:
      - 2
      - 0
    .max_flat_workgroup_size: 256
    .name:           _ZN7rocprim17ROCPRIM_400000_NS6detail17trampoline_kernelINS0_14default_configENS1_22reduce_config_selectorIiEEZNS1_11reduce_implILb1ES3_PiS7_iN6hipcub16HIPCUB_304000_NS6detail34convert_binary_result_type_wrapperINS9_3SumENS9_22TransformInputIteratorIbN2at6native12_GLOBAL__N_19NonZeroOpIsEEPKslEEiEEEE10hipError_tPvRmT1_T2_T3_mT4_P12ihipStream_tbEUlT_E1_NS1_11comp_targetILNS1_3genE8ELNS1_11target_archE1030ELNS1_3gpuE2ELNS1_3repE0EEENS1_30default_config_static_selectorELNS0_4arch9wavefront6targetE0EEEvSQ_
    .private_segment_fixed_size: 0
    .sgpr_count:     0
    .sgpr_spill_count: 0
    .symbol:         _ZN7rocprim17ROCPRIM_400000_NS6detail17trampoline_kernelINS0_14default_configENS1_22reduce_config_selectorIiEEZNS1_11reduce_implILb1ES3_PiS7_iN6hipcub16HIPCUB_304000_NS6detail34convert_binary_result_type_wrapperINS9_3SumENS9_22TransformInputIteratorIbN2at6native12_GLOBAL__N_19NonZeroOpIsEEPKslEEiEEEE10hipError_tPvRmT1_T2_T3_mT4_P12ihipStream_tbEUlT_E1_NS1_11comp_targetILNS1_3genE8ELNS1_11target_archE1030ELNS1_3gpuE2ELNS1_3repE0EEENS1_30default_config_static_selectorELNS0_4arch9wavefront6targetE0EEEvSQ_.kd
    .uniform_work_group_size: 1
    .uses_dynamic_stack: false
    .vgpr_count:     0
    .vgpr_spill_count: 0
    .wavefront_size: 32
    .workgroup_processor_mode: 1
  - .args:
      - .offset:         0
        .size:           64
        .value_kind:     by_value
    .group_segment_fixed_size: 0
    .kernarg_segment_align: 8
    .kernarg_segment_size: 64
    .language:       OpenCL C
    .language_version:
      - 2
      - 0
    .max_flat_workgroup_size: 256
    .name:           _ZN7rocprim17ROCPRIM_400000_NS6detail17trampoline_kernelINS0_14default_configENS1_22reduce_config_selectorIbEEZNS1_11reduce_implILb1ES3_N6hipcub16HIPCUB_304000_NS22TransformInputIteratorIbN2at6native12_GLOBAL__N_19NonZeroOpIsEEPKslEEPiiNS8_6detail34convert_binary_result_type_wrapperINS8_3SumESH_iEEEE10hipError_tPvRmT1_T2_T3_mT4_P12ihipStream_tbEUlT_E0_NS1_11comp_targetILNS1_3genE0ELNS1_11target_archE4294967295ELNS1_3gpuE0ELNS1_3repE0EEENS1_30default_config_static_selectorELNS0_4arch9wavefront6targetE0EEEvSQ_
    .private_segment_fixed_size: 0
    .sgpr_count:     0
    .sgpr_spill_count: 0
    .symbol:         _ZN7rocprim17ROCPRIM_400000_NS6detail17trampoline_kernelINS0_14default_configENS1_22reduce_config_selectorIbEEZNS1_11reduce_implILb1ES3_N6hipcub16HIPCUB_304000_NS22TransformInputIteratorIbN2at6native12_GLOBAL__N_19NonZeroOpIsEEPKslEEPiiNS8_6detail34convert_binary_result_type_wrapperINS8_3SumESH_iEEEE10hipError_tPvRmT1_T2_T3_mT4_P12ihipStream_tbEUlT_E0_NS1_11comp_targetILNS1_3genE0ELNS1_11target_archE4294967295ELNS1_3gpuE0ELNS1_3repE0EEENS1_30default_config_static_selectorELNS0_4arch9wavefront6targetE0EEEvSQ_.kd
    .uniform_work_group_size: 1
    .uses_dynamic_stack: false
    .vgpr_count:     0
    .vgpr_spill_count: 0
    .wavefront_size: 32
    .workgroup_processor_mode: 1
  - .args:
      - .offset:         0
        .size:           64
        .value_kind:     by_value
    .group_segment_fixed_size: 0
    .kernarg_segment_align: 8
    .kernarg_segment_size: 64
    .language:       OpenCL C
    .language_version:
      - 2
      - 0
    .max_flat_workgroup_size: 256
    .name:           _ZN7rocprim17ROCPRIM_400000_NS6detail17trampoline_kernelINS0_14default_configENS1_22reduce_config_selectorIbEEZNS1_11reduce_implILb1ES3_N6hipcub16HIPCUB_304000_NS22TransformInputIteratorIbN2at6native12_GLOBAL__N_19NonZeroOpIsEEPKslEEPiiNS8_6detail34convert_binary_result_type_wrapperINS8_3SumESH_iEEEE10hipError_tPvRmT1_T2_T3_mT4_P12ihipStream_tbEUlT_E0_NS1_11comp_targetILNS1_3genE5ELNS1_11target_archE942ELNS1_3gpuE9ELNS1_3repE0EEENS1_30default_config_static_selectorELNS0_4arch9wavefront6targetE0EEEvSQ_
    .private_segment_fixed_size: 0
    .sgpr_count:     0
    .sgpr_spill_count: 0
    .symbol:         _ZN7rocprim17ROCPRIM_400000_NS6detail17trampoline_kernelINS0_14default_configENS1_22reduce_config_selectorIbEEZNS1_11reduce_implILb1ES3_N6hipcub16HIPCUB_304000_NS22TransformInputIteratorIbN2at6native12_GLOBAL__N_19NonZeroOpIsEEPKslEEPiiNS8_6detail34convert_binary_result_type_wrapperINS8_3SumESH_iEEEE10hipError_tPvRmT1_T2_T3_mT4_P12ihipStream_tbEUlT_E0_NS1_11comp_targetILNS1_3genE5ELNS1_11target_archE942ELNS1_3gpuE9ELNS1_3repE0EEENS1_30default_config_static_selectorELNS0_4arch9wavefront6targetE0EEEvSQ_.kd
    .uniform_work_group_size: 1
    .uses_dynamic_stack: false
    .vgpr_count:     0
    .vgpr_spill_count: 0
    .wavefront_size: 32
    .workgroup_processor_mode: 1
  - .args:
      - .offset:         0
        .size:           64
        .value_kind:     by_value
    .group_segment_fixed_size: 0
    .kernarg_segment_align: 8
    .kernarg_segment_size: 64
    .language:       OpenCL C
    .language_version:
      - 2
      - 0
    .max_flat_workgroup_size: 128
    .name:           _ZN7rocprim17ROCPRIM_400000_NS6detail17trampoline_kernelINS0_14default_configENS1_22reduce_config_selectorIbEEZNS1_11reduce_implILb1ES3_N6hipcub16HIPCUB_304000_NS22TransformInputIteratorIbN2at6native12_GLOBAL__N_19NonZeroOpIsEEPKslEEPiiNS8_6detail34convert_binary_result_type_wrapperINS8_3SumESH_iEEEE10hipError_tPvRmT1_T2_T3_mT4_P12ihipStream_tbEUlT_E0_NS1_11comp_targetILNS1_3genE4ELNS1_11target_archE910ELNS1_3gpuE8ELNS1_3repE0EEENS1_30default_config_static_selectorELNS0_4arch9wavefront6targetE0EEEvSQ_
    .private_segment_fixed_size: 0
    .sgpr_count:     0
    .sgpr_spill_count: 0
    .symbol:         _ZN7rocprim17ROCPRIM_400000_NS6detail17trampoline_kernelINS0_14default_configENS1_22reduce_config_selectorIbEEZNS1_11reduce_implILb1ES3_N6hipcub16HIPCUB_304000_NS22TransformInputIteratorIbN2at6native12_GLOBAL__N_19NonZeroOpIsEEPKslEEPiiNS8_6detail34convert_binary_result_type_wrapperINS8_3SumESH_iEEEE10hipError_tPvRmT1_T2_T3_mT4_P12ihipStream_tbEUlT_E0_NS1_11comp_targetILNS1_3genE4ELNS1_11target_archE910ELNS1_3gpuE8ELNS1_3repE0EEENS1_30default_config_static_selectorELNS0_4arch9wavefront6targetE0EEEvSQ_.kd
    .uniform_work_group_size: 1
    .uses_dynamic_stack: false
    .vgpr_count:     0
    .vgpr_spill_count: 0
    .wavefront_size: 32
    .workgroup_processor_mode: 1
  - .args:
      - .offset:         0
        .size:           64
        .value_kind:     by_value
    .group_segment_fixed_size: 0
    .kernarg_segment_align: 8
    .kernarg_segment_size: 64
    .language:       OpenCL C
    .language_version:
      - 2
      - 0
    .max_flat_workgroup_size: 256
    .name:           _ZN7rocprim17ROCPRIM_400000_NS6detail17trampoline_kernelINS0_14default_configENS1_22reduce_config_selectorIbEEZNS1_11reduce_implILb1ES3_N6hipcub16HIPCUB_304000_NS22TransformInputIteratorIbN2at6native12_GLOBAL__N_19NonZeroOpIsEEPKslEEPiiNS8_6detail34convert_binary_result_type_wrapperINS8_3SumESH_iEEEE10hipError_tPvRmT1_T2_T3_mT4_P12ihipStream_tbEUlT_E0_NS1_11comp_targetILNS1_3genE3ELNS1_11target_archE908ELNS1_3gpuE7ELNS1_3repE0EEENS1_30default_config_static_selectorELNS0_4arch9wavefront6targetE0EEEvSQ_
    .private_segment_fixed_size: 0
    .sgpr_count:     0
    .sgpr_spill_count: 0
    .symbol:         _ZN7rocprim17ROCPRIM_400000_NS6detail17trampoline_kernelINS0_14default_configENS1_22reduce_config_selectorIbEEZNS1_11reduce_implILb1ES3_N6hipcub16HIPCUB_304000_NS22TransformInputIteratorIbN2at6native12_GLOBAL__N_19NonZeroOpIsEEPKslEEPiiNS8_6detail34convert_binary_result_type_wrapperINS8_3SumESH_iEEEE10hipError_tPvRmT1_T2_T3_mT4_P12ihipStream_tbEUlT_E0_NS1_11comp_targetILNS1_3genE3ELNS1_11target_archE908ELNS1_3gpuE7ELNS1_3repE0EEENS1_30default_config_static_selectorELNS0_4arch9wavefront6targetE0EEEvSQ_.kd
    .uniform_work_group_size: 1
    .uses_dynamic_stack: false
    .vgpr_count:     0
    .vgpr_spill_count: 0
    .wavefront_size: 32
    .workgroup_processor_mode: 1
  - .args:
      - .offset:         0
        .size:           64
        .value_kind:     by_value
    .group_segment_fixed_size: 0
    .kernarg_segment_align: 8
    .kernarg_segment_size: 64
    .language:       OpenCL C
    .language_version:
      - 2
      - 0
    .max_flat_workgroup_size: 128
    .name:           _ZN7rocprim17ROCPRIM_400000_NS6detail17trampoline_kernelINS0_14default_configENS1_22reduce_config_selectorIbEEZNS1_11reduce_implILb1ES3_N6hipcub16HIPCUB_304000_NS22TransformInputIteratorIbN2at6native12_GLOBAL__N_19NonZeroOpIsEEPKslEEPiiNS8_6detail34convert_binary_result_type_wrapperINS8_3SumESH_iEEEE10hipError_tPvRmT1_T2_T3_mT4_P12ihipStream_tbEUlT_E0_NS1_11comp_targetILNS1_3genE2ELNS1_11target_archE906ELNS1_3gpuE6ELNS1_3repE0EEENS1_30default_config_static_selectorELNS0_4arch9wavefront6targetE0EEEvSQ_
    .private_segment_fixed_size: 0
    .sgpr_count:     0
    .sgpr_spill_count: 0
    .symbol:         _ZN7rocprim17ROCPRIM_400000_NS6detail17trampoline_kernelINS0_14default_configENS1_22reduce_config_selectorIbEEZNS1_11reduce_implILb1ES3_N6hipcub16HIPCUB_304000_NS22TransformInputIteratorIbN2at6native12_GLOBAL__N_19NonZeroOpIsEEPKslEEPiiNS8_6detail34convert_binary_result_type_wrapperINS8_3SumESH_iEEEE10hipError_tPvRmT1_T2_T3_mT4_P12ihipStream_tbEUlT_E0_NS1_11comp_targetILNS1_3genE2ELNS1_11target_archE906ELNS1_3gpuE6ELNS1_3repE0EEENS1_30default_config_static_selectorELNS0_4arch9wavefront6targetE0EEEvSQ_.kd
    .uniform_work_group_size: 1
    .uses_dynamic_stack: false
    .vgpr_count:     0
    .vgpr_spill_count: 0
    .wavefront_size: 32
    .workgroup_processor_mode: 1
  - .args:
      - .offset:         0
        .size:           64
        .value_kind:     by_value
    .group_segment_fixed_size: 64
    .kernarg_segment_align: 8
    .kernarg_segment_size: 64
    .language:       OpenCL C
    .language_version:
      - 2
      - 0
    .max_flat_workgroup_size: 256
    .name:           _ZN7rocprim17ROCPRIM_400000_NS6detail17trampoline_kernelINS0_14default_configENS1_22reduce_config_selectorIbEEZNS1_11reduce_implILb1ES3_N6hipcub16HIPCUB_304000_NS22TransformInputIteratorIbN2at6native12_GLOBAL__N_19NonZeroOpIsEEPKslEEPiiNS8_6detail34convert_binary_result_type_wrapperINS8_3SumESH_iEEEE10hipError_tPvRmT1_T2_T3_mT4_P12ihipStream_tbEUlT_E0_NS1_11comp_targetILNS1_3genE10ELNS1_11target_archE1201ELNS1_3gpuE5ELNS1_3repE0EEENS1_30default_config_static_selectorELNS0_4arch9wavefront6targetE0EEEvSQ_
    .private_segment_fixed_size: 0
    .sgpr_count:     32
    .sgpr_spill_count: 0
    .symbol:         _ZN7rocprim17ROCPRIM_400000_NS6detail17trampoline_kernelINS0_14default_configENS1_22reduce_config_selectorIbEEZNS1_11reduce_implILb1ES3_N6hipcub16HIPCUB_304000_NS22TransformInputIteratorIbN2at6native12_GLOBAL__N_19NonZeroOpIsEEPKslEEPiiNS8_6detail34convert_binary_result_type_wrapperINS8_3SumESH_iEEEE10hipError_tPvRmT1_T2_T3_mT4_P12ihipStream_tbEUlT_E0_NS1_11comp_targetILNS1_3genE10ELNS1_11target_archE1201ELNS1_3gpuE5ELNS1_3repE0EEENS1_30default_config_static_selectorELNS0_4arch9wavefront6targetE0EEEvSQ_.kd
    .uniform_work_group_size: 1
    .uses_dynamic_stack: false
    .vgpr_count:     20
    .vgpr_spill_count: 0
    .wavefront_size: 32
    .workgroup_processor_mode: 1
  - .args:
      - .offset:         0
        .size:           64
        .value_kind:     by_value
    .group_segment_fixed_size: 0
    .kernarg_segment_align: 8
    .kernarg_segment_size: 64
    .language:       OpenCL C
    .language_version:
      - 2
      - 0
    .max_flat_workgroup_size: 256
    .name:           _ZN7rocprim17ROCPRIM_400000_NS6detail17trampoline_kernelINS0_14default_configENS1_22reduce_config_selectorIbEEZNS1_11reduce_implILb1ES3_N6hipcub16HIPCUB_304000_NS22TransformInputIteratorIbN2at6native12_GLOBAL__N_19NonZeroOpIsEEPKslEEPiiNS8_6detail34convert_binary_result_type_wrapperINS8_3SumESH_iEEEE10hipError_tPvRmT1_T2_T3_mT4_P12ihipStream_tbEUlT_E0_NS1_11comp_targetILNS1_3genE10ELNS1_11target_archE1200ELNS1_3gpuE4ELNS1_3repE0EEENS1_30default_config_static_selectorELNS0_4arch9wavefront6targetE0EEEvSQ_
    .private_segment_fixed_size: 0
    .sgpr_count:     0
    .sgpr_spill_count: 0
    .symbol:         _ZN7rocprim17ROCPRIM_400000_NS6detail17trampoline_kernelINS0_14default_configENS1_22reduce_config_selectorIbEEZNS1_11reduce_implILb1ES3_N6hipcub16HIPCUB_304000_NS22TransformInputIteratorIbN2at6native12_GLOBAL__N_19NonZeroOpIsEEPKslEEPiiNS8_6detail34convert_binary_result_type_wrapperINS8_3SumESH_iEEEE10hipError_tPvRmT1_T2_T3_mT4_P12ihipStream_tbEUlT_E0_NS1_11comp_targetILNS1_3genE10ELNS1_11target_archE1200ELNS1_3gpuE4ELNS1_3repE0EEENS1_30default_config_static_selectorELNS0_4arch9wavefront6targetE0EEEvSQ_.kd
    .uniform_work_group_size: 1
    .uses_dynamic_stack: false
    .vgpr_count:     0
    .vgpr_spill_count: 0
    .wavefront_size: 32
    .workgroup_processor_mode: 1
  - .args:
      - .offset:         0
        .size:           64
        .value_kind:     by_value
    .group_segment_fixed_size: 0
    .kernarg_segment_align: 8
    .kernarg_segment_size: 64
    .language:       OpenCL C
    .language_version:
      - 2
      - 0
    .max_flat_workgroup_size: 128
    .name:           _ZN7rocprim17ROCPRIM_400000_NS6detail17trampoline_kernelINS0_14default_configENS1_22reduce_config_selectorIbEEZNS1_11reduce_implILb1ES3_N6hipcub16HIPCUB_304000_NS22TransformInputIteratorIbN2at6native12_GLOBAL__N_19NonZeroOpIsEEPKslEEPiiNS8_6detail34convert_binary_result_type_wrapperINS8_3SumESH_iEEEE10hipError_tPvRmT1_T2_T3_mT4_P12ihipStream_tbEUlT_E0_NS1_11comp_targetILNS1_3genE9ELNS1_11target_archE1100ELNS1_3gpuE3ELNS1_3repE0EEENS1_30default_config_static_selectorELNS0_4arch9wavefront6targetE0EEEvSQ_
    .private_segment_fixed_size: 0
    .sgpr_count:     0
    .sgpr_spill_count: 0
    .symbol:         _ZN7rocprim17ROCPRIM_400000_NS6detail17trampoline_kernelINS0_14default_configENS1_22reduce_config_selectorIbEEZNS1_11reduce_implILb1ES3_N6hipcub16HIPCUB_304000_NS22TransformInputIteratorIbN2at6native12_GLOBAL__N_19NonZeroOpIsEEPKslEEPiiNS8_6detail34convert_binary_result_type_wrapperINS8_3SumESH_iEEEE10hipError_tPvRmT1_T2_T3_mT4_P12ihipStream_tbEUlT_E0_NS1_11comp_targetILNS1_3genE9ELNS1_11target_archE1100ELNS1_3gpuE3ELNS1_3repE0EEENS1_30default_config_static_selectorELNS0_4arch9wavefront6targetE0EEEvSQ_.kd
    .uniform_work_group_size: 1
    .uses_dynamic_stack: false
    .vgpr_count:     0
    .vgpr_spill_count: 0
    .wavefront_size: 32
    .workgroup_processor_mode: 1
  - .args:
      - .offset:         0
        .size:           64
        .value_kind:     by_value
    .group_segment_fixed_size: 0
    .kernarg_segment_align: 8
    .kernarg_segment_size: 64
    .language:       OpenCL C
    .language_version:
      - 2
      - 0
    .max_flat_workgroup_size: 256
    .name:           _ZN7rocprim17ROCPRIM_400000_NS6detail17trampoline_kernelINS0_14default_configENS1_22reduce_config_selectorIbEEZNS1_11reduce_implILb1ES3_N6hipcub16HIPCUB_304000_NS22TransformInputIteratorIbN2at6native12_GLOBAL__N_19NonZeroOpIsEEPKslEEPiiNS8_6detail34convert_binary_result_type_wrapperINS8_3SumESH_iEEEE10hipError_tPvRmT1_T2_T3_mT4_P12ihipStream_tbEUlT_E0_NS1_11comp_targetILNS1_3genE8ELNS1_11target_archE1030ELNS1_3gpuE2ELNS1_3repE0EEENS1_30default_config_static_selectorELNS0_4arch9wavefront6targetE0EEEvSQ_
    .private_segment_fixed_size: 0
    .sgpr_count:     0
    .sgpr_spill_count: 0
    .symbol:         _ZN7rocprim17ROCPRIM_400000_NS6detail17trampoline_kernelINS0_14default_configENS1_22reduce_config_selectorIbEEZNS1_11reduce_implILb1ES3_N6hipcub16HIPCUB_304000_NS22TransformInputIteratorIbN2at6native12_GLOBAL__N_19NonZeroOpIsEEPKslEEPiiNS8_6detail34convert_binary_result_type_wrapperINS8_3SumESH_iEEEE10hipError_tPvRmT1_T2_T3_mT4_P12ihipStream_tbEUlT_E0_NS1_11comp_targetILNS1_3genE8ELNS1_11target_archE1030ELNS1_3gpuE2ELNS1_3repE0EEENS1_30default_config_static_selectorELNS0_4arch9wavefront6targetE0EEEvSQ_.kd
    .uniform_work_group_size: 1
    .uses_dynamic_stack: false
    .vgpr_count:     0
    .vgpr_spill_count: 0
    .wavefront_size: 32
    .workgroup_processor_mode: 1
  - .args:
      - .offset:         0
        .size:           48
        .value_kind:     by_value
    .group_segment_fixed_size: 0
    .kernarg_segment_align: 8
    .kernarg_segment_size: 48
    .language:       OpenCL C
    .language_version:
      - 2
      - 0
    .max_flat_workgroup_size: 256
    .name:           _ZN7rocprim17ROCPRIM_400000_NS6detail17trampoline_kernelINS0_14default_configENS1_22reduce_config_selectorIbEEZNS1_11reduce_implILb1ES3_N6hipcub16HIPCUB_304000_NS22TransformInputIteratorIbN2at6native12_GLOBAL__N_19NonZeroOpIsEEPKslEEPiiNS8_6detail34convert_binary_result_type_wrapperINS8_3SumESH_iEEEE10hipError_tPvRmT1_T2_T3_mT4_P12ihipStream_tbEUlT_E1_NS1_11comp_targetILNS1_3genE0ELNS1_11target_archE4294967295ELNS1_3gpuE0ELNS1_3repE0EEENS1_30default_config_static_selectorELNS0_4arch9wavefront6targetE0EEEvSQ_
    .private_segment_fixed_size: 0
    .sgpr_count:     0
    .sgpr_spill_count: 0
    .symbol:         _ZN7rocprim17ROCPRIM_400000_NS6detail17trampoline_kernelINS0_14default_configENS1_22reduce_config_selectorIbEEZNS1_11reduce_implILb1ES3_N6hipcub16HIPCUB_304000_NS22TransformInputIteratorIbN2at6native12_GLOBAL__N_19NonZeroOpIsEEPKslEEPiiNS8_6detail34convert_binary_result_type_wrapperINS8_3SumESH_iEEEE10hipError_tPvRmT1_T2_T3_mT4_P12ihipStream_tbEUlT_E1_NS1_11comp_targetILNS1_3genE0ELNS1_11target_archE4294967295ELNS1_3gpuE0ELNS1_3repE0EEENS1_30default_config_static_selectorELNS0_4arch9wavefront6targetE0EEEvSQ_.kd
    .uniform_work_group_size: 1
    .uses_dynamic_stack: false
    .vgpr_count:     0
    .vgpr_spill_count: 0
    .wavefront_size: 32
    .workgroup_processor_mode: 1
  - .args:
      - .offset:         0
        .size:           48
        .value_kind:     by_value
    .group_segment_fixed_size: 0
    .kernarg_segment_align: 8
    .kernarg_segment_size: 48
    .language:       OpenCL C
    .language_version:
      - 2
      - 0
    .max_flat_workgroup_size: 256
    .name:           _ZN7rocprim17ROCPRIM_400000_NS6detail17trampoline_kernelINS0_14default_configENS1_22reduce_config_selectorIbEEZNS1_11reduce_implILb1ES3_N6hipcub16HIPCUB_304000_NS22TransformInputIteratorIbN2at6native12_GLOBAL__N_19NonZeroOpIsEEPKslEEPiiNS8_6detail34convert_binary_result_type_wrapperINS8_3SumESH_iEEEE10hipError_tPvRmT1_T2_T3_mT4_P12ihipStream_tbEUlT_E1_NS1_11comp_targetILNS1_3genE5ELNS1_11target_archE942ELNS1_3gpuE9ELNS1_3repE0EEENS1_30default_config_static_selectorELNS0_4arch9wavefront6targetE0EEEvSQ_
    .private_segment_fixed_size: 0
    .sgpr_count:     0
    .sgpr_spill_count: 0
    .symbol:         _ZN7rocprim17ROCPRIM_400000_NS6detail17trampoline_kernelINS0_14default_configENS1_22reduce_config_selectorIbEEZNS1_11reduce_implILb1ES3_N6hipcub16HIPCUB_304000_NS22TransformInputIteratorIbN2at6native12_GLOBAL__N_19NonZeroOpIsEEPKslEEPiiNS8_6detail34convert_binary_result_type_wrapperINS8_3SumESH_iEEEE10hipError_tPvRmT1_T2_T3_mT4_P12ihipStream_tbEUlT_E1_NS1_11comp_targetILNS1_3genE5ELNS1_11target_archE942ELNS1_3gpuE9ELNS1_3repE0EEENS1_30default_config_static_selectorELNS0_4arch9wavefront6targetE0EEEvSQ_.kd
    .uniform_work_group_size: 1
    .uses_dynamic_stack: false
    .vgpr_count:     0
    .vgpr_spill_count: 0
    .wavefront_size: 32
    .workgroup_processor_mode: 1
  - .args:
      - .offset:         0
        .size:           48
        .value_kind:     by_value
    .group_segment_fixed_size: 0
    .kernarg_segment_align: 8
    .kernarg_segment_size: 48
    .language:       OpenCL C
    .language_version:
      - 2
      - 0
    .max_flat_workgroup_size: 128
    .name:           _ZN7rocprim17ROCPRIM_400000_NS6detail17trampoline_kernelINS0_14default_configENS1_22reduce_config_selectorIbEEZNS1_11reduce_implILb1ES3_N6hipcub16HIPCUB_304000_NS22TransformInputIteratorIbN2at6native12_GLOBAL__N_19NonZeroOpIsEEPKslEEPiiNS8_6detail34convert_binary_result_type_wrapperINS8_3SumESH_iEEEE10hipError_tPvRmT1_T2_T3_mT4_P12ihipStream_tbEUlT_E1_NS1_11comp_targetILNS1_3genE4ELNS1_11target_archE910ELNS1_3gpuE8ELNS1_3repE0EEENS1_30default_config_static_selectorELNS0_4arch9wavefront6targetE0EEEvSQ_
    .private_segment_fixed_size: 0
    .sgpr_count:     0
    .sgpr_spill_count: 0
    .symbol:         _ZN7rocprim17ROCPRIM_400000_NS6detail17trampoline_kernelINS0_14default_configENS1_22reduce_config_selectorIbEEZNS1_11reduce_implILb1ES3_N6hipcub16HIPCUB_304000_NS22TransformInputIteratorIbN2at6native12_GLOBAL__N_19NonZeroOpIsEEPKslEEPiiNS8_6detail34convert_binary_result_type_wrapperINS8_3SumESH_iEEEE10hipError_tPvRmT1_T2_T3_mT4_P12ihipStream_tbEUlT_E1_NS1_11comp_targetILNS1_3genE4ELNS1_11target_archE910ELNS1_3gpuE8ELNS1_3repE0EEENS1_30default_config_static_selectorELNS0_4arch9wavefront6targetE0EEEvSQ_.kd
    .uniform_work_group_size: 1
    .uses_dynamic_stack: false
    .vgpr_count:     0
    .vgpr_spill_count: 0
    .wavefront_size: 32
    .workgroup_processor_mode: 1
  - .args:
      - .offset:         0
        .size:           48
        .value_kind:     by_value
    .group_segment_fixed_size: 0
    .kernarg_segment_align: 8
    .kernarg_segment_size: 48
    .language:       OpenCL C
    .language_version:
      - 2
      - 0
    .max_flat_workgroup_size: 256
    .name:           _ZN7rocprim17ROCPRIM_400000_NS6detail17trampoline_kernelINS0_14default_configENS1_22reduce_config_selectorIbEEZNS1_11reduce_implILb1ES3_N6hipcub16HIPCUB_304000_NS22TransformInputIteratorIbN2at6native12_GLOBAL__N_19NonZeroOpIsEEPKslEEPiiNS8_6detail34convert_binary_result_type_wrapperINS8_3SumESH_iEEEE10hipError_tPvRmT1_T2_T3_mT4_P12ihipStream_tbEUlT_E1_NS1_11comp_targetILNS1_3genE3ELNS1_11target_archE908ELNS1_3gpuE7ELNS1_3repE0EEENS1_30default_config_static_selectorELNS0_4arch9wavefront6targetE0EEEvSQ_
    .private_segment_fixed_size: 0
    .sgpr_count:     0
    .sgpr_spill_count: 0
    .symbol:         _ZN7rocprim17ROCPRIM_400000_NS6detail17trampoline_kernelINS0_14default_configENS1_22reduce_config_selectorIbEEZNS1_11reduce_implILb1ES3_N6hipcub16HIPCUB_304000_NS22TransformInputIteratorIbN2at6native12_GLOBAL__N_19NonZeroOpIsEEPKslEEPiiNS8_6detail34convert_binary_result_type_wrapperINS8_3SumESH_iEEEE10hipError_tPvRmT1_T2_T3_mT4_P12ihipStream_tbEUlT_E1_NS1_11comp_targetILNS1_3genE3ELNS1_11target_archE908ELNS1_3gpuE7ELNS1_3repE0EEENS1_30default_config_static_selectorELNS0_4arch9wavefront6targetE0EEEvSQ_.kd
    .uniform_work_group_size: 1
    .uses_dynamic_stack: false
    .vgpr_count:     0
    .vgpr_spill_count: 0
    .wavefront_size: 32
    .workgroup_processor_mode: 1
  - .args:
      - .offset:         0
        .size:           48
        .value_kind:     by_value
    .group_segment_fixed_size: 0
    .kernarg_segment_align: 8
    .kernarg_segment_size: 48
    .language:       OpenCL C
    .language_version:
      - 2
      - 0
    .max_flat_workgroup_size: 128
    .name:           _ZN7rocprim17ROCPRIM_400000_NS6detail17trampoline_kernelINS0_14default_configENS1_22reduce_config_selectorIbEEZNS1_11reduce_implILb1ES3_N6hipcub16HIPCUB_304000_NS22TransformInputIteratorIbN2at6native12_GLOBAL__N_19NonZeroOpIsEEPKslEEPiiNS8_6detail34convert_binary_result_type_wrapperINS8_3SumESH_iEEEE10hipError_tPvRmT1_T2_T3_mT4_P12ihipStream_tbEUlT_E1_NS1_11comp_targetILNS1_3genE2ELNS1_11target_archE906ELNS1_3gpuE6ELNS1_3repE0EEENS1_30default_config_static_selectorELNS0_4arch9wavefront6targetE0EEEvSQ_
    .private_segment_fixed_size: 0
    .sgpr_count:     0
    .sgpr_spill_count: 0
    .symbol:         _ZN7rocprim17ROCPRIM_400000_NS6detail17trampoline_kernelINS0_14default_configENS1_22reduce_config_selectorIbEEZNS1_11reduce_implILb1ES3_N6hipcub16HIPCUB_304000_NS22TransformInputIteratorIbN2at6native12_GLOBAL__N_19NonZeroOpIsEEPKslEEPiiNS8_6detail34convert_binary_result_type_wrapperINS8_3SumESH_iEEEE10hipError_tPvRmT1_T2_T3_mT4_P12ihipStream_tbEUlT_E1_NS1_11comp_targetILNS1_3genE2ELNS1_11target_archE906ELNS1_3gpuE6ELNS1_3repE0EEENS1_30default_config_static_selectorELNS0_4arch9wavefront6targetE0EEEvSQ_.kd
    .uniform_work_group_size: 1
    .uses_dynamic_stack: false
    .vgpr_count:     0
    .vgpr_spill_count: 0
    .wavefront_size: 32
    .workgroup_processor_mode: 1
  - .args:
      - .offset:         0
        .size:           48
        .value_kind:     by_value
    .group_segment_fixed_size: 288
    .kernarg_segment_align: 8
    .kernarg_segment_size: 48
    .language:       OpenCL C
    .language_version:
      - 2
      - 0
    .max_flat_workgroup_size: 256
    .name:           _ZN7rocprim17ROCPRIM_400000_NS6detail17trampoline_kernelINS0_14default_configENS1_22reduce_config_selectorIbEEZNS1_11reduce_implILb1ES3_N6hipcub16HIPCUB_304000_NS22TransformInputIteratorIbN2at6native12_GLOBAL__N_19NonZeroOpIsEEPKslEEPiiNS8_6detail34convert_binary_result_type_wrapperINS8_3SumESH_iEEEE10hipError_tPvRmT1_T2_T3_mT4_P12ihipStream_tbEUlT_E1_NS1_11comp_targetILNS1_3genE10ELNS1_11target_archE1201ELNS1_3gpuE5ELNS1_3repE0EEENS1_30default_config_static_selectorELNS0_4arch9wavefront6targetE0EEEvSQ_
    .private_segment_fixed_size: 0
    .sgpr_count:     49
    .sgpr_spill_count: 0
    .symbol:         _ZN7rocprim17ROCPRIM_400000_NS6detail17trampoline_kernelINS0_14default_configENS1_22reduce_config_selectorIbEEZNS1_11reduce_implILb1ES3_N6hipcub16HIPCUB_304000_NS22TransformInputIteratorIbN2at6native12_GLOBAL__N_19NonZeroOpIsEEPKslEEPiiNS8_6detail34convert_binary_result_type_wrapperINS8_3SumESH_iEEEE10hipError_tPvRmT1_T2_T3_mT4_P12ihipStream_tbEUlT_E1_NS1_11comp_targetILNS1_3genE10ELNS1_11target_archE1201ELNS1_3gpuE5ELNS1_3repE0EEENS1_30default_config_static_selectorELNS0_4arch9wavefront6targetE0EEEvSQ_.kd
    .uniform_work_group_size: 1
    .uses_dynamic_stack: false
    .vgpr_count:     129
    .vgpr_spill_count: 0
    .wavefront_size: 32
    .workgroup_processor_mode: 1
  - .args:
      - .offset:         0
        .size:           48
        .value_kind:     by_value
    .group_segment_fixed_size: 0
    .kernarg_segment_align: 8
    .kernarg_segment_size: 48
    .language:       OpenCL C
    .language_version:
      - 2
      - 0
    .max_flat_workgroup_size: 256
    .name:           _ZN7rocprim17ROCPRIM_400000_NS6detail17trampoline_kernelINS0_14default_configENS1_22reduce_config_selectorIbEEZNS1_11reduce_implILb1ES3_N6hipcub16HIPCUB_304000_NS22TransformInputIteratorIbN2at6native12_GLOBAL__N_19NonZeroOpIsEEPKslEEPiiNS8_6detail34convert_binary_result_type_wrapperINS8_3SumESH_iEEEE10hipError_tPvRmT1_T2_T3_mT4_P12ihipStream_tbEUlT_E1_NS1_11comp_targetILNS1_3genE10ELNS1_11target_archE1200ELNS1_3gpuE4ELNS1_3repE0EEENS1_30default_config_static_selectorELNS0_4arch9wavefront6targetE0EEEvSQ_
    .private_segment_fixed_size: 0
    .sgpr_count:     0
    .sgpr_spill_count: 0
    .symbol:         _ZN7rocprim17ROCPRIM_400000_NS6detail17trampoline_kernelINS0_14default_configENS1_22reduce_config_selectorIbEEZNS1_11reduce_implILb1ES3_N6hipcub16HIPCUB_304000_NS22TransformInputIteratorIbN2at6native12_GLOBAL__N_19NonZeroOpIsEEPKslEEPiiNS8_6detail34convert_binary_result_type_wrapperINS8_3SumESH_iEEEE10hipError_tPvRmT1_T2_T3_mT4_P12ihipStream_tbEUlT_E1_NS1_11comp_targetILNS1_3genE10ELNS1_11target_archE1200ELNS1_3gpuE4ELNS1_3repE0EEENS1_30default_config_static_selectorELNS0_4arch9wavefront6targetE0EEEvSQ_.kd
    .uniform_work_group_size: 1
    .uses_dynamic_stack: false
    .vgpr_count:     0
    .vgpr_spill_count: 0
    .wavefront_size: 32
    .workgroup_processor_mode: 1
  - .args:
      - .offset:         0
        .size:           48
        .value_kind:     by_value
    .group_segment_fixed_size: 0
    .kernarg_segment_align: 8
    .kernarg_segment_size: 48
    .language:       OpenCL C
    .language_version:
      - 2
      - 0
    .max_flat_workgroup_size: 128
    .name:           _ZN7rocprim17ROCPRIM_400000_NS6detail17trampoline_kernelINS0_14default_configENS1_22reduce_config_selectorIbEEZNS1_11reduce_implILb1ES3_N6hipcub16HIPCUB_304000_NS22TransformInputIteratorIbN2at6native12_GLOBAL__N_19NonZeroOpIsEEPKslEEPiiNS8_6detail34convert_binary_result_type_wrapperINS8_3SumESH_iEEEE10hipError_tPvRmT1_T2_T3_mT4_P12ihipStream_tbEUlT_E1_NS1_11comp_targetILNS1_3genE9ELNS1_11target_archE1100ELNS1_3gpuE3ELNS1_3repE0EEENS1_30default_config_static_selectorELNS0_4arch9wavefront6targetE0EEEvSQ_
    .private_segment_fixed_size: 0
    .sgpr_count:     0
    .sgpr_spill_count: 0
    .symbol:         _ZN7rocprim17ROCPRIM_400000_NS6detail17trampoline_kernelINS0_14default_configENS1_22reduce_config_selectorIbEEZNS1_11reduce_implILb1ES3_N6hipcub16HIPCUB_304000_NS22TransformInputIteratorIbN2at6native12_GLOBAL__N_19NonZeroOpIsEEPKslEEPiiNS8_6detail34convert_binary_result_type_wrapperINS8_3SumESH_iEEEE10hipError_tPvRmT1_T2_T3_mT4_P12ihipStream_tbEUlT_E1_NS1_11comp_targetILNS1_3genE9ELNS1_11target_archE1100ELNS1_3gpuE3ELNS1_3repE0EEENS1_30default_config_static_selectorELNS0_4arch9wavefront6targetE0EEEvSQ_.kd
    .uniform_work_group_size: 1
    .uses_dynamic_stack: false
    .vgpr_count:     0
    .vgpr_spill_count: 0
    .wavefront_size: 32
    .workgroup_processor_mode: 1
  - .args:
      - .offset:         0
        .size:           48
        .value_kind:     by_value
    .group_segment_fixed_size: 0
    .kernarg_segment_align: 8
    .kernarg_segment_size: 48
    .language:       OpenCL C
    .language_version:
      - 2
      - 0
    .max_flat_workgroup_size: 256
    .name:           _ZN7rocprim17ROCPRIM_400000_NS6detail17trampoline_kernelINS0_14default_configENS1_22reduce_config_selectorIbEEZNS1_11reduce_implILb1ES3_N6hipcub16HIPCUB_304000_NS22TransformInputIteratorIbN2at6native12_GLOBAL__N_19NonZeroOpIsEEPKslEEPiiNS8_6detail34convert_binary_result_type_wrapperINS8_3SumESH_iEEEE10hipError_tPvRmT1_T2_T3_mT4_P12ihipStream_tbEUlT_E1_NS1_11comp_targetILNS1_3genE8ELNS1_11target_archE1030ELNS1_3gpuE2ELNS1_3repE0EEENS1_30default_config_static_selectorELNS0_4arch9wavefront6targetE0EEEvSQ_
    .private_segment_fixed_size: 0
    .sgpr_count:     0
    .sgpr_spill_count: 0
    .symbol:         _ZN7rocprim17ROCPRIM_400000_NS6detail17trampoline_kernelINS0_14default_configENS1_22reduce_config_selectorIbEEZNS1_11reduce_implILb1ES3_N6hipcub16HIPCUB_304000_NS22TransformInputIteratorIbN2at6native12_GLOBAL__N_19NonZeroOpIsEEPKslEEPiiNS8_6detail34convert_binary_result_type_wrapperINS8_3SumESH_iEEEE10hipError_tPvRmT1_T2_T3_mT4_P12ihipStream_tbEUlT_E1_NS1_11comp_targetILNS1_3genE8ELNS1_11target_archE1030ELNS1_3gpuE2ELNS1_3repE0EEENS1_30default_config_static_selectorELNS0_4arch9wavefront6targetE0EEEvSQ_.kd
    .uniform_work_group_size: 1
    .uses_dynamic_stack: false
    .vgpr_count:     0
    .vgpr_spill_count: 0
    .wavefront_size: 32
    .workgroup_processor_mode: 1
  - .args:
      - .offset:         0
        .size:           120
        .value_kind:     by_value
    .group_segment_fixed_size: 0
    .kernarg_segment_align: 8
    .kernarg_segment_size: 120
    .language:       OpenCL C
    .language_version:
      - 2
      - 0
    .max_flat_workgroup_size: 128
    .name:           _ZN7rocprim17ROCPRIM_400000_NS6detail17trampoline_kernelINS0_14default_configENS1_25partition_config_selectorILNS1_17partition_subalgoE5ElNS0_10empty_typeEbEEZZNS1_14partition_implILS5_5ELb0ES3_mN6hipcub16HIPCUB_304000_NS21CountingInputIteratorIllEEPS6_NSA_22TransformInputIteratorIbN2at6native12_GLOBAL__N_19NonZeroOpIsEEPKslEENS0_5tupleIJPlS6_EEENSN_IJSD_SD_EEES6_PiJS6_EEE10hipError_tPvRmT3_T4_T5_T6_T7_T9_mT8_P12ihipStream_tbDpT10_ENKUlT_T0_E_clISt17integral_constantIbLb0EES1B_EEDaS16_S17_EUlS16_E_NS1_11comp_targetILNS1_3genE0ELNS1_11target_archE4294967295ELNS1_3gpuE0ELNS1_3repE0EEENS1_30default_config_static_selectorELNS0_4arch9wavefront6targetE0EEEvT1_
    .private_segment_fixed_size: 0
    .sgpr_count:     0
    .sgpr_spill_count: 0
    .symbol:         _ZN7rocprim17ROCPRIM_400000_NS6detail17trampoline_kernelINS0_14default_configENS1_25partition_config_selectorILNS1_17partition_subalgoE5ElNS0_10empty_typeEbEEZZNS1_14partition_implILS5_5ELb0ES3_mN6hipcub16HIPCUB_304000_NS21CountingInputIteratorIllEEPS6_NSA_22TransformInputIteratorIbN2at6native12_GLOBAL__N_19NonZeroOpIsEEPKslEENS0_5tupleIJPlS6_EEENSN_IJSD_SD_EEES6_PiJS6_EEE10hipError_tPvRmT3_T4_T5_T6_T7_T9_mT8_P12ihipStream_tbDpT10_ENKUlT_T0_E_clISt17integral_constantIbLb0EES1B_EEDaS16_S17_EUlS16_E_NS1_11comp_targetILNS1_3genE0ELNS1_11target_archE4294967295ELNS1_3gpuE0ELNS1_3repE0EEENS1_30default_config_static_selectorELNS0_4arch9wavefront6targetE0EEEvT1_.kd
    .uniform_work_group_size: 1
    .uses_dynamic_stack: false
    .vgpr_count:     0
    .vgpr_spill_count: 0
    .wavefront_size: 32
    .workgroup_processor_mode: 1
  - .args:
      - .offset:         0
        .size:           120
        .value_kind:     by_value
    .group_segment_fixed_size: 0
    .kernarg_segment_align: 8
    .kernarg_segment_size: 120
    .language:       OpenCL C
    .language_version:
      - 2
      - 0
    .max_flat_workgroup_size: 512
    .name:           _ZN7rocprim17ROCPRIM_400000_NS6detail17trampoline_kernelINS0_14default_configENS1_25partition_config_selectorILNS1_17partition_subalgoE5ElNS0_10empty_typeEbEEZZNS1_14partition_implILS5_5ELb0ES3_mN6hipcub16HIPCUB_304000_NS21CountingInputIteratorIllEEPS6_NSA_22TransformInputIteratorIbN2at6native12_GLOBAL__N_19NonZeroOpIsEEPKslEENS0_5tupleIJPlS6_EEENSN_IJSD_SD_EEES6_PiJS6_EEE10hipError_tPvRmT3_T4_T5_T6_T7_T9_mT8_P12ihipStream_tbDpT10_ENKUlT_T0_E_clISt17integral_constantIbLb0EES1B_EEDaS16_S17_EUlS16_E_NS1_11comp_targetILNS1_3genE5ELNS1_11target_archE942ELNS1_3gpuE9ELNS1_3repE0EEENS1_30default_config_static_selectorELNS0_4arch9wavefront6targetE0EEEvT1_
    .private_segment_fixed_size: 0
    .sgpr_count:     0
    .sgpr_spill_count: 0
    .symbol:         _ZN7rocprim17ROCPRIM_400000_NS6detail17trampoline_kernelINS0_14default_configENS1_25partition_config_selectorILNS1_17partition_subalgoE5ElNS0_10empty_typeEbEEZZNS1_14partition_implILS5_5ELb0ES3_mN6hipcub16HIPCUB_304000_NS21CountingInputIteratorIllEEPS6_NSA_22TransformInputIteratorIbN2at6native12_GLOBAL__N_19NonZeroOpIsEEPKslEENS0_5tupleIJPlS6_EEENSN_IJSD_SD_EEES6_PiJS6_EEE10hipError_tPvRmT3_T4_T5_T6_T7_T9_mT8_P12ihipStream_tbDpT10_ENKUlT_T0_E_clISt17integral_constantIbLb0EES1B_EEDaS16_S17_EUlS16_E_NS1_11comp_targetILNS1_3genE5ELNS1_11target_archE942ELNS1_3gpuE9ELNS1_3repE0EEENS1_30default_config_static_selectorELNS0_4arch9wavefront6targetE0EEEvT1_.kd
    .uniform_work_group_size: 1
    .uses_dynamic_stack: false
    .vgpr_count:     0
    .vgpr_spill_count: 0
    .wavefront_size: 32
    .workgroup_processor_mode: 1
  - .args:
      - .offset:         0
        .size:           120
        .value_kind:     by_value
    .group_segment_fixed_size: 0
    .kernarg_segment_align: 8
    .kernarg_segment_size: 120
    .language:       OpenCL C
    .language_version:
      - 2
      - 0
    .max_flat_workgroup_size: 192
    .name:           _ZN7rocprim17ROCPRIM_400000_NS6detail17trampoline_kernelINS0_14default_configENS1_25partition_config_selectorILNS1_17partition_subalgoE5ElNS0_10empty_typeEbEEZZNS1_14partition_implILS5_5ELb0ES3_mN6hipcub16HIPCUB_304000_NS21CountingInputIteratorIllEEPS6_NSA_22TransformInputIteratorIbN2at6native12_GLOBAL__N_19NonZeroOpIsEEPKslEENS0_5tupleIJPlS6_EEENSN_IJSD_SD_EEES6_PiJS6_EEE10hipError_tPvRmT3_T4_T5_T6_T7_T9_mT8_P12ihipStream_tbDpT10_ENKUlT_T0_E_clISt17integral_constantIbLb0EES1B_EEDaS16_S17_EUlS16_E_NS1_11comp_targetILNS1_3genE4ELNS1_11target_archE910ELNS1_3gpuE8ELNS1_3repE0EEENS1_30default_config_static_selectorELNS0_4arch9wavefront6targetE0EEEvT1_
    .private_segment_fixed_size: 0
    .sgpr_count:     0
    .sgpr_spill_count: 0
    .symbol:         _ZN7rocprim17ROCPRIM_400000_NS6detail17trampoline_kernelINS0_14default_configENS1_25partition_config_selectorILNS1_17partition_subalgoE5ElNS0_10empty_typeEbEEZZNS1_14partition_implILS5_5ELb0ES3_mN6hipcub16HIPCUB_304000_NS21CountingInputIteratorIllEEPS6_NSA_22TransformInputIteratorIbN2at6native12_GLOBAL__N_19NonZeroOpIsEEPKslEENS0_5tupleIJPlS6_EEENSN_IJSD_SD_EEES6_PiJS6_EEE10hipError_tPvRmT3_T4_T5_T6_T7_T9_mT8_P12ihipStream_tbDpT10_ENKUlT_T0_E_clISt17integral_constantIbLb0EES1B_EEDaS16_S17_EUlS16_E_NS1_11comp_targetILNS1_3genE4ELNS1_11target_archE910ELNS1_3gpuE8ELNS1_3repE0EEENS1_30default_config_static_selectorELNS0_4arch9wavefront6targetE0EEEvT1_.kd
    .uniform_work_group_size: 1
    .uses_dynamic_stack: false
    .vgpr_count:     0
    .vgpr_spill_count: 0
    .wavefront_size: 32
    .workgroup_processor_mode: 1
  - .args:
      - .offset:         0
        .size:           120
        .value_kind:     by_value
    .group_segment_fixed_size: 0
    .kernarg_segment_align: 8
    .kernarg_segment_size: 120
    .language:       OpenCL C
    .language_version:
      - 2
      - 0
    .max_flat_workgroup_size: 128
    .name:           _ZN7rocprim17ROCPRIM_400000_NS6detail17trampoline_kernelINS0_14default_configENS1_25partition_config_selectorILNS1_17partition_subalgoE5ElNS0_10empty_typeEbEEZZNS1_14partition_implILS5_5ELb0ES3_mN6hipcub16HIPCUB_304000_NS21CountingInputIteratorIllEEPS6_NSA_22TransformInputIteratorIbN2at6native12_GLOBAL__N_19NonZeroOpIsEEPKslEENS0_5tupleIJPlS6_EEENSN_IJSD_SD_EEES6_PiJS6_EEE10hipError_tPvRmT3_T4_T5_T6_T7_T9_mT8_P12ihipStream_tbDpT10_ENKUlT_T0_E_clISt17integral_constantIbLb0EES1B_EEDaS16_S17_EUlS16_E_NS1_11comp_targetILNS1_3genE3ELNS1_11target_archE908ELNS1_3gpuE7ELNS1_3repE0EEENS1_30default_config_static_selectorELNS0_4arch9wavefront6targetE0EEEvT1_
    .private_segment_fixed_size: 0
    .sgpr_count:     0
    .sgpr_spill_count: 0
    .symbol:         _ZN7rocprim17ROCPRIM_400000_NS6detail17trampoline_kernelINS0_14default_configENS1_25partition_config_selectorILNS1_17partition_subalgoE5ElNS0_10empty_typeEbEEZZNS1_14partition_implILS5_5ELb0ES3_mN6hipcub16HIPCUB_304000_NS21CountingInputIteratorIllEEPS6_NSA_22TransformInputIteratorIbN2at6native12_GLOBAL__N_19NonZeroOpIsEEPKslEENS0_5tupleIJPlS6_EEENSN_IJSD_SD_EEES6_PiJS6_EEE10hipError_tPvRmT3_T4_T5_T6_T7_T9_mT8_P12ihipStream_tbDpT10_ENKUlT_T0_E_clISt17integral_constantIbLb0EES1B_EEDaS16_S17_EUlS16_E_NS1_11comp_targetILNS1_3genE3ELNS1_11target_archE908ELNS1_3gpuE7ELNS1_3repE0EEENS1_30default_config_static_selectorELNS0_4arch9wavefront6targetE0EEEvT1_.kd
    .uniform_work_group_size: 1
    .uses_dynamic_stack: false
    .vgpr_count:     0
    .vgpr_spill_count: 0
    .wavefront_size: 32
    .workgroup_processor_mode: 1
  - .args:
      - .offset:         0
        .size:           120
        .value_kind:     by_value
    .group_segment_fixed_size: 0
    .kernarg_segment_align: 8
    .kernarg_segment_size: 120
    .language:       OpenCL C
    .language_version:
      - 2
      - 0
    .max_flat_workgroup_size: 256
    .name:           _ZN7rocprim17ROCPRIM_400000_NS6detail17trampoline_kernelINS0_14default_configENS1_25partition_config_selectorILNS1_17partition_subalgoE5ElNS0_10empty_typeEbEEZZNS1_14partition_implILS5_5ELb0ES3_mN6hipcub16HIPCUB_304000_NS21CountingInputIteratorIllEEPS6_NSA_22TransformInputIteratorIbN2at6native12_GLOBAL__N_19NonZeroOpIsEEPKslEENS0_5tupleIJPlS6_EEENSN_IJSD_SD_EEES6_PiJS6_EEE10hipError_tPvRmT3_T4_T5_T6_T7_T9_mT8_P12ihipStream_tbDpT10_ENKUlT_T0_E_clISt17integral_constantIbLb0EES1B_EEDaS16_S17_EUlS16_E_NS1_11comp_targetILNS1_3genE2ELNS1_11target_archE906ELNS1_3gpuE6ELNS1_3repE0EEENS1_30default_config_static_selectorELNS0_4arch9wavefront6targetE0EEEvT1_
    .private_segment_fixed_size: 0
    .sgpr_count:     0
    .sgpr_spill_count: 0
    .symbol:         _ZN7rocprim17ROCPRIM_400000_NS6detail17trampoline_kernelINS0_14default_configENS1_25partition_config_selectorILNS1_17partition_subalgoE5ElNS0_10empty_typeEbEEZZNS1_14partition_implILS5_5ELb0ES3_mN6hipcub16HIPCUB_304000_NS21CountingInputIteratorIllEEPS6_NSA_22TransformInputIteratorIbN2at6native12_GLOBAL__N_19NonZeroOpIsEEPKslEENS0_5tupleIJPlS6_EEENSN_IJSD_SD_EEES6_PiJS6_EEE10hipError_tPvRmT3_T4_T5_T6_T7_T9_mT8_P12ihipStream_tbDpT10_ENKUlT_T0_E_clISt17integral_constantIbLb0EES1B_EEDaS16_S17_EUlS16_E_NS1_11comp_targetILNS1_3genE2ELNS1_11target_archE906ELNS1_3gpuE6ELNS1_3repE0EEENS1_30default_config_static_selectorELNS0_4arch9wavefront6targetE0EEEvT1_.kd
    .uniform_work_group_size: 1
    .uses_dynamic_stack: false
    .vgpr_count:     0
    .vgpr_spill_count: 0
    .wavefront_size: 32
    .workgroup_processor_mode: 1
  - .args:
      - .offset:         0
        .size:           120
        .value_kind:     by_value
    .group_segment_fixed_size: 8464
    .kernarg_segment_align: 8
    .kernarg_segment_size: 120
    .language:       OpenCL C
    .language_version:
      - 2
      - 0
    .max_flat_workgroup_size: 256
    .name:           _ZN7rocprim17ROCPRIM_400000_NS6detail17trampoline_kernelINS0_14default_configENS1_25partition_config_selectorILNS1_17partition_subalgoE5ElNS0_10empty_typeEbEEZZNS1_14partition_implILS5_5ELb0ES3_mN6hipcub16HIPCUB_304000_NS21CountingInputIteratorIllEEPS6_NSA_22TransformInputIteratorIbN2at6native12_GLOBAL__N_19NonZeroOpIsEEPKslEENS0_5tupleIJPlS6_EEENSN_IJSD_SD_EEES6_PiJS6_EEE10hipError_tPvRmT3_T4_T5_T6_T7_T9_mT8_P12ihipStream_tbDpT10_ENKUlT_T0_E_clISt17integral_constantIbLb0EES1B_EEDaS16_S17_EUlS16_E_NS1_11comp_targetILNS1_3genE10ELNS1_11target_archE1200ELNS1_3gpuE4ELNS1_3repE0EEENS1_30default_config_static_selectorELNS0_4arch9wavefront6targetE0EEEvT1_
    .private_segment_fixed_size: 0
    .sgpr_count:     22
    .sgpr_spill_count: 0
    .symbol:         _ZN7rocprim17ROCPRIM_400000_NS6detail17trampoline_kernelINS0_14default_configENS1_25partition_config_selectorILNS1_17partition_subalgoE5ElNS0_10empty_typeEbEEZZNS1_14partition_implILS5_5ELb0ES3_mN6hipcub16HIPCUB_304000_NS21CountingInputIteratorIllEEPS6_NSA_22TransformInputIteratorIbN2at6native12_GLOBAL__N_19NonZeroOpIsEEPKslEENS0_5tupleIJPlS6_EEENSN_IJSD_SD_EEES6_PiJS6_EEE10hipError_tPvRmT3_T4_T5_T6_T7_T9_mT8_P12ihipStream_tbDpT10_ENKUlT_T0_E_clISt17integral_constantIbLb0EES1B_EEDaS16_S17_EUlS16_E_NS1_11comp_targetILNS1_3genE10ELNS1_11target_archE1200ELNS1_3gpuE4ELNS1_3repE0EEENS1_30default_config_static_selectorELNS0_4arch9wavefront6targetE0EEEvT1_.kd
    .uniform_work_group_size: 1
    .uses_dynamic_stack: false
    .vgpr_count:     46
    .vgpr_spill_count: 0
    .wavefront_size: 32
    .workgroup_processor_mode: 1
  - .args:
      - .offset:         0
        .size:           120
        .value_kind:     by_value
    .group_segment_fixed_size: 0
    .kernarg_segment_align: 8
    .kernarg_segment_size: 120
    .language:       OpenCL C
    .language_version:
      - 2
      - 0
    .max_flat_workgroup_size: 128
    .name:           _ZN7rocprim17ROCPRIM_400000_NS6detail17trampoline_kernelINS0_14default_configENS1_25partition_config_selectorILNS1_17partition_subalgoE5ElNS0_10empty_typeEbEEZZNS1_14partition_implILS5_5ELb0ES3_mN6hipcub16HIPCUB_304000_NS21CountingInputIteratorIllEEPS6_NSA_22TransformInputIteratorIbN2at6native12_GLOBAL__N_19NonZeroOpIsEEPKslEENS0_5tupleIJPlS6_EEENSN_IJSD_SD_EEES6_PiJS6_EEE10hipError_tPvRmT3_T4_T5_T6_T7_T9_mT8_P12ihipStream_tbDpT10_ENKUlT_T0_E_clISt17integral_constantIbLb0EES1B_EEDaS16_S17_EUlS16_E_NS1_11comp_targetILNS1_3genE9ELNS1_11target_archE1100ELNS1_3gpuE3ELNS1_3repE0EEENS1_30default_config_static_selectorELNS0_4arch9wavefront6targetE0EEEvT1_
    .private_segment_fixed_size: 0
    .sgpr_count:     0
    .sgpr_spill_count: 0
    .symbol:         _ZN7rocprim17ROCPRIM_400000_NS6detail17trampoline_kernelINS0_14default_configENS1_25partition_config_selectorILNS1_17partition_subalgoE5ElNS0_10empty_typeEbEEZZNS1_14partition_implILS5_5ELb0ES3_mN6hipcub16HIPCUB_304000_NS21CountingInputIteratorIllEEPS6_NSA_22TransformInputIteratorIbN2at6native12_GLOBAL__N_19NonZeroOpIsEEPKslEENS0_5tupleIJPlS6_EEENSN_IJSD_SD_EEES6_PiJS6_EEE10hipError_tPvRmT3_T4_T5_T6_T7_T9_mT8_P12ihipStream_tbDpT10_ENKUlT_T0_E_clISt17integral_constantIbLb0EES1B_EEDaS16_S17_EUlS16_E_NS1_11comp_targetILNS1_3genE9ELNS1_11target_archE1100ELNS1_3gpuE3ELNS1_3repE0EEENS1_30default_config_static_selectorELNS0_4arch9wavefront6targetE0EEEvT1_.kd
    .uniform_work_group_size: 1
    .uses_dynamic_stack: false
    .vgpr_count:     0
    .vgpr_spill_count: 0
    .wavefront_size: 32
    .workgroup_processor_mode: 1
  - .args:
      - .offset:         0
        .size:           120
        .value_kind:     by_value
    .group_segment_fixed_size: 0
    .kernarg_segment_align: 8
    .kernarg_segment_size: 120
    .language:       OpenCL C
    .language_version:
      - 2
      - 0
    .max_flat_workgroup_size: 512
    .name:           _ZN7rocprim17ROCPRIM_400000_NS6detail17trampoline_kernelINS0_14default_configENS1_25partition_config_selectorILNS1_17partition_subalgoE5ElNS0_10empty_typeEbEEZZNS1_14partition_implILS5_5ELb0ES3_mN6hipcub16HIPCUB_304000_NS21CountingInputIteratorIllEEPS6_NSA_22TransformInputIteratorIbN2at6native12_GLOBAL__N_19NonZeroOpIsEEPKslEENS0_5tupleIJPlS6_EEENSN_IJSD_SD_EEES6_PiJS6_EEE10hipError_tPvRmT3_T4_T5_T6_T7_T9_mT8_P12ihipStream_tbDpT10_ENKUlT_T0_E_clISt17integral_constantIbLb0EES1B_EEDaS16_S17_EUlS16_E_NS1_11comp_targetILNS1_3genE8ELNS1_11target_archE1030ELNS1_3gpuE2ELNS1_3repE0EEENS1_30default_config_static_selectorELNS0_4arch9wavefront6targetE0EEEvT1_
    .private_segment_fixed_size: 0
    .sgpr_count:     0
    .sgpr_spill_count: 0
    .symbol:         _ZN7rocprim17ROCPRIM_400000_NS6detail17trampoline_kernelINS0_14default_configENS1_25partition_config_selectorILNS1_17partition_subalgoE5ElNS0_10empty_typeEbEEZZNS1_14partition_implILS5_5ELb0ES3_mN6hipcub16HIPCUB_304000_NS21CountingInputIteratorIllEEPS6_NSA_22TransformInputIteratorIbN2at6native12_GLOBAL__N_19NonZeroOpIsEEPKslEENS0_5tupleIJPlS6_EEENSN_IJSD_SD_EEES6_PiJS6_EEE10hipError_tPvRmT3_T4_T5_T6_T7_T9_mT8_P12ihipStream_tbDpT10_ENKUlT_T0_E_clISt17integral_constantIbLb0EES1B_EEDaS16_S17_EUlS16_E_NS1_11comp_targetILNS1_3genE8ELNS1_11target_archE1030ELNS1_3gpuE2ELNS1_3repE0EEENS1_30default_config_static_selectorELNS0_4arch9wavefront6targetE0EEEvT1_.kd
    .uniform_work_group_size: 1
    .uses_dynamic_stack: false
    .vgpr_count:     0
    .vgpr_spill_count: 0
    .wavefront_size: 32
    .workgroup_processor_mode: 1
  - .args:
      - .offset:         0
        .size:           136
        .value_kind:     by_value
    .group_segment_fixed_size: 0
    .kernarg_segment_align: 8
    .kernarg_segment_size: 136
    .language:       OpenCL C
    .language_version:
      - 2
      - 0
    .max_flat_workgroup_size: 128
    .name:           _ZN7rocprim17ROCPRIM_400000_NS6detail17trampoline_kernelINS0_14default_configENS1_25partition_config_selectorILNS1_17partition_subalgoE5ElNS0_10empty_typeEbEEZZNS1_14partition_implILS5_5ELb0ES3_mN6hipcub16HIPCUB_304000_NS21CountingInputIteratorIllEEPS6_NSA_22TransformInputIteratorIbN2at6native12_GLOBAL__N_19NonZeroOpIsEEPKslEENS0_5tupleIJPlS6_EEENSN_IJSD_SD_EEES6_PiJS6_EEE10hipError_tPvRmT3_T4_T5_T6_T7_T9_mT8_P12ihipStream_tbDpT10_ENKUlT_T0_E_clISt17integral_constantIbLb1EES1B_EEDaS16_S17_EUlS16_E_NS1_11comp_targetILNS1_3genE0ELNS1_11target_archE4294967295ELNS1_3gpuE0ELNS1_3repE0EEENS1_30default_config_static_selectorELNS0_4arch9wavefront6targetE0EEEvT1_
    .private_segment_fixed_size: 0
    .sgpr_count:     0
    .sgpr_spill_count: 0
    .symbol:         _ZN7rocprim17ROCPRIM_400000_NS6detail17trampoline_kernelINS0_14default_configENS1_25partition_config_selectorILNS1_17partition_subalgoE5ElNS0_10empty_typeEbEEZZNS1_14partition_implILS5_5ELb0ES3_mN6hipcub16HIPCUB_304000_NS21CountingInputIteratorIllEEPS6_NSA_22TransformInputIteratorIbN2at6native12_GLOBAL__N_19NonZeroOpIsEEPKslEENS0_5tupleIJPlS6_EEENSN_IJSD_SD_EEES6_PiJS6_EEE10hipError_tPvRmT3_T4_T5_T6_T7_T9_mT8_P12ihipStream_tbDpT10_ENKUlT_T0_E_clISt17integral_constantIbLb1EES1B_EEDaS16_S17_EUlS16_E_NS1_11comp_targetILNS1_3genE0ELNS1_11target_archE4294967295ELNS1_3gpuE0ELNS1_3repE0EEENS1_30default_config_static_selectorELNS0_4arch9wavefront6targetE0EEEvT1_.kd
    .uniform_work_group_size: 1
    .uses_dynamic_stack: false
    .vgpr_count:     0
    .vgpr_spill_count: 0
    .wavefront_size: 32
    .workgroup_processor_mode: 1
  - .args:
      - .offset:         0
        .size:           136
        .value_kind:     by_value
    .group_segment_fixed_size: 0
    .kernarg_segment_align: 8
    .kernarg_segment_size: 136
    .language:       OpenCL C
    .language_version:
      - 2
      - 0
    .max_flat_workgroup_size: 512
    .name:           _ZN7rocprim17ROCPRIM_400000_NS6detail17trampoline_kernelINS0_14default_configENS1_25partition_config_selectorILNS1_17partition_subalgoE5ElNS0_10empty_typeEbEEZZNS1_14partition_implILS5_5ELb0ES3_mN6hipcub16HIPCUB_304000_NS21CountingInputIteratorIllEEPS6_NSA_22TransformInputIteratorIbN2at6native12_GLOBAL__N_19NonZeroOpIsEEPKslEENS0_5tupleIJPlS6_EEENSN_IJSD_SD_EEES6_PiJS6_EEE10hipError_tPvRmT3_T4_T5_T6_T7_T9_mT8_P12ihipStream_tbDpT10_ENKUlT_T0_E_clISt17integral_constantIbLb1EES1B_EEDaS16_S17_EUlS16_E_NS1_11comp_targetILNS1_3genE5ELNS1_11target_archE942ELNS1_3gpuE9ELNS1_3repE0EEENS1_30default_config_static_selectorELNS0_4arch9wavefront6targetE0EEEvT1_
    .private_segment_fixed_size: 0
    .sgpr_count:     0
    .sgpr_spill_count: 0
    .symbol:         _ZN7rocprim17ROCPRIM_400000_NS6detail17trampoline_kernelINS0_14default_configENS1_25partition_config_selectorILNS1_17partition_subalgoE5ElNS0_10empty_typeEbEEZZNS1_14partition_implILS5_5ELb0ES3_mN6hipcub16HIPCUB_304000_NS21CountingInputIteratorIllEEPS6_NSA_22TransformInputIteratorIbN2at6native12_GLOBAL__N_19NonZeroOpIsEEPKslEENS0_5tupleIJPlS6_EEENSN_IJSD_SD_EEES6_PiJS6_EEE10hipError_tPvRmT3_T4_T5_T6_T7_T9_mT8_P12ihipStream_tbDpT10_ENKUlT_T0_E_clISt17integral_constantIbLb1EES1B_EEDaS16_S17_EUlS16_E_NS1_11comp_targetILNS1_3genE5ELNS1_11target_archE942ELNS1_3gpuE9ELNS1_3repE0EEENS1_30default_config_static_selectorELNS0_4arch9wavefront6targetE0EEEvT1_.kd
    .uniform_work_group_size: 1
    .uses_dynamic_stack: false
    .vgpr_count:     0
    .vgpr_spill_count: 0
    .wavefront_size: 32
    .workgroup_processor_mode: 1
  - .args:
      - .offset:         0
        .size:           136
        .value_kind:     by_value
    .group_segment_fixed_size: 0
    .kernarg_segment_align: 8
    .kernarg_segment_size: 136
    .language:       OpenCL C
    .language_version:
      - 2
      - 0
    .max_flat_workgroup_size: 192
    .name:           _ZN7rocprim17ROCPRIM_400000_NS6detail17trampoline_kernelINS0_14default_configENS1_25partition_config_selectorILNS1_17partition_subalgoE5ElNS0_10empty_typeEbEEZZNS1_14partition_implILS5_5ELb0ES3_mN6hipcub16HIPCUB_304000_NS21CountingInputIteratorIllEEPS6_NSA_22TransformInputIteratorIbN2at6native12_GLOBAL__N_19NonZeroOpIsEEPKslEENS0_5tupleIJPlS6_EEENSN_IJSD_SD_EEES6_PiJS6_EEE10hipError_tPvRmT3_T4_T5_T6_T7_T9_mT8_P12ihipStream_tbDpT10_ENKUlT_T0_E_clISt17integral_constantIbLb1EES1B_EEDaS16_S17_EUlS16_E_NS1_11comp_targetILNS1_3genE4ELNS1_11target_archE910ELNS1_3gpuE8ELNS1_3repE0EEENS1_30default_config_static_selectorELNS0_4arch9wavefront6targetE0EEEvT1_
    .private_segment_fixed_size: 0
    .sgpr_count:     0
    .sgpr_spill_count: 0
    .symbol:         _ZN7rocprim17ROCPRIM_400000_NS6detail17trampoline_kernelINS0_14default_configENS1_25partition_config_selectorILNS1_17partition_subalgoE5ElNS0_10empty_typeEbEEZZNS1_14partition_implILS5_5ELb0ES3_mN6hipcub16HIPCUB_304000_NS21CountingInputIteratorIllEEPS6_NSA_22TransformInputIteratorIbN2at6native12_GLOBAL__N_19NonZeroOpIsEEPKslEENS0_5tupleIJPlS6_EEENSN_IJSD_SD_EEES6_PiJS6_EEE10hipError_tPvRmT3_T4_T5_T6_T7_T9_mT8_P12ihipStream_tbDpT10_ENKUlT_T0_E_clISt17integral_constantIbLb1EES1B_EEDaS16_S17_EUlS16_E_NS1_11comp_targetILNS1_3genE4ELNS1_11target_archE910ELNS1_3gpuE8ELNS1_3repE0EEENS1_30default_config_static_selectorELNS0_4arch9wavefront6targetE0EEEvT1_.kd
    .uniform_work_group_size: 1
    .uses_dynamic_stack: false
    .vgpr_count:     0
    .vgpr_spill_count: 0
    .wavefront_size: 32
    .workgroup_processor_mode: 1
  - .args:
      - .offset:         0
        .size:           136
        .value_kind:     by_value
    .group_segment_fixed_size: 0
    .kernarg_segment_align: 8
    .kernarg_segment_size: 136
    .language:       OpenCL C
    .language_version:
      - 2
      - 0
    .max_flat_workgroup_size: 128
    .name:           _ZN7rocprim17ROCPRIM_400000_NS6detail17trampoline_kernelINS0_14default_configENS1_25partition_config_selectorILNS1_17partition_subalgoE5ElNS0_10empty_typeEbEEZZNS1_14partition_implILS5_5ELb0ES3_mN6hipcub16HIPCUB_304000_NS21CountingInputIteratorIllEEPS6_NSA_22TransformInputIteratorIbN2at6native12_GLOBAL__N_19NonZeroOpIsEEPKslEENS0_5tupleIJPlS6_EEENSN_IJSD_SD_EEES6_PiJS6_EEE10hipError_tPvRmT3_T4_T5_T6_T7_T9_mT8_P12ihipStream_tbDpT10_ENKUlT_T0_E_clISt17integral_constantIbLb1EES1B_EEDaS16_S17_EUlS16_E_NS1_11comp_targetILNS1_3genE3ELNS1_11target_archE908ELNS1_3gpuE7ELNS1_3repE0EEENS1_30default_config_static_selectorELNS0_4arch9wavefront6targetE0EEEvT1_
    .private_segment_fixed_size: 0
    .sgpr_count:     0
    .sgpr_spill_count: 0
    .symbol:         _ZN7rocprim17ROCPRIM_400000_NS6detail17trampoline_kernelINS0_14default_configENS1_25partition_config_selectorILNS1_17partition_subalgoE5ElNS0_10empty_typeEbEEZZNS1_14partition_implILS5_5ELb0ES3_mN6hipcub16HIPCUB_304000_NS21CountingInputIteratorIllEEPS6_NSA_22TransformInputIteratorIbN2at6native12_GLOBAL__N_19NonZeroOpIsEEPKslEENS0_5tupleIJPlS6_EEENSN_IJSD_SD_EEES6_PiJS6_EEE10hipError_tPvRmT3_T4_T5_T6_T7_T9_mT8_P12ihipStream_tbDpT10_ENKUlT_T0_E_clISt17integral_constantIbLb1EES1B_EEDaS16_S17_EUlS16_E_NS1_11comp_targetILNS1_3genE3ELNS1_11target_archE908ELNS1_3gpuE7ELNS1_3repE0EEENS1_30default_config_static_selectorELNS0_4arch9wavefront6targetE0EEEvT1_.kd
    .uniform_work_group_size: 1
    .uses_dynamic_stack: false
    .vgpr_count:     0
    .vgpr_spill_count: 0
    .wavefront_size: 32
    .workgroup_processor_mode: 1
  - .args:
      - .offset:         0
        .size:           136
        .value_kind:     by_value
    .group_segment_fixed_size: 0
    .kernarg_segment_align: 8
    .kernarg_segment_size: 136
    .language:       OpenCL C
    .language_version:
      - 2
      - 0
    .max_flat_workgroup_size: 256
    .name:           _ZN7rocprim17ROCPRIM_400000_NS6detail17trampoline_kernelINS0_14default_configENS1_25partition_config_selectorILNS1_17partition_subalgoE5ElNS0_10empty_typeEbEEZZNS1_14partition_implILS5_5ELb0ES3_mN6hipcub16HIPCUB_304000_NS21CountingInputIteratorIllEEPS6_NSA_22TransformInputIteratorIbN2at6native12_GLOBAL__N_19NonZeroOpIsEEPKslEENS0_5tupleIJPlS6_EEENSN_IJSD_SD_EEES6_PiJS6_EEE10hipError_tPvRmT3_T4_T5_T6_T7_T9_mT8_P12ihipStream_tbDpT10_ENKUlT_T0_E_clISt17integral_constantIbLb1EES1B_EEDaS16_S17_EUlS16_E_NS1_11comp_targetILNS1_3genE2ELNS1_11target_archE906ELNS1_3gpuE6ELNS1_3repE0EEENS1_30default_config_static_selectorELNS0_4arch9wavefront6targetE0EEEvT1_
    .private_segment_fixed_size: 0
    .sgpr_count:     0
    .sgpr_spill_count: 0
    .symbol:         _ZN7rocprim17ROCPRIM_400000_NS6detail17trampoline_kernelINS0_14default_configENS1_25partition_config_selectorILNS1_17partition_subalgoE5ElNS0_10empty_typeEbEEZZNS1_14partition_implILS5_5ELb0ES3_mN6hipcub16HIPCUB_304000_NS21CountingInputIteratorIllEEPS6_NSA_22TransformInputIteratorIbN2at6native12_GLOBAL__N_19NonZeroOpIsEEPKslEENS0_5tupleIJPlS6_EEENSN_IJSD_SD_EEES6_PiJS6_EEE10hipError_tPvRmT3_T4_T5_T6_T7_T9_mT8_P12ihipStream_tbDpT10_ENKUlT_T0_E_clISt17integral_constantIbLb1EES1B_EEDaS16_S17_EUlS16_E_NS1_11comp_targetILNS1_3genE2ELNS1_11target_archE906ELNS1_3gpuE6ELNS1_3repE0EEENS1_30default_config_static_selectorELNS0_4arch9wavefront6targetE0EEEvT1_.kd
    .uniform_work_group_size: 1
    .uses_dynamic_stack: false
    .vgpr_count:     0
    .vgpr_spill_count: 0
    .wavefront_size: 32
    .workgroup_processor_mode: 1
  - .args:
      - .offset:         0
        .size:           136
        .value_kind:     by_value
    .group_segment_fixed_size: 0
    .kernarg_segment_align: 8
    .kernarg_segment_size: 136
    .language:       OpenCL C
    .language_version:
      - 2
      - 0
    .max_flat_workgroup_size: 256
    .name:           _ZN7rocprim17ROCPRIM_400000_NS6detail17trampoline_kernelINS0_14default_configENS1_25partition_config_selectorILNS1_17partition_subalgoE5ElNS0_10empty_typeEbEEZZNS1_14partition_implILS5_5ELb0ES3_mN6hipcub16HIPCUB_304000_NS21CountingInputIteratorIllEEPS6_NSA_22TransformInputIteratorIbN2at6native12_GLOBAL__N_19NonZeroOpIsEEPKslEENS0_5tupleIJPlS6_EEENSN_IJSD_SD_EEES6_PiJS6_EEE10hipError_tPvRmT3_T4_T5_T6_T7_T9_mT8_P12ihipStream_tbDpT10_ENKUlT_T0_E_clISt17integral_constantIbLb1EES1B_EEDaS16_S17_EUlS16_E_NS1_11comp_targetILNS1_3genE10ELNS1_11target_archE1200ELNS1_3gpuE4ELNS1_3repE0EEENS1_30default_config_static_selectorELNS0_4arch9wavefront6targetE0EEEvT1_
    .private_segment_fixed_size: 0
    .sgpr_count:     0
    .sgpr_spill_count: 0
    .symbol:         _ZN7rocprim17ROCPRIM_400000_NS6detail17trampoline_kernelINS0_14default_configENS1_25partition_config_selectorILNS1_17partition_subalgoE5ElNS0_10empty_typeEbEEZZNS1_14partition_implILS5_5ELb0ES3_mN6hipcub16HIPCUB_304000_NS21CountingInputIteratorIllEEPS6_NSA_22TransformInputIteratorIbN2at6native12_GLOBAL__N_19NonZeroOpIsEEPKslEENS0_5tupleIJPlS6_EEENSN_IJSD_SD_EEES6_PiJS6_EEE10hipError_tPvRmT3_T4_T5_T6_T7_T9_mT8_P12ihipStream_tbDpT10_ENKUlT_T0_E_clISt17integral_constantIbLb1EES1B_EEDaS16_S17_EUlS16_E_NS1_11comp_targetILNS1_3genE10ELNS1_11target_archE1200ELNS1_3gpuE4ELNS1_3repE0EEENS1_30default_config_static_selectorELNS0_4arch9wavefront6targetE0EEEvT1_.kd
    .uniform_work_group_size: 1
    .uses_dynamic_stack: false
    .vgpr_count:     0
    .vgpr_spill_count: 0
    .wavefront_size: 32
    .workgroup_processor_mode: 1
  - .args:
      - .offset:         0
        .size:           136
        .value_kind:     by_value
    .group_segment_fixed_size: 0
    .kernarg_segment_align: 8
    .kernarg_segment_size: 136
    .language:       OpenCL C
    .language_version:
      - 2
      - 0
    .max_flat_workgroup_size: 128
    .name:           _ZN7rocprim17ROCPRIM_400000_NS6detail17trampoline_kernelINS0_14default_configENS1_25partition_config_selectorILNS1_17partition_subalgoE5ElNS0_10empty_typeEbEEZZNS1_14partition_implILS5_5ELb0ES3_mN6hipcub16HIPCUB_304000_NS21CountingInputIteratorIllEEPS6_NSA_22TransformInputIteratorIbN2at6native12_GLOBAL__N_19NonZeroOpIsEEPKslEENS0_5tupleIJPlS6_EEENSN_IJSD_SD_EEES6_PiJS6_EEE10hipError_tPvRmT3_T4_T5_T6_T7_T9_mT8_P12ihipStream_tbDpT10_ENKUlT_T0_E_clISt17integral_constantIbLb1EES1B_EEDaS16_S17_EUlS16_E_NS1_11comp_targetILNS1_3genE9ELNS1_11target_archE1100ELNS1_3gpuE3ELNS1_3repE0EEENS1_30default_config_static_selectorELNS0_4arch9wavefront6targetE0EEEvT1_
    .private_segment_fixed_size: 0
    .sgpr_count:     0
    .sgpr_spill_count: 0
    .symbol:         _ZN7rocprim17ROCPRIM_400000_NS6detail17trampoline_kernelINS0_14default_configENS1_25partition_config_selectorILNS1_17partition_subalgoE5ElNS0_10empty_typeEbEEZZNS1_14partition_implILS5_5ELb0ES3_mN6hipcub16HIPCUB_304000_NS21CountingInputIteratorIllEEPS6_NSA_22TransformInputIteratorIbN2at6native12_GLOBAL__N_19NonZeroOpIsEEPKslEENS0_5tupleIJPlS6_EEENSN_IJSD_SD_EEES6_PiJS6_EEE10hipError_tPvRmT3_T4_T5_T6_T7_T9_mT8_P12ihipStream_tbDpT10_ENKUlT_T0_E_clISt17integral_constantIbLb1EES1B_EEDaS16_S17_EUlS16_E_NS1_11comp_targetILNS1_3genE9ELNS1_11target_archE1100ELNS1_3gpuE3ELNS1_3repE0EEENS1_30default_config_static_selectorELNS0_4arch9wavefront6targetE0EEEvT1_.kd
    .uniform_work_group_size: 1
    .uses_dynamic_stack: false
    .vgpr_count:     0
    .vgpr_spill_count: 0
    .wavefront_size: 32
    .workgroup_processor_mode: 1
  - .args:
      - .offset:         0
        .size:           136
        .value_kind:     by_value
    .group_segment_fixed_size: 0
    .kernarg_segment_align: 8
    .kernarg_segment_size: 136
    .language:       OpenCL C
    .language_version:
      - 2
      - 0
    .max_flat_workgroup_size: 512
    .name:           _ZN7rocprim17ROCPRIM_400000_NS6detail17trampoline_kernelINS0_14default_configENS1_25partition_config_selectorILNS1_17partition_subalgoE5ElNS0_10empty_typeEbEEZZNS1_14partition_implILS5_5ELb0ES3_mN6hipcub16HIPCUB_304000_NS21CountingInputIteratorIllEEPS6_NSA_22TransformInputIteratorIbN2at6native12_GLOBAL__N_19NonZeroOpIsEEPKslEENS0_5tupleIJPlS6_EEENSN_IJSD_SD_EEES6_PiJS6_EEE10hipError_tPvRmT3_T4_T5_T6_T7_T9_mT8_P12ihipStream_tbDpT10_ENKUlT_T0_E_clISt17integral_constantIbLb1EES1B_EEDaS16_S17_EUlS16_E_NS1_11comp_targetILNS1_3genE8ELNS1_11target_archE1030ELNS1_3gpuE2ELNS1_3repE0EEENS1_30default_config_static_selectorELNS0_4arch9wavefront6targetE0EEEvT1_
    .private_segment_fixed_size: 0
    .sgpr_count:     0
    .sgpr_spill_count: 0
    .symbol:         _ZN7rocprim17ROCPRIM_400000_NS6detail17trampoline_kernelINS0_14default_configENS1_25partition_config_selectorILNS1_17partition_subalgoE5ElNS0_10empty_typeEbEEZZNS1_14partition_implILS5_5ELb0ES3_mN6hipcub16HIPCUB_304000_NS21CountingInputIteratorIllEEPS6_NSA_22TransformInputIteratorIbN2at6native12_GLOBAL__N_19NonZeroOpIsEEPKslEENS0_5tupleIJPlS6_EEENSN_IJSD_SD_EEES6_PiJS6_EEE10hipError_tPvRmT3_T4_T5_T6_T7_T9_mT8_P12ihipStream_tbDpT10_ENKUlT_T0_E_clISt17integral_constantIbLb1EES1B_EEDaS16_S17_EUlS16_E_NS1_11comp_targetILNS1_3genE8ELNS1_11target_archE1030ELNS1_3gpuE2ELNS1_3repE0EEENS1_30default_config_static_selectorELNS0_4arch9wavefront6targetE0EEEvT1_.kd
    .uniform_work_group_size: 1
    .uses_dynamic_stack: false
    .vgpr_count:     0
    .vgpr_spill_count: 0
    .wavefront_size: 32
    .workgroup_processor_mode: 1
  - .args:
      - .offset:         0
        .size:           120
        .value_kind:     by_value
    .group_segment_fixed_size: 0
    .kernarg_segment_align: 8
    .kernarg_segment_size: 120
    .language:       OpenCL C
    .language_version:
      - 2
      - 0
    .max_flat_workgroup_size: 128
    .name:           _ZN7rocprim17ROCPRIM_400000_NS6detail17trampoline_kernelINS0_14default_configENS1_25partition_config_selectorILNS1_17partition_subalgoE5ElNS0_10empty_typeEbEEZZNS1_14partition_implILS5_5ELb0ES3_mN6hipcub16HIPCUB_304000_NS21CountingInputIteratorIllEEPS6_NSA_22TransformInputIteratorIbN2at6native12_GLOBAL__N_19NonZeroOpIsEEPKslEENS0_5tupleIJPlS6_EEENSN_IJSD_SD_EEES6_PiJS6_EEE10hipError_tPvRmT3_T4_T5_T6_T7_T9_mT8_P12ihipStream_tbDpT10_ENKUlT_T0_E_clISt17integral_constantIbLb1EES1A_IbLb0EEEEDaS16_S17_EUlS16_E_NS1_11comp_targetILNS1_3genE0ELNS1_11target_archE4294967295ELNS1_3gpuE0ELNS1_3repE0EEENS1_30default_config_static_selectorELNS0_4arch9wavefront6targetE0EEEvT1_
    .private_segment_fixed_size: 0
    .sgpr_count:     0
    .sgpr_spill_count: 0
    .symbol:         _ZN7rocprim17ROCPRIM_400000_NS6detail17trampoline_kernelINS0_14default_configENS1_25partition_config_selectorILNS1_17partition_subalgoE5ElNS0_10empty_typeEbEEZZNS1_14partition_implILS5_5ELb0ES3_mN6hipcub16HIPCUB_304000_NS21CountingInputIteratorIllEEPS6_NSA_22TransformInputIteratorIbN2at6native12_GLOBAL__N_19NonZeroOpIsEEPKslEENS0_5tupleIJPlS6_EEENSN_IJSD_SD_EEES6_PiJS6_EEE10hipError_tPvRmT3_T4_T5_T6_T7_T9_mT8_P12ihipStream_tbDpT10_ENKUlT_T0_E_clISt17integral_constantIbLb1EES1A_IbLb0EEEEDaS16_S17_EUlS16_E_NS1_11comp_targetILNS1_3genE0ELNS1_11target_archE4294967295ELNS1_3gpuE0ELNS1_3repE0EEENS1_30default_config_static_selectorELNS0_4arch9wavefront6targetE0EEEvT1_.kd
    .uniform_work_group_size: 1
    .uses_dynamic_stack: false
    .vgpr_count:     0
    .vgpr_spill_count: 0
    .wavefront_size: 32
    .workgroup_processor_mode: 1
  - .args:
      - .offset:         0
        .size:           120
        .value_kind:     by_value
    .group_segment_fixed_size: 0
    .kernarg_segment_align: 8
    .kernarg_segment_size: 120
    .language:       OpenCL C
    .language_version:
      - 2
      - 0
    .max_flat_workgroup_size: 512
    .name:           _ZN7rocprim17ROCPRIM_400000_NS6detail17trampoline_kernelINS0_14default_configENS1_25partition_config_selectorILNS1_17partition_subalgoE5ElNS0_10empty_typeEbEEZZNS1_14partition_implILS5_5ELb0ES3_mN6hipcub16HIPCUB_304000_NS21CountingInputIteratorIllEEPS6_NSA_22TransformInputIteratorIbN2at6native12_GLOBAL__N_19NonZeroOpIsEEPKslEENS0_5tupleIJPlS6_EEENSN_IJSD_SD_EEES6_PiJS6_EEE10hipError_tPvRmT3_T4_T5_T6_T7_T9_mT8_P12ihipStream_tbDpT10_ENKUlT_T0_E_clISt17integral_constantIbLb1EES1A_IbLb0EEEEDaS16_S17_EUlS16_E_NS1_11comp_targetILNS1_3genE5ELNS1_11target_archE942ELNS1_3gpuE9ELNS1_3repE0EEENS1_30default_config_static_selectorELNS0_4arch9wavefront6targetE0EEEvT1_
    .private_segment_fixed_size: 0
    .sgpr_count:     0
    .sgpr_spill_count: 0
    .symbol:         _ZN7rocprim17ROCPRIM_400000_NS6detail17trampoline_kernelINS0_14default_configENS1_25partition_config_selectorILNS1_17partition_subalgoE5ElNS0_10empty_typeEbEEZZNS1_14partition_implILS5_5ELb0ES3_mN6hipcub16HIPCUB_304000_NS21CountingInputIteratorIllEEPS6_NSA_22TransformInputIteratorIbN2at6native12_GLOBAL__N_19NonZeroOpIsEEPKslEENS0_5tupleIJPlS6_EEENSN_IJSD_SD_EEES6_PiJS6_EEE10hipError_tPvRmT3_T4_T5_T6_T7_T9_mT8_P12ihipStream_tbDpT10_ENKUlT_T0_E_clISt17integral_constantIbLb1EES1A_IbLb0EEEEDaS16_S17_EUlS16_E_NS1_11comp_targetILNS1_3genE5ELNS1_11target_archE942ELNS1_3gpuE9ELNS1_3repE0EEENS1_30default_config_static_selectorELNS0_4arch9wavefront6targetE0EEEvT1_.kd
    .uniform_work_group_size: 1
    .uses_dynamic_stack: false
    .vgpr_count:     0
    .vgpr_spill_count: 0
    .wavefront_size: 32
    .workgroup_processor_mode: 1
  - .args:
      - .offset:         0
        .size:           120
        .value_kind:     by_value
    .group_segment_fixed_size: 0
    .kernarg_segment_align: 8
    .kernarg_segment_size: 120
    .language:       OpenCL C
    .language_version:
      - 2
      - 0
    .max_flat_workgroup_size: 192
    .name:           _ZN7rocprim17ROCPRIM_400000_NS6detail17trampoline_kernelINS0_14default_configENS1_25partition_config_selectorILNS1_17partition_subalgoE5ElNS0_10empty_typeEbEEZZNS1_14partition_implILS5_5ELb0ES3_mN6hipcub16HIPCUB_304000_NS21CountingInputIteratorIllEEPS6_NSA_22TransformInputIteratorIbN2at6native12_GLOBAL__N_19NonZeroOpIsEEPKslEENS0_5tupleIJPlS6_EEENSN_IJSD_SD_EEES6_PiJS6_EEE10hipError_tPvRmT3_T4_T5_T6_T7_T9_mT8_P12ihipStream_tbDpT10_ENKUlT_T0_E_clISt17integral_constantIbLb1EES1A_IbLb0EEEEDaS16_S17_EUlS16_E_NS1_11comp_targetILNS1_3genE4ELNS1_11target_archE910ELNS1_3gpuE8ELNS1_3repE0EEENS1_30default_config_static_selectorELNS0_4arch9wavefront6targetE0EEEvT1_
    .private_segment_fixed_size: 0
    .sgpr_count:     0
    .sgpr_spill_count: 0
    .symbol:         _ZN7rocprim17ROCPRIM_400000_NS6detail17trampoline_kernelINS0_14default_configENS1_25partition_config_selectorILNS1_17partition_subalgoE5ElNS0_10empty_typeEbEEZZNS1_14partition_implILS5_5ELb0ES3_mN6hipcub16HIPCUB_304000_NS21CountingInputIteratorIllEEPS6_NSA_22TransformInputIteratorIbN2at6native12_GLOBAL__N_19NonZeroOpIsEEPKslEENS0_5tupleIJPlS6_EEENSN_IJSD_SD_EEES6_PiJS6_EEE10hipError_tPvRmT3_T4_T5_T6_T7_T9_mT8_P12ihipStream_tbDpT10_ENKUlT_T0_E_clISt17integral_constantIbLb1EES1A_IbLb0EEEEDaS16_S17_EUlS16_E_NS1_11comp_targetILNS1_3genE4ELNS1_11target_archE910ELNS1_3gpuE8ELNS1_3repE0EEENS1_30default_config_static_selectorELNS0_4arch9wavefront6targetE0EEEvT1_.kd
    .uniform_work_group_size: 1
    .uses_dynamic_stack: false
    .vgpr_count:     0
    .vgpr_spill_count: 0
    .wavefront_size: 32
    .workgroup_processor_mode: 1
  - .args:
      - .offset:         0
        .size:           120
        .value_kind:     by_value
    .group_segment_fixed_size: 0
    .kernarg_segment_align: 8
    .kernarg_segment_size: 120
    .language:       OpenCL C
    .language_version:
      - 2
      - 0
    .max_flat_workgroup_size: 128
    .name:           _ZN7rocprim17ROCPRIM_400000_NS6detail17trampoline_kernelINS0_14default_configENS1_25partition_config_selectorILNS1_17partition_subalgoE5ElNS0_10empty_typeEbEEZZNS1_14partition_implILS5_5ELb0ES3_mN6hipcub16HIPCUB_304000_NS21CountingInputIteratorIllEEPS6_NSA_22TransformInputIteratorIbN2at6native12_GLOBAL__N_19NonZeroOpIsEEPKslEENS0_5tupleIJPlS6_EEENSN_IJSD_SD_EEES6_PiJS6_EEE10hipError_tPvRmT3_T4_T5_T6_T7_T9_mT8_P12ihipStream_tbDpT10_ENKUlT_T0_E_clISt17integral_constantIbLb1EES1A_IbLb0EEEEDaS16_S17_EUlS16_E_NS1_11comp_targetILNS1_3genE3ELNS1_11target_archE908ELNS1_3gpuE7ELNS1_3repE0EEENS1_30default_config_static_selectorELNS0_4arch9wavefront6targetE0EEEvT1_
    .private_segment_fixed_size: 0
    .sgpr_count:     0
    .sgpr_spill_count: 0
    .symbol:         _ZN7rocprim17ROCPRIM_400000_NS6detail17trampoline_kernelINS0_14default_configENS1_25partition_config_selectorILNS1_17partition_subalgoE5ElNS0_10empty_typeEbEEZZNS1_14partition_implILS5_5ELb0ES3_mN6hipcub16HIPCUB_304000_NS21CountingInputIteratorIllEEPS6_NSA_22TransformInputIteratorIbN2at6native12_GLOBAL__N_19NonZeroOpIsEEPKslEENS0_5tupleIJPlS6_EEENSN_IJSD_SD_EEES6_PiJS6_EEE10hipError_tPvRmT3_T4_T5_T6_T7_T9_mT8_P12ihipStream_tbDpT10_ENKUlT_T0_E_clISt17integral_constantIbLb1EES1A_IbLb0EEEEDaS16_S17_EUlS16_E_NS1_11comp_targetILNS1_3genE3ELNS1_11target_archE908ELNS1_3gpuE7ELNS1_3repE0EEENS1_30default_config_static_selectorELNS0_4arch9wavefront6targetE0EEEvT1_.kd
    .uniform_work_group_size: 1
    .uses_dynamic_stack: false
    .vgpr_count:     0
    .vgpr_spill_count: 0
    .wavefront_size: 32
    .workgroup_processor_mode: 1
  - .args:
      - .offset:         0
        .size:           120
        .value_kind:     by_value
    .group_segment_fixed_size: 0
    .kernarg_segment_align: 8
    .kernarg_segment_size: 120
    .language:       OpenCL C
    .language_version:
      - 2
      - 0
    .max_flat_workgroup_size: 256
    .name:           _ZN7rocprim17ROCPRIM_400000_NS6detail17trampoline_kernelINS0_14default_configENS1_25partition_config_selectorILNS1_17partition_subalgoE5ElNS0_10empty_typeEbEEZZNS1_14partition_implILS5_5ELb0ES3_mN6hipcub16HIPCUB_304000_NS21CountingInputIteratorIllEEPS6_NSA_22TransformInputIteratorIbN2at6native12_GLOBAL__N_19NonZeroOpIsEEPKslEENS0_5tupleIJPlS6_EEENSN_IJSD_SD_EEES6_PiJS6_EEE10hipError_tPvRmT3_T4_T5_T6_T7_T9_mT8_P12ihipStream_tbDpT10_ENKUlT_T0_E_clISt17integral_constantIbLb1EES1A_IbLb0EEEEDaS16_S17_EUlS16_E_NS1_11comp_targetILNS1_3genE2ELNS1_11target_archE906ELNS1_3gpuE6ELNS1_3repE0EEENS1_30default_config_static_selectorELNS0_4arch9wavefront6targetE0EEEvT1_
    .private_segment_fixed_size: 0
    .sgpr_count:     0
    .sgpr_spill_count: 0
    .symbol:         _ZN7rocprim17ROCPRIM_400000_NS6detail17trampoline_kernelINS0_14default_configENS1_25partition_config_selectorILNS1_17partition_subalgoE5ElNS0_10empty_typeEbEEZZNS1_14partition_implILS5_5ELb0ES3_mN6hipcub16HIPCUB_304000_NS21CountingInputIteratorIllEEPS6_NSA_22TransformInputIteratorIbN2at6native12_GLOBAL__N_19NonZeroOpIsEEPKslEENS0_5tupleIJPlS6_EEENSN_IJSD_SD_EEES6_PiJS6_EEE10hipError_tPvRmT3_T4_T5_T6_T7_T9_mT8_P12ihipStream_tbDpT10_ENKUlT_T0_E_clISt17integral_constantIbLb1EES1A_IbLb0EEEEDaS16_S17_EUlS16_E_NS1_11comp_targetILNS1_3genE2ELNS1_11target_archE906ELNS1_3gpuE6ELNS1_3repE0EEENS1_30default_config_static_selectorELNS0_4arch9wavefront6targetE0EEEvT1_.kd
    .uniform_work_group_size: 1
    .uses_dynamic_stack: false
    .vgpr_count:     0
    .vgpr_spill_count: 0
    .wavefront_size: 32
    .workgroup_processor_mode: 1
  - .args:
      - .offset:         0
        .size:           120
        .value_kind:     by_value
    .group_segment_fixed_size: 0
    .kernarg_segment_align: 8
    .kernarg_segment_size: 120
    .language:       OpenCL C
    .language_version:
      - 2
      - 0
    .max_flat_workgroup_size: 256
    .name:           _ZN7rocprim17ROCPRIM_400000_NS6detail17trampoline_kernelINS0_14default_configENS1_25partition_config_selectorILNS1_17partition_subalgoE5ElNS0_10empty_typeEbEEZZNS1_14partition_implILS5_5ELb0ES3_mN6hipcub16HIPCUB_304000_NS21CountingInputIteratorIllEEPS6_NSA_22TransformInputIteratorIbN2at6native12_GLOBAL__N_19NonZeroOpIsEEPKslEENS0_5tupleIJPlS6_EEENSN_IJSD_SD_EEES6_PiJS6_EEE10hipError_tPvRmT3_T4_T5_T6_T7_T9_mT8_P12ihipStream_tbDpT10_ENKUlT_T0_E_clISt17integral_constantIbLb1EES1A_IbLb0EEEEDaS16_S17_EUlS16_E_NS1_11comp_targetILNS1_3genE10ELNS1_11target_archE1200ELNS1_3gpuE4ELNS1_3repE0EEENS1_30default_config_static_selectorELNS0_4arch9wavefront6targetE0EEEvT1_
    .private_segment_fixed_size: 0
    .sgpr_count:     0
    .sgpr_spill_count: 0
    .symbol:         _ZN7rocprim17ROCPRIM_400000_NS6detail17trampoline_kernelINS0_14default_configENS1_25partition_config_selectorILNS1_17partition_subalgoE5ElNS0_10empty_typeEbEEZZNS1_14partition_implILS5_5ELb0ES3_mN6hipcub16HIPCUB_304000_NS21CountingInputIteratorIllEEPS6_NSA_22TransformInputIteratorIbN2at6native12_GLOBAL__N_19NonZeroOpIsEEPKslEENS0_5tupleIJPlS6_EEENSN_IJSD_SD_EEES6_PiJS6_EEE10hipError_tPvRmT3_T4_T5_T6_T7_T9_mT8_P12ihipStream_tbDpT10_ENKUlT_T0_E_clISt17integral_constantIbLb1EES1A_IbLb0EEEEDaS16_S17_EUlS16_E_NS1_11comp_targetILNS1_3genE10ELNS1_11target_archE1200ELNS1_3gpuE4ELNS1_3repE0EEENS1_30default_config_static_selectorELNS0_4arch9wavefront6targetE0EEEvT1_.kd
    .uniform_work_group_size: 1
    .uses_dynamic_stack: false
    .vgpr_count:     0
    .vgpr_spill_count: 0
    .wavefront_size: 32
    .workgroup_processor_mode: 1
  - .args:
      - .offset:         0
        .size:           120
        .value_kind:     by_value
    .group_segment_fixed_size: 0
    .kernarg_segment_align: 8
    .kernarg_segment_size: 120
    .language:       OpenCL C
    .language_version:
      - 2
      - 0
    .max_flat_workgroup_size: 128
    .name:           _ZN7rocprim17ROCPRIM_400000_NS6detail17trampoline_kernelINS0_14default_configENS1_25partition_config_selectorILNS1_17partition_subalgoE5ElNS0_10empty_typeEbEEZZNS1_14partition_implILS5_5ELb0ES3_mN6hipcub16HIPCUB_304000_NS21CountingInputIteratorIllEEPS6_NSA_22TransformInputIteratorIbN2at6native12_GLOBAL__N_19NonZeroOpIsEEPKslEENS0_5tupleIJPlS6_EEENSN_IJSD_SD_EEES6_PiJS6_EEE10hipError_tPvRmT3_T4_T5_T6_T7_T9_mT8_P12ihipStream_tbDpT10_ENKUlT_T0_E_clISt17integral_constantIbLb1EES1A_IbLb0EEEEDaS16_S17_EUlS16_E_NS1_11comp_targetILNS1_3genE9ELNS1_11target_archE1100ELNS1_3gpuE3ELNS1_3repE0EEENS1_30default_config_static_selectorELNS0_4arch9wavefront6targetE0EEEvT1_
    .private_segment_fixed_size: 0
    .sgpr_count:     0
    .sgpr_spill_count: 0
    .symbol:         _ZN7rocprim17ROCPRIM_400000_NS6detail17trampoline_kernelINS0_14default_configENS1_25partition_config_selectorILNS1_17partition_subalgoE5ElNS0_10empty_typeEbEEZZNS1_14partition_implILS5_5ELb0ES3_mN6hipcub16HIPCUB_304000_NS21CountingInputIteratorIllEEPS6_NSA_22TransformInputIteratorIbN2at6native12_GLOBAL__N_19NonZeroOpIsEEPKslEENS0_5tupleIJPlS6_EEENSN_IJSD_SD_EEES6_PiJS6_EEE10hipError_tPvRmT3_T4_T5_T6_T7_T9_mT8_P12ihipStream_tbDpT10_ENKUlT_T0_E_clISt17integral_constantIbLb1EES1A_IbLb0EEEEDaS16_S17_EUlS16_E_NS1_11comp_targetILNS1_3genE9ELNS1_11target_archE1100ELNS1_3gpuE3ELNS1_3repE0EEENS1_30default_config_static_selectorELNS0_4arch9wavefront6targetE0EEEvT1_.kd
    .uniform_work_group_size: 1
    .uses_dynamic_stack: false
    .vgpr_count:     0
    .vgpr_spill_count: 0
    .wavefront_size: 32
    .workgroup_processor_mode: 1
  - .args:
      - .offset:         0
        .size:           120
        .value_kind:     by_value
    .group_segment_fixed_size: 0
    .kernarg_segment_align: 8
    .kernarg_segment_size: 120
    .language:       OpenCL C
    .language_version:
      - 2
      - 0
    .max_flat_workgroup_size: 512
    .name:           _ZN7rocprim17ROCPRIM_400000_NS6detail17trampoline_kernelINS0_14default_configENS1_25partition_config_selectorILNS1_17partition_subalgoE5ElNS0_10empty_typeEbEEZZNS1_14partition_implILS5_5ELb0ES3_mN6hipcub16HIPCUB_304000_NS21CountingInputIteratorIllEEPS6_NSA_22TransformInputIteratorIbN2at6native12_GLOBAL__N_19NonZeroOpIsEEPKslEENS0_5tupleIJPlS6_EEENSN_IJSD_SD_EEES6_PiJS6_EEE10hipError_tPvRmT3_T4_T5_T6_T7_T9_mT8_P12ihipStream_tbDpT10_ENKUlT_T0_E_clISt17integral_constantIbLb1EES1A_IbLb0EEEEDaS16_S17_EUlS16_E_NS1_11comp_targetILNS1_3genE8ELNS1_11target_archE1030ELNS1_3gpuE2ELNS1_3repE0EEENS1_30default_config_static_selectorELNS0_4arch9wavefront6targetE0EEEvT1_
    .private_segment_fixed_size: 0
    .sgpr_count:     0
    .sgpr_spill_count: 0
    .symbol:         _ZN7rocprim17ROCPRIM_400000_NS6detail17trampoline_kernelINS0_14default_configENS1_25partition_config_selectorILNS1_17partition_subalgoE5ElNS0_10empty_typeEbEEZZNS1_14partition_implILS5_5ELb0ES3_mN6hipcub16HIPCUB_304000_NS21CountingInputIteratorIllEEPS6_NSA_22TransformInputIteratorIbN2at6native12_GLOBAL__N_19NonZeroOpIsEEPKslEENS0_5tupleIJPlS6_EEENSN_IJSD_SD_EEES6_PiJS6_EEE10hipError_tPvRmT3_T4_T5_T6_T7_T9_mT8_P12ihipStream_tbDpT10_ENKUlT_T0_E_clISt17integral_constantIbLb1EES1A_IbLb0EEEEDaS16_S17_EUlS16_E_NS1_11comp_targetILNS1_3genE8ELNS1_11target_archE1030ELNS1_3gpuE2ELNS1_3repE0EEENS1_30default_config_static_selectorELNS0_4arch9wavefront6targetE0EEEvT1_.kd
    .uniform_work_group_size: 1
    .uses_dynamic_stack: false
    .vgpr_count:     0
    .vgpr_spill_count: 0
    .wavefront_size: 32
    .workgroup_processor_mode: 1
  - .args:
      - .offset:         0
        .size:           136
        .value_kind:     by_value
    .group_segment_fixed_size: 0
    .kernarg_segment_align: 8
    .kernarg_segment_size: 136
    .language:       OpenCL C
    .language_version:
      - 2
      - 0
    .max_flat_workgroup_size: 128
    .name:           _ZN7rocprim17ROCPRIM_400000_NS6detail17trampoline_kernelINS0_14default_configENS1_25partition_config_selectorILNS1_17partition_subalgoE5ElNS0_10empty_typeEbEEZZNS1_14partition_implILS5_5ELb0ES3_mN6hipcub16HIPCUB_304000_NS21CountingInputIteratorIllEEPS6_NSA_22TransformInputIteratorIbN2at6native12_GLOBAL__N_19NonZeroOpIsEEPKslEENS0_5tupleIJPlS6_EEENSN_IJSD_SD_EEES6_PiJS6_EEE10hipError_tPvRmT3_T4_T5_T6_T7_T9_mT8_P12ihipStream_tbDpT10_ENKUlT_T0_E_clISt17integral_constantIbLb0EES1A_IbLb1EEEEDaS16_S17_EUlS16_E_NS1_11comp_targetILNS1_3genE0ELNS1_11target_archE4294967295ELNS1_3gpuE0ELNS1_3repE0EEENS1_30default_config_static_selectorELNS0_4arch9wavefront6targetE0EEEvT1_
    .private_segment_fixed_size: 0
    .sgpr_count:     0
    .sgpr_spill_count: 0
    .symbol:         _ZN7rocprim17ROCPRIM_400000_NS6detail17trampoline_kernelINS0_14default_configENS1_25partition_config_selectorILNS1_17partition_subalgoE5ElNS0_10empty_typeEbEEZZNS1_14partition_implILS5_5ELb0ES3_mN6hipcub16HIPCUB_304000_NS21CountingInputIteratorIllEEPS6_NSA_22TransformInputIteratorIbN2at6native12_GLOBAL__N_19NonZeroOpIsEEPKslEENS0_5tupleIJPlS6_EEENSN_IJSD_SD_EEES6_PiJS6_EEE10hipError_tPvRmT3_T4_T5_T6_T7_T9_mT8_P12ihipStream_tbDpT10_ENKUlT_T0_E_clISt17integral_constantIbLb0EES1A_IbLb1EEEEDaS16_S17_EUlS16_E_NS1_11comp_targetILNS1_3genE0ELNS1_11target_archE4294967295ELNS1_3gpuE0ELNS1_3repE0EEENS1_30default_config_static_selectorELNS0_4arch9wavefront6targetE0EEEvT1_.kd
    .uniform_work_group_size: 1
    .uses_dynamic_stack: false
    .vgpr_count:     0
    .vgpr_spill_count: 0
    .wavefront_size: 32
    .workgroup_processor_mode: 1
  - .args:
      - .offset:         0
        .size:           136
        .value_kind:     by_value
    .group_segment_fixed_size: 0
    .kernarg_segment_align: 8
    .kernarg_segment_size: 136
    .language:       OpenCL C
    .language_version:
      - 2
      - 0
    .max_flat_workgroup_size: 512
    .name:           _ZN7rocprim17ROCPRIM_400000_NS6detail17trampoline_kernelINS0_14default_configENS1_25partition_config_selectorILNS1_17partition_subalgoE5ElNS0_10empty_typeEbEEZZNS1_14partition_implILS5_5ELb0ES3_mN6hipcub16HIPCUB_304000_NS21CountingInputIteratorIllEEPS6_NSA_22TransformInputIteratorIbN2at6native12_GLOBAL__N_19NonZeroOpIsEEPKslEENS0_5tupleIJPlS6_EEENSN_IJSD_SD_EEES6_PiJS6_EEE10hipError_tPvRmT3_T4_T5_T6_T7_T9_mT8_P12ihipStream_tbDpT10_ENKUlT_T0_E_clISt17integral_constantIbLb0EES1A_IbLb1EEEEDaS16_S17_EUlS16_E_NS1_11comp_targetILNS1_3genE5ELNS1_11target_archE942ELNS1_3gpuE9ELNS1_3repE0EEENS1_30default_config_static_selectorELNS0_4arch9wavefront6targetE0EEEvT1_
    .private_segment_fixed_size: 0
    .sgpr_count:     0
    .sgpr_spill_count: 0
    .symbol:         _ZN7rocprim17ROCPRIM_400000_NS6detail17trampoline_kernelINS0_14default_configENS1_25partition_config_selectorILNS1_17partition_subalgoE5ElNS0_10empty_typeEbEEZZNS1_14partition_implILS5_5ELb0ES3_mN6hipcub16HIPCUB_304000_NS21CountingInputIteratorIllEEPS6_NSA_22TransformInputIteratorIbN2at6native12_GLOBAL__N_19NonZeroOpIsEEPKslEENS0_5tupleIJPlS6_EEENSN_IJSD_SD_EEES6_PiJS6_EEE10hipError_tPvRmT3_T4_T5_T6_T7_T9_mT8_P12ihipStream_tbDpT10_ENKUlT_T0_E_clISt17integral_constantIbLb0EES1A_IbLb1EEEEDaS16_S17_EUlS16_E_NS1_11comp_targetILNS1_3genE5ELNS1_11target_archE942ELNS1_3gpuE9ELNS1_3repE0EEENS1_30default_config_static_selectorELNS0_4arch9wavefront6targetE0EEEvT1_.kd
    .uniform_work_group_size: 1
    .uses_dynamic_stack: false
    .vgpr_count:     0
    .vgpr_spill_count: 0
    .wavefront_size: 32
    .workgroup_processor_mode: 1
  - .args:
      - .offset:         0
        .size:           136
        .value_kind:     by_value
    .group_segment_fixed_size: 0
    .kernarg_segment_align: 8
    .kernarg_segment_size: 136
    .language:       OpenCL C
    .language_version:
      - 2
      - 0
    .max_flat_workgroup_size: 192
    .name:           _ZN7rocprim17ROCPRIM_400000_NS6detail17trampoline_kernelINS0_14default_configENS1_25partition_config_selectorILNS1_17partition_subalgoE5ElNS0_10empty_typeEbEEZZNS1_14partition_implILS5_5ELb0ES3_mN6hipcub16HIPCUB_304000_NS21CountingInputIteratorIllEEPS6_NSA_22TransformInputIteratorIbN2at6native12_GLOBAL__N_19NonZeroOpIsEEPKslEENS0_5tupleIJPlS6_EEENSN_IJSD_SD_EEES6_PiJS6_EEE10hipError_tPvRmT3_T4_T5_T6_T7_T9_mT8_P12ihipStream_tbDpT10_ENKUlT_T0_E_clISt17integral_constantIbLb0EES1A_IbLb1EEEEDaS16_S17_EUlS16_E_NS1_11comp_targetILNS1_3genE4ELNS1_11target_archE910ELNS1_3gpuE8ELNS1_3repE0EEENS1_30default_config_static_selectorELNS0_4arch9wavefront6targetE0EEEvT1_
    .private_segment_fixed_size: 0
    .sgpr_count:     0
    .sgpr_spill_count: 0
    .symbol:         _ZN7rocprim17ROCPRIM_400000_NS6detail17trampoline_kernelINS0_14default_configENS1_25partition_config_selectorILNS1_17partition_subalgoE5ElNS0_10empty_typeEbEEZZNS1_14partition_implILS5_5ELb0ES3_mN6hipcub16HIPCUB_304000_NS21CountingInputIteratorIllEEPS6_NSA_22TransformInputIteratorIbN2at6native12_GLOBAL__N_19NonZeroOpIsEEPKslEENS0_5tupleIJPlS6_EEENSN_IJSD_SD_EEES6_PiJS6_EEE10hipError_tPvRmT3_T4_T5_T6_T7_T9_mT8_P12ihipStream_tbDpT10_ENKUlT_T0_E_clISt17integral_constantIbLb0EES1A_IbLb1EEEEDaS16_S17_EUlS16_E_NS1_11comp_targetILNS1_3genE4ELNS1_11target_archE910ELNS1_3gpuE8ELNS1_3repE0EEENS1_30default_config_static_selectorELNS0_4arch9wavefront6targetE0EEEvT1_.kd
    .uniform_work_group_size: 1
    .uses_dynamic_stack: false
    .vgpr_count:     0
    .vgpr_spill_count: 0
    .wavefront_size: 32
    .workgroup_processor_mode: 1
  - .args:
      - .offset:         0
        .size:           136
        .value_kind:     by_value
    .group_segment_fixed_size: 0
    .kernarg_segment_align: 8
    .kernarg_segment_size: 136
    .language:       OpenCL C
    .language_version:
      - 2
      - 0
    .max_flat_workgroup_size: 128
    .name:           _ZN7rocprim17ROCPRIM_400000_NS6detail17trampoline_kernelINS0_14default_configENS1_25partition_config_selectorILNS1_17partition_subalgoE5ElNS0_10empty_typeEbEEZZNS1_14partition_implILS5_5ELb0ES3_mN6hipcub16HIPCUB_304000_NS21CountingInputIteratorIllEEPS6_NSA_22TransformInputIteratorIbN2at6native12_GLOBAL__N_19NonZeroOpIsEEPKslEENS0_5tupleIJPlS6_EEENSN_IJSD_SD_EEES6_PiJS6_EEE10hipError_tPvRmT3_T4_T5_T6_T7_T9_mT8_P12ihipStream_tbDpT10_ENKUlT_T0_E_clISt17integral_constantIbLb0EES1A_IbLb1EEEEDaS16_S17_EUlS16_E_NS1_11comp_targetILNS1_3genE3ELNS1_11target_archE908ELNS1_3gpuE7ELNS1_3repE0EEENS1_30default_config_static_selectorELNS0_4arch9wavefront6targetE0EEEvT1_
    .private_segment_fixed_size: 0
    .sgpr_count:     0
    .sgpr_spill_count: 0
    .symbol:         _ZN7rocprim17ROCPRIM_400000_NS6detail17trampoline_kernelINS0_14default_configENS1_25partition_config_selectorILNS1_17partition_subalgoE5ElNS0_10empty_typeEbEEZZNS1_14partition_implILS5_5ELb0ES3_mN6hipcub16HIPCUB_304000_NS21CountingInputIteratorIllEEPS6_NSA_22TransformInputIteratorIbN2at6native12_GLOBAL__N_19NonZeroOpIsEEPKslEENS0_5tupleIJPlS6_EEENSN_IJSD_SD_EEES6_PiJS6_EEE10hipError_tPvRmT3_T4_T5_T6_T7_T9_mT8_P12ihipStream_tbDpT10_ENKUlT_T0_E_clISt17integral_constantIbLb0EES1A_IbLb1EEEEDaS16_S17_EUlS16_E_NS1_11comp_targetILNS1_3genE3ELNS1_11target_archE908ELNS1_3gpuE7ELNS1_3repE0EEENS1_30default_config_static_selectorELNS0_4arch9wavefront6targetE0EEEvT1_.kd
    .uniform_work_group_size: 1
    .uses_dynamic_stack: false
    .vgpr_count:     0
    .vgpr_spill_count: 0
    .wavefront_size: 32
    .workgroup_processor_mode: 1
  - .args:
      - .offset:         0
        .size:           136
        .value_kind:     by_value
    .group_segment_fixed_size: 0
    .kernarg_segment_align: 8
    .kernarg_segment_size: 136
    .language:       OpenCL C
    .language_version:
      - 2
      - 0
    .max_flat_workgroup_size: 256
    .name:           _ZN7rocprim17ROCPRIM_400000_NS6detail17trampoline_kernelINS0_14default_configENS1_25partition_config_selectorILNS1_17partition_subalgoE5ElNS0_10empty_typeEbEEZZNS1_14partition_implILS5_5ELb0ES3_mN6hipcub16HIPCUB_304000_NS21CountingInputIteratorIllEEPS6_NSA_22TransformInputIteratorIbN2at6native12_GLOBAL__N_19NonZeroOpIsEEPKslEENS0_5tupleIJPlS6_EEENSN_IJSD_SD_EEES6_PiJS6_EEE10hipError_tPvRmT3_T4_T5_T6_T7_T9_mT8_P12ihipStream_tbDpT10_ENKUlT_T0_E_clISt17integral_constantIbLb0EES1A_IbLb1EEEEDaS16_S17_EUlS16_E_NS1_11comp_targetILNS1_3genE2ELNS1_11target_archE906ELNS1_3gpuE6ELNS1_3repE0EEENS1_30default_config_static_selectorELNS0_4arch9wavefront6targetE0EEEvT1_
    .private_segment_fixed_size: 0
    .sgpr_count:     0
    .sgpr_spill_count: 0
    .symbol:         _ZN7rocprim17ROCPRIM_400000_NS6detail17trampoline_kernelINS0_14default_configENS1_25partition_config_selectorILNS1_17partition_subalgoE5ElNS0_10empty_typeEbEEZZNS1_14partition_implILS5_5ELb0ES3_mN6hipcub16HIPCUB_304000_NS21CountingInputIteratorIllEEPS6_NSA_22TransformInputIteratorIbN2at6native12_GLOBAL__N_19NonZeroOpIsEEPKslEENS0_5tupleIJPlS6_EEENSN_IJSD_SD_EEES6_PiJS6_EEE10hipError_tPvRmT3_T4_T5_T6_T7_T9_mT8_P12ihipStream_tbDpT10_ENKUlT_T0_E_clISt17integral_constantIbLb0EES1A_IbLb1EEEEDaS16_S17_EUlS16_E_NS1_11comp_targetILNS1_3genE2ELNS1_11target_archE906ELNS1_3gpuE6ELNS1_3repE0EEENS1_30default_config_static_selectorELNS0_4arch9wavefront6targetE0EEEvT1_.kd
    .uniform_work_group_size: 1
    .uses_dynamic_stack: false
    .vgpr_count:     0
    .vgpr_spill_count: 0
    .wavefront_size: 32
    .workgroup_processor_mode: 1
  - .args:
      - .offset:         0
        .size:           136
        .value_kind:     by_value
    .group_segment_fixed_size: 8464
    .kernarg_segment_align: 8
    .kernarg_segment_size: 136
    .language:       OpenCL C
    .language_version:
      - 2
      - 0
    .max_flat_workgroup_size: 256
    .name:           _ZN7rocprim17ROCPRIM_400000_NS6detail17trampoline_kernelINS0_14default_configENS1_25partition_config_selectorILNS1_17partition_subalgoE5ElNS0_10empty_typeEbEEZZNS1_14partition_implILS5_5ELb0ES3_mN6hipcub16HIPCUB_304000_NS21CountingInputIteratorIllEEPS6_NSA_22TransformInputIteratorIbN2at6native12_GLOBAL__N_19NonZeroOpIsEEPKslEENS0_5tupleIJPlS6_EEENSN_IJSD_SD_EEES6_PiJS6_EEE10hipError_tPvRmT3_T4_T5_T6_T7_T9_mT8_P12ihipStream_tbDpT10_ENKUlT_T0_E_clISt17integral_constantIbLb0EES1A_IbLb1EEEEDaS16_S17_EUlS16_E_NS1_11comp_targetILNS1_3genE10ELNS1_11target_archE1200ELNS1_3gpuE4ELNS1_3repE0EEENS1_30default_config_static_selectorELNS0_4arch9wavefront6targetE0EEEvT1_
    .private_segment_fixed_size: 0
    .sgpr_count:     26
    .sgpr_spill_count: 0
    .symbol:         _ZN7rocprim17ROCPRIM_400000_NS6detail17trampoline_kernelINS0_14default_configENS1_25partition_config_selectorILNS1_17partition_subalgoE5ElNS0_10empty_typeEbEEZZNS1_14partition_implILS5_5ELb0ES3_mN6hipcub16HIPCUB_304000_NS21CountingInputIteratorIllEEPS6_NSA_22TransformInputIteratorIbN2at6native12_GLOBAL__N_19NonZeroOpIsEEPKslEENS0_5tupleIJPlS6_EEENSN_IJSD_SD_EEES6_PiJS6_EEE10hipError_tPvRmT3_T4_T5_T6_T7_T9_mT8_P12ihipStream_tbDpT10_ENKUlT_T0_E_clISt17integral_constantIbLb0EES1A_IbLb1EEEEDaS16_S17_EUlS16_E_NS1_11comp_targetILNS1_3genE10ELNS1_11target_archE1200ELNS1_3gpuE4ELNS1_3repE0EEENS1_30default_config_static_selectorELNS0_4arch9wavefront6targetE0EEEvT1_.kd
    .uniform_work_group_size: 1
    .uses_dynamic_stack: false
    .vgpr_count:     48
    .vgpr_spill_count: 0
    .wavefront_size: 32
    .workgroup_processor_mode: 1
  - .args:
      - .offset:         0
        .size:           136
        .value_kind:     by_value
    .group_segment_fixed_size: 0
    .kernarg_segment_align: 8
    .kernarg_segment_size: 136
    .language:       OpenCL C
    .language_version:
      - 2
      - 0
    .max_flat_workgroup_size: 128
    .name:           _ZN7rocprim17ROCPRIM_400000_NS6detail17trampoline_kernelINS0_14default_configENS1_25partition_config_selectorILNS1_17partition_subalgoE5ElNS0_10empty_typeEbEEZZNS1_14partition_implILS5_5ELb0ES3_mN6hipcub16HIPCUB_304000_NS21CountingInputIteratorIllEEPS6_NSA_22TransformInputIteratorIbN2at6native12_GLOBAL__N_19NonZeroOpIsEEPKslEENS0_5tupleIJPlS6_EEENSN_IJSD_SD_EEES6_PiJS6_EEE10hipError_tPvRmT3_T4_T5_T6_T7_T9_mT8_P12ihipStream_tbDpT10_ENKUlT_T0_E_clISt17integral_constantIbLb0EES1A_IbLb1EEEEDaS16_S17_EUlS16_E_NS1_11comp_targetILNS1_3genE9ELNS1_11target_archE1100ELNS1_3gpuE3ELNS1_3repE0EEENS1_30default_config_static_selectorELNS0_4arch9wavefront6targetE0EEEvT1_
    .private_segment_fixed_size: 0
    .sgpr_count:     0
    .sgpr_spill_count: 0
    .symbol:         _ZN7rocprim17ROCPRIM_400000_NS6detail17trampoline_kernelINS0_14default_configENS1_25partition_config_selectorILNS1_17partition_subalgoE5ElNS0_10empty_typeEbEEZZNS1_14partition_implILS5_5ELb0ES3_mN6hipcub16HIPCUB_304000_NS21CountingInputIteratorIllEEPS6_NSA_22TransformInputIteratorIbN2at6native12_GLOBAL__N_19NonZeroOpIsEEPKslEENS0_5tupleIJPlS6_EEENSN_IJSD_SD_EEES6_PiJS6_EEE10hipError_tPvRmT3_T4_T5_T6_T7_T9_mT8_P12ihipStream_tbDpT10_ENKUlT_T0_E_clISt17integral_constantIbLb0EES1A_IbLb1EEEEDaS16_S17_EUlS16_E_NS1_11comp_targetILNS1_3genE9ELNS1_11target_archE1100ELNS1_3gpuE3ELNS1_3repE0EEENS1_30default_config_static_selectorELNS0_4arch9wavefront6targetE0EEEvT1_.kd
    .uniform_work_group_size: 1
    .uses_dynamic_stack: false
    .vgpr_count:     0
    .vgpr_spill_count: 0
    .wavefront_size: 32
    .workgroup_processor_mode: 1
  - .args:
      - .offset:         0
        .size:           136
        .value_kind:     by_value
    .group_segment_fixed_size: 0
    .kernarg_segment_align: 8
    .kernarg_segment_size: 136
    .language:       OpenCL C
    .language_version:
      - 2
      - 0
    .max_flat_workgroup_size: 512
    .name:           _ZN7rocprim17ROCPRIM_400000_NS6detail17trampoline_kernelINS0_14default_configENS1_25partition_config_selectorILNS1_17partition_subalgoE5ElNS0_10empty_typeEbEEZZNS1_14partition_implILS5_5ELb0ES3_mN6hipcub16HIPCUB_304000_NS21CountingInputIteratorIllEEPS6_NSA_22TransformInputIteratorIbN2at6native12_GLOBAL__N_19NonZeroOpIsEEPKslEENS0_5tupleIJPlS6_EEENSN_IJSD_SD_EEES6_PiJS6_EEE10hipError_tPvRmT3_T4_T5_T6_T7_T9_mT8_P12ihipStream_tbDpT10_ENKUlT_T0_E_clISt17integral_constantIbLb0EES1A_IbLb1EEEEDaS16_S17_EUlS16_E_NS1_11comp_targetILNS1_3genE8ELNS1_11target_archE1030ELNS1_3gpuE2ELNS1_3repE0EEENS1_30default_config_static_selectorELNS0_4arch9wavefront6targetE0EEEvT1_
    .private_segment_fixed_size: 0
    .sgpr_count:     0
    .sgpr_spill_count: 0
    .symbol:         _ZN7rocprim17ROCPRIM_400000_NS6detail17trampoline_kernelINS0_14default_configENS1_25partition_config_selectorILNS1_17partition_subalgoE5ElNS0_10empty_typeEbEEZZNS1_14partition_implILS5_5ELb0ES3_mN6hipcub16HIPCUB_304000_NS21CountingInputIteratorIllEEPS6_NSA_22TransformInputIteratorIbN2at6native12_GLOBAL__N_19NonZeroOpIsEEPKslEENS0_5tupleIJPlS6_EEENSN_IJSD_SD_EEES6_PiJS6_EEE10hipError_tPvRmT3_T4_T5_T6_T7_T9_mT8_P12ihipStream_tbDpT10_ENKUlT_T0_E_clISt17integral_constantIbLb0EES1A_IbLb1EEEEDaS16_S17_EUlS16_E_NS1_11comp_targetILNS1_3genE8ELNS1_11target_archE1030ELNS1_3gpuE2ELNS1_3repE0EEENS1_30default_config_static_selectorELNS0_4arch9wavefront6targetE0EEEvT1_.kd
    .uniform_work_group_size: 1
    .uses_dynamic_stack: false
    .vgpr_count:     0
    .vgpr_spill_count: 0
    .wavefront_size: 32
    .workgroup_processor_mode: 1
  - .args:
      - .offset:         0
        .size:           56
        .value_kind:     by_value
    .group_segment_fixed_size: 0
    .kernarg_segment_align: 8
    .kernarg_segment_size: 56
    .language:       OpenCL C
    .language_version:
      - 2
      - 0
    .max_flat_workgroup_size: 256
    .name:           _ZN7rocprim17ROCPRIM_400000_NS6detail17trampoline_kernelINS0_14default_configENS1_22reduce_config_selectorIiEEZNS1_11reduce_implILb1ES3_PiS7_iN6hipcub16HIPCUB_304000_NS6detail34convert_binary_result_type_wrapperINS9_3SumENS9_22TransformInputIteratorIbN2at6native12_GLOBAL__N_19NonZeroOpIdEEPKdlEEiEEEE10hipError_tPvRmT1_T2_T3_mT4_P12ihipStream_tbEUlT_E0_NS1_11comp_targetILNS1_3genE0ELNS1_11target_archE4294967295ELNS1_3gpuE0ELNS1_3repE0EEENS1_30default_config_static_selectorELNS0_4arch9wavefront6targetE0EEEvSQ_
    .private_segment_fixed_size: 0
    .sgpr_count:     0
    .sgpr_spill_count: 0
    .symbol:         _ZN7rocprim17ROCPRIM_400000_NS6detail17trampoline_kernelINS0_14default_configENS1_22reduce_config_selectorIiEEZNS1_11reduce_implILb1ES3_PiS7_iN6hipcub16HIPCUB_304000_NS6detail34convert_binary_result_type_wrapperINS9_3SumENS9_22TransformInputIteratorIbN2at6native12_GLOBAL__N_19NonZeroOpIdEEPKdlEEiEEEE10hipError_tPvRmT1_T2_T3_mT4_P12ihipStream_tbEUlT_E0_NS1_11comp_targetILNS1_3genE0ELNS1_11target_archE4294967295ELNS1_3gpuE0ELNS1_3repE0EEENS1_30default_config_static_selectorELNS0_4arch9wavefront6targetE0EEEvSQ_.kd
    .uniform_work_group_size: 1
    .uses_dynamic_stack: false
    .vgpr_count:     0
    .vgpr_spill_count: 0
    .wavefront_size: 32
    .workgroup_processor_mode: 1
  - .args:
      - .offset:         0
        .size:           56
        .value_kind:     by_value
    .group_segment_fixed_size: 0
    .kernarg_segment_align: 8
    .kernarg_segment_size: 56
    .language:       OpenCL C
    .language_version:
      - 2
      - 0
    .max_flat_workgroup_size: 256
    .name:           _ZN7rocprim17ROCPRIM_400000_NS6detail17trampoline_kernelINS0_14default_configENS1_22reduce_config_selectorIiEEZNS1_11reduce_implILb1ES3_PiS7_iN6hipcub16HIPCUB_304000_NS6detail34convert_binary_result_type_wrapperINS9_3SumENS9_22TransformInputIteratorIbN2at6native12_GLOBAL__N_19NonZeroOpIdEEPKdlEEiEEEE10hipError_tPvRmT1_T2_T3_mT4_P12ihipStream_tbEUlT_E0_NS1_11comp_targetILNS1_3genE5ELNS1_11target_archE942ELNS1_3gpuE9ELNS1_3repE0EEENS1_30default_config_static_selectorELNS0_4arch9wavefront6targetE0EEEvSQ_
    .private_segment_fixed_size: 0
    .sgpr_count:     0
    .sgpr_spill_count: 0
    .symbol:         _ZN7rocprim17ROCPRIM_400000_NS6detail17trampoline_kernelINS0_14default_configENS1_22reduce_config_selectorIiEEZNS1_11reduce_implILb1ES3_PiS7_iN6hipcub16HIPCUB_304000_NS6detail34convert_binary_result_type_wrapperINS9_3SumENS9_22TransformInputIteratorIbN2at6native12_GLOBAL__N_19NonZeroOpIdEEPKdlEEiEEEE10hipError_tPvRmT1_T2_T3_mT4_P12ihipStream_tbEUlT_E0_NS1_11comp_targetILNS1_3genE5ELNS1_11target_archE942ELNS1_3gpuE9ELNS1_3repE0EEENS1_30default_config_static_selectorELNS0_4arch9wavefront6targetE0EEEvSQ_.kd
    .uniform_work_group_size: 1
    .uses_dynamic_stack: false
    .vgpr_count:     0
    .vgpr_spill_count: 0
    .wavefront_size: 32
    .workgroup_processor_mode: 1
  - .args:
      - .offset:         0
        .size:           56
        .value_kind:     by_value
    .group_segment_fixed_size: 0
    .kernarg_segment_align: 8
    .kernarg_segment_size: 56
    .language:       OpenCL C
    .language_version:
      - 2
      - 0
    .max_flat_workgroup_size: 128
    .name:           _ZN7rocprim17ROCPRIM_400000_NS6detail17trampoline_kernelINS0_14default_configENS1_22reduce_config_selectorIiEEZNS1_11reduce_implILb1ES3_PiS7_iN6hipcub16HIPCUB_304000_NS6detail34convert_binary_result_type_wrapperINS9_3SumENS9_22TransformInputIteratorIbN2at6native12_GLOBAL__N_19NonZeroOpIdEEPKdlEEiEEEE10hipError_tPvRmT1_T2_T3_mT4_P12ihipStream_tbEUlT_E0_NS1_11comp_targetILNS1_3genE4ELNS1_11target_archE910ELNS1_3gpuE8ELNS1_3repE0EEENS1_30default_config_static_selectorELNS0_4arch9wavefront6targetE0EEEvSQ_
    .private_segment_fixed_size: 0
    .sgpr_count:     0
    .sgpr_spill_count: 0
    .symbol:         _ZN7rocprim17ROCPRIM_400000_NS6detail17trampoline_kernelINS0_14default_configENS1_22reduce_config_selectorIiEEZNS1_11reduce_implILb1ES3_PiS7_iN6hipcub16HIPCUB_304000_NS6detail34convert_binary_result_type_wrapperINS9_3SumENS9_22TransformInputIteratorIbN2at6native12_GLOBAL__N_19NonZeroOpIdEEPKdlEEiEEEE10hipError_tPvRmT1_T2_T3_mT4_P12ihipStream_tbEUlT_E0_NS1_11comp_targetILNS1_3genE4ELNS1_11target_archE910ELNS1_3gpuE8ELNS1_3repE0EEENS1_30default_config_static_selectorELNS0_4arch9wavefront6targetE0EEEvSQ_.kd
    .uniform_work_group_size: 1
    .uses_dynamic_stack: false
    .vgpr_count:     0
    .vgpr_spill_count: 0
    .wavefront_size: 32
    .workgroup_processor_mode: 1
  - .args:
      - .offset:         0
        .size:           56
        .value_kind:     by_value
    .group_segment_fixed_size: 0
    .kernarg_segment_align: 8
    .kernarg_segment_size: 56
    .language:       OpenCL C
    .language_version:
      - 2
      - 0
    .max_flat_workgroup_size: 256
    .name:           _ZN7rocprim17ROCPRIM_400000_NS6detail17trampoline_kernelINS0_14default_configENS1_22reduce_config_selectorIiEEZNS1_11reduce_implILb1ES3_PiS7_iN6hipcub16HIPCUB_304000_NS6detail34convert_binary_result_type_wrapperINS9_3SumENS9_22TransformInputIteratorIbN2at6native12_GLOBAL__N_19NonZeroOpIdEEPKdlEEiEEEE10hipError_tPvRmT1_T2_T3_mT4_P12ihipStream_tbEUlT_E0_NS1_11comp_targetILNS1_3genE3ELNS1_11target_archE908ELNS1_3gpuE7ELNS1_3repE0EEENS1_30default_config_static_selectorELNS0_4arch9wavefront6targetE0EEEvSQ_
    .private_segment_fixed_size: 0
    .sgpr_count:     0
    .sgpr_spill_count: 0
    .symbol:         _ZN7rocprim17ROCPRIM_400000_NS6detail17trampoline_kernelINS0_14default_configENS1_22reduce_config_selectorIiEEZNS1_11reduce_implILb1ES3_PiS7_iN6hipcub16HIPCUB_304000_NS6detail34convert_binary_result_type_wrapperINS9_3SumENS9_22TransformInputIteratorIbN2at6native12_GLOBAL__N_19NonZeroOpIdEEPKdlEEiEEEE10hipError_tPvRmT1_T2_T3_mT4_P12ihipStream_tbEUlT_E0_NS1_11comp_targetILNS1_3genE3ELNS1_11target_archE908ELNS1_3gpuE7ELNS1_3repE0EEENS1_30default_config_static_selectorELNS0_4arch9wavefront6targetE0EEEvSQ_.kd
    .uniform_work_group_size: 1
    .uses_dynamic_stack: false
    .vgpr_count:     0
    .vgpr_spill_count: 0
    .wavefront_size: 32
    .workgroup_processor_mode: 1
  - .args:
      - .offset:         0
        .size:           56
        .value_kind:     by_value
    .group_segment_fixed_size: 0
    .kernarg_segment_align: 8
    .kernarg_segment_size: 56
    .language:       OpenCL C
    .language_version:
      - 2
      - 0
    .max_flat_workgroup_size: 256
    .name:           _ZN7rocprim17ROCPRIM_400000_NS6detail17trampoline_kernelINS0_14default_configENS1_22reduce_config_selectorIiEEZNS1_11reduce_implILb1ES3_PiS7_iN6hipcub16HIPCUB_304000_NS6detail34convert_binary_result_type_wrapperINS9_3SumENS9_22TransformInputIteratorIbN2at6native12_GLOBAL__N_19NonZeroOpIdEEPKdlEEiEEEE10hipError_tPvRmT1_T2_T3_mT4_P12ihipStream_tbEUlT_E0_NS1_11comp_targetILNS1_3genE2ELNS1_11target_archE906ELNS1_3gpuE6ELNS1_3repE0EEENS1_30default_config_static_selectorELNS0_4arch9wavefront6targetE0EEEvSQ_
    .private_segment_fixed_size: 0
    .sgpr_count:     0
    .sgpr_spill_count: 0
    .symbol:         _ZN7rocprim17ROCPRIM_400000_NS6detail17trampoline_kernelINS0_14default_configENS1_22reduce_config_selectorIiEEZNS1_11reduce_implILb1ES3_PiS7_iN6hipcub16HIPCUB_304000_NS6detail34convert_binary_result_type_wrapperINS9_3SumENS9_22TransformInputIteratorIbN2at6native12_GLOBAL__N_19NonZeroOpIdEEPKdlEEiEEEE10hipError_tPvRmT1_T2_T3_mT4_P12ihipStream_tbEUlT_E0_NS1_11comp_targetILNS1_3genE2ELNS1_11target_archE906ELNS1_3gpuE6ELNS1_3repE0EEENS1_30default_config_static_selectorELNS0_4arch9wavefront6targetE0EEEvSQ_.kd
    .uniform_work_group_size: 1
    .uses_dynamic_stack: false
    .vgpr_count:     0
    .vgpr_spill_count: 0
    .wavefront_size: 32
    .workgroup_processor_mode: 1
  - .args:
      - .offset:         0
        .size:           56
        .value_kind:     by_value
    .group_segment_fixed_size: 64
    .kernarg_segment_align: 8
    .kernarg_segment_size: 56
    .language:       OpenCL C
    .language_version:
      - 2
      - 0
    .max_flat_workgroup_size: 256
    .name:           _ZN7rocprim17ROCPRIM_400000_NS6detail17trampoline_kernelINS0_14default_configENS1_22reduce_config_selectorIiEEZNS1_11reduce_implILb1ES3_PiS7_iN6hipcub16HIPCUB_304000_NS6detail34convert_binary_result_type_wrapperINS9_3SumENS9_22TransformInputIteratorIbN2at6native12_GLOBAL__N_19NonZeroOpIdEEPKdlEEiEEEE10hipError_tPvRmT1_T2_T3_mT4_P12ihipStream_tbEUlT_E0_NS1_11comp_targetILNS1_3genE10ELNS1_11target_archE1201ELNS1_3gpuE5ELNS1_3repE0EEENS1_30default_config_static_selectorELNS0_4arch9wavefront6targetE0EEEvSQ_
    .private_segment_fixed_size: 0
    .sgpr_count:     32
    .sgpr_spill_count: 0
    .symbol:         _ZN7rocprim17ROCPRIM_400000_NS6detail17trampoline_kernelINS0_14default_configENS1_22reduce_config_selectorIiEEZNS1_11reduce_implILb1ES3_PiS7_iN6hipcub16HIPCUB_304000_NS6detail34convert_binary_result_type_wrapperINS9_3SumENS9_22TransformInputIteratorIbN2at6native12_GLOBAL__N_19NonZeroOpIdEEPKdlEEiEEEE10hipError_tPvRmT1_T2_T3_mT4_P12ihipStream_tbEUlT_E0_NS1_11comp_targetILNS1_3genE10ELNS1_11target_archE1201ELNS1_3gpuE5ELNS1_3repE0EEENS1_30default_config_static_selectorELNS0_4arch9wavefront6targetE0EEEvSQ_.kd
    .uniform_work_group_size: 1
    .uses_dynamic_stack: false
    .vgpr_count:     20
    .vgpr_spill_count: 0
    .wavefront_size: 32
    .workgroup_processor_mode: 1
  - .args:
      - .offset:         0
        .size:           56
        .value_kind:     by_value
    .group_segment_fixed_size: 0
    .kernarg_segment_align: 8
    .kernarg_segment_size: 56
    .language:       OpenCL C
    .language_version:
      - 2
      - 0
    .max_flat_workgroup_size: 256
    .name:           _ZN7rocprim17ROCPRIM_400000_NS6detail17trampoline_kernelINS0_14default_configENS1_22reduce_config_selectorIiEEZNS1_11reduce_implILb1ES3_PiS7_iN6hipcub16HIPCUB_304000_NS6detail34convert_binary_result_type_wrapperINS9_3SumENS9_22TransformInputIteratorIbN2at6native12_GLOBAL__N_19NonZeroOpIdEEPKdlEEiEEEE10hipError_tPvRmT1_T2_T3_mT4_P12ihipStream_tbEUlT_E0_NS1_11comp_targetILNS1_3genE10ELNS1_11target_archE1200ELNS1_3gpuE4ELNS1_3repE0EEENS1_30default_config_static_selectorELNS0_4arch9wavefront6targetE0EEEvSQ_
    .private_segment_fixed_size: 0
    .sgpr_count:     0
    .sgpr_spill_count: 0
    .symbol:         _ZN7rocprim17ROCPRIM_400000_NS6detail17trampoline_kernelINS0_14default_configENS1_22reduce_config_selectorIiEEZNS1_11reduce_implILb1ES3_PiS7_iN6hipcub16HIPCUB_304000_NS6detail34convert_binary_result_type_wrapperINS9_3SumENS9_22TransformInputIteratorIbN2at6native12_GLOBAL__N_19NonZeroOpIdEEPKdlEEiEEEE10hipError_tPvRmT1_T2_T3_mT4_P12ihipStream_tbEUlT_E0_NS1_11comp_targetILNS1_3genE10ELNS1_11target_archE1200ELNS1_3gpuE4ELNS1_3repE0EEENS1_30default_config_static_selectorELNS0_4arch9wavefront6targetE0EEEvSQ_.kd
    .uniform_work_group_size: 1
    .uses_dynamic_stack: false
    .vgpr_count:     0
    .vgpr_spill_count: 0
    .wavefront_size: 32
    .workgroup_processor_mode: 1
  - .args:
      - .offset:         0
        .size:           56
        .value_kind:     by_value
    .group_segment_fixed_size: 0
    .kernarg_segment_align: 8
    .kernarg_segment_size: 56
    .language:       OpenCL C
    .language_version:
      - 2
      - 0
    .max_flat_workgroup_size: 256
    .name:           _ZN7rocprim17ROCPRIM_400000_NS6detail17trampoline_kernelINS0_14default_configENS1_22reduce_config_selectorIiEEZNS1_11reduce_implILb1ES3_PiS7_iN6hipcub16HIPCUB_304000_NS6detail34convert_binary_result_type_wrapperINS9_3SumENS9_22TransformInputIteratorIbN2at6native12_GLOBAL__N_19NonZeroOpIdEEPKdlEEiEEEE10hipError_tPvRmT1_T2_T3_mT4_P12ihipStream_tbEUlT_E0_NS1_11comp_targetILNS1_3genE9ELNS1_11target_archE1100ELNS1_3gpuE3ELNS1_3repE0EEENS1_30default_config_static_selectorELNS0_4arch9wavefront6targetE0EEEvSQ_
    .private_segment_fixed_size: 0
    .sgpr_count:     0
    .sgpr_spill_count: 0
    .symbol:         _ZN7rocprim17ROCPRIM_400000_NS6detail17trampoline_kernelINS0_14default_configENS1_22reduce_config_selectorIiEEZNS1_11reduce_implILb1ES3_PiS7_iN6hipcub16HIPCUB_304000_NS6detail34convert_binary_result_type_wrapperINS9_3SumENS9_22TransformInputIteratorIbN2at6native12_GLOBAL__N_19NonZeroOpIdEEPKdlEEiEEEE10hipError_tPvRmT1_T2_T3_mT4_P12ihipStream_tbEUlT_E0_NS1_11comp_targetILNS1_3genE9ELNS1_11target_archE1100ELNS1_3gpuE3ELNS1_3repE0EEENS1_30default_config_static_selectorELNS0_4arch9wavefront6targetE0EEEvSQ_.kd
    .uniform_work_group_size: 1
    .uses_dynamic_stack: false
    .vgpr_count:     0
    .vgpr_spill_count: 0
    .wavefront_size: 32
    .workgroup_processor_mode: 1
  - .args:
      - .offset:         0
        .size:           56
        .value_kind:     by_value
    .group_segment_fixed_size: 0
    .kernarg_segment_align: 8
    .kernarg_segment_size: 56
    .language:       OpenCL C
    .language_version:
      - 2
      - 0
    .max_flat_workgroup_size: 256
    .name:           _ZN7rocprim17ROCPRIM_400000_NS6detail17trampoline_kernelINS0_14default_configENS1_22reduce_config_selectorIiEEZNS1_11reduce_implILb1ES3_PiS7_iN6hipcub16HIPCUB_304000_NS6detail34convert_binary_result_type_wrapperINS9_3SumENS9_22TransformInputIteratorIbN2at6native12_GLOBAL__N_19NonZeroOpIdEEPKdlEEiEEEE10hipError_tPvRmT1_T2_T3_mT4_P12ihipStream_tbEUlT_E0_NS1_11comp_targetILNS1_3genE8ELNS1_11target_archE1030ELNS1_3gpuE2ELNS1_3repE0EEENS1_30default_config_static_selectorELNS0_4arch9wavefront6targetE0EEEvSQ_
    .private_segment_fixed_size: 0
    .sgpr_count:     0
    .sgpr_spill_count: 0
    .symbol:         _ZN7rocprim17ROCPRIM_400000_NS6detail17trampoline_kernelINS0_14default_configENS1_22reduce_config_selectorIiEEZNS1_11reduce_implILb1ES3_PiS7_iN6hipcub16HIPCUB_304000_NS6detail34convert_binary_result_type_wrapperINS9_3SumENS9_22TransformInputIteratorIbN2at6native12_GLOBAL__N_19NonZeroOpIdEEPKdlEEiEEEE10hipError_tPvRmT1_T2_T3_mT4_P12ihipStream_tbEUlT_E0_NS1_11comp_targetILNS1_3genE8ELNS1_11target_archE1030ELNS1_3gpuE2ELNS1_3repE0EEENS1_30default_config_static_selectorELNS0_4arch9wavefront6targetE0EEEvSQ_.kd
    .uniform_work_group_size: 1
    .uses_dynamic_stack: false
    .vgpr_count:     0
    .vgpr_spill_count: 0
    .wavefront_size: 32
    .workgroup_processor_mode: 1
  - .args:
      - .offset:         0
        .size:           40
        .value_kind:     by_value
    .group_segment_fixed_size: 0
    .kernarg_segment_align: 8
    .kernarg_segment_size: 40
    .language:       OpenCL C
    .language_version:
      - 2
      - 0
    .max_flat_workgroup_size: 256
    .name:           _ZN7rocprim17ROCPRIM_400000_NS6detail17trampoline_kernelINS0_14default_configENS1_22reduce_config_selectorIiEEZNS1_11reduce_implILb1ES3_PiS7_iN6hipcub16HIPCUB_304000_NS6detail34convert_binary_result_type_wrapperINS9_3SumENS9_22TransformInputIteratorIbN2at6native12_GLOBAL__N_19NonZeroOpIdEEPKdlEEiEEEE10hipError_tPvRmT1_T2_T3_mT4_P12ihipStream_tbEUlT_E1_NS1_11comp_targetILNS1_3genE0ELNS1_11target_archE4294967295ELNS1_3gpuE0ELNS1_3repE0EEENS1_30default_config_static_selectorELNS0_4arch9wavefront6targetE0EEEvSQ_
    .private_segment_fixed_size: 0
    .sgpr_count:     0
    .sgpr_spill_count: 0
    .symbol:         _ZN7rocprim17ROCPRIM_400000_NS6detail17trampoline_kernelINS0_14default_configENS1_22reduce_config_selectorIiEEZNS1_11reduce_implILb1ES3_PiS7_iN6hipcub16HIPCUB_304000_NS6detail34convert_binary_result_type_wrapperINS9_3SumENS9_22TransformInputIteratorIbN2at6native12_GLOBAL__N_19NonZeroOpIdEEPKdlEEiEEEE10hipError_tPvRmT1_T2_T3_mT4_P12ihipStream_tbEUlT_E1_NS1_11comp_targetILNS1_3genE0ELNS1_11target_archE4294967295ELNS1_3gpuE0ELNS1_3repE0EEENS1_30default_config_static_selectorELNS0_4arch9wavefront6targetE0EEEvSQ_.kd
    .uniform_work_group_size: 1
    .uses_dynamic_stack: false
    .vgpr_count:     0
    .vgpr_spill_count: 0
    .wavefront_size: 32
    .workgroup_processor_mode: 1
  - .args:
      - .offset:         0
        .size:           40
        .value_kind:     by_value
    .group_segment_fixed_size: 0
    .kernarg_segment_align: 8
    .kernarg_segment_size: 40
    .language:       OpenCL C
    .language_version:
      - 2
      - 0
    .max_flat_workgroup_size: 256
    .name:           _ZN7rocprim17ROCPRIM_400000_NS6detail17trampoline_kernelINS0_14default_configENS1_22reduce_config_selectorIiEEZNS1_11reduce_implILb1ES3_PiS7_iN6hipcub16HIPCUB_304000_NS6detail34convert_binary_result_type_wrapperINS9_3SumENS9_22TransformInputIteratorIbN2at6native12_GLOBAL__N_19NonZeroOpIdEEPKdlEEiEEEE10hipError_tPvRmT1_T2_T3_mT4_P12ihipStream_tbEUlT_E1_NS1_11comp_targetILNS1_3genE5ELNS1_11target_archE942ELNS1_3gpuE9ELNS1_3repE0EEENS1_30default_config_static_selectorELNS0_4arch9wavefront6targetE0EEEvSQ_
    .private_segment_fixed_size: 0
    .sgpr_count:     0
    .sgpr_spill_count: 0
    .symbol:         _ZN7rocprim17ROCPRIM_400000_NS6detail17trampoline_kernelINS0_14default_configENS1_22reduce_config_selectorIiEEZNS1_11reduce_implILb1ES3_PiS7_iN6hipcub16HIPCUB_304000_NS6detail34convert_binary_result_type_wrapperINS9_3SumENS9_22TransformInputIteratorIbN2at6native12_GLOBAL__N_19NonZeroOpIdEEPKdlEEiEEEE10hipError_tPvRmT1_T2_T3_mT4_P12ihipStream_tbEUlT_E1_NS1_11comp_targetILNS1_3genE5ELNS1_11target_archE942ELNS1_3gpuE9ELNS1_3repE0EEENS1_30default_config_static_selectorELNS0_4arch9wavefront6targetE0EEEvSQ_.kd
    .uniform_work_group_size: 1
    .uses_dynamic_stack: false
    .vgpr_count:     0
    .vgpr_spill_count: 0
    .wavefront_size: 32
    .workgroup_processor_mode: 1
  - .args:
      - .offset:         0
        .size:           40
        .value_kind:     by_value
    .group_segment_fixed_size: 0
    .kernarg_segment_align: 8
    .kernarg_segment_size: 40
    .language:       OpenCL C
    .language_version:
      - 2
      - 0
    .max_flat_workgroup_size: 128
    .name:           _ZN7rocprim17ROCPRIM_400000_NS6detail17trampoline_kernelINS0_14default_configENS1_22reduce_config_selectorIiEEZNS1_11reduce_implILb1ES3_PiS7_iN6hipcub16HIPCUB_304000_NS6detail34convert_binary_result_type_wrapperINS9_3SumENS9_22TransformInputIteratorIbN2at6native12_GLOBAL__N_19NonZeroOpIdEEPKdlEEiEEEE10hipError_tPvRmT1_T2_T3_mT4_P12ihipStream_tbEUlT_E1_NS1_11comp_targetILNS1_3genE4ELNS1_11target_archE910ELNS1_3gpuE8ELNS1_3repE0EEENS1_30default_config_static_selectorELNS0_4arch9wavefront6targetE0EEEvSQ_
    .private_segment_fixed_size: 0
    .sgpr_count:     0
    .sgpr_spill_count: 0
    .symbol:         _ZN7rocprim17ROCPRIM_400000_NS6detail17trampoline_kernelINS0_14default_configENS1_22reduce_config_selectorIiEEZNS1_11reduce_implILb1ES3_PiS7_iN6hipcub16HIPCUB_304000_NS6detail34convert_binary_result_type_wrapperINS9_3SumENS9_22TransformInputIteratorIbN2at6native12_GLOBAL__N_19NonZeroOpIdEEPKdlEEiEEEE10hipError_tPvRmT1_T2_T3_mT4_P12ihipStream_tbEUlT_E1_NS1_11comp_targetILNS1_3genE4ELNS1_11target_archE910ELNS1_3gpuE8ELNS1_3repE0EEENS1_30default_config_static_selectorELNS0_4arch9wavefront6targetE0EEEvSQ_.kd
    .uniform_work_group_size: 1
    .uses_dynamic_stack: false
    .vgpr_count:     0
    .vgpr_spill_count: 0
    .wavefront_size: 32
    .workgroup_processor_mode: 1
  - .args:
      - .offset:         0
        .size:           40
        .value_kind:     by_value
    .group_segment_fixed_size: 0
    .kernarg_segment_align: 8
    .kernarg_segment_size: 40
    .language:       OpenCL C
    .language_version:
      - 2
      - 0
    .max_flat_workgroup_size: 256
    .name:           _ZN7rocprim17ROCPRIM_400000_NS6detail17trampoline_kernelINS0_14default_configENS1_22reduce_config_selectorIiEEZNS1_11reduce_implILb1ES3_PiS7_iN6hipcub16HIPCUB_304000_NS6detail34convert_binary_result_type_wrapperINS9_3SumENS9_22TransformInputIteratorIbN2at6native12_GLOBAL__N_19NonZeroOpIdEEPKdlEEiEEEE10hipError_tPvRmT1_T2_T3_mT4_P12ihipStream_tbEUlT_E1_NS1_11comp_targetILNS1_3genE3ELNS1_11target_archE908ELNS1_3gpuE7ELNS1_3repE0EEENS1_30default_config_static_selectorELNS0_4arch9wavefront6targetE0EEEvSQ_
    .private_segment_fixed_size: 0
    .sgpr_count:     0
    .sgpr_spill_count: 0
    .symbol:         _ZN7rocprim17ROCPRIM_400000_NS6detail17trampoline_kernelINS0_14default_configENS1_22reduce_config_selectorIiEEZNS1_11reduce_implILb1ES3_PiS7_iN6hipcub16HIPCUB_304000_NS6detail34convert_binary_result_type_wrapperINS9_3SumENS9_22TransformInputIteratorIbN2at6native12_GLOBAL__N_19NonZeroOpIdEEPKdlEEiEEEE10hipError_tPvRmT1_T2_T3_mT4_P12ihipStream_tbEUlT_E1_NS1_11comp_targetILNS1_3genE3ELNS1_11target_archE908ELNS1_3gpuE7ELNS1_3repE0EEENS1_30default_config_static_selectorELNS0_4arch9wavefront6targetE0EEEvSQ_.kd
    .uniform_work_group_size: 1
    .uses_dynamic_stack: false
    .vgpr_count:     0
    .vgpr_spill_count: 0
    .wavefront_size: 32
    .workgroup_processor_mode: 1
  - .args:
      - .offset:         0
        .size:           40
        .value_kind:     by_value
    .group_segment_fixed_size: 0
    .kernarg_segment_align: 8
    .kernarg_segment_size: 40
    .language:       OpenCL C
    .language_version:
      - 2
      - 0
    .max_flat_workgroup_size: 256
    .name:           _ZN7rocprim17ROCPRIM_400000_NS6detail17trampoline_kernelINS0_14default_configENS1_22reduce_config_selectorIiEEZNS1_11reduce_implILb1ES3_PiS7_iN6hipcub16HIPCUB_304000_NS6detail34convert_binary_result_type_wrapperINS9_3SumENS9_22TransformInputIteratorIbN2at6native12_GLOBAL__N_19NonZeroOpIdEEPKdlEEiEEEE10hipError_tPvRmT1_T2_T3_mT4_P12ihipStream_tbEUlT_E1_NS1_11comp_targetILNS1_3genE2ELNS1_11target_archE906ELNS1_3gpuE6ELNS1_3repE0EEENS1_30default_config_static_selectorELNS0_4arch9wavefront6targetE0EEEvSQ_
    .private_segment_fixed_size: 0
    .sgpr_count:     0
    .sgpr_spill_count: 0
    .symbol:         _ZN7rocprim17ROCPRIM_400000_NS6detail17trampoline_kernelINS0_14default_configENS1_22reduce_config_selectorIiEEZNS1_11reduce_implILb1ES3_PiS7_iN6hipcub16HIPCUB_304000_NS6detail34convert_binary_result_type_wrapperINS9_3SumENS9_22TransformInputIteratorIbN2at6native12_GLOBAL__N_19NonZeroOpIdEEPKdlEEiEEEE10hipError_tPvRmT1_T2_T3_mT4_P12ihipStream_tbEUlT_E1_NS1_11comp_targetILNS1_3genE2ELNS1_11target_archE906ELNS1_3gpuE6ELNS1_3repE0EEENS1_30default_config_static_selectorELNS0_4arch9wavefront6targetE0EEEvSQ_.kd
    .uniform_work_group_size: 1
    .uses_dynamic_stack: false
    .vgpr_count:     0
    .vgpr_spill_count: 0
    .wavefront_size: 32
    .workgroup_processor_mode: 1
  - .args:
      - .offset:         0
        .size:           40
        .value_kind:     by_value
    .group_segment_fixed_size: 224
    .kernarg_segment_align: 8
    .kernarg_segment_size: 40
    .language:       OpenCL C
    .language_version:
      - 2
      - 0
    .max_flat_workgroup_size: 256
    .name:           _ZN7rocprim17ROCPRIM_400000_NS6detail17trampoline_kernelINS0_14default_configENS1_22reduce_config_selectorIiEEZNS1_11reduce_implILb1ES3_PiS7_iN6hipcub16HIPCUB_304000_NS6detail34convert_binary_result_type_wrapperINS9_3SumENS9_22TransformInputIteratorIbN2at6native12_GLOBAL__N_19NonZeroOpIdEEPKdlEEiEEEE10hipError_tPvRmT1_T2_T3_mT4_P12ihipStream_tbEUlT_E1_NS1_11comp_targetILNS1_3genE10ELNS1_11target_archE1201ELNS1_3gpuE5ELNS1_3repE0EEENS1_30default_config_static_selectorELNS0_4arch9wavefront6targetE0EEEvSQ_
    .private_segment_fixed_size: 0
    .sgpr_count:     47
    .sgpr_spill_count: 0
    .symbol:         _ZN7rocprim17ROCPRIM_400000_NS6detail17trampoline_kernelINS0_14default_configENS1_22reduce_config_selectorIiEEZNS1_11reduce_implILb1ES3_PiS7_iN6hipcub16HIPCUB_304000_NS6detail34convert_binary_result_type_wrapperINS9_3SumENS9_22TransformInputIteratorIbN2at6native12_GLOBAL__N_19NonZeroOpIdEEPKdlEEiEEEE10hipError_tPvRmT1_T2_T3_mT4_P12ihipStream_tbEUlT_E1_NS1_11comp_targetILNS1_3genE10ELNS1_11target_archE1201ELNS1_3gpuE5ELNS1_3repE0EEENS1_30default_config_static_selectorELNS0_4arch9wavefront6targetE0EEEvSQ_.kd
    .uniform_work_group_size: 1
    .uses_dynamic_stack: false
    .vgpr_count:     34
    .vgpr_spill_count: 0
    .wavefront_size: 32
    .workgroup_processor_mode: 1
  - .args:
      - .offset:         0
        .size:           40
        .value_kind:     by_value
    .group_segment_fixed_size: 0
    .kernarg_segment_align: 8
    .kernarg_segment_size: 40
    .language:       OpenCL C
    .language_version:
      - 2
      - 0
    .max_flat_workgroup_size: 256
    .name:           _ZN7rocprim17ROCPRIM_400000_NS6detail17trampoline_kernelINS0_14default_configENS1_22reduce_config_selectorIiEEZNS1_11reduce_implILb1ES3_PiS7_iN6hipcub16HIPCUB_304000_NS6detail34convert_binary_result_type_wrapperINS9_3SumENS9_22TransformInputIteratorIbN2at6native12_GLOBAL__N_19NonZeroOpIdEEPKdlEEiEEEE10hipError_tPvRmT1_T2_T3_mT4_P12ihipStream_tbEUlT_E1_NS1_11comp_targetILNS1_3genE10ELNS1_11target_archE1200ELNS1_3gpuE4ELNS1_3repE0EEENS1_30default_config_static_selectorELNS0_4arch9wavefront6targetE0EEEvSQ_
    .private_segment_fixed_size: 0
    .sgpr_count:     0
    .sgpr_spill_count: 0
    .symbol:         _ZN7rocprim17ROCPRIM_400000_NS6detail17trampoline_kernelINS0_14default_configENS1_22reduce_config_selectorIiEEZNS1_11reduce_implILb1ES3_PiS7_iN6hipcub16HIPCUB_304000_NS6detail34convert_binary_result_type_wrapperINS9_3SumENS9_22TransformInputIteratorIbN2at6native12_GLOBAL__N_19NonZeroOpIdEEPKdlEEiEEEE10hipError_tPvRmT1_T2_T3_mT4_P12ihipStream_tbEUlT_E1_NS1_11comp_targetILNS1_3genE10ELNS1_11target_archE1200ELNS1_3gpuE4ELNS1_3repE0EEENS1_30default_config_static_selectorELNS0_4arch9wavefront6targetE0EEEvSQ_.kd
    .uniform_work_group_size: 1
    .uses_dynamic_stack: false
    .vgpr_count:     0
    .vgpr_spill_count: 0
    .wavefront_size: 32
    .workgroup_processor_mode: 1
  - .args:
      - .offset:         0
        .size:           40
        .value_kind:     by_value
    .group_segment_fixed_size: 0
    .kernarg_segment_align: 8
    .kernarg_segment_size: 40
    .language:       OpenCL C
    .language_version:
      - 2
      - 0
    .max_flat_workgroup_size: 256
    .name:           _ZN7rocprim17ROCPRIM_400000_NS6detail17trampoline_kernelINS0_14default_configENS1_22reduce_config_selectorIiEEZNS1_11reduce_implILb1ES3_PiS7_iN6hipcub16HIPCUB_304000_NS6detail34convert_binary_result_type_wrapperINS9_3SumENS9_22TransformInputIteratorIbN2at6native12_GLOBAL__N_19NonZeroOpIdEEPKdlEEiEEEE10hipError_tPvRmT1_T2_T3_mT4_P12ihipStream_tbEUlT_E1_NS1_11comp_targetILNS1_3genE9ELNS1_11target_archE1100ELNS1_3gpuE3ELNS1_3repE0EEENS1_30default_config_static_selectorELNS0_4arch9wavefront6targetE0EEEvSQ_
    .private_segment_fixed_size: 0
    .sgpr_count:     0
    .sgpr_spill_count: 0
    .symbol:         _ZN7rocprim17ROCPRIM_400000_NS6detail17trampoline_kernelINS0_14default_configENS1_22reduce_config_selectorIiEEZNS1_11reduce_implILb1ES3_PiS7_iN6hipcub16HIPCUB_304000_NS6detail34convert_binary_result_type_wrapperINS9_3SumENS9_22TransformInputIteratorIbN2at6native12_GLOBAL__N_19NonZeroOpIdEEPKdlEEiEEEE10hipError_tPvRmT1_T2_T3_mT4_P12ihipStream_tbEUlT_E1_NS1_11comp_targetILNS1_3genE9ELNS1_11target_archE1100ELNS1_3gpuE3ELNS1_3repE0EEENS1_30default_config_static_selectorELNS0_4arch9wavefront6targetE0EEEvSQ_.kd
    .uniform_work_group_size: 1
    .uses_dynamic_stack: false
    .vgpr_count:     0
    .vgpr_spill_count: 0
    .wavefront_size: 32
    .workgroup_processor_mode: 1
  - .args:
      - .offset:         0
        .size:           40
        .value_kind:     by_value
    .group_segment_fixed_size: 0
    .kernarg_segment_align: 8
    .kernarg_segment_size: 40
    .language:       OpenCL C
    .language_version:
      - 2
      - 0
    .max_flat_workgroup_size: 256
    .name:           _ZN7rocprim17ROCPRIM_400000_NS6detail17trampoline_kernelINS0_14default_configENS1_22reduce_config_selectorIiEEZNS1_11reduce_implILb1ES3_PiS7_iN6hipcub16HIPCUB_304000_NS6detail34convert_binary_result_type_wrapperINS9_3SumENS9_22TransformInputIteratorIbN2at6native12_GLOBAL__N_19NonZeroOpIdEEPKdlEEiEEEE10hipError_tPvRmT1_T2_T3_mT4_P12ihipStream_tbEUlT_E1_NS1_11comp_targetILNS1_3genE8ELNS1_11target_archE1030ELNS1_3gpuE2ELNS1_3repE0EEENS1_30default_config_static_selectorELNS0_4arch9wavefront6targetE0EEEvSQ_
    .private_segment_fixed_size: 0
    .sgpr_count:     0
    .sgpr_spill_count: 0
    .symbol:         _ZN7rocprim17ROCPRIM_400000_NS6detail17trampoline_kernelINS0_14default_configENS1_22reduce_config_selectorIiEEZNS1_11reduce_implILb1ES3_PiS7_iN6hipcub16HIPCUB_304000_NS6detail34convert_binary_result_type_wrapperINS9_3SumENS9_22TransformInputIteratorIbN2at6native12_GLOBAL__N_19NonZeroOpIdEEPKdlEEiEEEE10hipError_tPvRmT1_T2_T3_mT4_P12ihipStream_tbEUlT_E1_NS1_11comp_targetILNS1_3genE8ELNS1_11target_archE1030ELNS1_3gpuE2ELNS1_3repE0EEENS1_30default_config_static_selectorELNS0_4arch9wavefront6targetE0EEEvSQ_.kd
    .uniform_work_group_size: 1
    .uses_dynamic_stack: false
    .vgpr_count:     0
    .vgpr_spill_count: 0
    .wavefront_size: 32
    .workgroup_processor_mode: 1
  - .args:
      - .offset:         0
        .size:           64
        .value_kind:     by_value
    .group_segment_fixed_size: 0
    .kernarg_segment_align: 8
    .kernarg_segment_size: 64
    .language:       OpenCL C
    .language_version:
      - 2
      - 0
    .max_flat_workgroup_size: 256
    .name:           _ZN7rocprim17ROCPRIM_400000_NS6detail17trampoline_kernelINS0_14default_configENS1_22reduce_config_selectorIbEEZNS1_11reduce_implILb1ES3_N6hipcub16HIPCUB_304000_NS22TransformInputIteratorIbN2at6native12_GLOBAL__N_19NonZeroOpIdEEPKdlEEPiiNS8_6detail34convert_binary_result_type_wrapperINS8_3SumESH_iEEEE10hipError_tPvRmT1_T2_T3_mT4_P12ihipStream_tbEUlT_E0_NS1_11comp_targetILNS1_3genE0ELNS1_11target_archE4294967295ELNS1_3gpuE0ELNS1_3repE0EEENS1_30default_config_static_selectorELNS0_4arch9wavefront6targetE0EEEvSQ_
    .private_segment_fixed_size: 0
    .sgpr_count:     0
    .sgpr_spill_count: 0
    .symbol:         _ZN7rocprim17ROCPRIM_400000_NS6detail17trampoline_kernelINS0_14default_configENS1_22reduce_config_selectorIbEEZNS1_11reduce_implILb1ES3_N6hipcub16HIPCUB_304000_NS22TransformInputIteratorIbN2at6native12_GLOBAL__N_19NonZeroOpIdEEPKdlEEPiiNS8_6detail34convert_binary_result_type_wrapperINS8_3SumESH_iEEEE10hipError_tPvRmT1_T2_T3_mT4_P12ihipStream_tbEUlT_E0_NS1_11comp_targetILNS1_3genE0ELNS1_11target_archE4294967295ELNS1_3gpuE0ELNS1_3repE0EEENS1_30default_config_static_selectorELNS0_4arch9wavefront6targetE0EEEvSQ_.kd
    .uniform_work_group_size: 1
    .uses_dynamic_stack: false
    .vgpr_count:     0
    .vgpr_spill_count: 0
    .wavefront_size: 32
    .workgroup_processor_mode: 1
  - .args:
      - .offset:         0
        .size:           64
        .value_kind:     by_value
    .group_segment_fixed_size: 0
    .kernarg_segment_align: 8
    .kernarg_segment_size: 64
    .language:       OpenCL C
    .language_version:
      - 2
      - 0
    .max_flat_workgroup_size: 256
    .name:           _ZN7rocprim17ROCPRIM_400000_NS6detail17trampoline_kernelINS0_14default_configENS1_22reduce_config_selectorIbEEZNS1_11reduce_implILb1ES3_N6hipcub16HIPCUB_304000_NS22TransformInputIteratorIbN2at6native12_GLOBAL__N_19NonZeroOpIdEEPKdlEEPiiNS8_6detail34convert_binary_result_type_wrapperINS8_3SumESH_iEEEE10hipError_tPvRmT1_T2_T3_mT4_P12ihipStream_tbEUlT_E0_NS1_11comp_targetILNS1_3genE5ELNS1_11target_archE942ELNS1_3gpuE9ELNS1_3repE0EEENS1_30default_config_static_selectorELNS0_4arch9wavefront6targetE0EEEvSQ_
    .private_segment_fixed_size: 0
    .sgpr_count:     0
    .sgpr_spill_count: 0
    .symbol:         _ZN7rocprim17ROCPRIM_400000_NS6detail17trampoline_kernelINS0_14default_configENS1_22reduce_config_selectorIbEEZNS1_11reduce_implILb1ES3_N6hipcub16HIPCUB_304000_NS22TransformInputIteratorIbN2at6native12_GLOBAL__N_19NonZeroOpIdEEPKdlEEPiiNS8_6detail34convert_binary_result_type_wrapperINS8_3SumESH_iEEEE10hipError_tPvRmT1_T2_T3_mT4_P12ihipStream_tbEUlT_E0_NS1_11comp_targetILNS1_3genE5ELNS1_11target_archE942ELNS1_3gpuE9ELNS1_3repE0EEENS1_30default_config_static_selectorELNS0_4arch9wavefront6targetE0EEEvSQ_.kd
    .uniform_work_group_size: 1
    .uses_dynamic_stack: false
    .vgpr_count:     0
    .vgpr_spill_count: 0
    .wavefront_size: 32
    .workgroup_processor_mode: 1
  - .args:
      - .offset:         0
        .size:           64
        .value_kind:     by_value
    .group_segment_fixed_size: 0
    .kernarg_segment_align: 8
    .kernarg_segment_size: 64
    .language:       OpenCL C
    .language_version:
      - 2
      - 0
    .max_flat_workgroup_size: 128
    .name:           _ZN7rocprim17ROCPRIM_400000_NS6detail17trampoline_kernelINS0_14default_configENS1_22reduce_config_selectorIbEEZNS1_11reduce_implILb1ES3_N6hipcub16HIPCUB_304000_NS22TransformInputIteratorIbN2at6native12_GLOBAL__N_19NonZeroOpIdEEPKdlEEPiiNS8_6detail34convert_binary_result_type_wrapperINS8_3SumESH_iEEEE10hipError_tPvRmT1_T2_T3_mT4_P12ihipStream_tbEUlT_E0_NS1_11comp_targetILNS1_3genE4ELNS1_11target_archE910ELNS1_3gpuE8ELNS1_3repE0EEENS1_30default_config_static_selectorELNS0_4arch9wavefront6targetE0EEEvSQ_
    .private_segment_fixed_size: 0
    .sgpr_count:     0
    .sgpr_spill_count: 0
    .symbol:         _ZN7rocprim17ROCPRIM_400000_NS6detail17trampoline_kernelINS0_14default_configENS1_22reduce_config_selectorIbEEZNS1_11reduce_implILb1ES3_N6hipcub16HIPCUB_304000_NS22TransformInputIteratorIbN2at6native12_GLOBAL__N_19NonZeroOpIdEEPKdlEEPiiNS8_6detail34convert_binary_result_type_wrapperINS8_3SumESH_iEEEE10hipError_tPvRmT1_T2_T3_mT4_P12ihipStream_tbEUlT_E0_NS1_11comp_targetILNS1_3genE4ELNS1_11target_archE910ELNS1_3gpuE8ELNS1_3repE0EEENS1_30default_config_static_selectorELNS0_4arch9wavefront6targetE0EEEvSQ_.kd
    .uniform_work_group_size: 1
    .uses_dynamic_stack: false
    .vgpr_count:     0
    .vgpr_spill_count: 0
    .wavefront_size: 32
    .workgroup_processor_mode: 1
  - .args:
      - .offset:         0
        .size:           64
        .value_kind:     by_value
    .group_segment_fixed_size: 0
    .kernarg_segment_align: 8
    .kernarg_segment_size: 64
    .language:       OpenCL C
    .language_version:
      - 2
      - 0
    .max_flat_workgroup_size: 256
    .name:           _ZN7rocprim17ROCPRIM_400000_NS6detail17trampoline_kernelINS0_14default_configENS1_22reduce_config_selectorIbEEZNS1_11reduce_implILb1ES3_N6hipcub16HIPCUB_304000_NS22TransformInputIteratorIbN2at6native12_GLOBAL__N_19NonZeroOpIdEEPKdlEEPiiNS8_6detail34convert_binary_result_type_wrapperINS8_3SumESH_iEEEE10hipError_tPvRmT1_T2_T3_mT4_P12ihipStream_tbEUlT_E0_NS1_11comp_targetILNS1_3genE3ELNS1_11target_archE908ELNS1_3gpuE7ELNS1_3repE0EEENS1_30default_config_static_selectorELNS0_4arch9wavefront6targetE0EEEvSQ_
    .private_segment_fixed_size: 0
    .sgpr_count:     0
    .sgpr_spill_count: 0
    .symbol:         _ZN7rocprim17ROCPRIM_400000_NS6detail17trampoline_kernelINS0_14default_configENS1_22reduce_config_selectorIbEEZNS1_11reduce_implILb1ES3_N6hipcub16HIPCUB_304000_NS22TransformInputIteratorIbN2at6native12_GLOBAL__N_19NonZeroOpIdEEPKdlEEPiiNS8_6detail34convert_binary_result_type_wrapperINS8_3SumESH_iEEEE10hipError_tPvRmT1_T2_T3_mT4_P12ihipStream_tbEUlT_E0_NS1_11comp_targetILNS1_3genE3ELNS1_11target_archE908ELNS1_3gpuE7ELNS1_3repE0EEENS1_30default_config_static_selectorELNS0_4arch9wavefront6targetE0EEEvSQ_.kd
    .uniform_work_group_size: 1
    .uses_dynamic_stack: false
    .vgpr_count:     0
    .vgpr_spill_count: 0
    .wavefront_size: 32
    .workgroup_processor_mode: 1
  - .args:
      - .offset:         0
        .size:           64
        .value_kind:     by_value
    .group_segment_fixed_size: 0
    .kernarg_segment_align: 8
    .kernarg_segment_size: 64
    .language:       OpenCL C
    .language_version:
      - 2
      - 0
    .max_flat_workgroup_size: 128
    .name:           _ZN7rocprim17ROCPRIM_400000_NS6detail17trampoline_kernelINS0_14default_configENS1_22reduce_config_selectorIbEEZNS1_11reduce_implILb1ES3_N6hipcub16HIPCUB_304000_NS22TransformInputIteratorIbN2at6native12_GLOBAL__N_19NonZeroOpIdEEPKdlEEPiiNS8_6detail34convert_binary_result_type_wrapperINS8_3SumESH_iEEEE10hipError_tPvRmT1_T2_T3_mT4_P12ihipStream_tbEUlT_E0_NS1_11comp_targetILNS1_3genE2ELNS1_11target_archE906ELNS1_3gpuE6ELNS1_3repE0EEENS1_30default_config_static_selectorELNS0_4arch9wavefront6targetE0EEEvSQ_
    .private_segment_fixed_size: 0
    .sgpr_count:     0
    .sgpr_spill_count: 0
    .symbol:         _ZN7rocprim17ROCPRIM_400000_NS6detail17trampoline_kernelINS0_14default_configENS1_22reduce_config_selectorIbEEZNS1_11reduce_implILb1ES3_N6hipcub16HIPCUB_304000_NS22TransformInputIteratorIbN2at6native12_GLOBAL__N_19NonZeroOpIdEEPKdlEEPiiNS8_6detail34convert_binary_result_type_wrapperINS8_3SumESH_iEEEE10hipError_tPvRmT1_T2_T3_mT4_P12ihipStream_tbEUlT_E0_NS1_11comp_targetILNS1_3genE2ELNS1_11target_archE906ELNS1_3gpuE6ELNS1_3repE0EEENS1_30default_config_static_selectorELNS0_4arch9wavefront6targetE0EEEvSQ_.kd
    .uniform_work_group_size: 1
    .uses_dynamic_stack: false
    .vgpr_count:     0
    .vgpr_spill_count: 0
    .wavefront_size: 32
    .workgroup_processor_mode: 1
  - .args:
      - .offset:         0
        .size:           64
        .value_kind:     by_value
    .group_segment_fixed_size: 64
    .kernarg_segment_align: 8
    .kernarg_segment_size: 64
    .language:       OpenCL C
    .language_version:
      - 2
      - 0
    .max_flat_workgroup_size: 256
    .name:           _ZN7rocprim17ROCPRIM_400000_NS6detail17trampoline_kernelINS0_14default_configENS1_22reduce_config_selectorIbEEZNS1_11reduce_implILb1ES3_N6hipcub16HIPCUB_304000_NS22TransformInputIteratorIbN2at6native12_GLOBAL__N_19NonZeroOpIdEEPKdlEEPiiNS8_6detail34convert_binary_result_type_wrapperINS8_3SumESH_iEEEE10hipError_tPvRmT1_T2_T3_mT4_P12ihipStream_tbEUlT_E0_NS1_11comp_targetILNS1_3genE10ELNS1_11target_archE1201ELNS1_3gpuE5ELNS1_3repE0EEENS1_30default_config_static_selectorELNS0_4arch9wavefront6targetE0EEEvSQ_
    .private_segment_fixed_size: 0
    .sgpr_count:     32
    .sgpr_spill_count: 0
    .symbol:         _ZN7rocprim17ROCPRIM_400000_NS6detail17trampoline_kernelINS0_14default_configENS1_22reduce_config_selectorIbEEZNS1_11reduce_implILb1ES3_N6hipcub16HIPCUB_304000_NS22TransformInputIteratorIbN2at6native12_GLOBAL__N_19NonZeroOpIdEEPKdlEEPiiNS8_6detail34convert_binary_result_type_wrapperINS8_3SumESH_iEEEE10hipError_tPvRmT1_T2_T3_mT4_P12ihipStream_tbEUlT_E0_NS1_11comp_targetILNS1_3genE10ELNS1_11target_archE1201ELNS1_3gpuE5ELNS1_3repE0EEENS1_30default_config_static_selectorELNS0_4arch9wavefront6targetE0EEEvSQ_.kd
    .uniform_work_group_size: 1
    .uses_dynamic_stack: false
    .vgpr_count:     36
    .vgpr_spill_count: 0
    .wavefront_size: 32
    .workgroup_processor_mode: 1
  - .args:
      - .offset:         0
        .size:           64
        .value_kind:     by_value
    .group_segment_fixed_size: 0
    .kernarg_segment_align: 8
    .kernarg_segment_size: 64
    .language:       OpenCL C
    .language_version:
      - 2
      - 0
    .max_flat_workgroup_size: 256
    .name:           _ZN7rocprim17ROCPRIM_400000_NS6detail17trampoline_kernelINS0_14default_configENS1_22reduce_config_selectorIbEEZNS1_11reduce_implILb1ES3_N6hipcub16HIPCUB_304000_NS22TransformInputIteratorIbN2at6native12_GLOBAL__N_19NonZeroOpIdEEPKdlEEPiiNS8_6detail34convert_binary_result_type_wrapperINS8_3SumESH_iEEEE10hipError_tPvRmT1_T2_T3_mT4_P12ihipStream_tbEUlT_E0_NS1_11comp_targetILNS1_3genE10ELNS1_11target_archE1200ELNS1_3gpuE4ELNS1_3repE0EEENS1_30default_config_static_selectorELNS0_4arch9wavefront6targetE0EEEvSQ_
    .private_segment_fixed_size: 0
    .sgpr_count:     0
    .sgpr_spill_count: 0
    .symbol:         _ZN7rocprim17ROCPRIM_400000_NS6detail17trampoline_kernelINS0_14default_configENS1_22reduce_config_selectorIbEEZNS1_11reduce_implILb1ES3_N6hipcub16HIPCUB_304000_NS22TransformInputIteratorIbN2at6native12_GLOBAL__N_19NonZeroOpIdEEPKdlEEPiiNS8_6detail34convert_binary_result_type_wrapperINS8_3SumESH_iEEEE10hipError_tPvRmT1_T2_T3_mT4_P12ihipStream_tbEUlT_E0_NS1_11comp_targetILNS1_3genE10ELNS1_11target_archE1200ELNS1_3gpuE4ELNS1_3repE0EEENS1_30default_config_static_selectorELNS0_4arch9wavefront6targetE0EEEvSQ_.kd
    .uniform_work_group_size: 1
    .uses_dynamic_stack: false
    .vgpr_count:     0
    .vgpr_spill_count: 0
    .wavefront_size: 32
    .workgroup_processor_mode: 1
  - .args:
      - .offset:         0
        .size:           64
        .value_kind:     by_value
    .group_segment_fixed_size: 0
    .kernarg_segment_align: 8
    .kernarg_segment_size: 64
    .language:       OpenCL C
    .language_version:
      - 2
      - 0
    .max_flat_workgroup_size: 128
    .name:           _ZN7rocprim17ROCPRIM_400000_NS6detail17trampoline_kernelINS0_14default_configENS1_22reduce_config_selectorIbEEZNS1_11reduce_implILb1ES3_N6hipcub16HIPCUB_304000_NS22TransformInputIteratorIbN2at6native12_GLOBAL__N_19NonZeroOpIdEEPKdlEEPiiNS8_6detail34convert_binary_result_type_wrapperINS8_3SumESH_iEEEE10hipError_tPvRmT1_T2_T3_mT4_P12ihipStream_tbEUlT_E0_NS1_11comp_targetILNS1_3genE9ELNS1_11target_archE1100ELNS1_3gpuE3ELNS1_3repE0EEENS1_30default_config_static_selectorELNS0_4arch9wavefront6targetE0EEEvSQ_
    .private_segment_fixed_size: 0
    .sgpr_count:     0
    .sgpr_spill_count: 0
    .symbol:         _ZN7rocprim17ROCPRIM_400000_NS6detail17trampoline_kernelINS0_14default_configENS1_22reduce_config_selectorIbEEZNS1_11reduce_implILb1ES3_N6hipcub16HIPCUB_304000_NS22TransformInputIteratorIbN2at6native12_GLOBAL__N_19NonZeroOpIdEEPKdlEEPiiNS8_6detail34convert_binary_result_type_wrapperINS8_3SumESH_iEEEE10hipError_tPvRmT1_T2_T3_mT4_P12ihipStream_tbEUlT_E0_NS1_11comp_targetILNS1_3genE9ELNS1_11target_archE1100ELNS1_3gpuE3ELNS1_3repE0EEENS1_30default_config_static_selectorELNS0_4arch9wavefront6targetE0EEEvSQ_.kd
    .uniform_work_group_size: 1
    .uses_dynamic_stack: false
    .vgpr_count:     0
    .vgpr_spill_count: 0
    .wavefront_size: 32
    .workgroup_processor_mode: 1
  - .args:
      - .offset:         0
        .size:           64
        .value_kind:     by_value
    .group_segment_fixed_size: 0
    .kernarg_segment_align: 8
    .kernarg_segment_size: 64
    .language:       OpenCL C
    .language_version:
      - 2
      - 0
    .max_flat_workgroup_size: 256
    .name:           _ZN7rocprim17ROCPRIM_400000_NS6detail17trampoline_kernelINS0_14default_configENS1_22reduce_config_selectorIbEEZNS1_11reduce_implILb1ES3_N6hipcub16HIPCUB_304000_NS22TransformInputIteratorIbN2at6native12_GLOBAL__N_19NonZeroOpIdEEPKdlEEPiiNS8_6detail34convert_binary_result_type_wrapperINS8_3SumESH_iEEEE10hipError_tPvRmT1_T2_T3_mT4_P12ihipStream_tbEUlT_E0_NS1_11comp_targetILNS1_3genE8ELNS1_11target_archE1030ELNS1_3gpuE2ELNS1_3repE0EEENS1_30default_config_static_selectorELNS0_4arch9wavefront6targetE0EEEvSQ_
    .private_segment_fixed_size: 0
    .sgpr_count:     0
    .sgpr_spill_count: 0
    .symbol:         _ZN7rocprim17ROCPRIM_400000_NS6detail17trampoline_kernelINS0_14default_configENS1_22reduce_config_selectorIbEEZNS1_11reduce_implILb1ES3_N6hipcub16HIPCUB_304000_NS22TransformInputIteratorIbN2at6native12_GLOBAL__N_19NonZeroOpIdEEPKdlEEPiiNS8_6detail34convert_binary_result_type_wrapperINS8_3SumESH_iEEEE10hipError_tPvRmT1_T2_T3_mT4_P12ihipStream_tbEUlT_E0_NS1_11comp_targetILNS1_3genE8ELNS1_11target_archE1030ELNS1_3gpuE2ELNS1_3repE0EEENS1_30default_config_static_selectorELNS0_4arch9wavefront6targetE0EEEvSQ_.kd
    .uniform_work_group_size: 1
    .uses_dynamic_stack: false
    .vgpr_count:     0
    .vgpr_spill_count: 0
    .wavefront_size: 32
    .workgroup_processor_mode: 1
  - .args:
      - .offset:         0
        .size:           48
        .value_kind:     by_value
    .group_segment_fixed_size: 0
    .kernarg_segment_align: 8
    .kernarg_segment_size: 48
    .language:       OpenCL C
    .language_version:
      - 2
      - 0
    .max_flat_workgroup_size: 256
    .name:           _ZN7rocprim17ROCPRIM_400000_NS6detail17trampoline_kernelINS0_14default_configENS1_22reduce_config_selectorIbEEZNS1_11reduce_implILb1ES3_N6hipcub16HIPCUB_304000_NS22TransformInputIteratorIbN2at6native12_GLOBAL__N_19NonZeroOpIdEEPKdlEEPiiNS8_6detail34convert_binary_result_type_wrapperINS8_3SumESH_iEEEE10hipError_tPvRmT1_T2_T3_mT4_P12ihipStream_tbEUlT_E1_NS1_11comp_targetILNS1_3genE0ELNS1_11target_archE4294967295ELNS1_3gpuE0ELNS1_3repE0EEENS1_30default_config_static_selectorELNS0_4arch9wavefront6targetE0EEEvSQ_
    .private_segment_fixed_size: 0
    .sgpr_count:     0
    .sgpr_spill_count: 0
    .symbol:         _ZN7rocprim17ROCPRIM_400000_NS6detail17trampoline_kernelINS0_14default_configENS1_22reduce_config_selectorIbEEZNS1_11reduce_implILb1ES3_N6hipcub16HIPCUB_304000_NS22TransformInputIteratorIbN2at6native12_GLOBAL__N_19NonZeroOpIdEEPKdlEEPiiNS8_6detail34convert_binary_result_type_wrapperINS8_3SumESH_iEEEE10hipError_tPvRmT1_T2_T3_mT4_P12ihipStream_tbEUlT_E1_NS1_11comp_targetILNS1_3genE0ELNS1_11target_archE4294967295ELNS1_3gpuE0ELNS1_3repE0EEENS1_30default_config_static_selectorELNS0_4arch9wavefront6targetE0EEEvSQ_.kd
    .uniform_work_group_size: 1
    .uses_dynamic_stack: false
    .vgpr_count:     0
    .vgpr_spill_count: 0
    .wavefront_size: 32
    .workgroup_processor_mode: 1
  - .args:
      - .offset:         0
        .size:           48
        .value_kind:     by_value
    .group_segment_fixed_size: 0
    .kernarg_segment_align: 8
    .kernarg_segment_size: 48
    .language:       OpenCL C
    .language_version:
      - 2
      - 0
    .max_flat_workgroup_size: 256
    .name:           _ZN7rocprim17ROCPRIM_400000_NS6detail17trampoline_kernelINS0_14default_configENS1_22reduce_config_selectorIbEEZNS1_11reduce_implILb1ES3_N6hipcub16HIPCUB_304000_NS22TransformInputIteratorIbN2at6native12_GLOBAL__N_19NonZeroOpIdEEPKdlEEPiiNS8_6detail34convert_binary_result_type_wrapperINS8_3SumESH_iEEEE10hipError_tPvRmT1_T2_T3_mT4_P12ihipStream_tbEUlT_E1_NS1_11comp_targetILNS1_3genE5ELNS1_11target_archE942ELNS1_3gpuE9ELNS1_3repE0EEENS1_30default_config_static_selectorELNS0_4arch9wavefront6targetE0EEEvSQ_
    .private_segment_fixed_size: 0
    .sgpr_count:     0
    .sgpr_spill_count: 0
    .symbol:         _ZN7rocprim17ROCPRIM_400000_NS6detail17trampoline_kernelINS0_14default_configENS1_22reduce_config_selectorIbEEZNS1_11reduce_implILb1ES3_N6hipcub16HIPCUB_304000_NS22TransformInputIteratorIbN2at6native12_GLOBAL__N_19NonZeroOpIdEEPKdlEEPiiNS8_6detail34convert_binary_result_type_wrapperINS8_3SumESH_iEEEE10hipError_tPvRmT1_T2_T3_mT4_P12ihipStream_tbEUlT_E1_NS1_11comp_targetILNS1_3genE5ELNS1_11target_archE942ELNS1_3gpuE9ELNS1_3repE0EEENS1_30default_config_static_selectorELNS0_4arch9wavefront6targetE0EEEvSQ_.kd
    .uniform_work_group_size: 1
    .uses_dynamic_stack: false
    .vgpr_count:     0
    .vgpr_spill_count: 0
    .wavefront_size: 32
    .workgroup_processor_mode: 1
  - .args:
      - .offset:         0
        .size:           48
        .value_kind:     by_value
    .group_segment_fixed_size: 0
    .kernarg_segment_align: 8
    .kernarg_segment_size: 48
    .language:       OpenCL C
    .language_version:
      - 2
      - 0
    .max_flat_workgroup_size: 128
    .name:           _ZN7rocprim17ROCPRIM_400000_NS6detail17trampoline_kernelINS0_14default_configENS1_22reduce_config_selectorIbEEZNS1_11reduce_implILb1ES3_N6hipcub16HIPCUB_304000_NS22TransformInputIteratorIbN2at6native12_GLOBAL__N_19NonZeroOpIdEEPKdlEEPiiNS8_6detail34convert_binary_result_type_wrapperINS8_3SumESH_iEEEE10hipError_tPvRmT1_T2_T3_mT4_P12ihipStream_tbEUlT_E1_NS1_11comp_targetILNS1_3genE4ELNS1_11target_archE910ELNS1_3gpuE8ELNS1_3repE0EEENS1_30default_config_static_selectorELNS0_4arch9wavefront6targetE0EEEvSQ_
    .private_segment_fixed_size: 0
    .sgpr_count:     0
    .sgpr_spill_count: 0
    .symbol:         _ZN7rocprim17ROCPRIM_400000_NS6detail17trampoline_kernelINS0_14default_configENS1_22reduce_config_selectorIbEEZNS1_11reduce_implILb1ES3_N6hipcub16HIPCUB_304000_NS22TransformInputIteratorIbN2at6native12_GLOBAL__N_19NonZeroOpIdEEPKdlEEPiiNS8_6detail34convert_binary_result_type_wrapperINS8_3SumESH_iEEEE10hipError_tPvRmT1_T2_T3_mT4_P12ihipStream_tbEUlT_E1_NS1_11comp_targetILNS1_3genE4ELNS1_11target_archE910ELNS1_3gpuE8ELNS1_3repE0EEENS1_30default_config_static_selectorELNS0_4arch9wavefront6targetE0EEEvSQ_.kd
    .uniform_work_group_size: 1
    .uses_dynamic_stack: false
    .vgpr_count:     0
    .vgpr_spill_count: 0
    .wavefront_size: 32
    .workgroup_processor_mode: 1
  - .args:
      - .offset:         0
        .size:           48
        .value_kind:     by_value
    .group_segment_fixed_size: 0
    .kernarg_segment_align: 8
    .kernarg_segment_size: 48
    .language:       OpenCL C
    .language_version:
      - 2
      - 0
    .max_flat_workgroup_size: 256
    .name:           _ZN7rocprim17ROCPRIM_400000_NS6detail17trampoline_kernelINS0_14default_configENS1_22reduce_config_selectorIbEEZNS1_11reduce_implILb1ES3_N6hipcub16HIPCUB_304000_NS22TransformInputIteratorIbN2at6native12_GLOBAL__N_19NonZeroOpIdEEPKdlEEPiiNS8_6detail34convert_binary_result_type_wrapperINS8_3SumESH_iEEEE10hipError_tPvRmT1_T2_T3_mT4_P12ihipStream_tbEUlT_E1_NS1_11comp_targetILNS1_3genE3ELNS1_11target_archE908ELNS1_3gpuE7ELNS1_3repE0EEENS1_30default_config_static_selectorELNS0_4arch9wavefront6targetE0EEEvSQ_
    .private_segment_fixed_size: 0
    .sgpr_count:     0
    .sgpr_spill_count: 0
    .symbol:         _ZN7rocprim17ROCPRIM_400000_NS6detail17trampoline_kernelINS0_14default_configENS1_22reduce_config_selectorIbEEZNS1_11reduce_implILb1ES3_N6hipcub16HIPCUB_304000_NS22TransformInputIteratorIbN2at6native12_GLOBAL__N_19NonZeroOpIdEEPKdlEEPiiNS8_6detail34convert_binary_result_type_wrapperINS8_3SumESH_iEEEE10hipError_tPvRmT1_T2_T3_mT4_P12ihipStream_tbEUlT_E1_NS1_11comp_targetILNS1_3genE3ELNS1_11target_archE908ELNS1_3gpuE7ELNS1_3repE0EEENS1_30default_config_static_selectorELNS0_4arch9wavefront6targetE0EEEvSQ_.kd
    .uniform_work_group_size: 1
    .uses_dynamic_stack: false
    .vgpr_count:     0
    .vgpr_spill_count: 0
    .wavefront_size: 32
    .workgroup_processor_mode: 1
  - .args:
      - .offset:         0
        .size:           48
        .value_kind:     by_value
    .group_segment_fixed_size: 0
    .kernarg_segment_align: 8
    .kernarg_segment_size: 48
    .language:       OpenCL C
    .language_version:
      - 2
      - 0
    .max_flat_workgroup_size: 128
    .name:           _ZN7rocprim17ROCPRIM_400000_NS6detail17trampoline_kernelINS0_14default_configENS1_22reduce_config_selectorIbEEZNS1_11reduce_implILb1ES3_N6hipcub16HIPCUB_304000_NS22TransformInputIteratorIbN2at6native12_GLOBAL__N_19NonZeroOpIdEEPKdlEEPiiNS8_6detail34convert_binary_result_type_wrapperINS8_3SumESH_iEEEE10hipError_tPvRmT1_T2_T3_mT4_P12ihipStream_tbEUlT_E1_NS1_11comp_targetILNS1_3genE2ELNS1_11target_archE906ELNS1_3gpuE6ELNS1_3repE0EEENS1_30default_config_static_selectorELNS0_4arch9wavefront6targetE0EEEvSQ_
    .private_segment_fixed_size: 0
    .sgpr_count:     0
    .sgpr_spill_count: 0
    .symbol:         _ZN7rocprim17ROCPRIM_400000_NS6detail17trampoline_kernelINS0_14default_configENS1_22reduce_config_selectorIbEEZNS1_11reduce_implILb1ES3_N6hipcub16HIPCUB_304000_NS22TransformInputIteratorIbN2at6native12_GLOBAL__N_19NonZeroOpIdEEPKdlEEPiiNS8_6detail34convert_binary_result_type_wrapperINS8_3SumESH_iEEEE10hipError_tPvRmT1_T2_T3_mT4_P12ihipStream_tbEUlT_E1_NS1_11comp_targetILNS1_3genE2ELNS1_11target_archE906ELNS1_3gpuE6ELNS1_3repE0EEENS1_30default_config_static_selectorELNS0_4arch9wavefront6targetE0EEEvSQ_.kd
    .uniform_work_group_size: 1
    .uses_dynamic_stack: false
    .vgpr_count:     0
    .vgpr_spill_count: 0
    .wavefront_size: 32
    .workgroup_processor_mode: 1
  - .args:
      - .offset:         0
        .size:           48
        .value_kind:     by_value
    .group_segment_fixed_size: 288
    .kernarg_segment_align: 8
    .kernarg_segment_size: 48
    .language:       OpenCL C
    .language_version:
      - 2
      - 0
    .max_flat_workgroup_size: 256
    .name:           _ZN7rocprim17ROCPRIM_400000_NS6detail17trampoline_kernelINS0_14default_configENS1_22reduce_config_selectorIbEEZNS1_11reduce_implILb1ES3_N6hipcub16HIPCUB_304000_NS22TransformInputIteratorIbN2at6native12_GLOBAL__N_19NonZeroOpIdEEPKdlEEPiiNS8_6detail34convert_binary_result_type_wrapperINS8_3SumESH_iEEEE10hipError_tPvRmT1_T2_T3_mT4_P12ihipStream_tbEUlT_E1_NS1_11comp_targetILNS1_3genE10ELNS1_11target_archE1201ELNS1_3gpuE5ELNS1_3repE0EEENS1_30default_config_static_selectorELNS0_4arch9wavefront6targetE0EEEvSQ_
    .private_segment_fixed_size: 0
    .sgpr_count:     49
    .sgpr_spill_count: 0
    .symbol:         _ZN7rocprim17ROCPRIM_400000_NS6detail17trampoline_kernelINS0_14default_configENS1_22reduce_config_selectorIbEEZNS1_11reduce_implILb1ES3_N6hipcub16HIPCUB_304000_NS22TransformInputIteratorIbN2at6native12_GLOBAL__N_19NonZeroOpIdEEPKdlEEPiiNS8_6detail34convert_binary_result_type_wrapperINS8_3SumESH_iEEEE10hipError_tPvRmT1_T2_T3_mT4_P12ihipStream_tbEUlT_E1_NS1_11comp_targetILNS1_3genE10ELNS1_11target_archE1201ELNS1_3gpuE5ELNS1_3repE0EEENS1_30default_config_static_selectorELNS0_4arch9wavefront6targetE0EEEvSQ_.kd
    .uniform_work_group_size: 1
    .uses_dynamic_stack: false
    .vgpr_count:     141
    .vgpr_spill_count: 0
    .wavefront_size: 32
    .workgroup_processor_mode: 1
  - .args:
      - .offset:         0
        .size:           48
        .value_kind:     by_value
    .group_segment_fixed_size: 0
    .kernarg_segment_align: 8
    .kernarg_segment_size: 48
    .language:       OpenCL C
    .language_version:
      - 2
      - 0
    .max_flat_workgroup_size: 256
    .name:           _ZN7rocprim17ROCPRIM_400000_NS6detail17trampoline_kernelINS0_14default_configENS1_22reduce_config_selectorIbEEZNS1_11reduce_implILb1ES3_N6hipcub16HIPCUB_304000_NS22TransformInputIteratorIbN2at6native12_GLOBAL__N_19NonZeroOpIdEEPKdlEEPiiNS8_6detail34convert_binary_result_type_wrapperINS8_3SumESH_iEEEE10hipError_tPvRmT1_T2_T3_mT4_P12ihipStream_tbEUlT_E1_NS1_11comp_targetILNS1_3genE10ELNS1_11target_archE1200ELNS1_3gpuE4ELNS1_3repE0EEENS1_30default_config_static_selectorELNS0_4arch9wavefront6targetE0EEEvSQ_
    .private_segment_fixed_size: 0
    .sgpr_count:     0
    .sgpr_spill_count: 0
    .symbol:         _ZN7rocprim17ROCPRIM_400000_NS6detail17trampoline_kernelINS0_14default_configENS1_22reduce_config_selectorIbEEZNS1_11reduce_implILb1ES3_N6hipcub16HIPCUB_304000_NS22TransformInputIteratorIbN2at6native12_GLOBAL__N_19NonZeroOpIdEEPKdlEEPiiNS8_6detail34convert_binary_result_type_wrapperINS8_3SumESH_iEEEE10hipError_tPvRmT1_T2_T3_mT4_P12ihipStream_tbEUlT_E1_NS1_11comp_targetILNS1_3genE10ELNS1_11target_archE1200ELNS1_3gpuE4ELNS1_3repE0EEENS1_30default_config_static_selectorELNS0_4arch9wavefront6targetE0EEEvSQ_.kd
    .uniform_work_group_size: 1
    .uses_dynamic_stack: false
    .vgpr_count:     0
    .vgpr_spill_count: 0
    .wavefront_size: 32
    .workgroup_processor_mode: 1
  - .args:
      - .offset:         0
        .size:           48
        .value_kind:     by_value
    .group_segment_fixed_size: 0
    .kernarg_segment_align: 8
    .kernarg_segment_size: 48
    .language:       OpenCL C
    .language_version:
      - 2
      - 0
    .max_flat_workgroup_size: 128
    .name:           _ZN7rocprim17ROCPRIM_400000_NS6detail17trampoline_kernelINS0_14default_configENS1_22reduce_config_selectorIbEEZNS1_11reduce_implILb1ES3_N6hipcub16HIPCUB_304000_NS22TransformInputIteratorIbN2at6native12_GLOBAL__N_19NonZeroOpIdEEPKdlEEPiiNS8_6detail34convert_binary_result_type_wrapperINS8_3SumESH_iEEEE10hipError_tPvRmT1_T2_T3_mT4_P12ihipStream_tbEUlT_E1_NS1_11comp_targetILNS1_3genE9ELNS1_11target_archE1100ELNS1_3gpuE3ELNS1_3repE0EEENS1_30default_config_static_selectorELNS0_4arch9wavefront6targetE0EEEvSQ_
    .private_segment_fixed_size: 0
    .sgpr_count:     0
    .sgpr_spill_count: 0
    .symbol:         _ZN7rocprim17ROCPRIM_400000_NS6detail17trampoline_kernelINS0_14default_configENS1_22reduce_config_selectorIbEEZNS1_11reduce_implILb1ES3_N6hipcub16HIPCUB_304000_NS22TransformInputIteratorIbN2at6native12_GLOBAL__N_19NonZeroOpIdEEPKdlEEPiiNS8_6detail34convert_binary_result_type_wrapperINS8_3SumESH_iEEEE10hipError_tPvRmT1_T2_T3_mT4_P12ihipStream_tbEUlT_E1_NS1_11comp_targetILNS1_3genE9ELNS1_11target_archE1100ELNS1_3gpuE3ELNS1_3repE0EEENS1_30default_config_static_selectorELNS0_4arch9wavefront6targetE0EEEvSQ_.kd
    .uniform_work_group_size: 1
    .uses_dynamic_stack: false
    .vgpr_count:     0
    .vgpr_spill_count: 0
    .wavefront_size: 32
    .workgroup_processor_mode: 1
  - .args:
      - .offset:         0
        .size:           48
        .value_kind:     by_value
    .group_segment_fixed_size: 0
    .kernarg_segment_align: 8
    .kernarg_segment_size: 48
    .language:       OpenCL C
    .language_version:
      - 2
      - 0
    .max_flat_workgroup_size: 256
    .name:           _ZN7rocprim17ROCPRIM_400000_NS6detail17trampoline_kernelINS0_14default_configENS1_22reduce_config_selectorIbEEZNS1_11reduce_implILb1ES3_N6hipcub16HIPCUB_304000_NS22TransformInputIteratorIbN2at6native12_GLOBAL__N_19NonZeroOpIdEEPKdlEEPiiNS8_6detail34convert_binary_result_type_wrapperINS8_3SumESH_iEEEE10hipError_tPvRmT1_T2_T3_mT4_P12ihipStream_tbEUlT_E1_NS1_11comp_targetILNS1_3genE8ELNS1_11target_archE1030ELNS1_3gpuE2ELNS1_3repE0EEENS1_30default_config_static_selectorELNS0_4arch9wavefront6targetE0EEEvSQ_
    .private_segment_fixed_size: 0
    .sgpr_count:     0
    .sgpr_spill_count: 0
    .symbol:         _ZN7rocprim17ROCPRIM_400000_NS6detail17trampoline_kernelINS0_14default_configENS1_22reduce_config_selectorIbEEZNS1_11reduce_implILb1ES3_N6hipcub16HIPCUB_304000_NS22TransformInputIteratorIbN2at6native12_GLOBAL__N_19NonZeroOpIdEEPKdlEEPiiNS8_6detail34convert_binary_result_type_wrapperINS8_3SumESH_iEEEE10hipError_tPvRmT1_T2_T3_mT4_P12ihipStream_tbEUlT_E1_NS1_11comp_targetILNS1_3genE8ELNS1_11target_archE1030ELNS1_3gpuE2ELNS1_3repE0EEENS1_30default_config_static_selectorELNS0_4arch9wavefront6targetE0EEEvSQ_.kd
    .uniform_work_group_size: 1
    .uses_dynamic_stack: false
    .vgpr_count:     0
    .vgpr_spill_count: 0
    .wavefront_size: 32
    .workgroup_processor_mode: 1
  - .args:
      - .offset:         0
        .size:           120
        .value_kind:     by_value
    .group_segment_fixed_size: 0
    .kernarg_segment_align: 8
    .kernarg_segment_size: 120
    .language:       OpenCL C
    .language_version:
      - 2
      - 0
    .max_flat_workgroup_size: 128
    .name:           _ZN7rocprim17ROCPRIM_400000_NS6detail17trampoline_kernelINS0_14default_configENS1_25partition_config_selectorILNS1_17partition_subalgoE5ElNS0_10empty_typeEbEEZZNS1_14partition_implILS5_5ELb0ES3_mN6hipcub16HIPCUB_304000_NS21CountingInputIteratorIllEEPS6_NSA_22TransformInputIteratorIbN2at6native12_GLOBAL__N_19NonZeroOpIdEEPKdlEENS0_5tupleIJPlS6_EEENSN_IJSD_SD_EEES6_PiJS6_EEE10hipError_tPvRmT3_T4_T5_T6_T7_T9_mT8_P12ihipStream_tbDpT10_ENKUlT_T0_E_clISt17integral_constantIbLb0EES1B_EEDaS16_S17_EUlS16_E_NS1_11comp_targetILNS1_3genE0ELNS1_11target_archE4294967295ELNS1_3gpuE0ELNS1_3repE0EEENS1_30default_config_static_selectorELNS0_4arch9wavefront6targetE0EEEvT1_
    .private_segment_fixed_size: 0
    .sgpr_count:     0
    .sgpr_spill_count: 0
    .symbol:         _ZN7rocprim17ROCPRIM_400000_NS6detail17trampoline_kernelINS0_14default_configENS1_25partition_config_selectorILNS1_17partition_subalgoE5ElNS0_10empty_typeEbEEZZNS1_14partition_implILS5_5ELb0ES3_mN6hipcub16HIPCUB_304000_NS21CountingInputIteratorIllEEPS6_NSA_22TransformInputIteratorIbN2at6native12_GLOBAL__N_19NonZeroOpIdEEPKdlEENS0_5tupleIJPlS6_EEENSN_IJSD_SD_EEES6_PiJS6_EEE10hipError_tPvRmT3_T4_T5_T6_T7_T9_mT8_P12ihipStream_tbDpT10_ENKUlT_T0_E_clISt17integral_constantIbLb0EES1B_EEDaS16_S17_EUlS16_E_NS1_11comp_targetILNS1_3genE0ELNS1_11target_archE4294967295ELNS1_3gpuE0ELNS1_3repE0EEENS1_30default_config_static_selectorELNS0_4arch9wavefront6targetE0EEEvT1_.kd
    .uniform_work_group_size: 1
    .uses_dynamic_stack: false
    .vgpr_count:     0
    .vgpr_spill_count: 0
    .wavefront_size: 32
    .workgroup_processor_mode: 1
  - .args:
      - .offset:         0
        .size:           120
        .value_kind:     by_value
    .group_segment_fixed_size: 0
    .kernarg_segment_align: 8
    .kernarg_segment_size: 120
    .language:       OpenCL C
    .language_version:
      - 2
      - 0
    .max_flat_workgroup_size: 512
    .name:           _ZN7rocprim17ROCPRIM_400000_NS6detail17trampoline_kernelINS0_14default_configENS1_25partition_config_selectorILNS1_17partition_subalgoE5ElNS0_10empty_typeEbEEZZNS1_14partition_implILS5_5ELb0ES3_mN6hipcub16HIPCUB_304000_NS21CountingInputIteratorIllEEPS6_NSA_22TransformInputIteratorIbN2at6native12_GLOBAL__N_19NonZeroOpIdEEPKdlEENS0_5tupleIJPlS6_EEENSN_IJSD_SD_EEES6_PiJS6_EEE10hipError_tPvRmT3_T4_T5_T6_T7_T9_mT8_P12ihipStream_tbDpT10_ENKUlT_T0_E_clISt17integral_constantIbLb0EES1B_EEDaS16_S17_EUlS16_E_NS1_11comp_targetILNS1_3genE5ELNS1_11target_archE942ELNS1_3gpuE9ELNS1_3repE0EEENS1_30default_config_static_selectorELNS0_4arch9wavefront6targetE0EEEvT1_
    .private_segment_fixed_size: 0
    .sgpr_count:     0
    .sgpr_spill_count: 0
    .symbol:         _ZN7rocprim17ROCPRIM_400000_NS6detail17trampoline_kernelINS0_14default_configENS1_25partition_config_selectorILNS1_17partition_subalgoE5ElNS0_10empty_typeEbEEZZNS1_14partition_implILS5_5ELb0ES3_mN6hipcub16HIPCUB_304000_NS21CountingInputIteratorIllEEPS6_NSA_22TransformInputIteratorIbN2at6native12_GLOBAL__N_19NonZeroOpIdEEPKdlEENS0_5tupleIJPlS6_EEENSN_IJSD_SD_EEES6_PiJS6_EEE10hipError_tPvRmT3_T4_T5_T6_T7_T9_mT8_P12ihipStream_tbDpT10_ENKUlT_T0_E_clISt17integral_constantIbLb0EES1B_EEDaS16_S17_EUlS16_E_NS1_11comp_targetILNS1_3genE5ELNS1_11target_archE942ELNS1_3gpuE9ELNS1_3repE0EEENS1_30default_config_static_selectorELNS0_4arch9wavefront6targetE0EEEvT1_.kd
    .uniform_work_group_size: 1
    .uses_dynamic_stack: false
    .vgpr_count:     0
    .vgpr_spill_count: 0
    .wavefront_size: 32
    .workgroup_processor_mode: 1
  - .args:
      - .offset:         0
        .size:           120
        .value_kind:     by_value
    .group_segment_fixed_size: 0
    .kernarg_segment_align: 8
    .kernarg_segment_size: 120
    .language:       OpenCL C
    .language_version:
      - 2
      - 0
    .max_flat_workgroup_size: 192
    .name:           _ZN7rocprim17ROCPRIM_400000_NS6detail17trampoline_kernelINS0_14default_configENS1_25partition_config_selectorILNS1_17partition_subalgoE5ElNS0_10empty_typeEbEEZZNS1_14partition_implILS5_5ELb0ES3_mN6hipcub16HIPCUB_304000_NS21CountingInputIteratorIllEEPS6_NSA_22TransformInputIteratorIbN2at6native12_GLOBAL__N_19NonZeroOpIdEEPKdlEENS0_5tupleIJPlS6_EEENSN_IJSD_SD_EEES6_PiJS6_EEE10hipError_tPvRmT3_T4_T5_T6_T7_T9_mT8_P12ihipStream_tbDpT10_ENKUlT_T0_E_clISt17integral_constantIbLb0EES1B_EEDaS16_S17_EUlS16_E_NS1_11comp_targetILNS1_3genE4ELNS1_11target_archE910ELNS1_3gpuE8ELNS1_3repE0EEENS1_30default_config_static_selectorELNS0_4arch9wavefront6targetE0EEEvT1_
    .private_segment_fixed_size: 0
    .sgpr_count:     0
    .sgpr_spill_count: 0
    .symbol:         _ZN7rocprim17ROCPRIM_400000_NS6detail17trampoline_kernelINS0_14default_configENS1_25partition_config_selectorILNS1_17partition_subalgoE5ElNS0_10empty_typeEbEEZZNS1_14partition_implILS5_5ELb0ES3_mN6hipcub16HIPCUB_304000_NS21CountingInputIteratorIllEEPS6_NSA_22TransformInputIteratorIbN2at6native12_GLOBAL__N_19NonZeroOpIdEEPKdlEENS0_5tupleIJPlS6_EEENSN_IJSD_SD_EEES6_PiJS6_EEE10hipError_tPvRmT3_T4_T5_T6_T7_T9_mT8_P12ihipStream_tbDpT10_ENKUlT_T0_E_clISt17integral_constantIbLb0EES1B_EEDaS16_S17_EUlS16_E_NS1_11comp_targetILNS1_3genE4ELNS1_11target_archE910ELNS1_3gpuE8ELNS1_3repE0EEENS1_30default_config_static_selectorELNS0_4arch9wavefront6targetE0EEEvT1_.kd
    .uniform_work_group_size: 1
    .uses_dynamic_stack: false
    .vgpr_count:     0
    .vgpr_spill_count: 0
    .wavefront_size: 32
    .workgroup_processor_mode: 1
  - .args:
      - .offset:         0
        .size:           120
        .value_kind:     by_value
    .group_segment_fixed_size: 0
    .kernarg_segment_align: 8
    .kernarg_segment_size: 120
    .language:       OpenCL C
    .language_version:
      - 2
      - 0
    .max_flat_workgroup_size: 128
    .name:           _ZN7rocprim17ROCPRIM_400000_NS6detail17trampoline_kernelINS0_14default_configENS1_25partition_config_selectorILNS1_17partition_subalgoE5ElNS0_10empty_typeEbEEZZNS1_14partition_implILS5_5ELb0ES3_mN6hipcub16HIPCUB_304000_NS21CountingInputIteratorIllEEPS6_NSA_22TransformInputIteratorIbN2at6native12_GLOBAL__N_19NonZeroOpIdEEPKdlEENS0_5tupleIJPlS6_EEENSN_IJSD_SD_EEES6_PiJS6_EEE10hipError_tPvRmT3_T4_T5_T6_T7_T9_mT8_P12ihipStream_tbDpT10_ENKUlT_T0_E_clISt17integral_constantIbLb0EES1B_EEDaS16_S17_EUlS16_E_NS1_11comp_targetILNS1_3genE3ELNS1_11target_archE908ELNS1_3gpuE7ELNS1_3repE0EEENS1_30default_config_static_selectorELNS0_4arch9wavefront6targetE0EEEvT1_
    .private_segment_fixed_size: 0
    .sgpr_count:     0
    .sgpr_spill_count: 0
    .symbol:         _ZN7rocprim17ROCPRIM_400000_NS6detail17trampoline_kernelINS0_14default_configENS1_25partition_config_selectorILNS1_17partition_subalgoE5ElNS0_10empty_typeEbEEZZNS1_14partition_implILS5_5ELb0ES3_mN6hipcub16HIPCUB_304000_NS21CountingInputIteratorIllEEPS6_NSA_22TransformInputIteratorIbN2at6native12_GLOBAL__N_19NonZeroOpIdEEPKdlEENS0_5tupleIJPlS6_EEENSN_IJSD_SD_EEES6_PiJS6_EEE10hipError_tPvRmT3_T4_T5_T6_T7_T9_mT8_P12ihipStream_tbDpT10_ENKUlT_T0_E_clISt17integral_constantIbLb0EES1B_EEDaS16_S17_EUlS16_E_NS1_11comp_targetILNS1_3genE3ELNS1_11target_archE908ELNS1_3gpuE7ELNS1_3repE0EEENS1_30default_config_static_selectorELNS0_4arch9wavefront6targetE0EEEvT1_.kd
    .uniform_work_group_size: 1
    .uses_dynamic_stack: false
    .vgpr_count:     0
    .vgpr_spill_count: 0
    .wavefront_size: 32
    .workgroup_processor_mode: 1
  - .args:
      - .offset:         0
        .size:           120
        .value_kind:     by_value
    .group_segment_fixed_size: 0
    .kernarg_segment_align: 8
    .kernarg_segment_size: 120
    .language:       OpenCL C
    .language_version:
      - 2
      - 0
    .max_flat_workgroup_size: 256
    .name:           _ZN7rocprim17ROCPRIM_400000_NS6detail17trampoline_kernelINS0_14default_configENS1_25partition_config_selectorILNS1_17partition_subalgoE5ElNS0_10empty_typeEbEEZZNS1_14partition_implILS5_5ELb0ES3_mN6hipcub16HIPCUB_304000_NS21CountingInputIteratorIllEEPS6_NSA_22TransformInputIteratorIbN2at6native12_GLOBAL__N_19NonZeroOpIdEEPKdlEENS0_5tupleIJPlS6_EEENSN_IJSD_SD_EEES6_PiJS6_EEE10hipError_tPvRmT3_T4_T5_T6_T7_T9_mT8_P12ihipStream_tbDpT10_ENKUlT_T0_E_clISt17integral_constantIbLb0EES1B_EEDaS16_S17_EUlS16_E_NS1_11comp_targetILNS1_3genE2ELNS1_11target_archE906ELNS1_3gpuE6ELNS1_3repE0EEENS1_30default_config_static_selectorELNS0_4arch9wavefront6targetE0EEEvT1_
    .private_segment_fixed_size: 0
    .sgpr_count:     0
    .sgpr_spill_count: 0
    .symbol:         _ZN7rocprim17ROCPRIM_400000_NS6detail17trampoline_kernelINS0_14default_configENS1_25partition_config_selectorILNS1_17partition_subalgoE5ElNS0_10empty_typeEbEEZZNS1_14partition_implILS5_5ELb0ES3_mN6hipcub16HIPCUB_304000_NS21CountingInputIteratorIllEEPS6_NSA_22TransformInputIteratorIbN2at6native12_GLOBAL__N_19NonZeroOpIdEEPKdlEENS0_5tupleIJPlS6_EEENSN_IJSD_SD_EEES6_PiJS6_EEE10hipError_tPvRmT3_T4_T5_T6_T7_T9_mT8_P12ihipStream_tbDpT10_ENKUlT_T0_E_clISt17integral_constantIbLb0EES1B_EEDaS16_S17_EUlS16_E_NS1_11comp_targetILNS1_3genE2ELNS1_11target_archE906ELNS1_3gpuE6ELNS1_3repE0EEENS1_30default_config_static_selectorELNS0_4arch9wavefront6targetE0EEEvT1_.kd
    .uniform_work_group_size: 1
    .uses_dynamic_stack: false
    .vgpr_count:     0
    .vgpr_spill_count: 0
    .wavefront_size: 32
    .workgroup_processor_mode: 1
  - .args:
      - .offset:         0
        .size:           120
        .value_kind:     by_value
    .group_segment_fixed_size: 8464
    .kernarg_segment_align: 8
    .kernarg_segment_size: 120
    .language:       OpenCL C
    .language_version:
      - 2
      - 0
    .max_flat_workgroup_size: 256
    .name:           _ZN7rocprim17ROCPRIM_400000_NS6detail17trampoline_kernelINS0_14default_configENS1_25partition_config_selectorILNS1_17partition_subalgoE5ElNS0_10empty_typeEbEEZZNS1_14partition_implILS5_5ELb0ES3_mN6hipcub16HIPCUB_304000_NS21CountingInputIteratorIllEEPS6_NSA_22TransformInputIteratorIbN2at6native12_GLOBAL__N_19NonZeroOpIdEEPKdlEENS0_5tupleIJPlS6_EEENSN_IJSD_SD_EEES6_PiJS6_EEE10hipError_tPvRmT3_T4_T5_T6_T7_T9_mT8_P12ihipStream_tbDpT10_ENKUlT_T0_E_clISt17integral_constantIbLb0EES1B_EEDaS16_S17_EUlS16_E_NS1_11comp_targetILNS1_3genE10ELNS1_11target_archE1200ELNS1_3gpuE4ELNS1_3repE0EEENS1_30default_config_static_selectorELNS0_4arch9wavefront6targetE0EEEvT1_
    .private_segment_fixed_size: 0
    .sgpr_count:     22
    .sgpr_spill_count: 0
    .symbol:         _ZN7rocprim17ROCPRIM_400000_NS6detail17trampoline_kernelINS0_14default_configENS1_25partition_config_selectorILNS1_17partition_subalgoE5ElNS0_10empty_typeEbEEZZNS1_14partition_implILS5_5ELb0ES3_mN6hipcub16HIPCUB_304000_NS21CountingInputIteratorIllEEPS6_NSA_22TransformInputIteratorIbN2at6native12_GLOBAL__N_19NonZeroOpIdEEPKdlEENS0_5tupleIJPlS6_EEENSN_IJSD_SD_EEES6_PiJS6_EEE10hipError_tPvRmT3_T4_T5_T6_T7_T9_mT8_P12ihipStream_tbDpT10_ENKUlT_T0_E_clISt17integral_constantIbLb0EES1B_EEDaS16_S17_EUlS16_E_NS1_11comp_targetILNS1_3genE10ELNS1_11target_archE1200ELNS1_3gpuE4ELNS1_3repE0EEENS1_30default_config_static_selectorELNS0_4arch9wavefront6targetE0EEEvT1_.kd
    .uniform_work_group_size: 1
    .uses_dynamic_stack: false
    .vgpr_count:     46
    .vgpr_spill_count: 0
    .wavefront_size: 32
    .workgroup_processor_mode: 1
  - .args:
      - .offset:         0
        .size:           120
        .value_kind:     by_value
    .group_segment_fixed_size: 0
    .kernarg_segment_align: 8
    .kernarg_segment_size: 120
    .language:       OpenCL C
    .language_version:
      - 2
      - 0
    .max_flat_workgroup_size: 128
    .name:           _ZN7rocprim17ROCPRIM_400000_NS6detail17trampoline_kernelINS0_14default_configENS1_25partition_config_selectorILNS1_17partition_subalgoE5ElNS0_10empty_typeEbEEZZNS1_14partition_implILS5_5ELb0ES3_mN6hipcub16HIPCUB_304000_NS21CountingInputIteratorIllEEPS6_NSA_22TransformInputIteratorIbN2at6native12_GLOBAL__N_19NonZeroOpIdEEPKdlEENS0_5tupleIJPlS6_EEENSN_IJSD_SD_EEES6_PiJS6_EEE10hipError_tPvRmT3_T4_T5_T6_T7_T9_mT8_P12ihipStream_tbDpT10_ENKUlT_T0_E_clISt17integral_constantIbLb0EES1B_EEDaS16_S17_EUlS16_E_NS1_11comp_targetILNS1_3genE9ELNS1_11target_archE1100ELNS1_3gpuE3ELNS1_3repE0EEENS1_30default_config_static_selectorELNS0_4arch9wavefront6targetE0EEEvT1_
    .private_segment_fixed_size: 0
    .sgpr_count:     0
    .sgpr_spill_count: 0
    .symbol:         _ZN7rocprim17ROCPRIM_400000_NS6detail17trampoline_kernelINS0_14default_configENS1_25partition_config_selectorILNS1_17partition_subalgoE5ElNS0_10empty_typeEbEEZZNS1_14partition_implILS5_5ELb0ES3_mN6hipcub16HIPCUB_304000_NS21CountingInputIteratorIllEEPS6_NSA_22TransformInputIteratorIbN2at6native12_GLOBAL__N_19NonZeroOpIdEEPKdlEENS0_5tupleIJPlS6_EEENSN_IJSD_SD_EEES6_PiJS6_EEE10hipError_tPvRmT3_T4_T5_T6_T7_T9_mT8_P12ihipStream_tbDpT10_ENKUlT_T0_E_clISt17integral_constantIbLb0EES1B_EEDaS16_S17_EUlS16_E_NS1_11comp_targetILNS1_3genE9ELNS1_11target_archE1100ELNS1_3gpuE3ELNS1_3repE0EEENS1_30default_config_static_selectorELNS0_4arch9wavefront6targetE0EEEvT1_.kd
    .uniform_work_group_size: 1
    .uses_dynamic_stack: false
    .vgpr_count:     0
    .vgpr_spill_count: 0
    .wavefront_size: 32
    .workgroup_processor_mode: 1
  - .args:
      - .offset:         0
        .size:           120
        .value_kind:     by_value
    .group_segment_fixed_size: 0
    .kernarg_segment_align: 8
    .kernarg_segment_size: 120
    .language:       OpenCL C
    .language_version:
      - 2
      - 0
    .max_flat_workgroup_size: 512
    .name:           _ZN7rocprim17ROCPRIM_400000_NS6detail17trampoline_kernelINS0_14default_configENS1_25partition_config_selectorILNS1_17partition_subalgoE5ElNS0_10empty_typeEbEEZZNS1_14partition_implILS5_5ELb0ES3_mN6hipcub16HIPCUB_304000_NS21CountingInputIteratorIllEEPS6_NSA_22TransformInputIteratorIbN2at6native12_GLOBAL__N_19NonZeroOpIdEEPKdlEENS0_5tupleIJPlS6_EEENSN_IJSD_SD_EEES6_PiJS6_EEE10hipError_tPvRmT3_T4_T5_T6_T7_T9_mT8_P12ihipStream_tbDpT10_ENKUlT_T0_E_clISt17integral_constantIbLb0EES1B_EEDaS16_S17_EUlS16_E_NS1_11comp_targetILNS1_3genE8ELNS1_11target_archE1030ELNS1_3gpuE2ELNS1_3repE0EEENS1_30default_config_static_selectorELNS0_4arch9wavefront6targetE0EEEvT1_
    .private_segment_fixed_size: 0
    .sgpr_count:     0
    .sgpr_spill_count: 0
    .symbol:         _ZN7rocprim17ROCPRIM_400000_NS6detail17trampoline_kernelINS0_14default_configENS1_25partition_config_selectorILNS1_17partition_subalgoE5ElNS0_10empty_typeEbEEZZNS1_14partition_implILS5_5ELb0ES3_mN6hipcub16HIPCUB_304000_NS21CountingInputIteratorIllEEPS6_NSA_22TransformInputIteratorIbN2at6native12_GLOBAL__N_19NonZeroOpIdEEPKdlEENS0_5tupleIJPlS6_EEENSN_IJSD_SD_EEES6_PiJS6_EEE10hipError_tPvRmT3_T4_T5_T6_T7_T9_mT8_P12ihipStream_tbDpT10_ENKUlT_T0_E_clISt17integral_constantIbLb0EES1B_EEDaS16_S17_EUlS16_E_NS1_11comp_targetILNS1_3genE8ELNS1_11target_archE1030ELNS1_3gpuE2ELNS1_3repE0EEENS1_30default_config_static_selectorELNS0_4arch9wavefront6targetE0EEEvT1_.kd
    .uniform_work_group_size: 1
    .uses_dynamic_stack: false
    .vgpr_count:     0
    .vgpr_spill_count: 0
    .wavefront_size: 32
    .workgroup_processor_mode: 1
  - .args:
      - .offset:         0
        .size:           136
        .value_kind:     by_value
    .group_segment_fixed_size: 0
    .kernarg_segment_align: 8
    .kernarg_segment_size: 136
    .language:       OpenCL C
    .language_version:
      - 2
      - 0
    .max_flat_workgroup_size: 128
    .name:           _ZN7rocprim17ROCPRIM_400000_NS6detail17trampoline_kernelINS0_14default_configENS1_25partition_config_selectorILNS1_17partition_subalgoE5ElNS0_10empty_typeEbEEZZNS1_14partition_implILS5_5ELb0ES3_mN6hipcub16HIPCUB_304000_NS21CountingInputIteratorIllEEPS6_NSA_22TransformInputIteratorIbN2at6native12_GLOBAL__N_19NonZeroOpIdEEPKdlEENS0_5tupleIJPlS6_EEENSN_IJSD_SD_EEES6_PiJS6_EEE10hipError_tPvRmT3_T4_T5_T6_T7_T9_mT8_P12ihipStream_tbDpT10_ENKUlT_T0_E_clISt17integral_constantIbLb1EES1B_EEDaS16_S17_EUlS16_E_NS1_11comp_targetILNS1_3genE0ELNS1_11target_archE4294967295ELNS1_3gpuE0ELNS1_3repE0EEENS1_30default_config_static_selectorELNS0_4arch9wavefront6targetE0EEEvT1_
    .private_segment_fixed_size: 0
    .sgpr_count:     0
    .sgpr_spill_count: 0
    .symbol:         _ZN7rocprim17ROCPRIM_400000_NS6detail17trampoline_kernelINS0_14default_configENS1_25partition_config_selectorILNS1_17partition_subalgoE5ElNS0_10empty_typeEbEEZZNS1_14partition_implILS5_5ELb0ES3_mN6hipcub16HIPCUB_304000_NS21CountingInputIteratorIllEEPS6_NSA_22TransformInputIteratorIbN2at6native12_GLOBAL__N_19NonZeroOpIdEEPKdlEENS0_5tupleIJPlS6_EEENSN_IJSD_SD_EEES6_PiJS6_EEE10hipError_tPvRmT3_T4_T5_T6_T7_T9_mT8_P12ihipStream_tbDpT10_ENKUlT_T0_E_clISt17integral_constantIbLb1EES1B_EEDaS16_S17_EUlS16_E_NS1_11comp_targetILNS1_3genE0ELNS1_11target_archE4294967295ELNS1_3gpuE0ELNS1_3repE0EEENS1_30default_config_static_selectorELNS0_4arch9wavefront6targetE0EEEvT1_.kd
    .uniform_work_group_size: 1
    .uses_dynamic_stack: false
    .vgpr_count:     0
    .vgpr_spill_count: 0
    .wavefront_size: 32
    .workgroup_processor_mode: 1
  - .args:
      - .offset:         0
        .size:           136
        .value_kind:     by_value
    .group_segment_fixed_size: 0
    .kernarg_segment_align: 8
    .kernarg_segment_size: 136
    .language:       OpenCL C
    .language_version:
      - 2
      - 0
    .max_flat_workgroup_size: 512
    .name:           _ZN7rocprim17ROCPRIM_400000_NS6detail17trampoline_kernelINS0_14default_configENS1_25partition_config_selectorILNS1_17partition_subalgoE5ElNS0_10empty_typeEbEEZZNS1_14partition_implILS5_5ELb0ES3_mN6hipcub16HIPCUB_304000_NS21CountingInputIteratorIllEEPS6_NSA_22TransformInputIteratorIbN2at6native12_GLOBAL__N_19NonZeroOpIdEEPKdlEENS0_5tupleIJPlS6_EEENSN_IJSD_SD_EEES6_PiJS6_EEE10hipError_tPvRmT3_T4_T5_T6_T7_T9_mT8_P12ihipStream_tbDpT10_ENKUlT_T0_E_clISt17integral_constantIbLb1EES1B_EEDaS16_S17_EUlS16_E_NS1_11comp_targetILNS1_3genE5ELNS1_11target_archE942ELNS1_3gpuE9ELNS1_3repE0EEENS1_30default_config_static_selectorELNS0_4arch9wavefront6targetE0EEEvT1_
    .private_segment_fixed_size: 0
    .sgpr_count:     0
    .sgpr_spill_count: 0
    .symbol:         _ZN7rocprim17ROCPRIM_400000_NS6detail17trampoline_kernelINS0_14default_configENS1_25partition_config_selectorILNS1_17partition_subalgoE5ElNS0_10empty_typeEbEEZZNS1_14partition_implILS5_5ELb0ES3_mN6hipcub16HIPCUB_304000_NS21CountingInputIteratorIllEEPS6_NSA_22TransformInputIteratorIbN2at6native12_GLOBAL__N_19NonZeroOpIdEEPKdlEENS0_5tupleIJPlS6_EEENSN_IJSD_SD_EEES6_PiJS6_EEE10hipError_tPvRmT3_T4_T5_T6_T7_T9_mT8_P12ihipStream_tbDpT10_ENKUlT_T0_E_clISt17integral_constantIbLb1EES1B_EEDaS16_S17_EUlS16_E_NS1_11comp_targetILNS1_3genE5ELNS1_11target_archE942ELNS1_3gpuE9ELNS1_3repE0EEENS1_30default_config_static_selectorELNS0_4arch9wavefront6targetE0EEEvT1_.kd
    .uniform_work_group_size: 1
    .uses_dynamic_stack: false
    .vgpr_count:     0
    .vgpr_spill_count: 0
    .wavefront_size: 32
    .workgroup_processor_mode: 1
  - .args:
      - .offset:         0
        .size:           136
        .value_kind:     by_value
    .group_segment_fixed_size: 0
    .kernarg_segment_align: 8
    .kernarg_segment_size: 136
    .language:       OpenCL C
    .language_version:
      - 2
      - 0
    .max_flat_workgroup_size: 192
    .name:           _ZN7rocprim17ROCPRIM_400000_NS6detail17trampoline_kernelINS0_14default_configENS1_25partition_config_selectorILNS1_17partition_subalgoE5ElNS0_10empty_typeEbEEZZNS1_14partition_implILS5_5ELb0ES3_mN6hipcub16HIPCUB_304000_NS21CountingInputIteratorIllEEPS6_NSA_22TransformInputIteratorIbN2at6native12_GLOBAL__N_19NonZeroOpIdEEPKdlEENS0_5tupleIJPlS6_EEENSN_IJSD_SD_EEES6_PiJS6_EEE10hipError_tPvRmT3_T4_T5_T6_T7_T9_mT8_P12ihipStream_tbDpT10_ENKUlT_T0_E_clISt17integral_constantIbLb1EES1B_EEDaS16_S17_EUlS16_E_NS1_11comp_targetILNS1_3genE4ELNS1_11target_archE910ELNS1_3gpuE8ELNS1_3repE0EEENS1_30default_config_static_selectorELNS0_4arch9wavefront6targetE0EEEvT1_
    .private_segment_fixed_size: 0
    .sgpr_count:     0
    .sgpr_spill_count: 0
    .symbol:         _ZN7rocprim17ROCPRIM_400000_NS6detail17trampoline_kernelINS0_14default_configENS1_25partition_config_selectorILNS1_17partition_subalgoE5ElNS0_10empty_typeEbEEZZNS1_14partition_implILS5_5ELb0ES3_mN6hipcub16HIPCUB_304000_NS21CountingInputIteratorIllEEPS6_NSA_22TransformInputIteratorIbN2at6native12_GLOBAL__N_19NonZeroOpIdEEPKdlEENS0_5tupleIJPlS6_EEENSN_IJSD_SD_EEES6_PiJS6_EEE10hipError_tPvRmT3_T4_T5_T6_T7_T9_mT8_P12ihipStream_tbDpT10_ENKUlT_T0_E_clISt17integral_constantIbLb1EES1B_EEDaS16_S17_EUlS16_E_NS1_11comp_targetILNS1_3genE4ELNS1_11target_archE910ELNS1_3gpuE8ELNS1_3repE0EEENS1_30default_config_static_selectorELNS0_4arch9wavefront6targetE0EEEvT1_.kd
    .uniform_work_group_size: 1
    .uses_dynamic_stack: false
    .vgpr_count:     0
    .vgpr_spill_count: 0
    .wavefront_size: 32
    .workgroup_processor_mode: 1
  - .args:
      - .offset:         0
        .size:           136
        .value_kind:     by_value
    .group_segment_fixed_size: 0
    .kernarg_segment_align: 8
    .kernarg_segment_size: 136
    .language:       OpenCL C
    .language_version:
      - 2
      - 0
    .max_flat_workgroup_size: 128
    .name:           _ZN7rocprim17ROCPRIM_400000_NS6detail17trampoline_kernelINS0_14default_configENS1_25partition_config_selectorILNS1_17partition_subalgoE5ElNS0_10empty_typeEbEEZZNS1_14partition_implILS5_5ELb0ES3_mN6hipcub16HIPCUB_304000_NS21CountingInputIteratorIllEEPS6_NSA_22TransformInputIteratorIbN2at6native12_GLOBAL__N_19NonZeroOpIdEEPKdlEENS0_5tupleIJPlS6_EEENSN_IJSD_SD_EEES6_PiJS6_EEE10hipError_tPvRmT3_T4_T5_T6_T7_T9_mT8_P12ihipStream_tbDpT10_ENKUlT_T0_E_clISt17integral_constantIbLb1EES1B_EEDaS16_S17_EUlS16_E_NS1_11comp_targetILNS1_3genE3ELNS1_11target_archE908ELNS1_3gpuE7ELNS1_3repE0EEENS1_30default_config_static_selectorELNS0_4arch9wavefront6targetE0EEEvT1_
    .private_segment_fixed_size: 0
    .sgpr_count:     0
    .sgpr_spill_count: 0
    .symbol:         _ZN7rocprim17ROCPRIM_400000_NS6detail17trampoline_kernelINS0_14default_configENS1_25partition_config_selectorILNS1_17partition_subalgoE5ElNS0_10empty_typeEbEEZZNS1_14partition_implILS5_5ELb0ES3_mN6hipcub16HIPCUB_304000_NS21CountingInputIteratorIllEEPS6_NSA_22TransformInputIteratorIbN2at6native12_GLOBAL__N_19NonZeroOpIdEEPKdlEENS0_5tupleIJPlS6_EEENSN_IJSD_SD_EEES6_PiJS6_EEE10hipError_tPvRmT3_T4_T5_T6_T7_T9_mT8_P12ihipStream_tbDpT10_ENKUlT_T0_E_clISt17integral_constantIbLb1EES1B_EEDaS16_S17_EUlS16_E_NS1_11comp_targetILNS1_3genE3ELNS1_11target_archE908ELNS1_3gpuE7ELNS1_3repE0EEENS1_30default_config_static_selectorELNS0_4arch9wavefront6targetE0EEEvT1_.kd
    .uniform_work_group_size: 1
    .uses_dynamic_stack: false
    .vgpr_count:     0
    .vgpr_spill_count: 0
    .wavefront_size: 32
    .workgroup_processor_mode: 1
  - .args:
      - .offset:         0
        .size:           136
        .value_kind:     by_value
    .group_segment_fixed_size: 0
    .kernarg_segment_align: 8
    .kernarg_segment_size: 136
    .language:       OpenCL C
    .language_version:
      - 2
      - 0
    .max_flat_workgroup_size: 256
    .name:           _ZN7rocprim17ROCPRIM_400000_NS6detail17trampoline_kernelINS0_14default_configENS1_25partition_config_selectorILNS1_17partition_subalgoE5ElNS0_10empty_typeEbEEZZNS1_14partition_implILS5_5ELb0ES3_mN6hipcub16HIPCUB_304000_NS21CountingInputIteratorIllEEPS6_NSA_22TransformInputIteratorIbN2at6native12_GLOBAL__N_19NonZeroOpIdEEPKdlEENS0_5tupleIJPlS6_EEENSN_IJSD_SD_EEES6_PiJS6_EEE10hipError_tPvRmT3_T4_T5_T6_T7_T9_mT8_P12ihipStream_tbDpT10_ENKUlT_T0_E_clISt17integral_constantIbLb1EES1B_EEDaS16_S17_EUlS16_E_NS1_11comp_targetILNS1_3genE2ELNS1_11target_archE906ELNS1_3gpuE6ELNS1_3repE0EEENS1_30default_config_static_selectorELNS0_4arch9wavefront6targetE0EEEvT1_
    .private_segment_fixed_size: 0
    .sgpr_count:     0
    .sgpr_spill_count: 0
    .symbol:         _ZN7rocprim17ROCPRIM_400000_NS6detail17trampoline_kernelINS0_14default_configENS1_25partition_config_selectorILNS1_17partition_subalgoE5ElNS0_10empty_typeEbEEZZNS1_14partition_implILS5_5ELb0ES3_mN6hipcub16HIPCUB_304000_NS21CountingInputIteratorIllEEPS6_NSA_22TransformInputIteratorIbN2at6native12_GLOBAL__N_19NonZeroOpIdEEPKdlEENS0_5tupleIJPlS6_EEENSN_IJSD_SD_EEES6_PiJS6_EEE10hipError_tPvRmT3_T4_T5_T6_T7_T9_mT8_P12ihipStream_tbDpT10_ENKUlT_T0_E_clISt17integral_constantIbLb1EES1B_EEDaS16_S17_EUlS16_E_NS1_11comp_targetILNS1_3genE2ELNS1_11target_archE906ELNS1_3gpuE6ELNS1_3repE0EEENS1_30default_config_static_selectorELNS0_4arch9wavefront6targetE0EEEvT1_.kd
    .uniform_work_group_size: 1
    .uses_dynamic_stack: false
    .vgpr_count:     0
    .vgpr_spill_count: 0
    .wavefront_size: 32
    .workgroup_processor_mode: 1
  - .args:
      - .offset:         0
        .size:           136
        .value_kind:     by_value
    .group_segment_fixed_size: 0
    .kernarg_segment_align: 8
    .kernarg_segment_size: 136
    .language:       OpenCL C
    .language_version:
      - 2
      - 0
    .max_flat_workgroup_size: 256
    .name:           _ZN7rocprim17ROCPRIM_400000_NS6detail17trampoline_kernelINS0_14default_configENS1_25partition_config_selectorILNS1_17partition_subalgoE5ElNS0_10empty_typeEbEEZZNS1_14partition_implILS5_5ELb0ES3_mN6hipcub16HIPCUB_304000_NS21CountingInputIteratorIllEEPS6_NSA_22TransformInputIteratorIbN2at6native12_GLOBAL__N_19NonZeroOpIdEEPKdlEENS0_5tupleIJPlS6_EEENSN_IJSD_SD_EEES6_PiJS6_EEE10hipError_tPvRmT3_T4_T5_T6_T7_T9_mT8_P12ihipStream_tbDpT10_ENKUlT_T0_E_clISt17integral_constantIbLb1EES1B_EEDaS16_S17_EUlS16_E_NS1_11comp_targetILNS1_3genE10ELNS1_11target_archE1200ELNS1_3gpuE4ELNS1_3repE0EEENS1_30default_config_static_selectorELNS0_4arch9wavefront6targetE0EEEvT1_
    .private_segment_fixed_size: 0
    .sgpr_count:     0
    .sgpr_spill_count: 0
    .symbol:         _ZN7rocprim17ROCPRIM_400000_NS6detail17trampoline_kernelINS0_14default_configENS1_25partition_config_selectorILNS1_17partition_subalgoE5ElNS0_10empty_typeEbEEZZNS1_14partition_implILS5_5ELb0ES3_mN6hipcub16HIPCUB_304000_NS21CountingInputIteratorIllEEPS6_NSA_22TransformInputIteratorIbN2at6native12_GLOBAL__N_19NonZeroOpIdEEPKdlEENS0_5tupleIJPlS6_EEENSN_IJSD_SD_EEES6_PiJS6_EEE10hipError_tPvRmT3_T4_T5_T6_T7_T9_mT8_P12ihipStream_tbDpT10_ENKUlT_T0_E_clISt17integral_constantIbLb1EES1B_EEDaS16_S17_EUlS16_E_NS1_11comp_targetILNS1_3genE10ELNS1_11target_archE1200ELNS1_3gpuE4ELNS1_3repE0EEENS1_30default_config_static_selectorELNS0_4arch9wavefront6targetE0EEEvT1_.kd
    .uniform_work_group_size: 1
    .uses_dynamic_stack: false
    .vgpr_count:     0
    .vgpr_spill_count: 0
    .wavefront_size: 32
    .workgroup_processor_mode: 1
  - .args:
      - .offset:         0
        .size:           136
        .value_kind:     by_value
    .group_segment_fixed_size: 0
    .kernarg_segment_align: 8
    .kernarg_segment_size: 136
    .language:       OpenCL C
    .language_version:
      - 2
      - 0
    .max_flat_workgroup_size: 128
    .name:           _ZN7rocprim17ROCPRIM_400000_NS6detail17trampoline_kernelINS0_14default_configENS1_25partition_config_selectorILNS1_17partition_subalgoE5ElNS0_10empty_typeEbEEZZNS1_14partition_implILS5_5ELb0ES3_mN6hipcub16HIPCUB_304000_NS21CountingInputIteratorIllEEPS6_NSA_22TransformInputIteratorIbN2at6native12_GLOBAL__N_19NonZeroOpIdEEPKdlEENS0_5tupleIJPlS6_EEENSN_IJSD_SD_EEES6_PiJS6_EEE10hipError_tPvRmT3_T4_T5_T6_T7_T9_mT8_P12ihipStream_tbDpT10_ENKUlT_T0_E_clISt17integral_constantIbLb1EES1B_EEDaS16_S17_EUlS16_E_NS1_11comp_targetILNS1_3genE9ELNS1_11target_archE1100ELNS1_3gpuE3ELNS1_3repE0EEENS1_30default_config_static_selectorELNS0_4arch9wavefront6targetE0EEEvT1_
    .private_segment_fixed_size: 0
    .sgpr_count:     0
    .sgpr_spill_count: 0
    .symbol:         _ZN7rocprim17ROCPRIM_400000_NS6detail17trampoline_kernelINS0_14default_configENS1_25partition_config_selectorILNS1_17partition_subalgoE5ElNS0_10empty_typeEbEEZZNS1_14partition_implILS5_5ELb0ES3_mN6hipcub16HIPCUB_304000_NS21CountingInputIteratorIllEEPS6_NSA_22TransformInputIteratorIbN2at6native12_GLOBAL__N_19NonZeroOpIdEEPKdlEENS0_5tupleIJPlS6_EEENSN_IJSD_SD_EEES6_PiJS6_EEE10hipError_tPvRmT3_T4_T5_T6_T7_T9_mT8_P12ihipStream_tbDpT10_ENKUlT_T0_E_clISt17integral_constantIbLb1EES1B_EEDaS16_S17_EUlS16_E_NS1_11comp_targetILNS1_3genE9ELNS1_11target_archE1100ELNS1_3gpuE3ELNS1_3repE0EEENS1_30default_config_static_selectorELNS0_4arch9wavefront6targetE0EEEvT1_.kd
    .uniform_work_group_size: 1
    .uses_dynamic_stack: false
    .vgpr_count:     0
    .vgpr_spill_count: 0
    .wavefront_size: 32
    .workgroup_processor_mode: 1
  - .args:
      - .offset:         0
        .size:           136
        .value_kind:     by_value
    .group_segment_fixed_size: 0
    .kernarg_segment_align: 8
    .kernarg_segment_size: 136
    .language:       OpenCL C
    .language_version:
      - 2
      - 0
    .max_flat_workgroup_size: 512
    .name:           _ZN7rocprim17ROCPRIM_400000_NS6detail17trampoline_kernelINS0_14default_configENS1_25partition_config_selectorILNS1_17partition_subalgoE5ElNS0_10empty_typeEbEEZZNS1_14partition_implILS5_5ELb0ES3_mN6hipcub16HIPCUB_304000_NS21CountingInputIteratorIllEEPS6_NSA_22TransformInputIteratorIbN2at6native12_GLOBAL__N_19NonZeroOpIdEEPKdlEENS0_5tupleIJPlS6_EEENSN_IJSD_SD_EEES6_PiJS6_EEE10hipError_tPvRmT3_T4_T5_T6_T7_T9_mT8_P12ihipStream_tbDpT10_ENKUlT_T0_E_clISt17integral_constantIbLb1EES1B_EEDaS16_S17_EUlS16_E_NS1_11comp_targetILNS1_3genE8ELNS1_11target_archE1030ELNS1_3gpuE2ELNS1_3repE0EEENS1_30default_config_static_selectorELNS0_4arch9wavefront6targetE0EEEvT1_
    .private_segment_fixed_size: 0
    .sgpr_count:     0
    .sgpr_spill_count: 0
    .symbol:         _ZN7rocprim17ROCPRIM_400000_NS6detail17trampoline_kernelINS0_14default_configENS1_25partition_config_selectorILNS1_17partition_subalgoE5ElNS0_10empty_typeEbEEZZNS1_14partition_implILS5_5ELb0ES3_mN6hipcub16HIPCUB_304000_NS21CountingInputIteratorIllEEPS6_NSA_22TransformInputIteratorIbN2at6native12_GLOBAL__N_19NonZeroOpIdEEPKdlEENS0_5tupleIJPlS6_EEENSN_IJSD_SD_EEES6_PiJS6_EEE10hipError_tPvRmT3_T4_T5_T6_T7_T9_mT8_P12ihipStream_tbDpT10_ENKUlT_T0_E_clISt17integral_constantIbLb1EES1B_EEDaS16_S17_EUlS16_E_NS1_11comp_targetILNS1_3genE8ELNS1_11target_archE1030ELNS1_3gpuE2ELNS1_3repE0EEENS1_30default_config_static_selectorELNS0_4arch9wavefront6targetE0EEEvT1_.kd
    .uniform_work_group_size: 1
    .uses_dynamic_stack: false
    .vgpr_count:     0
    .vgpr_spill_count: 0
    .wavefront_size: 32
    .workgroup_processor_mode: 1
  - .args:
      - .offset:         0
        .size:           120
        .value_kind:     by_value
    .group_segment_fixed_size: 0
    .kernarg_segment_align: 8
    .kernarg_segment_size: 120
    .language:       OpenCL C
    .language_version:
      - 2
      - 0
    .max_flat_workgroup_size: 128
    .name:           _ZN7rocprim17ROCPRIM_400000_NS6detail17trampoline_kernelINS0_14default_configENS1_25partition_config_selectorILNS1_17partition_subalgoE5ElNS0_10empty_typeEbEEZZNS1_14partition_implILS5_5ELb0ES3_mN6hipcub16HIPCUB_304000_NS21CountingInputIteratorIllEEPS6_NSA_22TransformInputIteratorIbN2at6native12_GLOBAL__N_19NonZeroOpIdEEPKdlEENS0_5tupleIJPlS6_EEENSN_IJSD_SD_EEES6_PiJS6_EEE10hipError_tPvRmT3_T4_T5_T6_T7_T9_mT8_P12ihipStream_tbDpT10_ENKUlT_T0_E_clISt17integral_constantIbLb1EES1A_IbLb0EEEEDaS16_S17_EUlS16_E_NS1_11comp_targetILNS1_3genE0ELNS1_11target_archE4294967295ELNS1_3gpuE0ELNS1_3repE0EEENS1_30default_config_static_selectorELNS0_4arch9wavefront6targetE0EEEvT1_
    .private_segment_fixed_size: 0
    .sgpr_count:     0
    .sgpr_spill_count: 0
    .symbol:         _ZN7rocprim17ROCPRIM_400000_NS6detail17trampoline_kernelINS0_14default_configENS1_25partition_config_selectorILNS1_17partition_subalgoE5ElNS0_10empty_typeEbEEZZNS1_14partition_implILS5_5ELb0ES3_mN6hipcub16HIPCUB_304000_NS21CountingInputIteratorIllEEPS6_NSA_22TransformInputIteratorIbN2at6native12_GLOBAL__N_19NonZeroOpIdEEPKdlEENS0_5tupleIJPlS6_EEENSN_IJSD_SD_EEES6_PiJS6_EEE10hipError_tPvRmT3_T4_T5_T6_T7_T9_mT8_P12ihipStream_tbDpT10_ENKUlT_T0_E_clISt17integral_constantIbLb1EES1A_IbLb0EEEEDaS16_S17_EUlS16_E_NS1_11comp_targetILNS1_3genE0ELNS1_11target_archE4294967295ELNS1_3gpuE0ELNS1_3repE0EEENS1_30default_config_static_selectorELNS0_4arch9wavefront6targetE0EEEvT1_.kd
    .uniform_work_group_size: 1
    .uses_dynamic_stack: false
    .vgpr_count:     0
    .vgpr_spill_count: 0
    .wavefront_size: 32
    .workgroup_processor_mode: 1
  - .args:
      - .offset:         0
        .size:           120
        .value_kind:     by_value
    .group_segment_fixed_size: 0
    .kernarg_segment_align: 8
    .kernarg_segment_size: 120
    .language:       OpenCL C
    .language_version:
      - 2
      - 0
    .max_flat_workgroup_size: 512
    .name:           _ZN7rocprim17ROCPRIM_400000_NS6detail17trampoline_kernelINS0_14default_configENS1_25partition_config_selectorILNS1_17partition_subalgoE5ElNS0_10empty_typeEbEEZZNS1_14partition_implILS5_5ELb0ES3_mN6hipcub16HIPCUB_304000_NS21CountingInputIteratorIllEEPS6_NSA_22TransformInputIteratorIbN2at6native12_GLOBAL__N_19NonZeroOpIdEEPKdlEENS0_5tupleIJPlS6_EEENSN_IJSD_SD_EEES6_PiJS6_EEE10hipError_tPvRmT3_T4_T5_T6_T7_T9_mT8_P12ihipStream_tbDpT10_ENKUlT_T0_E_clISt17integral_constantIbLb1EES1A_IbLb0EEEEDaS16_S17_EUlS16_E_NS1_11comp_targetILNS1_3genE5ELNS1_11target_archE942ELNS1_3gpuE9ELNS1_3repE0EEENS1_30default_config_static_selectorELNS0_4arch9wavefront6targetE0EEEvT1_
    .private_segment_fixed_size: 0
    .sgpr_count:     0
    .sgpr_spill_count: 0
    .symbol:         _ZN7rocprim17ROCPRIM_400000_NS6detail17trampoline_kernelINS0_14default_configENS1_25partition_config_selectorILNS1_17partition_subalgoE5ElNS0_10empty_typeEbEEZZNS1_14partition_implILS5_5ELb0ES3_mN6hipcub16HIPCUB_304000_NS21CountingInputIteratorIllEEPS6_NSA_22TransformInputIteratorIbN2at6native12_GLOBAL__N_19NonZeroOpIdEEPKdlEENS0_5tupleIJPlS6_EEENSN_IJSD_SD_EEES6_PiJS6_EEE10hipError_tPvRmT3_T4_T5_T6_T7_T9_mT8_P12ihipStream_tbDpT10_ENKUlT_T0_E_clISt17integral_constantIbLb1EES1A_IbLb0EEEEDaS16_S17_EUlS16_E_NS1_11comp_targetILNS1_3genE5ELNS1_11target_archE942ELNS1_3gpuE9ELNS1_3repE0EEENS1_30default_config_static_selectorELNS0_4arch9wavefront6targetE0EEEvT1_.kd
    .uniform_work_group_size: 1
    .uses_dynamic_stack: false
    .vgpr_count:     0
    .vgpr_spill_count: 0
    .wavefront_size: 32
    .workgroup_processor_mode: 1
  - .args:
      - .offset:         0
        .size:           120
        .value_kind:     by_value
    .group_segment_fixed_size: 0
    .kernarg_segment_align: 8
    .kernarg_segment_size: 120
    .language:       OpenCL C
    .language_version:
      - 2
      - 0
    .max_flat_workgroup_size: 192
    .name:           _ZN7rocprim17ROCPRIM_400000_NS6detail17trampoline_kernelINS0_14default_configENS1_25partition_config_selectorILNS1_17partition_subalgoE5ElNS0_10empty_typeEbEEZZNS1_14partition_implILS5_5ELb0ES3_mN6hipcub16HIPCUB_304000_NS21CountingInputIteratorIllEEPS6_NSA_22TransformInputIteratorIbN2at6native12_GLOBAL__N_19NonZeroOpIdEEPKdlEENS0_5tupleIJPlS6_EEENSN_IJSD_SD_EEES6_PiJS6_EEE10hipError_tPvRmT3_T4_T5_T6_T7_T9_mT8_P12ihipStream_tbDpT10_ENKUlT_T0_E_clISt17integral_constantIbLb1EES1A_IbLb0EEEEDaS16_S17_EUlS16_E_NS1_11comp_targetILNS1_3genE4ELNS1_11target_archE910ELNS1_3gpuE8ELNS1_3repE0EEENS1_30default_config_static_selectorELNS0_4arch9wavefront6targetE0EEEvT1_
    .private_segment_fixed_size: 0
    .sgpr_count:     0
    .sgpr_spill_count: 0
    .symbol:         _ZN7rocprim17ROCPRIM_400000_NS6detail17trampoline_kernelINS0_14default_configENS1_25partition_config_selectorILNS1_17partition_subalgoE5ElNS0_10empty_typeEbEEZZNS1_14partition_implILS5_5ELb0ES3_mN6hipcub16HIPCUB_304000_NS21CountingInputIteratorIllEEPS6_NSA_22TransformInputIteratorIbN2at6native12_GLOBAL__N_19NonZeroOpIdEEPKdlEENS0_5tupleIJPlS6_EEENSN_IJSD_SD_EEES6_PiJS6_EEE10hipError_tPvRmT3_T4_T5_T6_T7_T9_mT8_P12ihipStream_tbDpT10_ENKUlT_T0_E_clISt17integral_constantIbLb1EES1A_IbLb0EEEEDaS16_S17_EUlS16_E_NS1_11comp_targetILNS1_3genE4ELNS1_11target_archE910ELNS1_3gpuE8ELNS1_3repE0EEENS1_30default_config_static_selectorELNS0_4arch9wavefront6targetE0EEEvT1_.kd
    .uniform_work_group_size: 1
    .uses_dynamic_stack: false
    .vgpr_count:     0
    .vgpr_spill_count: 0
    .wavefront_size: 32
    .workgroup_processor_mode: 1
  - .args:
      - .offset:         0
        .size:           120
        .value_kind:     by_value
    .group_segment_fixed_size: 0
    .kernarg_segment_align: 8
    .kernarg_segment_size: 120
    .language:       OpenCL C
    .language_version:
      - 2
      - 0
    .max_flat_workgroup_size: 128
    .name:           _ZN7rocprim17ROCPRIM_400000_NS6detail17trampoline_kernelINS0_14default_configENS1_25partition_config_selectorILNS1_17partition_subalgoE5ElNS0_10empty_typeEbEEZZNS1_14partition_implILS5_5ELb0ES3_mN6hipcub16HIPCUB_304000_NS21CountingInputIteratorIllEEPS6_NSA_22TransformInputIteratorIbN2at6native12_GLOBAL__N_19NonZeroOpIdEEPKdlEENS0_5tupleIJPlS6_EEENSN_IJSD_SD_EEES6_PiJS6_EEE10hipError_tPvRmT3_T4_T5_T6_T7_T9_mT8_P12ihipStream_tbDpT10_ENKUlT_T0_E_clISt17integral_constantIbLb1EES1A_IbLb0EEEEDaS16_S17_EUlS16_E_NS1_11comp_targetILNS1_3genE3ELNS1_11target_archE908ELNS1_3gpuE7ELNS1_3repE0EEENS1_30default_config_static_selectorELNS0_4arch9wavefront6targetE0EEEvT1_
    .private_segment_fixed_size: 0
    .sgpr_count:     0
    .sgpr_spill_count: 0
    .symbol:         _ZN7rocprim17ROCPRIM_400000_NS6detail17trampoline_kernelINS0_14default_configENS1_25partition_config_selectorILNS1_17partition_subalgoE5ElNS0_10empty_typeEbEEZZNS1_14partition_implILS5_5ELb0ES3_mN6hipcub16HIPCUB_304000_NS21CountingInputIteratorIllEEPS6_NSA_22TransformInputIteratorIbN2at6native12_GLOBAL__N_19NonZeroOpIdEEPKdlEENS0_5tupleIJPlS6_EEENSN_IJSD_SD_EEES6_PiJS6_EEE10hipError_tPvRmT3_T4_T5_T6_T7_T9_mT8_P12ihipStream_tbDpT10_ENKUlT_T0_E_clISt17integral_constantIbLb1EES1A_IbLb0EEEEDaS16_S17_EUlS16_E_NS1_11comp_targetILNS1_3genE3ELNS1_11target_archE908ELNS1_3gpuE7ELNS1_3repE0EEENS1_30default_config_static_selectorELNS0_4arch9wavefront6targetE0EEEvT1_.kd
    .uniform_work_group_size: 1
    .uses_dynamic_stack: false
    .vgpr_count:     0
    .vgpr_spill_count: 0
    .wavefront_size: 32
    .workgroup_processor_mode: 1
  - .args:
      - .offset:         0
        .size:           120
        .value_kind:     by_value
    .group_segment_fixed_size: 0
    .kernarg_segment_align: 8
    .kernarg_segment_size: 120
    .language:       OpenCL C
    .language_version:
      - 2
      - 0
    .max_flat_workgroup_size: 256
    .name:           _ZN7rocprim17ROCPRIM_400000_NS6detail17trampoline_kernelINS0_14default_configENS1_25partition_config_selectorILNS1_17partition_subalgoE5ElNS0_10empty_typeEbEEZZNS1_14partition_implILS5_5ELb0ES3_mN6hipcub16HIPCUB_304000_NS21CountingInputIteratorIllEEPS6_NSA_22TransformInputIteratorIbN2at6native12_GLOBAL__N_19NonZeroOpIdEEPKdlEENS0_5tupleIJPlS6_EEENSN_IJSD_SD_EEES6_PiJS6_EEE10hipError_tPvRmT3_T4_T5_T6_T7_T9_mT8_P12ihipStream_tbDpT10_ENKUlT_T0_E_clISt17integral_constantIbLb1EES1A_IbLb0EEEEDaS16_S17_EUlS16_E_NS1_11comp_targetILNS1_3genE2ELNS1_11target_archE906ELNS1_3gpuE6ELNS1_3repE0EEENS1_30default_config_static_selectorELNS0_4arch9wavefront6targetE0EEEvT1_
    .private_segment_fixed_size: 0
    .sgpr_count:     0
    .sgpr_spill_count: 0
    .symbol:         _ZN7rocprim17ROCPRIM_400000_NS6detail17trampoline_kernelINS0_14default_configENS1_25partition_config_selectorILNS1_17partition_subalgoE5ElNS0_10empty_typeEbEEZZNS1_14partition_implILS5_5ELb0ES3_mN6hipcub16HIPCUB_304000_NS21CountingInputIteratorIllEEPS6_NSA_22TransformInputIteratorIbN2at6native12_GLOBAL__N_19NonZeroOpIdEEPKdlEENS0_5tupleIJPlS6_EEENSN_IJSD_SD_EEES6_PiJS6_EEE10hipError_tPvRmT3_T4_T5_T6_T7_T9_mT8_P12ihipStream_tbDpT10_ENKUlT_T0_E_clISt17integral_constantIbLb1EES1A_IbLb0EEEEDaS16_S17_EUlS16_E_NS1_11comp_targetILNS1_3genE2ELNS1_11target_archE906ELNS1_3gpuE6ELNS1_3repE0EEENS1_30default_config_static_selectorELNS0_4arch9wavefront6targetE0EEEvT1_.kd
    .uniform_work_group_size: 1
    .uses_dynamic_stack: false
    .vgpr_count:     0
    .vgpr_spill_count: 0
    .wavefront_size: 32
    .workgroup_processor_mode: 1
  - .args:
      - .offset:         0
        .size:           120
        .value_kind:     by_value
    .group_segment_fixed_size: 0
    .kernarg_segment_align: 8
    .kernarg_segment_size: 120
    .language:       OpenCL C
    .language_version:
      - 2
      - 0
    .max_flat_workgroup_size: 256
    .name:           _ZN7rocprim17ROCPRIM_400000_NS6detail17trampoline_kernelINS0_14default_configENS1_25partition_config_selectorILNS1_17partition_subalgoE5ElNS0_10empty_typeEbEEZZNS1_14partition_implILS5_5ELb0ES3_mN6hipcub16HIPCUB_304000_NS21CountingInputIteratorIllEEPS6_NSA_22TransformInputIteratorIbN2at6native12_GLOBAL__N_19NonZeroOpIdEEPKdlEENS0_5tupleIJPlS6_EEENSN_IJSD_SD_EEES6_PiJS6_EEE10hipError_tPvRmT3_T4_T5_T6_T7_T9_mT8_P12ihipStream_tbDpT10_ENKUlT_T0_E_clISt17integral_constantIbLb1EES1A_IbLb0EEEEDaS16_S17_EUlS16_E_NS1_11comp_targetILNS1_3genE10ELNS1_11target_archE1200ELNS1_3gpuE4ELNS1_3repE0EEENS1_30default_config_static_selectorELNS0_4arch9wavefront6targetE0EEEvT1_
    .private_segment_fixed_size: 0
    .sgpr_count:     0
    .sgpr_spill_count: 0
    .symbol:         _ZN7rocprim17ROCPRIM_400000_NS6detail17trampoline_kernelINS0_14default_configENS1_25partition_config_selectorILNS1_17partition_subalgoE5ElNS0_10empty_typeEbEEZZNS1_14partition_implILS5_5ELb0ES3_mN6hipcub16HIPCUB_304000_NS21CountingInputIteratorIllEEPS6_NSA_22TransformInputIteratorIbN2at6native12_GLOBAL__N_19NonZeroOpIdEEPKdlEENS0_5tupleIJPlS6_EEENSN_IJSD_SD_EEES6_PiJS6_EEE10hipError_tPvRmT3_T4_T5_T6_T7_T9_mT8_P12ihipStream_tbDpT10_ENKUlT_T0_E_clISt17integral_constantIbLb1EES1A_IbLb0EEEEDaS16_S17_EUlS16_E_NS1_11comp_targetILNS1_3genE10ELNS1_11target_archE1200ELNS1_3gpuE4ELNS1_3repE0EEENS1_30default_config_static_selectorELNS0_4arch9wavefront6targetE0EEEvT1_.kd
    .uniform_work_group_size: 1
    .uses_dynamic_stack: false
    .vgpr_count:     0
    .vgpr_spill_count: 0
    .wavefront_size: 32
    .workgroup_processor_mode: 1
  - .args:
      - .offset:         0
        .size:           120
        .value_kind:     by_value
    .group_segment_fixed_size: 0
    .kernarg_segment_align: 8
    .kernarg_segment_size: 120
    .language:       OpenCL C
    .language_version:
      - 2
      - 0
    .max_flat_workgroup_size: 128
    .name:           _ZN7rocprim17ROCPRIM_400000_NS6detail17trampoline_kernelINS0_14default_configENS1_25partition_config_selectorILNS1_17partition_subalgoE5ElNS0_10empty_typeEbEEZZNS1_14partition_implILS5_5ELb0ES3_mN6hipcub16HIPCUB_304000_NS21CountingInputIteratorIllEEPS6_NSA_22TransformInputIteratorIbN2at6native12_GLOBAL__N_19NonZeroOpIdEEPKdlEENS0_5tupleIJPlS6_EEENSN_IJSD_SD_EEES6_PiJS6_EEE10hipError_tPvRmT3_T4_T5_T6_T7_T9_mT8_P12ihipStream_tbDpT10_ENKUlT_T0_E_clISt17integral_constantIbLb1EES1A_IbLb0EEEEDaS16_S17_EUlS16_E_NS1_11comp_targetILNS1_3genE9ELNS1_11target_archE1100ELNS1_3gpuE3ELNS1_3repE0EEENS1_30default_config_static_selectorELNS0_4arch9wavefront6targetE0EEEvT1_
    .private_segment_fixed_size: 0
    .sgpr_count:     0
    .sgpr_spill_count: 0
    .symbol:         _ZN7rocprim17ROCPRIM_400000_NS6detail17trampoline_kernelINS0_14default_configENS1_25partition_config_selectorILNS1_17partition_subalgoE5ElNS0_10empty_typeEbEEZZNS1_14partition_implILS5_5ELb0ES3_mN6hipcub16HIPCUB_304000_NS21CountingInputIteratorIllEEPS6_NSA_22TransformInputIteratorIbN2at6native12_GLOBAL__N_19NonZeroOpIdEEPKdlEENS0_5tupleIJPlS6_EEENSN_IJSD_SD_EEES6_PiJS6_EEE10hipError_tPvRmT3_T4_T5_T6_T7_T9_mT8_P12ihipStream_tbDpT10_ENKUlT_T0_E_clISt17integral_constantIbLb1EES1A_IbLb0EEEEDaS16_S17_EUlS16_E_NS1_11comp_targetILNS1_3genE9ELNS1_11target_archE1100ELNS1_3gpuE3ELNS1_3repE0EEENS1_30default_config_static_selectorELNS0_4arch9wavefront6targetE0EEEvT1_.kd
    .uniform_work_group_size: 1
    .uses_dynamic_stack: false
    .vgpr_count:     0
    .vgpr_spill_count: 0
    .wavefront_size: 32
    .workgroup_processor_mode: 1
  - .args:
      - .offset:         0
        .size:           120
        .value_kind:     by_value
    .group_segment_fixed_size: 0
    .kernarg_segment_align: 8
    .kernarg_segment_size: 120
    .language:       OpenCL C
    .language_version:
      - 2
      - 0
    .max_flat_workgroup_size: 512
    .name:           _ZN7rocprim17ROCPRIM_400000_NS6detail17trampoline_kernelINS0_14default_configENS1_25partition_config_selectorILNS1_17partition_subalgoE5ElNS0_10empty_typeEbEEZZNS1_14partition_implILS5_5ELb0ES3_mN6hipcub16HIPCUB_304000_NS21CountingInputIteratorIllEEPS6_NSA_22TransformInputIteratorIbN2at6native12_GLOBAL__N_19NonZeroOpIdEEPKdlEENS0_5tupleIJPlS6_EEENSN_IJSD_SD_EEES6_PiJS6_EEE10hipError_tPvRmT3_T4_T5_T6_T7_T9_mT8_P12ihipStream_tbDpT10_ENKUlT_T0_E_clISt17integral_constantIbLb1EES1A_IbLb0EEEEDaS16_S17_EUlS16_E_NS1_11comp_targetILNS1_3genE8ELNS1_11target_archE1030ELNS1_3gpuE2ELNS1_3repE0EEENS1_30default_config_static_selectorELNS0_4arch9wavefront6targetE0EEEvT1_
    .private_segment_fixed_size: 0
    .sgpr_count:     0
    .sgpr_spill_count: 0
    .symbol:         _ZN7rocprim17ROCPRIM_400000_NS6detail17trampoline_kernelINS0_14default_configENS1_25partition_config_selectorILNS1_17partition_subalgoE5ElNS0_10empty_typeEbEEZZNS1_14partition_implILS5_5ELb0ES3_mN6hipcub16HIPCUB_304000_NS21CountingInputIteratorIllEEPS6_NSA_22TransformInputIteratorIbN2at6native12_GLOBAL__N_19NonZeroOpIdEEPKdlEENS0_5tupleIJPlS6_EEENSN_IJSD_SD_EEES6_PiJS6_EEE10hipError_tPvRmT3_T4_T5_T6_T7_T9_mT8_P12ihipStream_tbDpT10_ENKUlT_T0_E_clISt17integral_constantIbLb1EES1A_IbLb0EEEEDaS16_S17_EUlS16_E_NS1_11comp_targetILNS1_3genE8ELNS1_11target_archE1030ELNS1_3gpuE2ELNS1_3repE0EEENS1_30default_config_static_selectorELNS0_4arch9wavefront6targetE0EEEvT1_.kd
    .uniform_work_group_size: 1
    .uses_dynamic_stack: false
    .vgpr_count:     0
    .vgpr_spill_count: 0
    .wavefront_size: 32
    .workgroup_processor_mode: 1
  - .args:
      - .offset:         0
        .size:           136
        .value_kind:     by_value
    .group_segment_fixed_size: 0
    .kernarg_segment_align: 8
    .kernarg_segment_size: 136
    .language:       OpenCL C
    .language_version:
      - 2
      - 0
    .max_flat_workgroup_size: 128
    .name:           _ZN7rocprim17ROCPRIM_400000_NS6detail17trampoline_kernelINS0_14default_configENS1_25partition_config_selectorILNS1_17partition_subalgoE5ElNS0_10empty_typeEbEEZZNS1_14partition_implILS5_5ELb0ES3_mN6hipcub16HIPCUB_304000_NS21CountingInputIteratorIllEEPS6_NSA_22TransformInputIteratorIbN2at6native12_GLOBAL__N_19NonZeroOpIdEEPKdlEENS0_5tupleIJPlS6_EEENSN_IJSD_SD_EEES6_PiJS6_EEE10hipError_tPvRmT3_T4_T5_T6_T7_T9_mT8_P12ihipStream_tbDpT10_ENKUlT_T0_E_clISt17integral_constantIbLb0EES1A_IbLb1EEEEDaS16_S17_EUlS16_E_NS1_11comp_targetILNS1_3genE0ELNS1_11target_archE4294967295ELNS1_3gpuE0ELNS1_3repE0EEENS1_30default_config_static_selectorELNS0_4arch9wavefront6targetE0EEEvT1_
    .private_segment_fixed_size: 0
    .sgpr_count:     0
    .sgpr_spill_count: 0
    .symbol:         _ZN7rocprim17ROCPRIM_400000_NS6detail17trampoline_kernelINS0_14default_configENS1_25partition_config_selectorILNS1_17partition_subalgoE5ElNS0_10empty_typeEbEEZZNS1_14partition_implILS5_5ELb0ES3_mN6hipcub16HIPCUB_304000_NS21CountingInputIteratorIllEEPS6_NSA_22TransformInputIteratorIbN2at6native12_GLOBAL__N_19NonZeroOpIdEEPKdlEENS0_5tupleIJPlS6_EEENSN_IJSD_SD_EEES6_PiJS6_EEE10hipError_tPvRmT3_T4_T5_T6_T7_T9_mT8_P12ihipStream_tbDpT10_ENKUlT_T0_E_clISt17integral_constantIbLb0EES1A_IbLb1EEEEDaS16_S17_EUlS16_E_NS1_11comp_targetILNS1_3genE0ELNS1_11target_archE4294967295ELNS1_3gpuE0ELNS1_3repE0EEENS1_30default_config_static_selectorELNS0_4arch9wavefront6targetE0EEEvT1_.kd
    .uniform_work_group_size: 1
    .uses_dynamic_stack: false
    .vgpr_count:     0
    .vgpr_spill_count: 0
    .wavefront_size: 32
    .workgroup_processor_mode: 1
  - .args:
      - .offset:         0
        .size:           136
        .value_kind:     by_value
    .group_segment_fixed_size: 0
    .kernarg_segment_align: 8
    .kernarg_segment_size: 136
    .language:       OpenCL C
    .language_version:
      - 2
      - 0
    .max_flat_workgroup_size: 512
    .name:           _ZN7rocprim17ROCPRIM_400000_NS6detail17trampoline_kernelINS0_14default_configENS1_25partition_config_selectorILNS1_17partition_subalgoE5ElNS0_10empty_typeEbEEZZNS1_14partition_implILS5_5ELb0ES3_mN6hipcub16HIPCUB_304000_NS21CountingInputIteratorIllEEPS6_NSA_22TransformInputIteratorIbN2at6native12_GLOBAL__N_19NonZeroOpIdEEPKdlEENS0_5tupleIJPlS6_EEENSN_IJSD_SD_EEES6_PiJS6_EEE10hipError_tPvRmT3_T4_T5_T6_T7_T9_mT8_P12ihipStream_tbDpT10_ENKUlT_T0_E_clISt17integral_constantIbLb0EES1A_IbLb1EEEEDaS16_S17_EUlS16_E_NS1_11comp_targetILNS1_3genE5ELNS1_11target_archE942ELNS1_3gpuE9ELNS1_3repE0EEENS1_30default_config_static_selectorELNS0_4arch9wavefront6targetE0EEEvT1_
    .private_segment_fixed_size: 0
    .sgpr_count:     0
    .sgpr_spill_count: 0
    .symbol:         _ZN7rocprim17ROCPRIM_400000_NS6detail17trampoline_kernelINS0_14default_configENS1_25partition_config_selectorILNS1_17partition_subalgoE5ElNS0_10empty_typeEbEEZZNS1_14partition_implILS5_5ELb0ES3_mN6hipcub16HIPCUB_304000_NS21CountingInputIteratorIllEEPS6_NSA_22TransformInputIteratorIbN2at6native12_GLOBAL__N_19NonZeroOpIdEEPKdlEENS0_5tupleIJPlS6_EEENSN_IJSD_SD_EEES6_PiJS6_EEE10hipError_tPvRmT3_T4_T5_T6_T7_T9_mT8_P12ihipStream_tbDpT10_ENKUlT_T0_E_clISt17integral_constantIbLb0EES1A_IbLb1EEEEDaS16_S17_EUlS16_E_NS1_11comp_targetILNS1_3genE5ELNS1_11target_archE942ELNS1_3gpuE9ELNS1_3repE0EEENS1_30default_config_static_selectorELNS0_4arch9wavefront6targetE0EEEvT1_.kd
    .uniform_work_group_size: 1
    .uses_dynamic_stack: false
    .vgpr_count:     0
    .vgpr_spill_count: 0
    .wavefront_size: 32
    .workgroup_processor_mode: 1
  - .args:
      - .offset:         0
        .size:           136
        .value_kind:     by_value
    .group_segment_fixed_size: 0
    .kernarg_segment_align: 8
    .kernarg_segment_size: 136
    .language:       OpenCL C
    .language_version:
      - 2
      - 0
    .max_flat_workgroup_size: 192
    .name:           _ZN7rocprim17ROCPRIM_400000_NS6detail17trampoline_kernelINS0_14default_configENS1_25partition_config_selectorILNS1_17partition_subalgoE5ElNS0_10empty_typeEbEEZZNS1_14partition_implILS5_5ELb0ES3_mN6hipcub16HIPCUB_304000_NS21CountingInputIteratorIllEEPS6_NSA_22TransformInputIteratorIbN2at6native12_GLOBAL__N_19NonZeroOpIdEEPKdlEENS0_5tupleIJPlS6_EEENSN_IJSD_SD_EEES6_PiJS6_EEE10hipError_tPvRmT3_T4_T5_T6_T7_T9_mT8_P12ihipStream_tbDpT10_ENKUlT_T0_E_clISt17integral_constantIbLb0EES1A_IbLb1EEEEDaS16_S17_EUlS16_E_NS1_11comp_targetILNS1_3genE4ELNS1_11target_archE910ELNS1_3gpuE8ELNS1_3repE0EEENS1_30default_config_static_selectorELNS0_4arch9wavefront6targetE0EEEvT1_
    .private_segment_fixed_size: 0
    .sgpr_count:     0
    .sgpr_spill_count: 0
    .symbol:         _ZN7rocprim17ROCPRIM_400000_NS6detail17trampoline_kernelINS0_14default_configENS1_25partition_config_selectorILNS1_17partition_subalgoE5ElNS0_10empty_typeEbEEZZNS1_14partition_implILS5_5ELb0ES3_mN6hipcub16HIPCUB_304000_NS21CountingInputIteratorIllEEPS6_NSA_22TransformInputIteratorIbN2at6native12_GLOBAL__N_19NonZeroOpIdEEPKdlEENS0_5tupleIJPlS6_EEENSN_IJSD_SD_EEES6_PiJS6_EEE10hipError_tPvRmT3_T4_T5_T6_T7_T9_mT8_P12ihipStream_tbDpT10_ENKUlT_T0_E_clISt17integral_constantIbLb0EES1A_IbLb1EEEEDaS16_S17_EUlS16_E_NS1_11comp_targetILNS1_3genE4ELNS1_11target_archE910ELNS1_3gpuE8ELNS1_3repE0EEENS1_30default_config_static_selectorELNS0_4arch9wavefront6targetE0EEEvT1_.kd
    .uniform_work_group_size: 1
    .uses_dynamic_stack: false
    .vgpr_count:     0
    .vgpr_spill_count: 0
    .wavefront_size: 32
    .workgroup_processor_mode: 1
  - .args:
      - .offset:         0
        .size:           136
        .value_kind:     by_value
    .group_segment_fixed_size: 0
    .kernarg_segment_align: 8
    .kernarg_segment_size: 136
    .language:       OpenCL C
    .language_version:
      - 2
      - 0
    .max_flat_workgroup_size: 128
    .name:           _ZN7rocprim17ROCPRIM_400000_NS6detail17trampoline_kernelINS0_14default_configENS1_25partition_config_selectorILNS1_17partition_subalgoE5ElNS0_10empty_typeEbEEZZNS1_14partition_implILS5_5ELb0ES3_mN6hipcub16HIPCUB_304000_NS21CountingInputIteratorIllEEPS6_NSA_22TransformInputIteratorIbN2at6native12_GLOBAL__N_19NonZeroOpIdEEPKdlEENS0_5tupleIJPlS6_EEENSN_IJSD_SD_EEES6_PiJS6_EEE10hipError_tPvRmT3_T4_T5_T6_T7_T9_mT8_P12ihipStream_tbDpT10_ENKUlT_T0_E_clISt17integral_constantIbLb0EES1A_IbLb1EEEEDaS16_S17_EUlS16_E_NS1_11comp_targetILNS1_3genE3ELNS1_11target_archE908ELNS1_3gpuE7ELNS1_3repE0EEENS1_30default_config_static_selectorELNS0_4arch9wavefront6targetE0EEEvT1_
    .private_segment_fixed_size: 0
    .sgpr_count:     0
    .sgpr_spill_count: 0
    .symbol:         _ZN7rocprim17ROCPRIM_400000_NS6detail17trampoline_kernelINS0_14default_configENS1_25partition_config_selectorILNS1_17partition_subalgoE5ElNS0_10empty_typeEbEEZZNS1_14partition_implILS5_5ELb0ES3_mN6hipcub16HIPCUB_304000_NS21CountingInputIteratorIllEEPS6_NSA_22TransformInputIteratorIbN2at6native12_GLOBAL__N_19NonZeroOpIdEEPKdlEENS0_5tupleIJPlS6_EEENSN_IJSD_SD_EEES6_PiJS6_EEE10hipError_tPvRmT3_T4_T5_T6_T7_T9_mT8_P12ihipStream_tbDpT10_ENKUlT_T0_E_clISt17integral_constantIbLb0EES1A_IbLb1EEEEDaS16_S17_EUlS16_E_NS1_11comp_targetILNS1_3genE3ELNS1_11target_archE908ELNS1_3gpuE7ELNS1_3repE0EEENS1_30default_config_static_selectorELNS0_4arch9wavefront6targetE0EEEvT1_.kd
    .uniform_work_group_size: 1
    .uses_dynamic_stack: false
    .vgpr_count:     0
    .vgpr_spill_count: 0
    .wavefront_size: 32
    .workgroup_processor_mode: 1
  - .args:
      - .offset:         0
        .size:           136
        .value_kind:     by_value
    .group_segment_fixed_size: 0
    .kernarg_segment_align: 8
    .kernarg_segment_size: 136
    .language:       OpenCL C
    .language_version:
      - 2
      - 0
    .max_flat_workgroup_size: 256
    .name:           _ZN7rocprim17ROCPRIM_400000_NS6detail17trampoline_kernelINS0_14default_configENS1_25partition_config_selectorILNS1_17partition_subalgoE5ElNS0_10empty_typeEbEEZZNS1_14partition_implILS5_5ELb0ES3_mN6hipcub16HIPCUB_304000_NS21CountingInputIteratorIllEEPS6_NSA_22TransformInputIteratorIbN2at6native12_GLOBAL__N_19NonZeroOpIdEEPKdlEENS0_5tupleIJPlS6_EEENSN_IJSD_SD_EEES6_PiJS6_EEE10hipError_tPvRmT3_T4_T5_T6_T7_T9_mT8_P12ihipStream_tbDpT10_ENKUlT_T0_E_clISt17integral_constantIbLb0EES1A_IbLb1EEEEDaS16_S17_EUlS16_E_NS1_11comp_targetILNS1_3genE2ELNS1_11target_archE906ELNS1_3gpuE6ELNS1_3repE0EEENS1_30default_config_static_selectorELNS0_4arch9wavefront6targetE0EEEvT1_
    .private_segment_fixed_size: 0
    .sgpr_count:     0
    .sgpr_spill_count: 0
    .symbol:         _ZN7rocprim17ROCPRIM_400000_NS6detail17trampoline_kernelINS0_14default_configENS1_25partition_config_selectorILNS1_17partition_subalgoE5ElNS0_10empty_typeEbEEZZNS1_14partition_implILS5_5ELb0ES3_mN6hipcub16HIPCUB_304000_NS21CountingInputIteratorIllEEPS6_NSA_22TransformInputIteratorIbN2at6native12_GLOBAL__N_19NonZeroOpIdEEPKdlEENS0_5tupleIJPlS6_EEENSN_IJSD_SD_EEES6_PiJS6_EEE10hipError_tPvRmT3_T4_T5_T6_T7_T9_mT8_P12ihipStream_tbDpT10_ENKUlT_T0_E_clISt17integral_constantIbLb0EES1A_IbLb1EEEEDaS16_S17_EUlS16_E_NS1_11comp_targetILNS1_3genE2ELNS1_11target_archE906ELNS1_3gpuE6ELNS1_3repE0EEENS1_30default_config_static_selectorELNS0_4arch9wavefront6targetE0EEEvT1_.kd
    .uniform_work_group_size: 1
    .uses_dynamic_stack: false
    .vgpr_count:     0
    .vgpr_spill_count: 0
    .wavefront_size: 32
    .workgroup_processor_mode: 1
  - .args:
      - .offset:         0
        .size:           136
        .value_kind:     by_value
    .group_segment_fixed_size: 8464
    .kernarg_segment_align: 8
    .kernarg_segment_size: 136
    .language:       OpenCL C
    .language_version:
      - 2
      - 0
    .max_flat_workgroup_size: 256
    .name:           _ZN7rocprim17ROCPRIM_400000_NS6detail17trampoline_kernelINS0_14default_configENS1_25partition_config_selectorILNS1_17partition_subalgoE5ElNS0_10empty_typeEbEEZZNS1_14partition_implILS5_5ELb0ES3_mN6hipcub16HIPCUB_304000_NS21CountingInputIteratorIllEEPS6_NSA_22TransformInputIteratorIbN2at6native12_GLOBAL__N_19NonZeroOpIdEEPKdlEENS0_5tupleIJPlS6_EEENSN_IJSD_SD_EEES6_PiJS6_EEE10hipError_tPvRmT3_T4_T5_T6_T7_T9_mT8_P12ihipStream_tbDpT10_ENKUlT_T0_E_clISt17integral_constantIbLb0EES1A_IbLb1EEEEDaS16_S17_EUlS16_E_NS1_11comp_targetILNS1_3genE10ELNS1_11target_archE1200ELNS1_3gpuE4ELNS1_3repE0EEENS1_30default_config_static_selectorELNS0_4arch9wavefront6targetE0EEEvT1_
    .private_segment_fixed_size: 0
    .sgpr_count:     26
    .sgpr_spill_count: 0
    .symbol:         _ZN7rocprim17ROCPRIM_400000_NS6detail17trampoline_kernelINS0_14default_configENS1_25partition_config_selectorILNS1_17partition_subalgoE5ElNS0_10empty_typeEbEEZZNS1_14partition_implILS5_5ELb0ES3_mN6hipcub16HIPCUB_304000_NS21CountingInputIteratorIllEEPS6_NSA_22TransformInputIteratorIbN2at6native12_GLOBAL__N_19NonZeroOpIdEEPKdlEENS0_5tupleIJPlS6_EEENSN_IJSD_SD_EEES6_PiJS6_EEE10hipError_tPvRmT3_T4_T5_T6_T7_T9_mT8_P12ihipStream_tbDpT10_ENKUlT_T0_E_clISt17integral_constantIbLb0EES1A_IbLb1EEEEDaS16_S17_EUlS16_E_NS1_11comp_targetILNS1_3genE10ELNS1_11target_archE1200ELNS1_3gpuE4ELNS1_3repE0EEENS1_30default_config_static_selectorELNS0_4arch9wavefront6targetE0EEEvT1_.kd
    .uniform_work_group_size: 1
    .uses_dynamic_stack: false
    .vgpr_count:     48
    .vgpr_spill_count: 0
    .wavefront_size: 32
    .workgroup_processor_mode: 1
  - .args:
      - .offset:         0
        .size:           136
        .value_kind:     by_value
    .group_segment_fixed_size: 0
    .kernarg_segment_align: 8
    .kernarg_segment_size: 136
    .language:       OpenCL C
    .language_version:
      - 2
      - 0
    .max_flat_workgroup_size: 128
    .name:           _ZN7rocprim17ROCPRIM_400000_NS6detail17trampoline_kernelINS0_14default_configENS1_25partition_config_selectorILNS1_17partition_subalgoE5ElNS0_10empty_typeEbEEZZNS1_14partition_implILS5_5ELb0ES3_mN6hipcub16HIPCUB_304000_NS21CountingInputIteratorIllEEPS6_NSA_22TransformInputIteratorIbN2at6native12_GLOBAL__N_19NonZeroOpIdEEPKdlEENS0_5tupleIJPlS6_EEENSN_IJSD_SD_EEES6_PiJS6_EEE10hipError_tPvRmT3_T4_T5_T6_T7_T9_mT8_P12ihipStream_tbDpT10_ENKUlT_T0_E_clISt17integral_constantIbLb0EES1A_IbLb1EEEEDaS16_S17_EUlS16_E_NS1_11comp_targetILNS1_3genE9ELNS1_11target_archE1100ELNS1_3gpuE3ELNS1_3repE0EEENS1_30default_config_static_selectorELNS0_4arch9wavefront6targetE0EEEvT1_
    .private_segment_fixed_size: 0
    .sgpr_count:     0
    .sgpr_spill_count: 0
    .symbol:         _ZN7rocprim17ROCPRIM_400000_NS6detail17trampoline_kernelINS0_14default_configENS1_25partition_config_selectorILNS1_17partition_subalgoE5ElNS0_10empty_typeEbEEZZNS1_14partition_implILS5_5ELb0ES3_mN6hipcub16HIPCUB_304000_NS21CountingInputIteratorIllEEPS6_NSA_22TransformInputIteratorIbN2at6native12_GLOBAL__N_19NonZeroOpIdEEPKdlEENS0_5tupleIJPlS6_EEENSN_IJSD_SD_EEES6_PiJS6_EEE10hipError_tPvRmT3_T4_T5_T6_T7_T9_mT8_P12ihipStream_tbDpT10_ENKUlT_T0_E_clISt17integral_constantIbLb0EES1A_IbLb1EEEEDaS16_S17_EUlS16_E_NS1_11comp_targetILNS1_3genE9ELNS1_11target_archE1100ELNS1_3gpuE3ELNS1_3repE0EEENS1_30default_config_static_selectorELNS0_4arch9wavefront6targetE0EEEvT1_.kd
    .uniform_work_group_size: 1
    .uses_dynamic_stack: false
    .vgpr_count:     0
    .vgpr_spill_count: 0
    .wavefront_size: 32
    .workgroup_processor_mode: 1
  - .args:
      - .offset:         0
        .size:           136
        .value_kind:     by_value
    .group_segment_fixed_size: 0
    .kernarg_segment_align: 8
    .kernarg_segment_size: 136
    .language:       OpenCL C
    .language_version:
      - 2
      - 0
    .max_flat_workgroup_size: 512
    .name:           _ZN7rocprim17ROCPRIM_400000_NS6detail17trampoline_kernelINS0_14default_configENS1_25partition_config_selectorILNS1_17partition_subalgoE5ElNS0_10empty_typeEbEEZZNS1_14partition_implILS5_5ELb0ES3_mN6hipcub16HIPCUB_304000_NS21CountingInputIteratorIllEEPS6_NSA_22TransformInputIteratorIbN2at6native12_GLOBAL__N_19NonZeroOpIdEEPKdlEENS0_5tupleIJPlS6_EEENSN_IJSD_SD_EEES6_PiJS6_EEE10hipError_tPvRmT3_T4_T5_T6_T7_T9_mT8_P12ihipStream_tbDpT10_ENKUlT_T0_E_clISt17integral_constantIbLb0EES1A_IbLb1EEEEDaS16_S17_EUlS16_E_NS1_11comp_targetILNS1_3genE8ELNS1_11target_archE1030ELNS1_3gpuE2ELNS1_3repE0EEENS1_30default_config_static_selectorELNS0_4arch9wavefront6targetE0EEEvT1_
    .private_segment_fixed_size: 0
    .sgpr_count:     0
    .sgpr_spill_count: 0
    .symbol:         _ZN7rocprim17ROCPRIM_400000_NS6detail17trampoline_kernelINS0_14default_configENS1_25partition_config_selectorILNS1_17partition_subalgoE5ElNS0_10empty_typeEbEEZZNS1_14partition_implILS5_5ELb0ES3_mN6hipcub16HIPCUB_304000_NS21CountingInputIteratorIllEEPS6_NSA_22TransformInputIteratorIbN2at6native12_GLOBAL__N_19NonZeroOpIdEEPKdlEENS0_5tupleIJPlS6_EEENSN_IJSD_SD_EEES6_PiJS6_EEE10hipError_tPvRmT3_T4_T5_T6_T7_T9_mT8_P12ihipStream_tbDpT10_ENKUlT_T0_E_clISt17integral_constantIbLb0EES1A_IbLb1EEEEDaS16_S17_EUlS16_E_NS1_11comp_targetILNS1_3genE8ELNS1_11target_archE1030ELNS1_3gpuE2ELNS1_3repE0EEENS1_30default_config_static_selectorELNS0_4arch9wavefront6targetE0EEEvT1_.kd
    .uniform_work_group_size: 1
    .uses_dynamic_stack: false
    .vgpr_count:     0
    .vgpr_spill_count: 0
    .wavefront_size: 32
    .workgroup_processor_mode: 1
  - .args:
      - .offset:         0
        .size:           56
        .value_kind:     by_value
    .group_segment_fixed_size: 0
    .kernarg_segment_align: 8
    .kernarg_segment_size: 56
    .language:       OpenCL C
    .language_version:
      - 2
      - 0
    .max_flat_workgroup_size: 256
    .name:           _ZN7rocprim17ROCPRIM_400000_NS6detail17trampoline_kernelINS0_14default_configENS1_22reduce_config_selectorIiEEZNS1_11reduce_implILb1ES3_PiS7_iN6hipcub16HIPCUB_304000_NS6detail34convert_binary_result_type_wrapperINS9_3SumENS9_22TransformInputIteratorIbN2at6native12_GLOBAL__N_19NonZeroOpIfEEPKflEEiEEEE10hipError_tPvRmT1_T2_T3_mT4_P12ihipStream_tbEUlT_E0_NS1_11comp_targetILNS1_3genE0ELNS1_11target_archE4294967295ELNS1_3gpuE0ELNS1_3repE0EEENS1_30default_config_static_selectorELNS0_4arch9wavefront6targetE0EEEvSQ_
    .private_segment_fixed_size: 0
    .sgpr_count:     0
    .sgpr_spill_count: 0
    .symbol:         _ZN7rocprim17ROCPRIM_400000_NS6detail17trampoline_kernelINS0_14default_configENS1_22reduce_config_selectorIiEEZNS1_11reduce_implILb1ES3_PiS7_iN6hipcub16HIPCUB_304000_NS6detail34convert_binary_result_type_wrapperINS9_3SumENS9_22TransformInputIteratorIbN2at6native12_GLOBAL__N_19NonZeroOpIfEEPKflEEiEEEE10hipError_tPvRmT1_T2_T3_mT4_P12ihipStream_tbEUlT_E0_NS1_11comp_targetILNS1_3genE0ELNS1_11target_archE4294967295ELNS1_3gpuE0ELNS1_3repE0EEENS1_30default_config_static_selectorELNS0_4arch9wavefront6targetE0EEEvSQ_.kd
    .uniform_work_group_size: 1
    .uses_dynamic_stack: false
    .vgpr_count:     0
    .vgpr_spill_count: 0
    .wavefront_size: 32
    .workgroup_processor_mode: 1
  - .args:
      - .offset:         0
        .size:           56
        .value_kind:     by_value
    .group_segment_fixed_size: 0
    .kernarg_segment_align: 8
    .kernarg_segment_size: 56
    .language:       OpenCL C
    .language_version:
      - 2
      - 0
    .max_flat_workgroup_size: 256
    .name:           _ZN7rocprim17ROCPRIM_400000_NS6detail17trampoline_kernelINS0_14default_configENS1_22reduce_config_selectorIiEEZNS1_11reduce_implILb1ES3_PiS7_iN6hipcub16HIPCUB_304000_NS6detail34convert_binary_result_type_wrapperINS9_3SumENS9_22TransformInputIteratorIbN2at6native12_GLOBAL__N_19NonZeroOpIfEEPKflEEiEEEE10hipError_tPvRmT1_T2_T3_mT4_P12ihipStream_tbEUlT_E0_NS1_11comp_targetILNS1_3genE5ELNS1_11target_archE942ELNS1_3gpuE9ELNS1_3repE0EEENS1_30default_config_static_selectorELNS0_4arch9wavefront6targetE0EEEvSQ_
    .private_segment_fixed_size: 0
    .sgpr_count:     0
    .sgpr_spill_count: 0
    .symbol:         _ZN7rocprim17ROCPRIM_400000_NS6detail17trampoline_kernelINS0_14default_configENS1_22reduce_config_selectorIiEEZNS1_11reduce_implILb1ES3_PiS7_iN6hipcub16HIPCUB_304000_NS6detail34convert_binary_result_type_wrapperINS9_3SumENS9_22TransformInputIteratorIbN2at6native12_GLOBAL__N_19NonZeroOpIfEEPKflEEiEEEE10hipError_tPvRmT1_T2_T3_mT4_P12ihipStream_tbEUlT_E0_NS1_11comp_targetILNS1_3genE5ELNS1_11target_archE942ELNS1_3gpuE9ELNS1_3repE0EEENS1_30default_config_static_selectorELNS0_4arch9wavefront6targetE0EEEvSQ_.kd
    .uniform_work_group_size: 1
    .uses_dynamic_stack: false
    .vgpr_count:     0
    .vgpr_spill_count: 0
    .wavefront_size: 32
    .workgroup_processor_mode: 1
  - .args:
      - .offset:         0
        .size:           56
        .value_kind:     by_value
    .group_segment_fixed_size: 0
    .kernarg_segment_align: 8
    .kernarg_segment_size: 56
    .language:       OpenCL C
    .language_version:
      - 2
      - 0
    .max_flat_workgroup_size: 128
    .name:           _ZN7rocprim17ROCPRIM_400000_NS6detail17trampoline_kernelINS0_14default_configENS1_22reduce_config_selectorIiEEZNS1_11reduce_implILb1ES3_PiS7_iN6hipcub16HIPCUB_304000_NS6detail34convert_binary_result_type_wrapperINS9_3SumENS9_22TransformInputIteratorIbN2at6native12_GLOBAL__N_19NonZeroOpIfEEPKflEEiEEEE10hipError_tPvRmT1_T2_T3_mT4_P12ihipStream_tbEUlT_E0_NS1_11comp_targetILNS1_3genE4ELNS1_11target_archE910ELNS1_3gpuE8ELNS1_3repE0EEENS1_30default_config_static_selectorELNS0_4arch9wavefront6targetE0EEEvSQ_
    .private_segment_fixed_size: 0
    .sgpr_count:     0
    .sgpr_spill_count: 0
    .symbol:         _ZN7rocprim17ROCPRIM_400000_NS6detail17trampoline_kernelINS0_14default_configENS1_22reduce_config_selectorIiEEZNS1_11reduce_implILb1ES3_PiS7_iN6hipcub16HIPCUB_304000_NS6detail34convert_binary_result_type_wrapperINS9_3SumENS9_22TransformInputIteratorIbN2at6native12_GLOBAL__N_19NonZeroOpIfEEPKflEEiEEEE10hipError_tPvRmT1_T2_T3_mT4_P12ihipStream_tbEUlT_E0_NS1_11comp_targetILNS1_3genE4ELNS1_11target_archE910ELNS1_3gpuE8ELNS1_3repE0EEENS1_30default_config_static_selectorELNS0_4arch9wavefront6targetE0EEEvSQ_.kd
    .uniform_work_group_size: 1
    .uses_dynamic_stack: false
    .vgpr_count:     0
    .vgpr_spill_count: 0
    .wavefront_size: 32
    .workgroup_processor_mode: 1
  - .args:
      - .offset:         0
        .size:           56
        .value_kind:     by_value
    .group_segment_fixed_size: 0
    .kernarg_segment_align: 8
    .kernarg_segment_size: 56
    .language:       OpenCL C
    .language_version:
      - 2
      - 0
    .max_flat_workgroup_size: 256
    .name:           _ZN7rocprim17ROCPRIM_400000_NS6detail17trampoline_kernelINS0_14default_configENS1_22reduce_config_selectorIiEEZNS1_11reduce_implILb1ES3_PiS7_iN6hipcub16HIPCUB_304000_NS6detail34convert_binary_result_type_wrapperINS9_3SumENS9_22TransformInputIteratorIbN2at6native12_GLOBAL__N_19NonZeroOpIfEEPKflEEiEEEE10hipError_tPvRmT1_T2_T3_mT4_P12ihipStream_tbEUlT_E0_NS1_11comp_targetILNS1_3genE3ELNS1_11target_archE908ELNS1_3gpuE7ELNS1_3repE0EEENS1_30default_config_static_selectorELNS0_4arch9wavefront6targetE0EEEvSQ_
    .private_segment_fixed_size: 0
    .sgpr_count:     0
    .sgpr_spill_count: 0
    .symbol:         _ZN7rocprim17ROCPRIM_400000_NS6detail17trampoline_kernelINS0_14default_configENS1_22reduce_config_selectorIiEEZNS1_11reduce_implILb1ES3_PiS7_iN6hipcub16HIPCUB_304000_NS6detail34convert_binary_result_type_wrapperINS9_3SumENS9_22TransformInputIteratorIbN2at6native12_GLOBAL__N_19NonZeroOpIfEEPKflEEiEEEE10hipError_tPvRmT1_T2_T3_mT4_P12ihipStream_tbEUlT_E0_NS1_11comp_targetILNS1_3genE3ELNS1_11target_archE908ELNS1_3gpuE7ELNS1_3repE0EEENS1_30default_config_static_selectorELNS0_4arch9wavefront6targetE0EEEvSQ_.kd
    .uniform_work_group_size: 1
    .uses_dynamic_stack: false
    .vgpr_count:     0
    .vgpr_spill_count: 0
    .wavefront_size: 32
    .workgroup_processor_mode: 1
  - .args:
      - .offset:         0
        .size:           56
        .value_kind:     by_value
    .group_segment_fixed_size: 0
    .kernarg_segment_align: 8
    .kernarg_segment_size: 56
    .language:       OpenCL C
    .language_version:
      - 2
      - 0
    .max_flat_workgroup_size: 256
    .name:           _ZN7rocprim17ROCPRIM_400000_NS6detail17trampoline_kernelINS0_14default_configENS1_22reduce_config_selectorIiEEZNS1_11reduce_implILb1ES3_PiS7_iN6hipcub16HIPCUB_304000_NS6detail34convert_binary_result_type_wrapperINS9_3SumENS9_22TransformInputIteratorIbN2at6native12_GLOBAL__N_19NonZeroOpIfEEPKflEEiEEEE10hipError_tPvRmT1_T2_T3_mT4_P12ihipStream_tbEUlT_E0_NS1_11comp_targetILNS1_3genE2ELNS1_11target_archE906ELNS1_3gpuE6ELNS1_3repE0EEENS1_30default_config_static_selectorELNS0_4arch9wavefront6targetE0EEEvSQ_
    .private_segment_fixed_size: 0
    .sgpr_count:     0
    .sgpr_spill_count: 0
    .symbol:         _ZN7rocprim17ROCPRIM_400000_NS6detail17trampoline_kernelINS0_14default_configENS1_22reduce_config_selectorIiEEZNS1_11reduce_implILb1ES3_PiS7_iN6hipcub16HIPCUB_304000_NS6detail34convert_binary_result_type_wrapperINS9_3SumENS9_22TransformInputIteratorIbN2at6native12_GLOBAL__N_19NonZeroOpIfEEPKflEEiEEEE10hipError_tPvRmT1_T2_T3_mT4_P12ihipStream_tbEUlT_E0_NS1_11comp_targetILNS1_3genE2ELNS1_11target_archE906ELNS1_3gpuE6ELNS1_3repE0EEENS1_30default_config_static_selectorELNS0_4arch9wavefront6targetE0EEEvSQ_.kd
    .uniform_work_group_size: 1
    .uses_dynamic_stack: false
    .vgpr_count:     0
    .vgpr_spill_count: 0
    .wavefront_size: 32
    .workgroup_processor_mode: 1
  - .args:
      - .offset:         0
        .size:           56
        .value_kind:     by_value
    .group_segment_fixed_size: 64
    .kernarg_segment_align: 8
    .kernarg_segment_size: 56
    .language:       OpenCL C
    .language_version:
      - 2
      - 0
    .max_flat_workgroup_size: 256
    .name:           _ZN7rocprim17ROCPRIM_400000_NS6detail17trampoline_kernelINS0_14default_configENS1_22reduce_config_selectorIiEEZNS1_11reduce_implILb1ES3_PiS7_iN6hipcub16HIPCUB_304000_NS6detail34convert_binary_result_type_wrapperINS9_3SumENS9_22TransformInputIteratorIbN2at6native12_GLOBAL__N_19NonZeroOpIfEEPKflEEiEEEE10hipError_tPvRmT1_T2_T3_mT4_P12ihipStream_tbEUlT_E0_NS1_11comp_targetILNS1_3genE10ELNS1_11target_archE1201ELNS1_3gpuE5ELNS1_3repE0EEENS1_30default_config_static_selectorELNS0_4arch9wavefront6targetE0EEEvSQ_
    .private_segment_fixed_size: 0
    .sgpr_count:     32
    .sgpr_spill_count: 0
    .symbol:         _ZN7rocprim17ROCPRIM_400000_NS6detail17trampoline_kernelINS0_14default_configENS1_22reduce_config_selectorIiEEZNS1_11reduce_implILb1ES3_PiS7_iN6hipcub16HIPCUB_304000_NS6detail34convert_binary_result_type_wrapperINS9_3SumENS9_22TransformInputIteratorIbN2at6native12_GLOBAL__N_19NonZeroOpIfEEPKflEEiEEEE10hipError_tPvRmT1_T2_T3_mT4_P12ihipStream_tbEUlT_E0_NS1_11comp_targetILNS1_3genE10ELNS1_11target_archE1201ELNS1_3gpuE5ELNS1_3repE0EEENS1_30default_config_static_selectorELNS0_4arch9wavefront6targetE0EEEvSQ_.kd
    .uniform_work_group_size: 1
    .uses_dynamic_stack: false
    .vgpr_count:     20
    .vgpr_spill_count: 0
    .wavefront_size: 32
    .workgroup_processor_mode: 1
  - .args:
      - .offset:         0
        .size:           56
        .value_kind:     by_value
    .group_segment_fixed_size: 0
    .kernarg_segment_align: 8
    .kernarg_segment_size: 56
    .language:       OpenCL C
    .language_version:
      - 2
      - 0
    .max_flat_workgroup_size: 256
    .name:           _ZN7rocprim17ROCPRIM_400000_NS6detail17trampoline_kernelINS0_14default_configENS1_22reduce_config_selectorIiEEZNS1_11reduce_implILb1ES3_PiS7_iN6hipcub16HIPCUB_304000_NS6detail34convert_binary_result_type_wrapperINS9_3SumENS9_22TransformInputIteratorIbN2at6native12_GLOBAL__N_19NonZeroOpIfEEPKflEEiEEEE10hipError_tPvRmT1_T2_T3_mT4_P12ihipStream_tbEUlT_E0_NS1_11comp_targetILNS1_3genE10ELNS1_11target_archE1200ELNS1_3gpuE4ELNS1_3repE0EEENS1_30default_config_static_selectorELNS0_4arch9wavefront6targetE0EEEvSQ_
    .private_segment_fixed_size: 0
    .sgpr_count:     0
    .sgpr_spill_count: 0
    .symbol:         _ZN7rocprim17ROCPRIM_400000_NS6detail17trampoline_kernelINS0_14default_configENS1_22reduce_config_selectorIiEEZNS1_11reduce_implILb1ES3_PiS7_iN6hipcub16HIPCUB_304000_NS6detail34convert_binary_result_type_wrapperINS9_3SumENS9_22TransformInputIteratorIbN2at6native12_GLOBAL__N_19NonZeroOpIfEEPKflEEiEEEE10hipError_tPvRmT1_T2_T3_mT4_P12ihipStream_tbEUlT_E0_NS1_11comp_targetILNS1_3genE10ELNS1_11target_archE1200ELNS1_3gpuE4ELNS1_3repE0EEENS1_30default_config_static_selectorELNS0_4arch9wavefront6targetE0EEEvSQ_.kd
    .uniform_work_group_size: 1
    .uses_dynamic_stack: false
    .vgpr_count:     0
    .vgpr_spill_count: 0
    .wavefront_size: 32
    .workgroup_processor_mode: 1
  - .args:
      - .offset:         0
        .size:           56
        .value_kind:     by_value
    .group_segment_fixed_size: 0
    .kernarg_segment_align: 8
    .kernarg_segment_size: 56
    .language:       OpenCL C
    .language_version:
      - 2
      - 0
    .max_flat_workgroup_size: 256
    .name:           _ZN7rocprim17ROCPRIM_400000_NS6detail17trampoline_kernelINS0_14default_configENS1_22reduce_config_selectorIiEEZNS1_11reduce_implILb1ES3_PiS7_iN6hipcub16HIPCUB_304000_NS6detail34convert_binary_result_type_wrapperINS9_3SumENS9_22TransformInputIteratorIbN2at6native12_GLOBAL__N_19NonZeroOpIfEEPKflEEiEEEE10hipError_tPvRmT1_T2_T3_mT4_P12ihipStream_tbEUlT_E0_NS1_11comp_targetILNS1_3genE9ELNS1_11target_archE1100ELNS1_3gpuE3ELNS1_3repE0EEENS1_30default_config_static_selectorELNS0_4arch9wavefront6targetE0EEEvSQ_
    .private_segment_fixed_size: 0
    .sgpr_count:     0
    .sgpr_spill_count: 0
    .symbol:         _ZN7rocprim17ROCPRIM_400000_NS6detail17trampoline_kernelINS0_14default_configENS1_22reduce_config_selectorIiEEZNS1_11reduce_implILb1ES3_PiS7_iN6hipcub16HIPCUB_304000_NS6detail34convert_binary_result_type_wrapperINS9_3SumENS9_22TransformInputIteratorIbN2at6native12_GLOBAL__N_19NonZeroOpIfEEPKflEEiEEEE10hipError_tPvRmT1_T2_T3_mT4_P12ihipStream_tbEUlT_E0_NS1_11comp_targetILNS1_3genE9ELNS1_11target_archE1100ELNS1_3gpuE3ELNS1_3repE0EEENS1_30default_config_static_selectorELNS0_4arch9wavefront6targetE0EEEvSQ_.kd
    .uniform_work_group_size: 1
    .uses_dynamic_stack: false
    .vgpr_count:     0
    .vgpr_spill_count: 0
    .wavefront_size: 32
    .workgroup_processor_mode: 1
  - .args:
      - .offset:         0
        .size:           56
        .value_kind:     by_value
    .group_segment_fixed_size: 0
    .kernarg_segment_align: 8
    .kernarg_segment_size: 56
    .language:       OpenCL C
    .language_version:
      - 2
      - 0
    .max_flat_workgroup_size: 256
    .name:           _ZN7rocprim17ROCPRIM_400000_NS6detail17trampoline_kernelINS0_14default_configENS1_22reduce_config_selectorIiEEZNS1_11reduce_implILb1ES3_PiS7_iN6hipcub16HIPCUB_304000_NS6detail34convert_binary_result_type_wrapperINS9_3SumENS9_22TransformInputIteratorIbN2at6native12_GLOBAL__N_19NonZeroOpIfEEPKflEEiEEEE10hipError_tPvRmT1_T2_T3_mT4_P12ihipStream_tbEUlT_E0_NS1_11comp_targetILNS1_3genE8ELNS1_11target_archE1030ELNS1_3gpuE2ELNS1_3repE0EEENS1_30default_config_static_selectorELNS0_4arch9wavefront6targetE0EEEvSQ_
    .private_segment_fixed_size: 0
    .sgpr_count:     0
    .sgpr_spill_count: 0
    .symbol:         _ZN7rocprim17ROCPRIM_400000_NS6detail17trampoline_kernelINS0_14default_configENS1_22reduce_config_selectorIiEEZNS1_11reduce_implILb1ES3_PiS7_iN6hipcub16HIPCUB_304000_NS6detail34convert_binary_result_type_wrapperINS9_3SumENS9_22TransformInputIteratorIbN2at6native12_GLOBAL__N_19NonZeroOpIfEEPKflEEiEEEE10hipError_tPvRmT1_T2_T3_mT4_P12ihipStream_tbEUlT_E0_NS1_11comp_targetILNS1_3genE8ELNS1_11target_archE1030ELNS1_3gpuE2ELNS1_3repE0EEENS1_30default_config_static_selectorELNS0_4arch9wavefront6targetE0EEEvSQ_.kd
    .uniform_work_group_size: 1
    .uses_dynamic_stack: false
    .vgpr_count:     0
    .vgpr_spill_count: 0
    .wavefront_size: 32
    .workgroup_processor_mode: 1
  - .args:
      - .offset:         0
        .size:           40
        .value_kind:     by_value
    .group_segment_fixed_size: 0
    .kernarg_segment_align: 8
    .kernarg_segment_size: 40
    .language:       OpenCL C
    .language_version:
      - 2
      - 0
    .max_flat_workgroup_size: 256
    .name:           _ZN7rocprim17ROCPRIM_400000_NS6detail17trampoline_kernelINS0_14default_configENS1_22reduce_config_selectorIiEEZNS1_11reduce_implILb1ES3_PiS7_iN6hipcub16HIPCUB_304000_NS6detail34convert_binary_result_type_wrapperINS9_3SumENS9_22TransformInputIteratorIbN2at6native12_GLOBAL__N_19NonZeroOpIfEEPKflEEiEEEE10hipError_tPvRmT1_T2_T3_mT4_P12ihipStream_tbEUlT_E1_NS1_11comp_targetILNS1_3genE0ELNS1_11target_archE4294967295ELNS1_3gpuE0ELNS1_3repE0EEENS1_30default_config_static_selectorELNS0_4arch9wavefront6targetE0EEEvSQ_
    .private_segment_fixed_size: 0
    .sgpr_count:     0
    .sgpr_spill_count: 0
    .symbol:         _ZN7rocprim17ROCPRIM_400000_NS6detail17trampoline_kernelINS0_14default_configENS1_22reduce_config_selectorIiEEZNS1_11reduce_implILb1ES3_PiS7_iN6hipcub16HIPCUB_304000_NS6detail34convert_binary_result_type_wrapperINS9_3SumENS9_22TransformInputIteratorIbN2at6native12_GLOBAL__N_19NonZeroOpIfEEPKflEEiEEEE10hipError_tPvRmT1_T2_T3_mT4_P12ihipStream_tbEUlT_E1_NS1_11comp_targetILNS1_3genE0ELNS1_11target_archE4294967295ELNS1_3gpuE0ELNS1_3repE0EEENS1_30default_config_static_selectorELNS0_4arch9wavefront6targetE0EEEvSQ_.kd
    .uniform_work_group_size: 1
    .uses_dynamic_stack: false
    .vgpr_count:     0
    .vgpr_spill_count: 0
    .wavefront_size: 32
    .workgroup_processor_mode: 1
  - .args:
      - .offset:         0
        .size:           40
        .value_kind:     by_value
    .group_segment_fixed_size: 0
    .kernarg_segment_align: 8
    .kernarg_segment_size: 40
    .language:       OpenCL C
    .language_version:
      - 2
      - 0
    .max_flat_workgroup_size: 256
    .name:           _ZN7rocprim17ROCPRIM_400000_NS6detail17trampoline_kernelINS0_14default_configENS1_22reduce_config_selectorIiEEZNS1_11reduce_implILb1ES3_PiS7_iN6hipcub16HIPCUB_304000_NS6detail34convert_binary_result_type_wrapperINS9_3SumENS9_22TransformInputIteratorIbN2at6native12_GLOBAL__N_19NonZeroOpIfEEPKflEEiEEEE10hipError_tPvRmT1_T2_T3_mT4_P12ihipStream_tbEUlT_E1_NS1_11comp_targetILNS1_3genE5ELNS1_11target_archE942ELNS1_3gpuE9ELNS1_3repE0EEENS1_30default_config_static_selectorELNS0_4arch9wavefront6targetE0EEEvSQ_
    .private_segment_fixed_size: 0
    .sgpr_count:     0
    .sgpr_spill_count: 0
    .symbol:         _ZN7rocprim17ROCPRIM_400000_NS6detail17trampoline_kernelINS0_14default_configENS1_22reduce_config_selectorIiEEZNS1_11reduce_implILb1ES3_PiS7_iN6hipcub16HIPCUB_304000_NS6detail34convert_binary_result_type_wrapperINS9_3SumENS9_22TransformInputIteratorIbN2at6native12_GLOBAL__N_19NonZeroOpIfEEPKflEEiEEEE10hipError_tPvRmT1_T2_T3_mT4_P12ihipStream_tbEUlT_E1_NS1_11comp_targetILNS1_3genE5ELNS1_11target_archE942ELNS1_3gpuE9ELNS1_3repE0EEENS1_30default_config_static_selectorELNS0_4arch9wavefront6targetE0EEEvSQ_.kd
    .uniform_work_group_size: 1
    .uses_dynamic_stack: false
    .vgpr_count:     0
    .vgpr_spill_count: 0
    .wavefront_size: 32
    .workgroup_processor_mode: 1
  - .args:
      - .offset:         0
        .size:           40
        .value_kind:     by_value
    .group_segment_fixed_size: 0
    .kernarg_segment_align: 8
    .kernarg_segment_size: 40
    .language:       OpenCL C
    .language_version:
      - 2
      - 0
    .max_flat_workgroup_size: 128
    .name:           _ZN7rocprim17ROCPRIM_400000_NS6detail17trampoline_kernelINS0_14default_configENS1_22reduce_config_selectorIiEEZNS1_11reduce_implILb1ES3_PiS7_iN6hipcub16HIPCUB_304000_NS6detail34convert_binary_result_type_wrapperINS9_3SumENS9_22TransformInputIteratorIbN2at6native12_GLOBAL__N_19NonZeroOpIfEEPKflEEiEEEE10hipError_tPvRmT1_T2_T3_mT4_P12ihipStream_tbEUlT_E1_NS1_11comp_targetILNS1_3genE4ELNS1_11target_archE910ELNS1_3gpuE8ELNS1_3repE0EEENS1_30default_config_static_selectorELNS0_4arch9wavefront6targetE0EEEvSQ_
    .private_segment_fixed_size: 0
    .sgpr_count:     0
    .sgpr_spill_count: 0
    .symbol:         _ZN7rocprim17ROCPRIM_400000_NS6detail17trampoline_kernelINS0_14default_configENS1_22reduce_config_selectorIiEEZNS1_11reduce_implILb1ES3_PiS7_iN6hipcub16HIPCUB_304000_NS6detail34convert_binary_result_type_wrapperINS9_3SumENS9_22TransformInputIteratorIbN2at6native12_GLOBAL__N_19NonZeroOpIfEEPKflEEiEEEE10hipError_tPvRmT1_T2_T3_mT4_P12ihipStream_tbEUlT_E1_NS1_11comp_targetILNS1_3genE4ELNS1_11target_archE910ELNS1_3gpuE8ELNS1_3repE0EEENS1_30default_config_static_selectorELNS0_4arch9wavefront6targetE0EEEvSQ_.kd
    .uniform_work_group_size: 1
    .uses_dynamic_stack: false
    .vgpr_count:     0
    .vgpr_spill_count: 0
    .wavefront_size: 32
    .workgroup_processor_mode: 1
  - .args:
      - .offset:         0
        .size:           40
        .value_kind:     by_value
    .group_segment_fixed_size: 0
    .kernarg_segment_align: 8
    .kernarg_segment_size: 40
    .language:       OpenCL C
    .language_version:
      - 2
      - 0
    .max_flat_workgroup_size: 256
    .name:           _ZN7rocprim17ROCPRIM_400000_NS6detail17trampoline_kernelINS0_14default_configENS1_22reduce_config_selectorIiEEZNS1_11reduce_implILb1ES3_PiS7_iN6hipcub16HIPCUB_304000_NS6detail34convert_binary_result_type_wrapperINS9_3SumENS9_22TransformInputIteratorIbN2at6native12_GLOBAL__N_19NonZeroOpIfEEPKflEEiEEEE10hipError_tPvRmT1_T2_T3_mT4_P12ihipStream_tbEUlT_E1_NS1_11comp_targetILNS1_3genE3ELNS1_11target_archE908ELNS1_3gpuE7ELNS1_3repE0EEENS1_30default_config_static_selectorELNS0_4arch9wavefront6targetE0EEEvSQ_
    .private_segment_fixed_size: 0
    .sgpr_count:     0
    .sgpr_spill_count: 0
    .symbol:         _ZN7rocprim17ROCPRIM_400000_NS6detail17trampoline_kernelINS0_14default_configENS1_22reduce_config_selectorIiEEZNS1_11reduce_implILb1ES3_PiS7_iN6hipcub16HIPCUB_304000_NS6detail34convert_binary_result_type_wrapperINS9_3SumENS9_22TransformInputIteratorIbN2at6native12_GLOBAL__N_19NonZeroOpIfEEPKflEEiEEEE10hipError_tPvRmT1_T2_T3_mT4_P12ihipStream_tbEUlT_E1_NS1_11comp_targetILNS1_3genE3ELNS1_11target_archE908ELNS1_3gpuE7ELNS1_3repE0EEENS1_30default_config_static_selectorELNS0_4arch9wavefront6targetE0EEEvSQ_.kd
    .uniform_work_group_size: 1
    .uses_dynamic_stack: false
    .vgpr_count:     0
    .vgpr_spill_count: 0
    .wavefront_size: 32
    .workgroup_processor_mode: 1
  - .args:
      - .offset:         0
        .size:           40
        .value_kind:     by_value
    .group_segment_fixed_size: 0
    .kernarg_segment_align: 8
    .kernarg_segment_size: 40
    .language:       OpenCL C
    .language_version:
      - 2
      - 0
    .max_flat_workgroup_size: 256
    .name:           _ZN7rocprim17ROCPRIM_400000_NS6detail17trampoline_kernelINS0_14default_configENS1_22reduce_config_selectorIiEEZNS1_11reduce_implILb1ES3_PiS7_iN6hipcub16HIPCUB_304000_NS6detail34convert_binary_result_type_wrapperINS9_3SumENS9_22TransformInputIteratorIbN2at6native12_GLOBAL__N_19NonZeroOpIfEEPKflEEiEEEE10hipError_tPvRmT1_T2_T3_mT4_P12ihipStream_tbEUlT_E1_NS1_11comp_targetILNS1_3genE2ELNS1_11target_archE906ELNS1_3gpuE6ELNS1_3repE0EEENS1_30default_config_static_selectorELNS0_4arch9wavefront6targetE0EEEvSQ_
    .private_segment_fixed_size: 0
    .sgpr_count:     0
    .sgpr_spill_count: 0
    .symbol:         _ZN7rocprim17ROCPRIM_400000_NS6detail17trampoline_kernelINS0_14default_configENS1_22reduce_config_selectorIiEEZNS1_11reduce_implILb1ES3_PiS7_iN6hipcub16HIPCUB_304000_NS6detail34convert_binary_result_type_wrapperINS9_3SumENS9_22TransformInputIteratorIbN2at6native12_GLOBAL__N_19NonZeroOpIfEEPKflEEiEEEE10hipError_tPvRmT1_T2_T3_mT4_P12ihipStream_tbEUlT_E1_NS1_11comp_targetILNS1_3genE2ELNS1_11target_archE906ELNS1_3gpuE6ELNS1_3repE0EEENS1_30default_config_static_selectorELNS0_4arch9wavefront6targetE0EEEvSQ_.kd
    .uniform_work_group_size: 1
    .uses_dynamic_stack: false
    .vgpr_count:     0
    .vgpr_spill_count: 0
    .wavefront_size: 32
    .workgroup_processor_mode: 1
  - .args:
      - .offset:         0
        .size:           40
        .value_kind:     by_value
    .group_segment_fixed_size: 224
    .kernarg_segment_align: 8
    .kernarg_segment_size: 40
    .language:       OpenCL C
    .language_version:
      - 2
      - 0
    .max_flat_workgroup_size: 256
    .name:           _ZN7rocprim17ROCPRIM_400000_NS6detail17trampoline_kernelINS0_14default_configENS1_22reduce_config_selectorIiEEZNS1_11reduce_implILb1ES3_PiS7_iN6hipcub16HIPCUB_304000_NS6detail34convert_binary_result_type_wrapperINS9_3SumENS9_22TransformInputIteratorIbN2at6native12_GLOBAL__N_19NonZeroOpIfEEPKflEEiEEEE10hipError_tPvRmT1_T2_T3_mT4_P12ihipStream_tbEUlT_E1_NS1_11comp_targetILNS1_3genE10ELNS1_11target_archE1201ELNS1_3gpuE5ELNS1_3repE0EEENS1_30default_config_static_selectorELNS0_4arch9wavefront6targetE0EEEvSQ_
    .private_segment_fixed_size: 0
    .sgpr_count:     47
    .sgpr_spill_count: 0
    .symbol:         _ZN7rocprim17ROCPRIM_400000_NS6detail17trampoline_kernelINS0_14default_configENS1_22reduce_config_selectorIiEEZNS1_11reduce_implILb1ES3_PiS7_iN6hipcub16HIPCUB_304000_NS6detail34convert_binary_result_type_wrapperINS9_3SumENS9_22TransformInputIteratorIbN2at6native12_GLOBAL__N_19NonZeroOpIfEEPKflEEiEEEE10hipError_tPvRmT1_T2_T3_mT4_P12ihipStream_tbEUlT_E1_NS1_11comp_targetILNS1_3genE10ELNS1_11target_archE1201ELNS1_3gpuE5ELNS1_3repE0EEENS1_30default_config_static_selectorELNS0_4arch9wavefront6targetE0EEEvSQ_.kd
    .uniform_work_group_size: 1
    .uses_dynamic_stack: false
    .vgpr_count:     34
    .vgpr_spill_count: 0
    .wavefront_size: 32
    .workgroup_processor_mode: 1
  - .args:
      - .offset:         0
        .size:           40
        .value_kind:     by_value
    .group_segment_fixed_size: 0
    .kernarg_segment_align: 8
    .kernarg_segment_size: 40
    .language:       OpenCL C
    .language_version:
      - 2
      - 0
    .max_flat_workgroup_size: 256
    .name:           _ZN7rocprim17ROCPRIM_400000_NS6detail17trampoline_kernelINS0_14default_configENS1_22reduce_config_selectorIiEEZNS1_11reduce_implILb1ES3_PiS7_iN6hipcub16HIPCUB_304000_NS6detail34convert_binary_result_type_wrapperINS9_3SumENS9_22TransformInputIteratorIbN2at6native12_GLOBAL__N_19NonZeroOpIfEEPKflEEiEEEE10hipError_tPvRmT1_T2_T3_mT4_P12ihipStream_tbEUlT_E1_NS1_11comp_targetILNS1_3genE10ELNS1_11target_archE1200ELNS1_3gpuE4ELNS1_3repE0EEENS1_30default_config_static_selectorELNS0_4arch9wavefront6targetE0EEEvSQ_
    .private_segment_fixed_size: 0
    .sgpr_count:     0
    .sgpr_spill_count: 0
    .symbol:         _ZN7rocprim17ROCPRIM_400000_NS6detail17trampoline_kernelINS0_14default_configENS1_22reduce_config_selectorIiEEZNS1_11reduce_implILb1ES3_PiS7_iN6hipcub16HIPCUB_304000_NS6detail34convert_binary_result_type_wrapperINS9_3SumENS9_22TransformInputIteratorIbN2at6native12_GLOBAL__N_19NonZeroOpIfEEPKflEEiEEEE10hipError_tPvRmT1_T2_T3_mT4_P12ihipStream_tbEUlT_E1_NS1_11comp_targetILNS1_3genE10ELNS1_11target_archE1200ELNS1_3gpuE4ELNS1_3repE0EEENS1_30default_config_static_selectorELNS0_4arch9wavefront6targetE0EEEvSQ_.kd
    .uniform_work_group_size: 1
    .uses_dynamic_stack: false
    .vgpr_count:     0
    .vgpr_spill_count: 0
    .wavefront_size: 32
    .workgroup_processor_mode: 1
  - .args:
      - .offset:         0
        .size:           40
        .value_kind:     by_value
    .group_segment_fixed_size: 0
    .kernarg_segment_align: 8
    .kernarg_segment_size: 40
    .language:       OpenCL C
    .language_version:
      - 2
      - 0
    .max_flat_workgroup_size: 256
    .name:           _ZN7rocprim17ROCPRIM_400000_NS6detail17trampoline_kernelINS0_14default_configENS1_22reduce_config_selectorIiEEZNS1_11reduce_implILb1ES3_PiS7_iN6hipcub16HIPCUB_304000_NS6detail34convert_binary_result_type_wrapperINS9_3SumENS9_22TransformInputIteratorIbN2at6native12_GLOBAL__N_19NonZeroOpIfEEPKflEEiEEEE10hipError_tPvRmT1_T2_T3_mT4_P12ihipStream_tbEUlT_E1_NS1_11comp_targetILNS1_3genE9ELNS1_11target_archE1100ELNS1_3gpuE3ELNS1_3repE0EEENS1_30default_config_static_selectorELNS0_4arch9wavefront6targetE0EEEvSQ_
    .private_segment_fixed_size: 0
    .sgpr_count:     0
    .sgpr_spill_count: 0
    .symbol:         _ZN7rocprim17ROCPRIM_400000_NS6detail17trampoline_kernelINS0_14default_configENS1_22reduce_config_selectorIiEEZNS1_11reduce_implILb1ES3_PiS7_iN6hipcub16HIPCUB_304000_NS6detail34convert_binary_result_type_wrapperINS9_3SumENS9_22TransformInputIteratorIbN2at6native12_GLOBAL__N_19NonZeroOpIfEEPKflEEiEEEE10hipError_tPvRmT1_T2_T3_mT4_P12ihipStream_tbEUlT_E1_NS1_11comp_targetILNS1_3genE9ELNS1_11target_archE1100ELNS1_3gpuE3ELNS1_3repE0EEENS1_30default_config_static_selectorELNS0_4arch9wavefront6targetE0EEEvSQ_.kd
    .uniform_work_group_size: 1
    .uses_dynamic_stack: false
    .vgpr_count:     0
    .vgpr_spill_count: 0
    .wavefront_size: 32
    .workgroup_processor_mode: 1
  - .args:
      - .offset:         0
        .size:           40
        .value_kind:     by_value
    .group_segment_fixed_size: 0
    .kernarg_segment_align: 8
    .kernarg_segment_size: 40
    .language:       OpenCL C
    .language_version:
      - 2
      - 0
    .max_flat_workgroup_size: 256
    .name:           _ZN7rocprim17ROCPRIM_400000_NS6detail17trampoline_kernelINS0_14default_configENS1_22reduce_config_selectorIiEEZNS1_11reduce_implILb1ES3_PiS7_iN6hipcub16HIPCUB_304000_NS6detail34convert_binary_result_type_wrapperINS9_3SumENS9_22TransformInputIteratorIbN2at6native12_GLOBAL__N_19NonZeroOpIfEEPKflEEiEEEE10hipError_tPvRmT1_T2_T3_mT4_P12ihipStream_tbEUlT_E1_NS1_11comp_targetILNS1_3genE8ELNS1_11target_archE1030ELNS1_3gpuE2ELNS1_3repE0EEENS1_30default_config_static_selectorELNS0_4arch9wavefront6targetE0EEEvSQ_
    .private_segment_fixed_size: 0
    .sgpr_count:     0
    .sgpr_spill_count: 0
    .symbol:         _ZN7rocprim17ROCPRIM_400000_NS6detail17trampoline_kernelINS0_14default_configENS1_22reduce_config_selectorIiEEZNS1_11reduce_implILb1ES3_PiS7_iN6hipcub16HIPCUB_304000_NS6detail34convert_binary_result_type_wrapperINS9_3SumENS9_22TransformInputIteratorIbN2at6native12_GLOBAL__N_19NonZeroOpIfEEPKflEEiEEEE10hipError_tPvRmT1_T2_T3_mT4_P12ihipStream_tbEUlT_E1_NS1_11comp_targetILNS1_3genE8ELNS1_11target_archE1030ELNS1_3gpuE2ELNS1_3repE0EEENS1_30default_config_static_selectorELNS0_4arch9wavefront6targetE0EEEvSQ_.kd
    .uniform_work_group_size: 1
    .uses_dynamic_stack: false
    .vgpr_count:     0
    .vgpr_spill_count: 0
    .wavefront_size: 32
    .workgroup_processor_mode: 1
  - .args:
      - .offset:         0
        .size:           64
        .value_kind:     by_value
    .group_segment_fixed_size: 0
    .kernarg_segment_align: 8
    .kernarg_segment_size: 64
    .language:       OpenCL C
    .language_version:
      - 2
      - 0
    .max_flat_workgroup_size: 256
    .name:           _ZN7rocprim17ROCPRIM_400000_NS6detail17trampoline_kernelINS0_14default_configENS1_22reduce_config_selectorIbEEZNS1_11reduce_implILb1ES3_N6hipcub16HIPCUB_304000_NS22TransformInputIteratorIbN2at6native12_GLOBAL__N_19NonZeroOpIfEEPKflEEPiiNS8_6detail34convert_binary_result_type_wrapperINS8_3SumESH_iEEEE10hipError_tPvRmT1_T2_T3_mT4_P12ihipStream_tbEUlT_E0_NS1_11comp_targetILNS1_3genE0ELNS1_11target_archE4294967295ELNS1_3gpuE0ELNS1_3repE0EEENS1_30default_config_static_selectorELNS0_4arch9wavefront6targetE0EEEvSQ_
    .private_segment_fixed_size: 0
    .sgpr_count:     0
    .sgpr_spill_count: 0
    .symbol:         _ZN7rocprim17ROCPRIM_400000_NS6detail17trampoline_kernelINS0_14default_configENS1_22reduce_config_selectorIbEEZNS1_11reduce_implILb1ES3_N6hipcub16HIPCUB_304000_NS22TransformInputIteratorIbN2at6native12_GLOBAL__N_19NonZeroOpIfEEPKflEEPiiNS8_6detail34convert_binary_result_type_wrapperINS8_3SumESH_iEEEE10hipError_tPvRmT1_T2_T3_mT4_P12ihipStream_tbEUlT_E0_NS1_11comp_targetILNS1_3genE0ELNS1_11target_archE4294967295ELNS1_3gpuE0ELNS1_3repE0EEENS1_30default_config_static_selectorELNS0_4arch9wavefront6targetE0EEEvSQ_.kd
    .uniform_work_group_size: 1
    .uses_dynamic_stack: false
    .vgpr_count:     0
    .vgpr_spill_count: 0
    .wavefront_size: 32
    .workgroup_processor_mode: 1
  - .args:
      - .offset:         0
        .size:           64
        .value_kind:     by_value
    .group_segment_fixed_size: 0
    .kernarg_segment_align: 8
    .kernarg_segment_size: 64
    .language:       OpenCL C
    .language_version:
      - 2
      - 0
    .max_flat_workgroup_size: 256
    .name:           _ZN7rocprim17ROCPRIM_400000_NS6detail17trampoline_kernelINS0_14default_configENS1_22reduce_config_selectorIbEEZNS1_11reduce_implILb1ES3_N6hipcub16HIPCUB_304000_NS22TransformInputIteratorIbN2at6native12_GLOBAL__N_19NonZeroOpIfEEPKflEEPiiNS8_6detail34convert_binary_result_type_wrapperINS8_3SumESH_iEEEE10hipError_tPvRmT1_T2_T3_mT4_P12ihipStream_tbEUlT_E0_NS1_11comp_targetILNS1_3genE5ELNS1_11target_archE942ELNS1_3gpuE9ELNS1_3repE0EEENS1_30default_config_static_selectorELNS0_4arch9wavefront6targetE0EEEvSQ_
    .private_segment_fixed_size: 0
    .sgpr_count:     0
    .sgpr_spill_count: 0
    .symbol:         _ZN7rocprim17ROCPRIM_400000_NS6detail17trampoline_kernelINS0_14default_configENS1_22reduce_config_selectorIbEEZNS1_11reduce_implILb1ES3_N6hipcub16HIPCUB_304000_NS22TransformInputIteratorIbN2at6native12_GLOBAL__N_19NonZeroOpIfEEPKflEEPiiNS8_6detail34convert_binary_result_type_wrapperINS8_3SumESH_iEEEE10hipError_tPvRmT1_T2_T3_mT4_P12ihipStream_tbEUlT_E0_NS1_11comp_targetILNS1_3genE5ELNS1_11target_archE942ELNS1_3gpuE9ELNS1_3repE0EEENS1_30default_config_static_selectorELNS0_4arch9wavefront6targetE0EEEvSQ_.kd
    .uniform_work_group_size: 1
    .uses_dynamic_stack: false
    .vgpr_count:     0
    .vgpr_spill_count: 0
    .wavefront_size: 32
    .workgroup_processor_mode: 1
  - .args:
      - .offset:         0
        .size:           64
        .value_kind:     by_value
    .group_segment_fixed_size: 0
    .kernarg_segment_align: 8
    .kernarg_segment_size: 64
    .language:       OpenCL C
    .language_version:
      - 2
      - 0
    .max_flat_workgroup_size: 128
    .name:           _ZN7rocprim17ROCPRIM_400000_NS6detail17trampoline_kernelINS0_14default_configENS1_22reduce_config_selectorIbEEZNS1_11reduce_implILb1ES3_N6hipcub16HIPCUB_304000_NS22TransformInputIteratorIbN2at6native12_GLOBAL__N_19NonZeroOpIfEEPKflEEPiiNS8_6detail34convert_binary_result_type_wrapperINS8_3SumESH_iEEEE10hipError_tPvRmT1_T2_T3_mT4_P12ihipStream_tbEUlT_E0_NS1_11comp_targetILNS1_3genE4ELNS1_11target_archE910ELNS1_3gpuE8ELNS1_3repE0EEENS1_30default_config_static_selectorELNS0_4arch9wavefront6targetE0EEEvSQ_
    .private_segment_fixed_size: 0
    .sgpr_count:     0
    .sgpr_spill_count: 0
    .symbol:         _ZN7rocprim17ROCPRIM_400000_NS6detail17trampoline_kernelINS0_14default_configENS1_22reduce_config_selectorIbEEZNS1_11reduce_implILb1ES3_N6hipcub16HIPCUB_304000_NS22TransformInputIteratorIbN2at6native12_GLOBAL__N_19NonZeroOpIfEEPKflEEPiiNS8_6detail34convert_binary_result_type_wrapperINS8_3SumESH_iEEEE10hipError_tPvRmT1_T2_T3_mT4_P12ihipStream_tbEUlT_E0_NS1_11comp_targetILNS1_3genE4ELNS1_11target_archE910ELNS1_3gpuE8ELNS1_3repE0EEENS1_30default_config_static_selectorELNS0_4arch9wavefront6targetE0EEEvSQ_.kd
    .uniform_work_group_size: 1
    .uses_dynamic_stack: false
    .vgpr_count:     0
    .vgpr_spill_count: 0
    .wavefront_size: 32
    .workgroup_processor_mode: 1
  - .args:
      - .offset:         0
        .size:           64
        .value_kind:     by_value
    .group_segment_fixed_size: 0
    .kernarg_segment_align: 8
    .kernarg_segment_size: 64
    .language:       OpenCL C
    .language_version:
      - 2
      - 0
    .max_flat_workgroup_size: 256
    .name:           _ZN7rocprim17ROCPRIM_400000_NS6detail17trampoline_kernelINS0_14default_configENS1_22reduce_config_selectorIbEEZNS1_11reduce_implILb1ES3_N6hipcub16HIPCUB_304000_NS22TransformInputIteratorIbN2at6native12_GLOBAL__N_19NonZeroOpIfEEPKflEEPiiNS8_6detail34convert_binary_result_type_wrapperINS8_3SumESH_iEEEE10hipError_tPvRmT1_T2_T3_mT4_P12ihipStream_tbEUlT_E0_NS1_11comp_targetILNS1_3genE3ELNS1_11target_archE908ELNS1_3gpuE7ELNS1_3repE0EEENS1_30default_config_static_selectorELNS0_4arch9wavefront6targetE0EEEvSQ_
    .private_segment_fixed_size: 0
    .sgpr_count:     0
    .sgpr_spill_count: 0
    .symbol:         _ZN7rocprim17ROCPRIM_400000_NS6detail17trampoline_kernelINS0_14default_configENS1_22reduce_config_selectorIbEEZNS1_11reduce_implILb1ES3_N6hipcub16HIPCUB_304000_NS22TransformInputIteratorIbN2at6native12_GLOBAL__N_19NonZeroOpIfEEPKflEEPiiNS8_6detail34convert_binary_result_type_wrapperINS8_3SumESH_iEEEE10hipError_tPvRmT1_T2_T3_mT4_P12ihipStream_tbEUlT_E0_NS1_11comp_targetILNS1_3genE3ELNS1_11target_archE908ELNS1_3gpuE7ELNS1_3repE0EEENS1_30default_config_static_selectorELNS0_4arch9wavefront6targetE0EEEvSQ_.kd
    .uniform_work_group_size: 1
    .uses_dynamic_stack: false
    .vgpr_count:     0
    .vgpr_spill_count: 0
    .wavefront_size: 32
    .workgroup_processor_mode: 1
  - .args:
      - .offset:         0
        .size:           64
        .value_kind:     by_value
    .group_segment_fixed_size: 0
    .kernarg_segment_align: 8
    .kernarg_segment_size: 64
    .language:       OpenCL C
    .language_version:
      - 2
      - 0
    .max_flat_workgroup_size: 128
    .name:           _ZN7rocprim17ROCPRIM_400000_NS6detail17trampoline_kernelINS0_14default_configENS1_22reduce_config_selectorIbEEZNS1_11reduce_implILb1ES3_N6hipcub16HIPCUB_304000_NS22TransformInputIteratorIbN2at6native12_GLOBAL__N_19NonZeroOpIfEEPKflEEPiiNS8_6detail34convert_binary_result_type_wrapperINS8_3SumESH_iEEEE10hipError_tPvRmT1_T2_T3_mT4_P12ihipStream_tbEUlT_E0_NS1_11comp_targetILNS1_3genE2ELNS1_11target_archE906ELNS1_3gpuE6ELNS1_3repE0EEENS1_30default_config_static_selectorELNS0_4arch9wavefront6targetE0EEEvSQ_
    .private_segment_fixed_size: 0
    .sgpr_count:     0
    .sgpr_spill_count: 0
    .symbol:         _ZN7rocprim17ROCPRIM_400000_NS6detail17trampoline_kernelINS0_14default_configENS1_22reduce_config_selectorIbEEZNS1_11reduce_implILb1ES3_N6hipcub16HIPCUB_304000_NS22TransformInputIteratorIbN2at6native12_GLOBAL__N_19NonZeroOpIfEEPKflEEPiiNS8_6detail34convert_binary_result_type_wrapperINS8_3SumESH_iEEEE10hipError_tPvRmT1_T2_T3_mT4_P12ihipStream_tbEUlT_E0_NS1_11comp_targetILNS1_3genE2ELNS1_11target_archE906ELNS1_3gpuE6ELNS1_3repE0EEENS1_30default_config_static_selectorELNS0_4arch9wavefront6targetE0EEEvSQ_.kd
    .uniform_work_group_size: 1
    .uses_dynamic_stack: false
    .vgpr_count:     0
    .vgpr_spill_count: 0
    .wavefront_size: 32
    .workgroup_processor_mode: 1
  - .args:
      - .offset:         0
        .size:           64
        .value_kind:     by_value
    .group_segment_fixed_size: 64
    .kernarg_segment_align: 8
    .kernarg_segment_size: 64
    .language:       OpenCL C
    .language_version:
      - 2
      - 0
    .max_flat_workgroup_size: 256
    .name:           _ZN7rocprim17ROCPRIM_400000_NS6detail17trampoline_kernelINS0_14default_configENS1_22reduce_config_selectorIbEEZNS1_11reduce_implILb1ES3_N6hipcub16HIPCUB_304000_NS22TransformInputIteratorIbN2at6native12_GLOBAL__N_19NonZeroOpIfEEPKflEEPiiNS8_6detail34convert_binary_result_type_wrapperINS8_3SumESH_iEEEE10hipError_tPvRmT1_T2_T3_mT4_P12ihipStream_tbEUlT_E0_NS1_11comp_targetILNS1_3genE10ELNS1_11target_archE1201ELNS1_3gpuE5ELNS1_3repE0EEENS1_30default_config_static_selectorELNS0_4arch9wavefront6targetE0EEEvSQ_
    .private_segment_fixed_size: 0
    .sgpr_count:     32
    .sgpr_spill_count: 0
    .symbol:         _ZN7rocprim17ROCPRIM_400000_NS6detail17trampoline_kernelINS0_14default_configENS1_22reduce_config_selectorIbEEZNS1_11reduce_implILb1ES3_N6hipcub16HIPCUB_304000_NS22TransformInputIteratorIbN2at6native12_GLOBAL__N_19NonZeroOpIfEEPKflEEPiiNS8_6detail34convert_binary_result_type_wrapperINS8_3SumESH_iEEEE10hipError_tPvRmT1_T2_T3_mT4_P12ihipStream_tbEUlT_E0_NS1_11comp_targetILNS1_3genE10ELNS1_11target_archE1201ELNS1_3gpuE5ELNS1_3repE0EEENS1_30default_config_static_selectorELNS0_4arch9wavefront6targetE0EEEvSQ_.kd
    .uniform_work_group_size: 1
    .uses_dynamic_stack: false
    .vgpr_count:     20
    .vgpr_spill_count: 0
    .wavefront_size: 32
    .workgroup_processor_mode: 1
  - .args:
      - .offset:         0
        .size:           64
        .value_kind:     by_value
    .group_segment_fixed_size: 0
    .kernarg_segment_align: 8
    .kernarg_segment_size: 64
    .language:       OpenCL C
    .language_version:
      - 2
      - 0
    .max_flat_workgroup_size: 256
    .name:           _ZN7rocprim17ROCPRIM_400000_NS6detail17trampoline_kernelINS0_14default_configENS1_22reduce_config_selectorIbEEZNS1_11reduce_implILb1ES3_N6hipcub16HIPCUB_304000_NS22TransformInputIteratorIbN2at6native12_GLOBAL__N_19NonZeroOpIfEEPKflEEPiiNS8_6detail34convert_binary_result_type_wrapperINS8_3SumESH_iEEEE10hipError_tPvRmT1_T2_T3_mT4_P12ihipStream_tbEUlT_E0_NS1_11comp_targetILNS1_3genE10ELNS1_11target_archE1200ELNS1_3gpuE4ELNS1_3repE0EEENS1_30default_config_static_selectorELNS0_4arch9wavefront6targetE0EEEvSQ_
    .private_segment_fixed_size: 0
    .sgpr_count:     0
    .sgpr_spill_count: 0
    .symbol:         _ZN7rocprim17ROCPRIM_400000_NS6detail17trampoline_kernelINS0_14default_configENS1_22reduce_config_selectorIbEEZNS1_11reduce_implILb1ES3_N6hipcub16HIPCUB_304000_NS22TransformInputIteratorIbN2at6native12_GLOBAL__N_19NonZeroOpIfEEPKflEEPiiNS8_6detail34convert_binary_result_type_wrapperINS8_3SumESH_iEEEE10hipError_tPvRmT1_T2_T3_mT4_P12ihipStream_tbEUlT_E0_NS1_11comp_targetILNS1_3genE10ELNS1_11target_archE1200ELNS1_3gpuE4ELNS1_3repE0EEENS1_30default_config_static_selectorELNS0_4arch9wavefront6targetE0EEEvSQ_.kd
    .uniform_work_group_size: 1
    .uses_dynamic_stack: false
    .vgpr_count:     0
    .vgpr_spill_count: 0
    .wavefront_size: 32
    .workgroup_processor_mode: 1
  - .args:
      - .offset:         0
        .size:           64
        .value_kind:     by_value
    .group_segment_fixed_size: 0
    .kernarg_segment_align: 8
    .kernarg_segment_size: 64
    .language:       OpenCL C
    .language_version:
      - 2
      - 0
    .max_flat_workgroup_size: 128
    .name:           _ZN7rocprim17ROCPRIM_400000_NS6detail17trampoline_kernelINS0_14default_configENS1_22reduce_config_selectorIbEEZNS1_11reduce_implILb1ES3_N6hipcub16HIPCUB_304000_NS22TransformInputIteratorIbN2at6native12_GLOBAL__N_19NonZeroOpIfEEPKflEEPiiNS8_6detail34convert_binary_result_type_wrapperINS8_3SumESH_iEEEE10hipError_tPvRmT1_T2_T3_mT4_P12ihipStream_tbEUlT_E0_NS1_11comp_targetILNS1_3genE9ELNS1_11target_archE1100ELNS1_3gpuE3ELNS1_3repE0EEENS1_30default_config_static_selectorELNS0_4arch9wavefront6targetE0EEEvSQ_
    .private_segment_fixed_size: 0
    .sgpr_count:     0
    .sgpr_spill_count: 0
    .symbol:         _ZN7rocprim17ROCPRIM_400000_NS6detail17trampoline_kernelINS0_14default_configENS1_22reduce_config_selectorIbEEZNS1_11reduce_implILb1ES3_N6hipcub16HIPCUB_304000_NS22TransformInputIteratorIbN2at6native12_GLOBAL__N_19NonZeroOpIfEEPKflEEPiiNS8_6detail34convert_binary_result_type_wrapperINS8_3SumESH_iEEEE10hipError_tPvRmT1_T2_T3_mT4_P12ihipStream_tbEUlT_E0_NS1_11comp_targetILNS1_3genE9ELNS1_11target_archE1100ELNS1_3gpuE3ELNS1_3repE0EEENS1_30default_config_static_selectorELNS0_4arch9wavefront6targetE0EEEvSQ_.kd
    .uniform_work_group_size: 1
    .uses_dynamic_stack: false
    .vgpr_count:     0
    .vgpr_spill_count: 0
    .wavefront_size: 32
    .workgroup_processor_mode: 1
  - .args:
      - .offset:         0
        .size:           64
        .value_kind:     by_value
    .group_segment_fixed_size: 0
    .kernarg_segment_align: 8
    .kernarg_segment_size: 64
    .language:       OpenCL C
    .language_version:
      - 2
      - 0
    .max_flat_workgroup_size: 256
    .name:           _ZN7rocprim17ROCPRIM_400000_NS6detail17trampoline_kernelINS0_14default_configENS1_22reduce_config_selectorIbEEZNS1_11reduce_implILb1ES3_N6hipcub16HIPCUB_304000_NS22TransformInputIteratorIbN2at6native12_GLOBAL__N_19NonZeroOpIfEEPKflEEPiiNS8_6detail34convert_binary_result_type_wrapperINS8_3SumESH_iEEEE10hipError_tPvRmT1_T2_T3_mT4_P12ihipStream_tbEUlT_E0_NS1_11comp_targetILNS1_3genE8ELNS1_11target_archE1030ELNS1_3gpuE2ELNS1_3repE0EEENS1_30default_config_static_selectorELNS0_4arch9wavefront6targetE0EEEvSQ_
    .private_segment_fixed_size: 0
    .sgpr_count:     0
    .sgpr_spill_count: 0
    .symbol:         _ZN7rocprim17ROCPRIM_400000_NS6detail17trampoline_kernelINS0_14default_configENS1_22reduce_config_selectorIbEEZNS1_11reduce_implILb1ES3_N6hipcub16HIPCUB_304000_NS22TransformInputIteratorIbN2at6native12_GLOBAL__N_19NonZeroOpIfEEPKflEEPiiNS8_6detail34convert_binary_result_type_wrapperINS8_3SumESH_iEEEE10hipError_tPvRmT1_T2_T3_mT4_P12ihipStream_tbEUlT_E0_NS1_11comp_targetILNS1_3genE8ELNS1_11target_archE1030ELNS1_3gpuE2ELNS1_3repE0EEENS1_30default_config_static_selectorELNS0_4arch9wavefront6targetE0EEEvSQ_.kd
    .uniform_work_group_size: 1
    .uses_dynamic_stack: false
    .vgpr_count:     0
    .vgpr_spill_count: 0
    .wavefront_size: 32
    .workgroup_processor_mode: 1
  - .args:
      - .offset:         0
        .size:           48
        .value_kind:     by_value
    .group_segment_fixed_size: 0
    .kernarg_segment_align: 8
    .kernarg_segment_size: 48
    .language:       OpenCL C
    .language_version:
      - 2
      - 0
    .max_flat_workgroup_size: 256
    .name:           _ZN7rocprim17ROCPRIM_400000_NS6detail17trampoline_kernelINS0_14default_configENS1_22reduce_config_selectorIbEEZNS1_11reduce_implILb1ES3_N6hipcub16HIPCUB_304000_NS22TransformInputIteratorIbN2at6native12_GLOBAL__N_19NonZeroOpIfEEPKflEEPiiNS8_6detail34convert_binary_result_type_wrapperINS8_3SumESH_iEEEE10hipError_tPvRmT1_T2_T3_mT4_P12ihipStream_tbEUlT_E1_NS1_11comp_targetILNS1_3genE0ELNS1_11target_archE4294967295ELNS1_3gpuE0ELNS1_3repE0EEENS1_30default_config_static_selectorELNS0_4arch9wavefront6targetE0EEEvSQ_
    .private_segment_fixed_size: 0
    .sgpr_count:     0
    .sgpr_spill_count: 0
    .symbol:         _ZN7rocprim17ROCPRIM_400000_NS6detail17trampoline_kernelINS0_14default_configENS1_22reduce_config_selectorIbEEZNS1_11reduce_implILb1ES3_N6hipcub16HIPCUB_304000_NS22TransformInputIteratorIbN2at6native12_GLOBAL__N_19NonZeroOpIfEEPKflEEPiiNS8_6detail34convert_binary_result_type_wrapperINS8_3SumESH_iEEEE10hipError_tPvRmT1_T2_T3_mT4_P12ihipStream_tbEUlT_E1_NS1_11comp_targetILNS1_3genE0ELNS1_11target_archE4294967295ELNS1_3gpuE0ELNS1_3repE0EEENS1_30default_config_static_selectorELNS0_4arch9wavefront6targetE0EEEvSQ_.kd
    .uniform_work_group_size: 1
    .uses_dynamic_stack: false
    .vgpr_count:     0
    .vgpr_spill_count: 0
    .wavefront_size: 32
    .workgroup_processor_mode: 1
  - .args:
      - .offset:         0
        .size:           48
        .value_kind:     by_value
    .group_segment_fixed_size: 0
    .kernarg_segment_align: 8
    .kernarg_segment_size: 48
    .language:       OpenCL C
    .language_version:
      - 2
      - 0
    .max_flat_workgroup_size: 256
    .name:           _ZN7rocprim17ROCPRIM_400000_NS6detail17trampoline_kernelINS0_14default_configENS1_22reduce_config_selectorIbEEZNS1_11reduce_implILb1ES3_N6hipcub16HIPCUB_304000_NS22TransformInputIteratorIbN2at6native12_GLOBAL__N_19NonZeroOpIfEEPKflEEPiiNS8_6detail34convert_binary_result_type_wrapperINS8_3SumESH_iEEEE10hipError_tPvRmT1_T2_T3_mT4_P12ihipStream_tbEUlT_E1_NS1_11comp_targetILNS1_3genE5ELNS1_11target_archE942ELNS1_3gpuE9ELNS1_3repE0EEENS1_30default_config_static_selectorELNS0_4arch9wavefront6targetE0EEEvSQ_
    .private_segment_fixed_size: 0
    .sgpr_count:     0
    .sgpr_spill_count: 0
    .symbol:         _ZN7rocprim17ROCPRIM_400000_NS6detail17trampoline_kernelINS0_14default_configENS1_22reduce_config_selectorIbEEZNS1_11reduce_implILb1ES3_N6hipcub16HIPCUB_304000_NS22TransformInputIteratorIbN2at6native12_GLOBAL__N_19NonZeroOpIfEEPKflEEPiiNS8_6detail34convert_binary_result_type_wrapperINS8_3SumESH_iEEEE10hipError_tPvRmT1_T2_T3_mT4_P12ihipStream_tbEUlT_E1_NS1_11comp_targetILNS1_3genE5ELNS1_11target_archE942ELNS1_3gpuE9ELNS1_3repE0EEENS1_30default_config_static_selectorELNS0_4arch9wavefront6targetE0EEEvSQ_.kd
    .uniform_work_group_size: 1
    .uses_dynamic_stack: false
    .vgpr_count:     0
    .vgpr_spill_count: 0
    .wavefront_size: 32
    .workgroup_processor_mode: 1
  - .args:
      - .offset:         0
        .size:           48
        .value_kind:     by_value
    .group_segment_fixed_size: 0
    .kernarg_segment_align: 8
    .kernarg_segment_size: 48
    .language:       OpenCL C
    .language_version:
      - 2
      - 0
    .max_flat_workgroup_size: 128
    .name:           _ZN7rocprim17ROCPRIM_400000_NS6detail17trampoline_kernelINS0_14default_configENS1_22reduce_config_selectorIbEEZNS1_11reduce_implILb1ES3_N6hipcub16HIPCUB_304000_NS22TransformInputIteratorIbN2at6native12_GLOBAL__N_19NonZeroOpIfEEPKflEEPiiNS8_6detail34convert_binary_result_type_wrapperINS8_3SumESH_iEEEE10hipError_tPvRmT1_T2_T3_mT4_P12ihipStream_tbEUlT_E1_NS1_11comp_targetILNS1_3genE4ELNS1_11target_archE910ELNS1_3gpuE8ELNS1_3repE0EEENS1_30default_config_static_selectorELNS0_4arch9wavefront6targetE0EEEvSQ_
    .private_segment_fixed_size: 0
    .sgpr_count:     0
    .sgpr_spill_count: 0
    .symbol:         _ZN7rocprim17ROCPRIM_400000_NS6detail17trampoline_kernelINS0_14default_configENS1_22reduce_config_selectorIbEEZNS1_11reduce_implILb1ES3_N6hipcub16HIPCUB_304000_NS22TransformInputIteratorIbN2at6native12_GLOBAL__N_19NonZeroOpIfEEPKflEEPiiNS8_6detail34convert_binary_result_type_wrapperINS8_3SumESH_iEEEE10hipError_tPvRmT1_T2_T3_mT4_P12ihipStream_tbEUlT_E1_NS1_11comp_targetILNS1_3genE4ELNS1_11target_archE910ELNS1_3gpuE8ELNS1_3repE0EEENS1_30default_config_static_selectorELNS0_4arch9wavefront6targetE0EEEvSQ_.kd
    .uniform_work_group_size: 1
    .uses_dynamic_stack: false
    .vgpr_count:     0
    .vgpr_spill_count: 0
    .wavefront_size: 32
    .workgroup_processor_mode: 1
  - .args:
      - .offset:         0
        .size:           48
        .value_kind:     by_value
    .group_segment_fixed_size: 0
    .kernarg_segment_align: 8
    .kernarg_segment_size: 48
    .language:       OpenCL C
    .language_version:
      - 2
      - 0
    .max_flat_workgroup_size: 256
    .name:           _ZN7rocprim17ROCPRIM_400000_NS6detail17trampoline_kernelINS0_14default_configENS1_22reduce_config_selectorIbEEZNS1_11reduce_implILb1ES3_N6hipcub16HIPCUB_304000_NS22TransformInputIteratorIbN2at6native12_GLOBAL__N_19NonZeroOpIfEEPKflEEPiiNS8_6detail34convert_binary_result_type_wrapperINS8_3SumESH_iEEEE10hipError_tPvRmT1_T2_T3_mT4_P12ihipStream_tbEUlT_E1_NS1_11comp_targetILNS1_3genE3ELNS1_11target_archE908ELNS1_3gpuE7ELNS1_3repE0EEENS1_30default_config_static_selectorELNS0_4arch9wavefront6targetE0EEEvSQ_
    .private_segment_fixed_size: 0
    .sgpr_count:     0
    .sgpr_spill_count: 0
    .symbol:         _ZN7rocprim17ROCPRIM_400000_NS6detail17trampoline_kernelINS0_14default_configENS1_22reduce_config_selectorIbEEZNS1_11reduce_implILb1ES3_N6hipcub16HIPCUB_304000_NS22TransformInputIteratorIbN2at6native12_GLOBAL__N_19NonZeroOpIfEEPKflEEPiiNS8_6detail34convert_binary_result_type_wrapperINS8_3SumESH_iEEEE10hipError_tPvRmT1_T2_T3_mT4_P12ihipStream_tbEUlT_E1_NS1_11comp_targetILNS1_3genE3ELNS1_11target_archE908ELNS1_3gpuE7ELNS1_3repE0EEENS1_30default_config_static_selectorELNS0_4arch9wavefront6targetE0EEEvSQ_.kd
    .uniform_work_group_size: 1
    .uses_dynamic_stack: false
    .vgpr_count:     0
    .vgpr_spill_count: 0
    .wavefront_size: 32
    .workgroup_processor_mode: 1
  - .args:
      - .offset:         0
        .size:           48
        .value_kind:     by_value
    .group_segment_fixed_size: 0
    .kernarg_segment_align: 8
    .kernarg_segment_size: 48
    .language:       OpenCL C
    .language_version:
      - 2
      - 0
    .max_flat_workgroup_size: 128
    .name:           _ZN7rocprim17ROCPRIM_400000_NS6detail17trampoline_kernelINS0_14default_configENS1_22reduce_config_selectorIbEEZNS1_11reduce_implILb1ES3_N6hipcub16HIPCUB_304000_NS22TransformInputIteratorIbN2at6native12_GLOBAL__N_19NonZeroOpIfEEPKflEEPiiNS8_6detail34convert_binary_result_type_wrapperINS8_3SumESH_iEEEE10hipError_tPvRmT1_T2_T3_mT4_P12ihipStream_tbEUlT_E1_NS1_11comp_targetILNS1_3genE2ELNS1_11target_archE906ELNS1_3gpuE6ELNS1_3repE0EEENS1_30default_config_static_selectorELNS0_4arch9wavefront6targetE0EEEvSQ_
    .private_segment_fixed_size: 0
    .sgpr_count:     0
    .sgpr_spill_count: 0
    .symbol:         _ZN7rocprim17ROCPRIM_400000_NS6detail17trampoline_kernelINS0_14default_configENS1_22reduce_config_selectorIbEEZNS1_11reduce_implILb1ES3_N6hipcub16HIPCUB_304000_NS22TransformInputIteratorIbN2at6native12_GLOBAL__N_19NonZeroOpIfEEPKflEEPiiNS8_6detail34convert_binary_result_type_wrapperINS8_3SumESH_iEEEE10hipError_tPvRmT1_T2_T3_mT4_P12ihipStream_tbEUlT_E1_NS1_11comp_targetILNS1_3genE2ELNS1_11target_archE906ELNS1_3gpuE6ELNS1_3repE0EEENS1_30default_config_static_selectorELNS0_4arch9wavefront6targetE0EEEvSQ_.kd
    .uniform_work_group_size: 1
    .uses_dynamic_stack: false
    .vgpr_count:     0
    .vgpr_spill_count: 0
    .wavefront_size: 32
    .workgroup_processor_mode: 1
  - .args:
      - .offset:         0
        .size:           48
        .value_kind:     by_value
    .group_segment_fixed_size: 288
    .kernarg_segment_align: 8
    .kernarg_segment_size: 48
    .language:       OpenCL C
    .language_version:
      - 2
      - 0
    .max_flat_workgroup_size: 256
    .name:           _ZN7rocprim17ROCPRIM_400000_NS6detail17trampoline_kernelINS0_14default_configENS1_22reduce_config_selectorIbEEZNS1_11reduce_implILb1ES3_N6hipcub16HIPCUB_304000_NS22TransformInputIteratorIbN2at6native12_GLOBAL__N_19NonZeroOpIfEEPKflEEPiiNS8_6detail34convert_binary_result_type_wrapperINS8_3SumESH_iEEEE10hipError_tPvRmT1_T2_T3_mT4_P12ihipStream_tbEUlT_E1_NS1_11comp_targetILNS1_3genE10ELNS1_11target_archE1201ELNS1_3gpuE5ELNS1_3repE0EEENS1_30default_config_static_selectorELNS0_4arch9wavefront6targetE0EEEvSQ_
    .private_segment_fixed_size: 0
    .sgpr_count:     49
    .sgpr_spill_count: 0
    .symbol:         _ZN7rocprim17ROCPRIM_400000_NS6detail17trampoline_kernelINS0_14default_configENS1_22reduce_config_selectorIbEEZNS1_11reduce_implILb1ES3_N6hipcub16HIPCUB_304000_NS22TransformInputIteratorIbN2at6native12_GLOBAL__N_19NonZeroOpIfEEPKflEEPiiNS8_6detail34convert_binary_result_type_wrapperINS8_3SumESH_iEEEE10hipError_tPvRmT1_T2_T3_mT4_P12ihipStream_tbEUlT_E1_NS1_11comp_targetILNS1_3genE10ELNS1_11target_archE1201ELNS1_3gpuE5ELNS1_3repE0EEENS1_30default_config_static_selectorELNS0_4arch9wavefront6targetE0EEEvSQ_.kd
    .uniform_work_group_size: 1
    .uses_dynamic_stack: false
    .vgpr_count:     129
    .vgpr_spill_count: 0
    .wavefront_size: 32
    .workgroup_processor_mode: 1
  - .args:
      - .offset:         0
        .size:           48
        .value_kind:     by_value
    .group_segment_fixed_size: 0
    .kernarg_segment_align: 8
    .kernarg_segment_size: 48
    .language:       OpenCL C
    .language_version:
      - 2
      - 0
    .max_flat_workgroup_size: 256
    .name:           _ZN7rocprim17ROCPRIM_400000_NS6detail17trampoline_kernelINS0_14default_configENS1_22reduce_config_selectorIbEEZNS1_11reduce_implILb1ES3_N6hipcub16HIPCUB_304000_NS22TransformInputIteratorIbN2at6native12_GLOBAL__N_19NonZeroOpIfEEPKflEEPiiNS8_6detail34convert_binary_result_type_wrapperINS8_3SumESH_iEEEE10hipError_tPvRmT1_T2_T3_mT4_P12ihipStream_tbEUlT_E1_NS1_11comp_targetILNS1_3genE10ELNS1_11target_archE1200ELNS1_3gpuE4ELNS1_3repE0EEENS1_30default_config_static_selectorELNS0_4arch9wavefront6targetE0EEEvSQ_
    .private_segment_fixed_size: 0
    .sgpr_count:     0
    .sgpr_spill_count: 0
    .symbol:         _ZN7rocprim17ROCPRIM_400000_NS6detail17trampoline_kernelINS0_14default_configENS1_22reduce_config_selectorIbEEZNS1_11reduce_implILb1ES3_N6hipcub16HIPCUB_304000_NS22TransformInputIteratorIbN2at6native12_GLOBAL__N_19NonZeroOpIfEEPKflEEPiiNS8_6detail34convert_binary_result_type_wrapperINS8_3SumESH_iEEEE10hipError_tPvRmT1_T2_T3_mT4_P12ihipStream_tbEUlT_E1_NS1_11comp_targetILNS1_3genE10ELNS1_11target_archE1200ELNS1_3gpuE4ELNS1_3repE0EEENS1_30default_config_static_selectorELNS0_4arch9wavefront6targetE0EEEvSQ_.kd
    .uniform_work_group_size: 1
    .uses_dynamic_stack: false
    .vgpr_count:     0
    .vgpr_spill_count: 0
    .wavefront_size: 32
    .workgroup_processor_mode: 1
  - .args:
      - .offset:         0
        .size:           48
        .value_kind:     by_value
    .group_segment_fixed_size: 0
    .kernarg_segment_align: 8
    .kernarg_segment_size: 48
    .language:       OpenCL C
    .language_version:
      - 2
      - 0
    .max_flat_workgroup_size: 128
    .name:           _ZN7rocprim17ROCPRIM_400000_NS6detail17trampoline_kernelINS0_14default_configENS1_22reduce_config_selectorIbEEZNS1_11reduce_implILb1ES3_N6hipcub16HIPCUB_304000_NS22TransformInputIteratorIbN2at6native12_GLOBAL__N_19NonZeroOpIfEEPKflEEPiiNS8_6detail34convert_binary_result_type_wrapperINS8_3SumESH_iEEEE10hipError_tPvRmT1_T2_T3_mT4_P12ihipStream_tbEUlT_E1_NS1_11comp_targetILNS1_3genE9ELNS1_11target_archE1100ELNS1_3gpuE3ELNS1_3repE0EEENS1_30default_config_static_selectorELNS0_4arch9wavefront6targetE0EEEvSQ_
    .private_segment_fixed_size: 0
    .sgpr_count:     0
    .sgpr_spill_count: 0
    .symbol:         _ZN7rocprim17ROCPRIM_400000_NS6detail17trampoline_kernelINS0_14default_configENS1_22reduce_config_selectorIbEEZNS1_11reduce_implILb1ES3_N6hipcub16HIPCUB_304000_NS22TransformInputIteratorIbN2at6native12_GLOBAL__N_19NonZeroOpIfEEPKflEEPiiNS8_6detail34convert_binary_result_type_wrapperINS8_3SumESH_iEEEE10hipError_tPvRmT1_T2_T3_mT4_P12ihipStream_tbEUlT_E1_NS1_11comp_targetILNS1_3genE9ELNS1_11target_archE1100ELNS1_3gpuE3ELNS1_3repE0EEENS1_30default_config_static_selectorELNS0_4arch9wavefront6targetE0EEEvSQ_.kd
    .uniform_work_group_size: 1
    .uses_dynamic_stack: false
    .vgpr_count:     0
    .vgpr_spill_count: 0
    .wavefront_size: 32
    .workgroup_processor_mode: 1
  - .args:
      - .offset:         0
        .size:           48
        .value_kind:     by_value
    .group_segment_fixed_size: 0
    .kernarg_segment_align: 8
    .kernarg_segment_size: 48
    .language:       OpenCL C
    .language_version:
      - 2
      - 0
    .max_flat_workgroup_size: 256
    .name:           _ZN7rocprim17ROCPRIM_400000_NS6detail17trampoline_kernelINS0_14default_configENS1_22reduce_config_selectorIbEEZNS1_11reduce_implILb1ES3_N6hipcub16HIPCUB_304000_NS22TransformInputIteratorIbN2at6native12_GLOBAL__N_19NonZeroOpIfEEPKflEEPiiNS8_6detail34convert_binary_result_type_wrapperINS8_3SumESH_iEEEE10hipError_tPvRmT1_T2_T3_mT4_P12ihipStream_tbEUlT_E1_NS1_11comp_targetILNS1_3genE8ELNS1_11target_archE1030ELNS1_3gpuE2ELNS1_3repE0EEENS1_30default_config_static_selectorELNS0_4arch9wavefront6targetE0EEEvSQ_
    .private_segment_fixed_size: 0
    .sgpr_count:     0
    .sgpr_spill_count: 0
    .symbol:         _ZN7rocprim17ROCPRIM_400000_NS6detail17trampoline_kernelINS0_14default_configENS1_22reduce_config_selectorIbEEZNS1_11reduce_implILb1ES3_N6hipcub16HIPCUB_304000_NS22TransformInputIteratorIbN2at6native12_GLOBAL__N_19NonZeroOpIfEEPKflEEPiiNS8_6detail34convert_binary_result_type_wrapperINS8_3SumESH_iEEEE10hipError_tPvRmT1_T2_T3_mT4_P12ihipStream_tbEUlT_E1_NS1_11comp_targetILNS1_3genE8ELNS1_11target_archE1030ELNS1_3gpuE2ELNS1_3repE0EEENS1_30default_config_static_selectorELNS0_4arch9wavefront6targetE0EEEvSQ_.kd
    .uniform_work_group_size: 1
    .uses_dynamic_stack: false
    .vgpr_count:     0
    .vgpr_spill_count: 0
    .wavefront_size: 32
    .workgroup_processor_mode: 1
  - .args:
      - .offset:         0
        .size:           120
        .value_kind:     by_value
    .group_segment_fixed_size: 0
    .kernarg_segment_align: 8
    .kernarg_segment_size: 120
    .language:       OpenCL C
    .language_version:
      - 2
      - 0
    .max_flat_workgroup_size: 128
    .name:           _ZN7rocprim17ROCPRIM_400000_NS6detail17trampoline_kernelINS0_14default_configENS1_25partition_config_selectorILNS1_17partition_subalgoE5ElNS0_10empty_typeEbEEZZNS1_14partition_implILS5_5ELb0ES3_mN6hipcub16HIPCUB_304000_NS21CountingInputIteratorIllEEPS6_NSA_22TransformInputIteratorIbN2at6native12_GLOBAL__N_19NonZeroOpIfEEPKflEENS0_5tupleIJPlS6_EEENSN_IJSD_SD_EEES6_PiJS6_EEE10hipError_tPvRmT3_T4_T5_T6_T7_T9_mT8_P12ihipStream_tbDpT10_ENKUlT_T0_E_clISt17integral_constantIbLb0EES1B_EEDaS16_S17_EUlS16_E_NS1_11comp_targetILNS1_3genE0ELNS1_11target_archE4294967295ELNS1_3gpuE0ELNS1_3repE0EEENS1_30default_config_static_selectorELNS0_4arch9wavefront6targetE0EEEvT1_
    .private_segment_fixed_size: 0
    .sgpr_count:     0
    .sgpr_spill_count: 0
    .symbol:         _ZN7rocprim17ROCPRIM_400000_NS6detail17trampoline_kernelINS0_14default_configENS1_25partition_config_selectorILNS1_17partition_subalgoE5ElNS0_10empty_typeEbEEZZNS1_14partition_implILS5_5ELb0ES3_mN6hipcub16HIPCUB_304000_NS21CountingInputIteratorIllEEPS6_NSA_22TransformInputIteratorIbN2at6native12_GLOBAL__N_19NonZeroOpIfEEPKflEENS0_5tupleIJPlS6_EEENSN_IJSD_SD_EEES6_PiJS6_EEE10hipError_tPvRmT3_T4_T5_T6_T7_T9_mT8_P12ihipStream_tbDpT10_ENKUlT_T0_E_clISt17integral_constantIbLb0EES1B_EEDaS16_S17_EUlS16_E_NS1_11comp_targetILNS1_3genE0ELNS1_11target_archE4294967295ELNS1_3gpuE0ELNS1_3repE0EEENS1_30default_config_static_selectorELNS0_4arch9wavefront6targetE0EEEvT1_.kd
    .uniform_work_group_size: 1
    .uses_dynamic_stack: false
    .vgpr_count:     0
    .vgpr_spill_count: 0
    .wavefront_size: 32
    .workgroup_processor_mode: 1
  - .args:
      - .offset:         0
        .size:           120
        .value_kind:     by_value
    .group_segment_fixed_size: 0
    .kernarg_segment_align: 8
    .kernarg_segment_size: 120
    .language:       OpenCL C
    .language_version:
      - 2
      - 0
    .max_flat_workgroup_size: 512
    .name:           _ZN7rocprim17ROCPRIM_400000_NS6detail17trampoline_kernelINS0_14default_configENS1_25partition_config_selectorILNS1_17partition_subalgoE5ElNS0_10empty_typeEbEEZZNS1_14partition_implILS5_5ELb0ES3_mN6hipcub16HIPCUB_304000_NS21CountingInputIteratorIllEEPS6_NSA_22TransformInputIteratorIbN2at6native12_GLOBAL__N_19NonZeroOpIfEEPKflEENS0_5tupleIJPlS6_EEENSN_IJSD_SD_EEES6_PiJS6_EEE10hipError_tPvRmT3_T4_T5_T6_T7_T9_mT8_P12ihipStream_tbDpT10_ENKUlT_T0_E_clISt17integral_constantIbLb0EES1B_EEDaS16_S17_EUlS16_E_NS1_11comp_targetILNS1_3genE5ELNS1_11target_archE942ELNS1_3gpuE9ELNS1_3repE0EEENS1_30default_config_static_selectorELNS0_4arch9wavefront6targetE0EEEvT1_
    .private_segment_fixed_size: 0
    .sgpr_count:     0
    .sgpr_spill_count: 0
    .symbol:         _ZN7rocprim17ROCPRIM_400000_NS6detail17trampoline_kernelINS0_14default_configENS1_25partition_config_selectorILNS1_17partition_subalgoE5ElNS0_10empty_typeEbEEZZNS1_14partition_implILS5_5ELb0ES3_mN6hipcub16HIPCUB_304000_NS21CountingInputIteratorIllEEPS6_NSA_22TransformInputIteratorIbN2at6native12_GLOBAL__N_19NonZeroOpIfEEPKflEENS0_5tupleIJPlS6_EEENSN_IJSD_SD_EEES6_PiJS6_EEE10hipError_tPvRmT3_T4_T5_T6_T7_T9_mT8_P12ihipStream_tbDpT10_ENKUlT_T0_E_clISt17integral_constantIbLb0EES1B_EEDaS16_S17_EUlS16_E_NS1_11comp_targetILNS1_3genE5ELNS1_11target_archE942ELNS1_3gpuE9ELNS1_3repE0EEENS1_30default_config_static_selectorELNS0_4arch9wavefront6targetE0EEEvT1_.kd
    .uniform_work_group_size: 1
    .uses_dynamic_stack: false
    .vgpr_count:     0
    .vgpr_spill_count: 0
    .wavefront_size: 32
    .workgroup_processor_mode: 1
  - .args:
      - .offset:         0
        .size:           120
        .value_kind:     by_value
    .group_segment_fixed_size: 0
    .kernarg_segment_align: 8
    .kernarg_segment_size: 120
    .language:       OpenCL C
    .language_version:
      - 2
      - 0
    .max_flat_workgroup_size: 192
    .name:           _ZN7rocprim17ROCPRIM_400000_NS6detail17trampoline_kernelINS0_14default_configENS1_25partition_config_selectorILNS1_17partition_subalgoE5ElNS0_10empty_typeEbEEZZNS1_14partition_implILS5_5ELb0ES3_mN6hipcub16HIPCUB_304000_NS21CountingInputIteratorIllEEPS6_NSA_22TransformInputIteratorIbN2at6native12_GLOBAL__N_19NonZeroOpIfEEPKflEENS0_5tupleIJPlS6_EEENSN_IJSD_SD_EEES6_PiJS6_EEE10hipError_tPvRmT3_T4_T5_T6_T7_T9_mT8_P12ihipStream_tbDpT10_ENKUlT_T0_E_clISt17integral_constantIbLb0EES1B_EEDaS16_S17_EUlS16_E_NS1_11comp_targetILNS1_3genE4ELNS1_11target_archE910ELNS1_3gpuE8ELNS1_3repE0EEENS1_30default_config_static_selectorELNS0_4arch9wavefront6targetE0EEEvT1_
    .private_segment_fixed_size: 0
    .sgpr_count:     0
    .sgpr_spill_count: 0
    .symbol:         _ZN7rocprim17ROCPRIM_400000_NS6detail17trampoline_kernelINS0_14default_configENS1_25partition_config_selectorILNS1_17partition_subalgoE5ElNS0_10empty_typeEbEEZZNS1_14partition_implILS5_5ELb0ES3_mN6hipcub16HIPCUB_304000_NS21CountingInputIteratorIllEEPS6_NSA_22TransformInputIteratorIbN2at6native12_GLOBAL__N_19NonZeroOpIfEEPKflEENS0_5tupleIJPlS6_EEENSN_IJSD_SD_EEES6_PiJS6_EEE10hipError_tPvRmT3_T4_T5_T6_T7_T9_mT8_P12ihipStream_tbDpT10_ENKUlT_T0_E_clISt17integral_constantIbLb0EES1B_EEDaS16_S17_EUlS16_E_NS1_11comp_targetILNS1_3genE4ELNS1_11target_archE910ELNS1_3gpuE8ELNS1_3repE0EEENS1_30default_config_static_selectorELNS0_4arch9wavefront6targetE0EEEvT1_.kd
    .uniform_work_group_size: 1
    .uses_dynamic_stack: false
    .vgpr_count:     0
    .vgpr_spill_count: 0
    .wavefront_size: 32
    .workgroup_processor_mode: 1
  - .args:
      - .offset:         0
        .size:           120
        .value_kind:     by_value
    .group_segment_fixed_size: 0
    .kernarg_segment_align: 8
    .kernarg_segment_size: 120
    .language:       OpenCL C
    .language_version:
      - 2
      - 0
    .max_flat_workgroup_size: 128
    .name:           _ZN7rocprim17ROCPRIM_400000_NS6detail17trampoline_kernelINS0_14default_configENS1_25partition_config_selectorILNS1_17partition_subalgoE5ElNS0_10empty_typeEbEEZZNS1_14partition_implILS5_5ELb0ES3_mN6hipcub16HIPCUB_304000_NS21CountingInputIteratorIllEEPS6_NSA_22TransformInputIteratorIbN2at6native12_GLOBAL__N_19NonZeroOpIfEEPKflEENS0_5tupleIJPlS6_EEENSN_IJSD_SD_EEES6_PiJS6_EEE10hipError_tPvRmT3_T4_T5_T6_T7_T9_mT8_P12ihipStream_tbDpT10_ENKUlT_T0_E_clISt17integral_constantIbLb0EES1B_EEDaS16_S17_EUlS16_E_NS1_11comp_targetILNS1_3genE3ELNS1_11target_archE908ELNS1_3gpuE7ELNS1_3repE0EEENS1_30default_config_static_selectorELNS0_4arch9wavefront6targetE0EEEvT1_
    .private_segment_fixed_size: 0
    .sgpr_count:     0
    .sgpr_spill_count: 0
    .symbol:         _ZN7rocprim17ROCPRIM_400000_NS6detail17trampoline_kernelINS0_14default_configENS1_25partition_config_selectorILNS1_17partition_subalgoE5ElNS0_10empty_typeEbEEZZNS1_14partition_implILS5_5ELb0ES3_mN6hipcub16HIPCUB_304000_NS21CountingInputIteratorIllEEPS6_NSA_22TransformInputIteratorIbN2at6native12_GLOBAL__N_19NonZeroOpIfEEPKflEENS0_5tupleIJPlS6_EEENSN_IJSD_SD_EEES6_PiJS6_EEE10hipError_tPvRmT3_T4_T5_T6_T7_T9_mT8_P12ihipStream_tbDpT10_ENKUlT_T0_E_clISt17integral_constantIbLb0EES1B_EEDaS16_S17_EUlS16_E_NS1_11comp_targetILNS1_3genE3ELNS1_11target_archE908ELNS1_3gpuE7ELNS1_3repE0EEENS1_30default_config_static_selectorELNS0_4arch9wavefront6targetE0EEEvT1_.kd
    .uniform_work_group_size: 1
    .uses_dynamic_stack: false
    .vgpr_count:     0
    .vgpr_spill_count: 0
    .wavefront_size: 32
    .workgroup_processor_mode: 1
  - .args:
      - .offset:         0
        .size:           120
        .value_kind:     by_value
    .group_segment_fixed_size: 0
    .kernarg_segment_align: 8
    .kernarg_segment_size: 120
    .language:       OpenCL C
    .language_version:
      - 2
      - 0
    .max_flat_workgroup_size: 256
    .name:           _ZN7rocprim17ROCPRIM_400000_NS6detail17trampoline_kernelINS0_14default_configENS1_25partition_config_selectorILNS1_17partition_subalgoE5ElNS0_10empty_typeEbEEZZNS1_14partition_implILS5_5ELb0ES3_mN6hipcub16HIPCUB_304000_NS21CountingInputIteratorIllEEPS6_NSA_22TransformInputIteratorIbN2at6native12_GLOBAL__N_19NonZeroOpIfEEPKflEENS0_5tupleIJPlS6_EEENSN_IJSD_SD_EEES6_PiJS6_EEE10hipError_tPvRmT3_T4_T5_T6_T7_T9_mT8_P12ihipStream_tbDpT10_ENKUlT_T0_E_clISt17integral_constantIbLb0EES1B_EEDaS16_S17_EUlS16_E_NS1_11comp_targetILNS1_3genE2ELNS1_11target_archE906ELNS1_3gpuE6ELNS1_3repE0EEENS1_30default_config_static_selectorELNS0_4arch9wavefront6targetE0EEEvT1_
    .private_segment_fixed_size: 0
    .sgpr_count:     0
    .sgpr_spill_count: 0
    .symbol:         _ZN7rocprim17ROCPRIM_400000_NS6detail17trampoline_kernelINS0_14default_configENS1_25partition_config_selectorILNS1_17partition_subalgoE5ElNS0_10empty_typeEbEEZZNS1_14partition_implILS5_5ELb0ES3_mN6hipcub16HIPCUB_304000_NS21CountingInputIteratorIllEEPS6_NSA_22TransformInputIteratorIbN2at6native12_GLOBAL__N_19NonZeroOpIfEEPKflEENS0_5tupleIJPlS6_EEENSN_IJSD_SD_EEES6_PiJS6_EEE10hipError_tPvRmT3_T4_T5_T6_T7_T9_mT8_P12ihipStream_tbDpT10_ENKUlT_T0_E_clISt17integral_constantIbLb0EES1B_EEDaS16_S17_EUlS16_E_NS1_11comp_targetILNS1_3genE2ELNS1_11target_archE906ELNS1_3gpuE6ELNS1_3repE0EEENS1_30default_config_static_selectorELNS0_4arch9wavefront6targetE0EEEvT1_.kd
    .uniform_work_group_size: 1
    .uses_dynamic_stack: false
    .vgpr_count:     0
    .vgpr_spill_count: 0
    .wavefront_size: 32
    .workgroup_processor_mode: 1
  - .args:
      - .offset:         0
        .size:           120
        .value_kind:     by_value
    .group_segment_fixed_size: 8464
    .kernarg_segment_align: 8
    .kernarg_segment_size: 120
    .language:       OpenCL C
    .language_version:
      - 2
      - 0
    .max_flat_workgroup_size: 256
    .name:           _ZN7rocprim17ROCPRIM_400000_NS6detail17trampoline_kernelINS0_14default_configENS1_25partition_config_selectorILNS1_17partition_subalgoE5ElNS0_10empty_typeEbEEZZNS1_14partition_implILS5_5ELb0ES3_mN6hipcub16HIPCUB_304000_NS21CountingInputIteratorIllEEPS6_NSA_22TransformInputIteratorIbN2at6native12_GLOBAL__N_19NonZeroOpIfEEPKflEENS0_5tupleIJPlS6_EEENSN_IJSD_SD_EEES6_PiJS6_EEE10hipError_tPvRmT3_T4_T5_T6_T7_T9_mT8_P12ihipStream_tbDpT10_ENKUlT_T0_E_clISt17integral_constantIbLb0EES1B_EEDaS16_S17_EUlS16_E_NS1_11comp_targetILNS1_3genE10ELNS1_11target_archE1200ELNS1_3gpuE4ELNS1_3repE0EEENS1_30default_config_static_selectorELNS0_4arch9wavefront6targetE0EEEvT1_
    .private_segment_fixed_size: 0
    .sgpr_count:     22
    .sgpr_spill_count: 0
    .symbol:         _ZN7rocprim17ROCPRIM_400000_NS6detail17trampoline_kernelINS0_14default_configENS1_25partition_config_selectorILNS1_17partition_subalgoE5ElNS0_10empty_typeEbEEZZNS1_14partition_implILS5_5ELb0ES3_mN6hipcub16HIPCUB_304000_NS21CountingInputIteratorIllEEPS6_NSA_22TransformInputIteratorIbN2at6native12_GLOBAL__N_19NonZeroOpIfEEPKflEENS0_5tupleIJPlS6_EEENSN_IJSD_SD_EEES6_PiJS6_EEE10hipError_tPvRmT3_T4_T5_T6_T7_T9_mT8_P12ihipStream_tbDpT10_ENKUlT_T0_E_clISt17integral_constantIbLb0EES1B_EEDaS16_S17_EUlS16_E_NS1_11comp_targetILNS1_3genE10ELNS1_11target_archE1200ELNS1_3gpuE4ELNS1_3repE0EEENS1_30default_config_static_selectorELNS0_4arch9wavefront6targetE0EEEvT1_.kd
    .uniform_work_group_size: 1
    .uses_dynamic_stack: false
    .vgpr_count:     46
    .vgpr_spill_count: 0
    .wavefront_size: 32
    .workgroup_processor_mode: 1
  - .args:
      - .offset:         0
        .size:           120
        .value_kind:     by_value
    .group_segment_fixed_size: 0
    .kernarg_segment_align: 8
    .kernarg_segment_size: 120
    .language:       OpenCL C
    .language_version:
      - 2
      - 0
    .max_flat_workgroup_size: 128
    .name:           _ZN7rocprim17ROCPRIM_400000_NS6detail17trampoline_kernelINS0_14default_configENS1_25partition_config_selectorILNS1_17partition_subalgoE5ElNS0_10empty_typeEbEEZZNS1_14partition_implILS5_5ELb0ES3_mN6hipcub16HIPCUB_304000_NS21CountingInputIteratorIllEEPS6_NSA_22TransformInputIteratorIbN2at6native12_GLOBAL__N_19NonZeroOpIfEEPKflEENS0_5tupleIJPlS6_EEENSN_IJSD_SD_EEES6_PiJS6_EEE10hipError_tPvRmT3_T4_T5_T6_T7_T9_mT8_P12ihipStream_tbDpT10_ENKUlT_T0_E_clISt17integral_constantIbLb0EES1B_EEDaS16_S17_EUlS16_E_NS1_11comp_targetILNS1_3genE9ELNS1_11target_archE1100ELNS1_3gpuE3ELNS1_3repE0EEENS1_30default_config_static_selectorELNS0_4arch9wavefront6targetE0EEEvT1_
    .private_segment_fixed_size: 0
    .sgpr_count:     0
    .sgpr_spill_count: 0
    .symbol:         _ZN7rocprim17ROCPRIM_400000_NS6detail17trampoline_kernelINS0_14default_configENS1_25partition_config_selectorILNS1_17partition_subalgoE5ElNS0_10empty_typeEbEEZZNS1_14partition_implILS5_5ELb0ES3_mN6hipcub16HIPCUB_304000_NS21CountingInputIteratorIllEEPS6_NSA_22TransformInputIteratorIbN2at6native12_GLOBAL__N_19NonZeroOpIfEEPKflEENS0_5tupleIJPlS6_EEENSN_IJSD_SD_EEES6_PiJS6_EEE10hipError_tPvRmT3_T4_T5_T6_T7_T9_mT8_P12ihipStream_tbDpT10_ENKUlT_T0_E_clISt17integral_constantIbLb0EES1B_EEDaS16_S17_EUlS16_E_NS1_11comp_targetILNS1_3genE9ELNS1_11target_archE1100ELNS1_3gpuE3ELNS1_3repE0EEENS1_30default_config_static_selectorELNS0_4arch9wavefront6targetE0EEEvT1_.kd
    .uniform_work_group_size: 1
    .uses_dynamic_stack: false
    .vgpr_count:     0
    .vgpr_spill_count: 0
    .wavefront_size: 32
    .workgroup_processor_mode: 1
  - .args:
      - .offset:         0
        .size:           120
        .value_kind:     by_value
    .group_segment_fixed_size: 0
    .kernarg_segment_align: 8
    .kernarg_segment_size: 120
    .language:       OpenCL C
    .language_version:
      - 2
      - 0
    .max_flat_workgroup_size: 512
    .name:           _ZN7rocprim17ROCPRIM_400000_NS6detail17trampoline_kernelINS0_14default_configENS1_25partition_config_selectorILNS1_17partition_subalgoE5ElNS0_10empty_typeEbEEZZNS1_14partition_implILS5_5ELb0ES3_mN6hipcub16HIPCUB_304000_NS21CountingInputIteratorIllEEPS6_NSA_22TransformInputIteratorIbN2at6native12_GLOBAL__N_19NonZeroOpIfEEPKflEENS0_5tupleIJPlS6_EEENSN_IJSD_SD_EEES6_PiJS6_EEE10hipError_tPvRmT3_T4_T5_T6_T7_T9_mT8_P12ihipStream_tbDpT10_ENKUlT_T0_E_clISt17integral_constantIbLb0EES1B_EEDaS16_S17_EUlS16_E_NS1_11comp_targetILNS1_3genE8ELNS1_11target_archE1030ELNS1_3gpuE2ELNS1_3repE0EEENS1_30default_config_static_selectorELNS0_4arch9wavefront6targetE0EEEvT1_
    .private_segment_fixed_size: 0
    .sgpr_count:     0
    .sgpr_spill_count: 0
    .symbol:         _ZN7rocprim17ROCPRIM_400000_NS6detail17trampoline_kernelINS0_14default_configENS1_25partition_config_selectorILNS1_17partition_subalgoE5ElNS0_10empty_typeEbEEZZNS1_14partition_implILS5_5ELb0ES3_mN6hipcub16HIPCUB_304000_NS21CountingInputIteratorIllEEPS6_NSA_22TransformInputIteratorIbN2at6native12_GLOBAL__N_19NonZeroOpIfEEPKflEENS0_5tupleIJPlS6_EEENSN_IJSD_SD_EEES6_PiJS6_EEE10hipError_tPvRmT3_T4_T5_T6_T7_T9_mT8_P12ihipStream_tbDpT10_ENKUlT_T0_E_clISt17integral_constantIbLb0EES1B_EEDaS16_S17_EUlS16_E_NS1_11comp_targetILNS1_3genE8ELNS1_11target_archE1030ELNS1_3gpuE2ELNS1_3repE0EEENS1_30default_config_static_selectorELNS0_4arch9wavefront6targetE0EEEvT1_.kd
    .uniform_work_group_size: 1
    .uses_dynamic_stack: false
    .vgpr_count:     0
    .vgpr_spill_count: 0
    .wavefront_size: 32
    .workgroup_processor_mode: 1
  - .args:
      - .offset:         0
        .size:           136
        .value_kind:     by_value
    .group_segment_fixed_size: 0
    .kernarg_segment_align: 8
    .kernarg_segment_size: 136
    .language:       OpenCL C
    .language_version:
      - 2
      - 0
    .max_flat_workgroup_size: 128
    .name:           _ZN7rocprim17ROCPRIM_400000_NS6detail17trampoline_kernelINS0_14default_configENS1_25partition_config_selectorILNS1_17partition_subalgoE5ElNS0_10empty_typeEbEEZZNS1_14partition_implILS5_5ELb0ES3_mN6hipcub16HIPCUB_304000_NS21CountingInputIteratorIllEEPS6_NSA_22TransformInputIteratorIbN2at6native12_GLOBAL__N_19NonZeroOpIfEEPKflEENS0_5tupleIJPlS6_EEENSN_IJSD_SD_EEES6_PiJS6_EEE10hipError_tPvRmT3_T4_T5_T6_T7_T9_mT8_P12ihipStream_tbDpT10_ENKUlT_T0_E_clISt17integral_constantIbLb1EES1B_EEDaS16_S17_EUlS16_E_NS1_11comp_targetILNS1_3genE0ELNS1_11target_archE4294967295ELNS1_3gpuE0ELNS1_3repE0EEENS1_30default_config_static_selectorELNS0_4arch9wavefront6targetE0EEEvT1_
    .private_segment_fixed_size: 0
    .sgpr_count:     0
    .sgpr_spill_count: 0
    .symbol:         _ZN7rocprim17ROCPRIM_400000_NS6detail17trampoline_kernelINS0_14default_configENS1_25partition_config_selectorILNS1_17partition_subalgoE5ElNS0_10empty_typeEbEEZZNS1_14partition_implILS5_5ELb0ES3_mN6hipcub16HIPCUB_304000_NS21CountingInputIteratorIllEEPS6_NSA_22TransformInputIteratorIbN2at6native12_GLOBAL__N_19NonZeroOpIfEEPKflEENS0_5tupleIJPlS6_EEENSN_IJSD_SD_EEES6_PiJS6_EEE10hipError_tPvRmT3_T4_T5_T6_T7_T9_mT8_P12ihipStream_tbDpT10_ENKUlT_T0_E_clISt17integral_constantIbLb1EES1B_EEDaS16_S17_EUlS16_E_NS1_11comp_targetILNS1_3genE0ELNS1_11target_archE4294967295ELNS1_3gpuE0ELNS1_3repE0EEENS1_30default_config_static_selectorELNS0_4arch9wavefront6targetE0EEEvT1_.kd
    .uniform_work_group_size: 1
    .uses_dynamic_stack: false
    .vgpr_count:     0
    .vgpr_spill_count: 0
    .wavefront_size: 32
    .workgroup_processor_mode: 1
  - .args:
      - .offset:         0
        .size:           136
        .value_kind:     by_value
    .group_segment_fixed_size: 0
    .kernarg_segment_align: 8
    .kernarg_segment_size: 136
    .language:       OpenCL C
    .language_version:
      - 2
      - 0
    .max_flat_workgroup_size: 512
    .name:           _ZN7rocprim17ROCPRIM_400000_NS6detail17trampoline_kernelINS0_14default_configENS1_25partition_config_selectorILNS1_17partition_subalgoE5ElNS0_10empty_typeEbEEZZNS1_14partition_implILS5_5ELb0ES3_mN6hipcub16HIPCUB_304000_NS21CountingInputIteratorIllEEPS6_NSA_22TransformInputIteratorIbN2at6native12_GLOBAL__N_19NonZeroOpIfEEPKflEENS0_5tupleIJPlS6_EEENSN_IJSD_SD_EEES6_PiJS6_EEE10hipError_tPvRmT3_T4_T5_T6_T7_T9_mT8_P12ihipStream_tbDpT10_ENKUlT_T0_E_clISt17integral_constantIbLb1EES1B_EEDaS16_S17_EUlS16_E_NS1_11comp_targetILNS1_3genE5ELNS1_11target_archE942ELNS1_3gpuE9ELNS1_3repE0EEENS1_30default_config_static_selectorELNS0_4arch9wavefront6targetE0EEEvT1_
    .private_segment_fixed_size: 0
    .sgpr_count:     0
    .sgpr_spill_count: 0
    .symbol:         _ZN7rocprim17ROCPRIM_400000_NS6detail17trampoline_kernelINS0_14default_configENS1_25partition_config_selectorILNS1_17partition_subalgoE5ElNS0_10empty_typeEbEEZZNS1_14partition_implILS5_5ELb0ES3_mN6hipcub16HIPCUB_304000_NS21CountingInputIteratorIllEEPS6_NSA_22TransformInputIteratorIbN2at6native12_GLOBAL__N_19NonZeroOpIfEEPKflEENS0_5tupleIJPlS6_EEENSN_IJSD_SD_EEES6_PiJS6_EEE10hipError_tPvRmT3_T4_T5_T6_T7_T9_mT8_P12ihipStream_tbDpT10_ENKUlT_T0_E_clISt17integral_constantIbLb1EES1B_EEDaS16_S17_EUlS16_E_NS1_11comp_targetILNS1_3genE5ELNS1_11target_archE942ELNS1_3gpuE9ELNS1_3repE0EEENS1_30default_config_static_selectorELNS0_4arch9wavefront6targetE0EEEvT1_.kd
    .uniform_work_group_size: 1
    .uses_dynamic_stack: false
    .vgpr_count:     0
    .vgpr_spill_count: 0
    .wavefront_size: 32
    .workgroup_processor_mode: 1
  - .args:
      - .offset:         0
        .size:           136
        .value_kind:     by_value
    .group_segment_fixed_size: 0
    .kernarg_segment_align: 8
    .kernarg_segment_size: 136
    .language:       OpenCL C
    .language_version:
      - 2
      - 0
    .max_flat_workgroup_size: 192
    .name:           _ZN7rocprim17ROCPRIM_400000_NS6detail17trampoline_kernelINS0_14default_configENS1_25partition_config_selectorILNS1_17partition_subalgoE5ElNS0_10empty_typeEbEEZZNS1_14partition_implILS5_5ELb0ES3_mN6hipcub16HIPCUB_304000_NS21CountingInputIteratorIllEEPS6_NSA_22TransformInputIteratorIbN2at6native12_GLOBAL__N_19NonZeroOpIfEEPKflEENS0_5tupleIJPlS6_EEENSN_IJSD_SD_EEES6_PiJS6_EEE10hipError_tPvRmT3_T4_T5_T6_T7_T9_mT8_P12ihipStream_tbDpT10_ENKUlT_T0_E_clISt17integral_constantIbLb1EES1B_EEDaS16_S17_EUlS16_E_NS1_11comp_targetILNS1_3genE4ELNS1_11target_archE910ELNS1_3gpuE8ELNS1_3repE0EEENS1_30default_config_static_selectorELNS0_4arch9wavefront6targetE0EEEvT1_
    .private_segment_fixed_size: 0
    .sgpr_count:     0
    .sgpr_spill_count: 0
    .symbol:         _ZN7rocprim17ROCPRIM_400000_NS6detail17trampoline_kernelINS0_14default_configENS1_25partition_config_selectorILNS1_17partition_subalgoE5ElNS0_10empty_typeEbEEZZNS1_14partition_implILS5_5ELb0ES3_mN6hipcub16HIPCUB_304000_NS21CountingInputIteratorIllEEPS6_NSA_22TransformInputIteratorIbN2at6native12_GLOBAL__N_19NonZeroOpIfEEPKflEENS0_5tupleIJPlS6_EEENSN_IJSD_SD_EEES6_PiJS6_EEE10hipError_tPvRmT3_T4_T5_T6_T7_T9_mT8_P12ihipStream_tbDpT10_ENKUlT_T0_E_clISt17integral_constantIbLb1EES1B_EEDaS16_S17_EUlS16_E_NS1_11comp_targetILNS1_3genE4ELNS1_11target_archE910ELNS1_3gpuE8ELNS1_3repE0EEENS1_30default_config_static_selectorELNS0_4arch9wavefront6targetE0EEEvT1_.kd
    .uniform_work_group_size: 1
    .uses_dynamic_stack: false
    .vgpr_count:     0
    .vgpr_spill_count: 0
    .wavefront_size: 32
    .workgroup_processor_mode: 1
  - .args:
      - .offset:         0
        .size:           136
        .value_kind:     by_value
    .group_segment_fixed_size: 0
    .kernarg_segment_align: 8
    .kernarg_segment_size: 136
    .language:       OpenCL C
    .language_version:
      - 2
      - 0
    .max_flat_workgroup_size: 128
    .name:           _ZN7rocprim17ROCPRIM_400000_NS6detail17trampoline_kernelINS0_14default_configENS1_25partition_config_selectorILNS1_17partition_subalgoE5ElNS0_10empty_typeEbEEZZNS1_14partition_implILS5_5ELb0ES3_mN6hipcub16HIPCUB_304000_NS21CountingInputIteratorIllEEPS6_NSA_22TransformInputIteratorIbN2at6native12_GLOBAL__N_19NonZeroOpIfEEPKflEENS0_5tupleIJPlS6_EEENSN_IJSD_SD_EEES6_PiJS6_EEE10hipError_tPvRmT3_T4_T5_T6_T7_T9_mT8_P12ihipStream_tbDpT10_ENKUlT_T0_E_clISt17integral_constantIbLb1EES1B_EEDaS16_S17_EUlS16_E_NS1_11comp_targetILNS1_3genE3ELNS1_11target_archE908ELNS1_3gpuE7ELNS1_3repE0EEENS1_30default_config_static_selectorELNS0_4arch9wavefront6targetE0EEEvT1_
    .private_segment_fixed_size: 0
    .sgpr_count:     0
    .sgpr_spill_count: 0
    .symbol:         _ZN7rocprim17ROCPRIM_400000_NS6detail17trampoline_kernelINS0_14default_configENS1_25partition_config_selectorILNS1_17partition_subalgoE5ElNS0_10empty_typeEbEEZZNS1_14partition_implILS5_5ELb0ES3_mN6hipcub16HIPCUB_304000_NS21CountingInputIteratorIllEEPS6_NSA_22TransformInputIteratorIbN2at6native12_GLOBAL__N_19NonZeroOpIfEEPKflEENS0_5tupleIJPlS6_EEENSN_IJSD_SD_EEES6_PiJS6_EEE10hipError_tPvRmT3_T4_T5_T6_T7_T9_mT8_P12ihipStream_tbDpT10_ENKUlT_T0_E_clISt17integral_constantIbLb1EES1B_EEDaS16_S17_EUlS16_E_NS1_11comp_targetILNS1_3genE3ELNS1_11target_archE908ELNS1_3gpuE7ELNS1_3repE0EEENS1_30default_config_static_selectorELNS0_4arch9wavefront6targetE0EEEvT1_.kd
    .uniform_work_group_size: 1
    .uses_dynamic_stack: false
    .vgpr_count:     0
    .vgpr_spill_count: 0
    .wavefront_size: 32
    .workgroup_processor_mode: 1
  - .args:
      - .offset:         0
        .size:           136
        .value_kind:     by_value
    .group_segment_fixed_size: 0
    .kernarg_segment_align: 8
    .kernarg_segment_size: 136
    .language:       OpenCL C
    .language_version:
      - 2
      - 0
    .max_flat_workgroup_size: 256
    .name:           _ZN7rocprim17ROCPRIM_400000_NS6detail17trampoline_kernelINS0_14default_configENS1_25partition_config_selectorILNS1_17partition_subalgoE5ElNS0_10empty_typeEbEEZZNS1_14partition_implILS5_5ELb0ES3_mN6hipcub16HIPCUB_304000_NS21CountingInputIteratorIllEEPS6_NSA_22TransformInputIteratorIbN2at6native12_GLOBAL__N_19NonZeroOpIfEEPKflEENS0_5tupleIJPlS6_EEENSN_IJSD_SD_EEES6_PiJS6_EEE10hipError_tPvRmT3_T4_T5_T6_T7_T9_mT8_P12ihipStream_tbDpT10_ENKUlT_T0_E_clISt17integral_constantIbLb1EES1B_EEDaS16_S17_EUlS16_E_NS1_11comp_targetILNS1_3genE2ELNS1_11target_archE906ELNS1_3gpuE6ELNS1_3repE0EEENS1_30default_config_static_selectorELNS0_4arch9wavefront6targetE0EEEvT1_
    .private_segment_fixed_size: 0
    .sgpr_count:     0
    .sgpr_spill_count: 0
    .symbol:         _ZN7rocprim17ROCPRIM_400000_NS6detail17trampoline_kernelINS0_14default_configENS1_25partition_config_selectorILNS1_17partition_subalgoE5ElNS0_10empty_typeEbEEZZNS1_14partition_implILS5_5ELb0ES3_mN6hipcub16HIPCUB_304000_NS21CountingInputIteratorIllEEPS6_NSA_22TransformInputIteratorIbN2at6native12_GLOBAL__N_19NonZeroOpIfEEPKflEENS0_5tupleIJPlS6_EEENSN_IJSD_SD_EEES6_PiJS6_EEE10hipError_tPvRmT3_T4_T5_T6_T7_T9_mT8_P12ihipStream_tbDpT10_ENKUlT_T0_E_clISt17integral_constantIbLb1EES1B_EEDaS16_S17_EUlS16_E_NS1_11comp_targetILNS1_3genE2ELNS1_11target_archE906ELNS1_3gpuE6ELNS1_3repE0EEENS1_30default_config_static_selectorELNS0_4arch9wavefront6targetE0EEEvT1_.kd
    .uniform_work_group_size: 1
    .uses_dynamic_stack: false
    .vgpr_count:     0
    .vgpr_spill_count: 0
    .wavefront_size: 32
    .workgroup_processor_mode: 1
  - .args:
      - .offset:         0
        .size:           136
        .value_kind:     by_value
    .group_segment_fixed_size: 0
    .kernarg_segment_align: 8
    .kernarg_segment_size: 136
    .language:       OpenCL C
    .language_version:
      - 2
      - 0
    .max_flat_workgroup_size: 256
    .name:           _ZN7rocprim17ROCPRIM_400000_NS6detail17trampoline_kernelINS0_14default_configENS1_25partition_config_selectorILNS1_17partition_subalgoE5ElNS0_10empty_typeEbEEZZNS1_14partition_implILS5_5ELb0ES3_mN6hipcub16HIPCUB_304000_NS21CountingInputIteratorIllEEPS6_NSA_22TransformInputIteratorIbN2at6native12_GLOBAL__N_19NonZeroOpIfEEPKflEENS0_5tupleIJPlS6_EEENSN_IJSD_SD_EEES6_PiJS6_EEE10hipError_tPvRmT3_T4_T5_T6_T7_T9_mT8_P12ihipStream_tbDpT10_ENKUlT_T0_E_clISt17integral_constantIbLb1EES1B_EEDaS16_S17_EUlS16_E_NS1_11comp_targetILNS1_3genE10ELNS1_11target_archE1200ELNS1_3gpuE4ELNS1_3repE0EEENS1_30default_config_static_selectorELNS0_4arch9wavefront6targetE0EEEvT1_
    .private_segment_fixed_size: 0
    .sgpr_count:     0
    .sgpr_spill_count: 0
    .symbol:         _ZN7rocprim17ROCPRIM_400000_NS6detail17trampoline_kernelINS0_14default_configENS1_25partition_config_selectorILNS1_17partition_subalgoE5ElNS0_10empty_typeEbEEZZNS1_14partition_implILS5_5ELb0ES3_mN6hipcub16HIPCUB_304000_NS21CountingInputIteratorIllEEPS6_NSA_22TransformInputIteratorIbN2at6native12_GLOBAL__N_19NonZeroOpIfEEPKflEENS0_5tupleIJPlS6_EEENSN_IJSD_SD_EEES6_PiJS6_EEE10hipError_tPvRmT3_T4_T5_T6_T7_T9_mT8_P12ihipStream_tbDpT10_ENKUlT_T0_E_clISt17integral_constantIbLb1EES1B_EEDaS16_S17_EUlS16_E_NS1_11comp_targetILNS1_3genE10ELNS1_11target_archE1200ELNS1_3gpuE4ELNS1_3repE0EEENS1_30default_config_static_selectorELNS0_4arch9wavefront6targetE0EEEvT1_.kd
    .uniform_work_group_size: 1
    .uses_dynamic_stack: false
    .vgpr_count:     0
    .vgpr_spill_count: 0
    .wavefront_size: 32
    .workgroup_processor_mode: 1
  - .args:
      - .offset:         0
        .size:           136
        .value_kind:     by_value
    .group_segment_fixed_size: 0
    .kernarg_segment_align: 8
    .kernarg_segment_size: 136
    .language:       OpenCL C
    .language_version:
      - 2
      - 0
    .max_flat_workgroup_size: 128
    .name:           _ZN7rocprim17ROCPRIM_400000_NS6detail17trampoline_kernelINS0_14default_configENS1_25partition_config_selectorILNS1_17partition_subalgoE5ElNS0_10empty_typeEbEEZZNS1_14partition_implILS5_5ELb0ES3_mN6hipcub16HIPCUB_304000_NS21CountingInputIteratorIllEEPS6_NSA_22TransformInputIteratorIbN2at6native12_GLOBAL__N_19NonZeroOpIfEEPKflEENS0_5tupleIJPlS6_EEENSN_IJSD_SD_EEES6_PiJS6_EEE10hipError_tPvRmT3_T4_T5_T6_T7_T9_mT8_P12ihipStream_tbDpT10_ENKUlT_T0_E_clISt17integral_constantIbLb1EES1B_EEDaS16_S17_EUlS16_E_NS1_11comp_targetILNS1_3genE9ELNS1_11target_archE1100ELNS1_3gpuE3ELNS1_3repE0EEENS1_30default_config_static_selectorELNS0_4arch9wavefront6targetE0EEEvT1_
    .private_segment_fixed_size: 0
    .sgpr_count:     0
    .sgpr_spill_count: 0
    .symbol:         _ZN7rocprim17ROCPRIM_400000_NS6detail17trampoline_kernelINS0_14default_configENS1_25partition_config_selectorILNS1_17partition_subalgoE5ElNS0_10empty_typeEbEEZZNS1_14partition_implILS5_5ELb0ES3_mN6hipcub16HIPCUB_304000_NS21CountingInputIteratorIllEEPS6_NSA_22TransformInputIteratorIbN2at6native12_GLOBAL__N_19NonZeroOpIfEEPKflEENS0_5tupleIJPlS6_EEENSN_IJSD_SD_EEES6_PiJS6_EEE10hipError_tPvRmT3_T4_T5_T6_T7_T9_mT8_P12ihipStream_tbDpT10_ENKUlT_T0_E_clISt17integral_constantIbLb1EES1B_EEDaS16_S17_EUlS16_E_NS1_11comp_targetILNS1_3genE9ELNS1_11target_archE1100ELNS1_3gpuE3ELNS1_3repE0EEENS1_30default_config_static_selectorELNS0_4arch9wavefront6targetE0EEEvT1_.kd
    .uniform_work_group_size: 1
    .uses_dynamic_stack: false
    .vgpr_count:     0
    .vgpr_spill_count: 0
    .wavefront_size: 32
    .workgroup_processor_mode: 1
  - .args:
      - .offset:         0
        .size:           136
        .value_kind:     by_value
    .group_segment_fixed_size: 0
    .kernarg_segment_align: 8
    .kernarg_segment_size: 136
    .language:       OpenCL C
    .language_version:
      - 2
      - 0
    .max_flat_workgroup_size: 512
    .name:           _ZN7rocprim17ROCPRIM_400000_NS6detail17trampoline_kernelINS0_14default_configENS1_25partition_config_selectorILNS1_17partition_subalgoE5ElNS0_10empty_typeEbEEZZNS1_14partition_implILS5_5ELb0ES3_mN6hipcub16HIPCUB_304000_NS21CountingInputIteratorIllEEPS6_NSA_22TransformInputIteratorIbN2at6native12_GLOBAL__N_19NonZeroOpIfEEPKflEENS0_5tupleIJPlS6_EEENSN_IJSD_SD_EEES6_PiJS6_EEE10hipError_tPvRmT3_T4_T5_T6_T7_T9_mT8_P12ihipStream_tbDpT10_ENKUlT_T0_E_clISt17integral_constantIbLb1EES1B_EEDaS16_S17_EUlS16_E_NS1_11comp_targetILNS1_3genE8ELNS1_11target_archE1030ELNS1_3gpuE2ELNS1_3repE0EEENS1_30default_config_static_selectorELNS0_4arch9wavefront6targetE0EEEvT1_
    .private_segment_fixed_size: 0
    .sgpr_count:     0
    .sgpr_spill_count: 0
    .symbol:         _ZN7rocprim17ROCPRIM_400000_NS6detail17trampoline_kernelINS0_14default_configENS1_25partition_config_selectorILNS1_17partition_subalgoE5ElNS0_10empty_typeEbEEZZNS1_14partition_implILS5_5ELb0ES3_mN6hipcub16HIPCUB_304000_NS21CountingInputIteratorIllEEPS6_NSA_22TransformInputIteratorIbN2at6native12_GLOBAL__N_19NonZeroOpIfEEPKflEENS0_5tupleIJPlS6_EEENSN_IJSD_SD_EEES6_PiJS6_EEE10hipError_tPvRmT3_T4_T5_T6_T7_T9_mT8_P12ihipStream_tbDpT10_ENKUlT_T0_E_clISt17integral_constantIbLb1EES1B_EEDaS16_S17_EUlS16_E_NS1_11comp_targetILNS1_3genE8ELNS1_11target_archE1030ELNS1_3gpuE2ELNS1_3repE0EEENS1_30default_config_static_selectorELNS0_4arch9wavefront6targetE0EEEvT1_.kd
    .uniform_work_group_size: 1
    .uses_dynamic_stack: false
    .vgpr_count:     0
    .vgpr_spill_count: 0
    .wavefront_size: 32
    .workgroup_processor_mode: 1
  - .args:
      - .offset:         0
        .size:           120
        .value_kind:     by_value
    .group_segment_fixed_size: 0
    .kernarg_segment_align: 8
    .kernarg_segment_size: 120
    .language:       OpenCL C
    .language_version:
      - 2
      - 0
    .max_flat_workgroup_size: 128
    .name:           _ZN7rocprim17ROCPRIM_400000_NS6detail17trampoline_kernelINS0_14default_configENS1_25partition_config_selectorILNS1_17partition_subalgoE5ElNS0_10empty_typeEbEEZZNS1_14partition_implILS5_5ELb0ES3_mN6hipcub16HIPCUB_304000_NS21CountingInputIteratorIllEEPS6_NSA_22TransformInputIteratorIbN2at6native12_GLOBAL__N_19NonZeroOpIfEEPKflEENS0_5tupleIJPlS6_EEENSN_IJSD_SD_EEES6_PiJS6_EEE10hipError_tPvRmT3_T4_T5_T6_T7_T9_mT8_P12ihipStream_tbDpT10_ENKUlT_T0_E_clISt17integral_constantIbLb1EES1A_IbLb0EEEEDaS16_S17_EUlS16_E_NS1_11comp_targetILNS1_3genE0ELNS1_11target_archE4294967295ELNS1_3gpuE0ELNS1_3repE0EEENS1_30default_config_static_selectorELNS0_4arch9wavefront6targetE0EEEvT1_
    .private_segment_fixed_size: 0
    .sgpr_count:     0
    .sgpr_spill_count: 0
    .symbol:         _ZN7rocprim17ROCPRIM_400000_NS6detail17trampoline_kernelINS0_14default_configENS1_25partition_config_selectorILNS1_17partition_subalgoE5ElNS0_10empty_typeEbEEZZNS1_14partition_implILS5_5ELb0ES3_mN6hipcub16HIPCUB_304000_NS21CountingInputIteratorIllEEPS6_NSA_22TransformInputIteratorIbN2at6native12_GLOBAL__N_19NonZeroOpIfEEPKflEENS0_5tupleIJPlS6_EEENSN_IJSD_SD_EEES6_PiJS6_EEE10hipError_tPvRmT3_T4_T5_T6_T7_T9_mT8_P12ihipStream_tbDpT10_ENKUlT_T0_E_clISt17integral_constantIbLb1EES1A_IbLb0EEEEDaS16_S17_EUlS16_E_NS1_11comp_targetILNS1_3genE0ELNS1_11target_archE4294967295ELNS1_3gpuE0ELNS1_3repE0EEENS1_30default_config_static_selectorELNS0_4arch9wavefront6targetE0EEEvT1_.kd
    .uniform_work_group_size: 1
    .uses_dynamic_stack: false
    .vgpr_count:     0
    .vgpr_spill_count: 0
    .wavefront_size: 32
    .workgroup_processor_mode: 1
  - .args:
      - .offset:         0
        .size:           120
        .value_kind:     by_value
    .group_segment_fixed_size: 0
    .kernarg_segment_align: 8
    .kernarg_segment_size: 120
    .language:       OpenCL C
    .language_version:
      - 2
      - 0
    .max_flat_workgroup_size: 512
    .name:           _ZN7rocprim17ROCPRIM_400000_NS6detail17trampoline_kernelINS0_14default_configENS1_25partition_config_selectorILNS1_17partition_subalgoE5ElNS0_10empty_typeEbEEZZNS1_14partition_implILS5_5ELb0ES3_mN6hipcub16HIPCUB_304000_NS21CountingInputIteratorIllEEPS6_NSA_22TransformInputIteratorIbN2at6native12_GLOBAL__N_19NonZeroOpIfEEPKflEENS0_5tupleIJPlS6_EEENSN_IJSD_SD_EEES6_PiJS6_EEE10hipError_tPvRmT3_T4_T5_T6_T7_T9_mT8_P12ihipStream_tbDpT10_ENKUlT_T0_E_clISt17integral_constantIbLb1EES1A_IbLb0EEEEDaS16_S17_EUlS16_E_NS1_11comp_targetILNS1_3genE5ELNS1_11target_archE942ELNS1_3gpuE9ELNS1_3repE0EEENS1_30default_config_static_selectorELNS0_4arch9wavefront6targetE0EEEvT1_
    .private_segment_fixed_size: 0
    .sgpr_count:     0
    .sgpr_spill_count: 0
    .symbol:         _ZN7rocprim17ROCPRIM_400000_NS6detail17trampoline_kernelINS0_14default_configENS1_25partition_config_selectorILNS1_17partition_subalgoE5ElNS0_10empty_typeEbEEZZNS1_14partition_implILS5_5ELb0ES3_mN6hipcub16HIPCUB_304000_NS21CountingInputIteratorIllEEPS6_NSA_22TransformInputIteratorIbN2at6native12_GLOBAL__N_19NonZeroOpIfEEPKflEENS0_5tupleIJPlS6_EEENSN_IJSD_SD_EEES6_PiJS6_EEE10hipError_tPvRmT3_T4_T5_T6_T7_T9_mT8_P12ihipStream_tbDpT10_ENKUlT_T0_E_clISt17integral_constantIbLb1EES1A_IbLb0EEEEDaS16_S17_EUlS16_E_NS1_11comp_targetILNS1_3genE5ELNS1_11target_archE942ELNS1_3gpuE9ELNS1_3repE0EEENS1_30default_config_static_selectorELNS0_4arch9wavefront6targetE0EEEvT1_.kd
    .uniform_work_group_size: 1
    .uses_dynamic_stack: false
    .vgpr_count:     0
    .vgpr_spill_count: 0
    .wavefront_size: 32
    .workgroup_processor_mode: 1
  - .args:
      - .offset:         0
        .size:           120
        .value_kind:     by_value
    .group_segment_fixed_size: 0
    .kernarg_segment_align: 8
    .kernarg_segment_size: 120
    .language:       OpenCL C
    .language_version:
      - 2
      - 0
    .max_flat_workgroup_size: 192
    .name:           _ZN7rocprim17ROCPRIM_400000_NS6detail17trampoline_kernelINS0_14default_configENS1_25partition_config_selectorILNS1_17partition_subalgoE5ElNS0_10empty_typeEbEEZZNS1_14partition_implILS5_5ELb0ES3_mN6hipcub16HIPCUB_304000_NS21CountingInputIteratorIllEEPS6_NSA_22TransformInputIteratorIbN2at6native12_GLOBAL__N_19NonZeroOpIfEEPKflEENS0_5tupleIJPlS6_EEENSN_IJSD_SD_EEES6_PiJS6_EEE10hipError_tPvRmT3_T4_T5_T6_T7_T9_mT8_P12ihipStream_tbDpT10_ENKUlT_T0_E_clISt17integral_constantIbLb1EES1A_IbLb0EEEEDaS16_S17_EUlS16_E_NS1_11comp_targetILNS1_3genE4ELNS1_11target_archE910ELNS1_3gpuE8ELNS1_3repE0EEENS1_30default_config_static_selectorELNS0_4arch9wavefront6targetE0EEEvT1_
    .private_segment_fixed_size: 0
    .sgpr_count:     0
    .sgpr_spill_count: 0
    .symbol:         _ZN7rocprim17ROCPRIM_400000_NS6detail17trampoline_kernelINS0_14default_configENS1_25partition_config_selectorILNS1_17partition_subalgoE5ElNS0_10empty_typeEbEEZZNS1_14partition_implILS5_5ELb0ES3_mN6hipcub16HIPCUB_304000_NS21CountingInputIteratorIllEEPS6_NSA_22TransformInputIteratorIbN2at6native12_GLOBAL__N_19NonZeroOpIfEEPKflEENS0_5tupleIJPlS6_EEENSN_IJSD_SD_EEES6_PiJS6_EEE10hipError_tPvRmT3_T4_T5_T6_T7_T9_mT8_P12ihipStream_tbDpT10_ENKUlT_T0_E_clISt17integral_constantIbLb1EES1A_IbLb0EEEEDaS16_S17_EUlS16_E_NS1_11comp_targetILNS1_3genE4ELNS1_11target_archE910ELNS1_3gpuE8ELNS1_3repE0EEENS1_30default_config_static_selectorELNS0_4arch9wavefront6targetE0EEEvT1_.kd
    .uniform_work_group_size: 1
    .uses_dynamic_stack: false
    .vgpr_count:     0
    .vgpr_spill_count: 0
    .wavefront_size: 32
    .workgroup_processor_mode: 1
  - .args:
      - .offset:         0
        .size:           120
        .value_kind:     by_value
    .group_segment_fixed_size: 0
    .kernarg_segment_align: 8
    .kernarg_segment_size: 120
    .language:       OpenCL C
    .language_version:
      - 2
      - 0
    .max_flat_workgroup_size: 128
    .name:           _ZN7rocprim17ROCPRIM_400000_NS6detail17trampoline_kernelINS0_14default_configENS1_25partition_config_selectorILNS1_17partition_subalgoE5ElNS0_10empty_typeEbEEZZNS1_14partition_implILS5_5ELb0ES3_mN6hipcub16HIPCUB_304000_NS21CountingInputIteratorIllEEPS6_NSA_22TransformInputIteratorIbN2at6native12_GLOBAL__N_19NonZeroOpIfEEPKflEENS0_5tupleIJPlS6_EEENSN_IJSD_SD_EEES6_PiJS6_EEE10hipError_tPvRmT3_T4_T5_T6_T7_T9_mT8_P12ihipStream_tbDpT10_ENKUlT_T0_E_clISt17integral_constantIbLb1EES1A_IbLb0EEEEDaS16_S17_EUlS16_E_NS1_11comp_targetILNS1_3genE3ELNS1_11target_archE908ELNS1_3gpuE7ELNS1_3repE0EEENS1_30default_config_static_selectorELNS0_4arch9wavefront6targetE0EEEvT1_
    .private_segment_fixed_size: 0
    .sgpr_count:     0
    .sgpr_spill_count: 0
    .symbol:         _ZN7rocprim17ROCPRIM_400000_NS6detail17trampoline_kernelINS0_14default_configENS1_25partition_config_selectorILNS1_17partition_subalgoE5ElNS0_10empty_typeEbEEZZNS1_14partition_implILS5_5ELb0ES3_mN6hipcub16HIPCUB_304000_NS21CountingInputIteratorIllEEPS6_NSA_22TransformInputIteratorIbN2at6native12_GLOBAL__N_19NonZeroOpIfEEPKflEENS0_5tupleIJPlS6_EEENSN_IJSD_SD_EEES6_PiJS6_EEE10hipError_tPvRmT3_T4_T5_T6_T7_T9_mT8_P12ihipStream_tbDpT10_ENKUlT_T0_E_clISt17integral_constantIbLb1EES1A_IbLb0EEEEDaS16_S17_EUlS16_E_NS1_11comp_targetILNS1_3genE3ELNS1_11target_archE908ELNS1_3gpuE7ELNS1_3repE0EEENS1_30default_config_static_selectorELNS0_4arch9wavefront6targetE0EEEvT1_.kd
    .uniform_work_group_size: 1
    .uses_dynamic_stack: false
    .vgpr_count:     0
    .vgpr_spill_count: 0
    .wavefront_size: 32
    .workgroup_processor_mode: 1
  - .args:
      - .offset:         0
        .size:           120
        .value_kind:     by_value
    .group_segment_fixed_size: 0
    .kernarg_segment_align: 8
    .kernarg_segment_size: 120
    .language:       OpenCL C
    .language_version:
      - 2
      - 0
    .max_flat_workgroup_size: 256
    .name:           _ZN7rocprim17ROCPRIM_400000_NS6detail17trampoline_kernelINS0_14default_configENS1_25partition_config_selectorILNS1_17partition_subalgoE5ElNS0_10empty_typeEbEEZZNS1_14partition_implILS5_5ELb0ES3_mN6hipcub16HIPCUB_304000_NS21CountingInputIteratorIllEEPS6_NSA_22TransformInputIteratorIbN2at6native12_GLOBAL__N_19NonZeroOpIfEEPKflEENS0_5tupleIJPlS6_EEENSN_IJSD_SD_EEES6_PiJS6_EEE10hipError_tPvRmT3_T4_T5_T6_T7_T9_mT8_P12ihipStream_tbDpT10_ENKUlT_T0_E_clISt17integral_constantIbLb1EES1A_IbLb0EEEEDaS16_S17_EUlS16_E_NS1_11comp_targetILNS1_3genE2ELNS1_11target_archE906ELNS1_3gpuE6ELNS1_3repE0EEENS1_30default_config_static_selectorELNS0_4arch9wavefront6targetE0EEEvT1_
    .private_segment_fixed_size: 0
    .sgpr_count:     0
    .sgpr_spill_count: 0
    .symbol:         _ZN7rocprim17ROCPRIM_400000_NS6detail17trampoline_kernelINS0_14default_configENS1_25partition_config_selectorILNS1_17partition_subalgoE5ElNS0_10empty_typeEbEEZZNS1_14partition_implILS5_5ELb0ES3_mN6hipcub16HIPCUB_304000_NS21CountingInputIteratorIllEEPS6_NSA_22TransformInputIteratorIbN2at6native12_GLOBAL__N_19NonZeroOpIfEEPKflEENS0_5tupleIJPlS6_EEENSN_IJSD_SD_EEES6_PiJS6_EEE10hipError_tPvRmT3_T4_T5_T6_T7_T9_mT8_P12ihipStream_tbDpT10_ENKUlT_T0_E_clISt17integral_constantIbLb1EES1A_IbLb0EEEEDaS16_S17_EUlS16_E_NS1_11comp_targetILNS1_3genE2ELNS1_11target_archE906ELNS1_3gpuE6ELNS1_3repE0EEENS1_30default_config_static_selectorELNS0_4arch9wavefront6targetE0EEEvT1_.kd
    .uniform_work_group_size: 1
    .uses_dynamic_stack: false
    .vgpr_count:     0
    .vgpr_spill_count: 0
    .wavefront_size: 32
    .workgroup_processor_mode: 1
  - .args:
      - .offset:         0
        .size:           120
        .value_kind:     by_value
    .group_segment_fixed_size: 0
    .kernarg_segment_align: 8
    .kernarg_segment_size: 120
    .language:       OpenCL C
    .language_version:
      - 2
      - 0
    .max_flat_workgroup_size: 256
    .name:           _ZN7rocprim17ROCPRIM_400000_NS6detail17trampoline_kernelINS0_14default_configENS1_25partition_config_selectorILNS1_17partition_subalgoE5ElNS0_10empty_typeEbEEZZNS1_14partition_implILS5_5ELb0ES3_mN6hipcub16HIPCUB_304000_NS21CountingInputIteratorIllEEPS6_NSA_22TransformInputIteratorIbN2at6native12_GLOBAL__N_19NonZeroOpIfEEPKflEENS0_5tupleIJPlS6_EEENSN_IJSD_SD_EEES6_PiJS6_EEE10hipError_tPvRmT3_T4_T5_T6_T7_T9_mT8_P12ihipStream_tbDpT10_ENKUlT_T0_E_clISt17integral_constantIbLb1EES1A_IbLb0EEEEDaS16_S17_EUlS16_E_NS1_11comp_targetILNS1_3genE10ELNS1_11target_archE1200ELNS1_3gpuE4ELNS1_3repE0EEENS1_30default_config_static_selectorELNS0_4arch9wavefront6targetE0EEEvT1_
    .private_segment_fixed_size: 0
    .sgpr_count:     0
    .sgpr_spill_count: 0
    .symbol:         _ZN7rocprim17ROCPRIM_400000_NS6detail17trampoline_kernelINS0_14default_configENS1_25partition_config_selectorILNS1_17partition_subalgoE5ElNS0_10empty_typeEbEEZZNS1_14partition_implILS5_5ELb0ES3_mN6hipcub16HIPCUB_304000_NS21CountingInputIteratorIllEEPS6_NSA_22TransformInputIteratorIbN2at6native12_GLOBAL__N_19NonZeroOpIfEEPKflEENS0_5tupleIJPlS6_EEENSN_IJSD_SD_EEES6_PiJS6_EEE10hipError_tPvRmT3_T4_T5_T6_T7_T9_mT8_P12ihipStream_tbDpT10_ENKUlT_T0_E_clISt17integral_constantIbLb1EES1A_IbLb0EEEEDaS16_S17_EUlS16_E_NS1_11comp_targetILNS1_3genE10ELNS1_11target_archE1200ELNS1_3gpuE4ELNS1_3repE0EEENS1_30default_config_static_selectorELNS0_4arch9wavefront6targetE0EEEvT1_.kd
    .uniform_work_group_size: 1
    .uses_dynamic_stack: false
    .vgpr_count:     0
    .vgpr_spill_count: 0
    .wavefront_size: 32
    .workgroup_processor_mode: 1
  - .args:
      - .offset:         0
        .size:           120
        .value_kind:     by_value
    .group_segment_fixed_size: 0
    .kernarg_segment_align: 8
    .kernarg_segment_size: 120
    .language:       OpenCL C
    .language_version:
      - 2
      - 0
    .max_flat_workgroup_size: 128
    .name:           _ZN7rocprim17ROCPRIM_400000_NS6detail17trampoline_kernelINS0_14default_configENS1_25partition_config_selectorILNS1_17partition_subalgoE5ElNS0_10empty_typeEbEEZZNS1_14partition_implILS5_5ELb0ES3_mN6hipcub16HIPCUB_304000_NS21CountingInputIteratorIllEEPS6_NSA_22TransformInputIteratorIbN2at6native12_GLOBAL__N_19NonZeroOpIfEEPKflEENS0_5tupleIJPlS6_EEENSN_IJSD_SD_EEES6_PiJS6_EEE10hipError_tPvRmT3_T4_T5_T6_T7_T9_mT8_P12ihipStream_tbDpT10_ENKUlT_T0_E_clISt17integral_constantIbLb1EES1A_IbLb0EEEEDaS16_S17_EUlS16_E_NS1_11comp_targetILNS1_3genE9ELNS1_11target_archE1100ELNS1_3gpuE3ELNS1_3repE0EEENS1_30default_config_static_selectorELNS0_4arch9wavefront6targetE0EEEvT1_
    .private_segment_fixed_size: 0
    .sgpr_count:     0
    .sgpr_spill_count: 0
    .symbol:         _ZN7rocprim17ROCPRIM_400000_NS6detail17trampoline_kernelINS0_14default_configENS1_25partition_config_selectorILNS1_17partition_subalgoE5ElNS0_10empty_typeEbEEZZNS1_14partition_implILS5_5ELb0ES3_mN6hipcub16HIPCUB_304000_NS21CountingInputIteratorIllEEPS6_NSA_22TransformInputIteratorIbN2at6native12_GLOBAL__N_19NonZeroOpIfEEPKflEENS0_5tupleIJPlS6_EEENSN_IJSD_SD_EEES6_PiJS6_EEE10hipError_tPvRmT3_T4_T5_T6_T7_T9_mT8_P12ihipStream_tbDpT10_ENKUlT_T0_E_clISt17integral_constantIbLb1EES1A_IbLb0EEEEDaS16_S17_EUlS16_E_NS1_11comp_targetILNS1_3genE9ELNS1_11target_archE1100ELNS1_3gpuE3ELNS1_3repE0EEENS1_30default_config_static_selectorELNS0_4arch9wavefront6targetE0EEEvT1_.kd
    .uniform_work_group_size: 1
    .uses_dynamic_stack: false
    .vgpr_count:     0
    .vgpr_spill_count: 0
    .wavefront_size: 32
    .workgroup_processor_mode: 1
  - .args:
      - .offset:         0
        .size:           120
        .value_kind:     by_value
    .group_segment_fixed_size: 0
    .kernarg_segment_align: 8
    .kernarg_segment_size: 120
    .language:       OpenCL C
    .language_version:
      - 2
      - 0
    .max_flat_workgroup_size: 512
    .name:           _ZN7rocprim17ROCPRIM_400000_NS6detail17trampoline_kernelINS0_14default_configENS1_25partition_config_selectorILNS1_17partition_subalgoE5ElNS0_10empty_typeEbEEZZNS1_14partition_implILS5_5ELb0ES3_mN6hipcub16HIPCUB_304000_NS21CountingInputIteratorIllEEPS6_NSA_22TransformInputIteratorIbN2at6native12_GLOBAL__N_19NonZeroOpIfEEPKflEENS0_5tupleIJPlS6_EEENSN_IJSD_SD_EEES6_PiJS6_EEE10hipError_tPvRmT3_T4_T5_T6_T7_T9_mT8_P12ihipStream_tbDpT10_ENKUlT_T0_E_clISt17integral_constantIbLb1EES1A_IbLb0EEEEDaS16_S17_EUlS16_E_NS1_11comp_targetILNS1_3genE8ELNS1_11target_archE1030ELNS1_3gpuE2ELNS1_3repE0EEENS1_30default_config_static_selectorELNS0_4arch9wavefront6targetE0EEEvT1_
    .private_segment_fixed_size: 0
    .sgpr_count:     0
    .sgpr_spill_count: 0
    .symbol:         _ZN7rocprim17ROCPRIM_400000_NS6detail17trampoline_kernelINS0_14default_configENS1_25partition_config_selectorILNS1_17partition_subalgoE5ElNS0_10empty_typeEbEEZZNS1_14partition_implILS5_5ELb0ES3_mN6hipcub16HIPCUB_304000_NS21CountingInputIteratorIllEEPS6_NSA_22TransformInputIteratorIbN2at6native12_GLOBAL__N_19NonZeroOpIfEEPKflEENS0_5tupleIJPlS6_EEENSN_IJSD_SD_EEES6_PiJS6_EEE10hipError_tPvRmT3_T4_T5_T6_T7_T9_mT8_P12ihipStream_tbDpT10_ENKUlT_T0_E_clISt17integral_constantIbLb1EES1A_IbLb0EEEEDaS16_S17_EUlS16_E_NS1_11comp_targetILNS1_3genE8ELNS1_11target_archE1030ELNS1_3gpuE2ELNS1_3repE0EEENS1_30default_config_static_selectorELNS0_4arch9wavefront6targetE0EEEvT1_.kd
    .uniform_work_group_size: 1
    .uses_dynamic_stack: false
    .vgpr_count:     0
    .vgpr_spill_count: 0
    .wavefront_size: 32
    .workgroup_processor_mode: 1
  - .args:
      - .offset:         0
        .size:           136
        .value_kind:     by_value
    .group_segment_fixed_size: 0
    .kernarg_segment_align: 8
    .kernarg_segment_size: 136
    .language:       OpenCL C
    .language_version:
      - 2
      - 0
    .max_flat_workgroup_size: 128
    .name:           _ZN7rocprim17ROCPRIM_400000_NS6detail17trampoline_kernelINS0_14default_configENS1_25partition_config_selectorILNS1_17partition_subalgoE5ElNS0_10empty_typeEbEEZZNS1_14partition_implILS5_5ELb0ES3_mN6hipcub16HIPCUB_304000_NS21CountingInputIteratorIllEEPS6_NSA_22TransformInputIteratorIbN2at6native12_GLOBAL__N_19NonZeroOpIfEEPKflEENS0_5tupleIJPlS6_EEENSN_IJSD_SD_EEES6_PiJS6_EEE10hipError_tPvRmT3_T4_T5_T6_T7_T9_mT8_P12ihipStream_tbDpT10_ENKUlT_T0_E_clISt17integral_constantIbLb0EES1A_IbLb1EEEEDaS16_S17_EUlS16_E_NS1_11comp_targetILNS1_3genE0ELNS1_11target_archE4294967295ELNS1_3gpuE0ELNS1_3repE0EEENS1_30default_config_static_selectorELNS0_4arch9wavefront6targetE0EEEvT1_
    .private_segment_fixed_size: 0
    .sgpr_count:     0
    .sgpr_spill_count: 0
    .symbol:         _ZN7rocprim17ROCPRIM_400000_NS6detail17trampoline_kernelINS0_14default_configENS1_25partition_config_selectorILNS1_17partition_subalgoE5ElNS0_10empty_typeEbEEZZNS1_14partition_implILS5_5ELb0ES3_mN6hipcub16HIPCUB_304000_NS21CountingInputIteratorIllEEPS6_NSA_22TransformInputIteratorIbN2at6native12_GLOBAL__N_19NonZeroOpIfEEPKflEENS0_5tupleIJPlS6_EEENSN_IJSD_SD_EEES6_PiJS6_EEE10hipError_tPvRmT3_T4_T5_T6_T7_T9_mT8_P12ihipStream_tbDpT10_ENKUlT_T0_E_clISt17integral_constantIbLb0EES1A_IbLb1EEEEDaS16_S17_EUlS16_E_NS1_11comp_targetILNS1_3genE0ELNS1_11target_archE4294967295ELNS1_3gpuE0ELNS1_3repE0EEENS1_30default_config_static_selectorELNS0_4arch9wavefront6targetE0EEEvT1_.kd
    .uniform_work_group_size: 1
    .uses_dynamic_stack: false
    .vgpr_count:     0
    .vgpr_spill_count: 0
    .wavefront_size: 32
    .workgroup_processor_mode: 1
  - .args:
      - .offset:         0
        .size:           136
        .value_kind:     by_value
    .group_segment_fixed_size: 0
    .kernarg_segment_align: 8
    .kernarg_segment_size: 136
    .language:       OpenCL C
    .language_version:
      - 2
      - 0
    .max_flat_workgroup_size: 512
    .name:           _ZN7rocprim17ROCPRIM_400000_NS6detail17trampoline_kernelINS0_14default_configENS1_25partition_config_selectorILNS1_17partition_subalgoE5ElNS0_10empty_typeEbEEZZNS1_14partition_implILS5_5ELb0ES3_mN6hipcub16HIPCUB_304000_NS21CountingInputIteratorIllEEPS6_NSA_22TransformInputIteratorIbN2at6native12_GLOBAL__N_19NonZeroOpIfEEPKflEENS0_5tupleIJPlS6_EEENSN_IJSD_SD_EEES6_PiJS6_EEE10hipError_tPvRmT3_T4_T5_T6_T7_T9_mT8_P12ihipStream_tbDpT10_ENKUlT_T0_E_clISt17integral_constantIbLb0EES1A_IbLb1EEEEDaS16_S17_EUlS16_E_NS1_11comp_targetILNS1_3genE5ELNS1_11target_archE942ELNS1_3gpuE9ELNS1_3repE0EEENS1_30default_config_static_selectorELNS0_4arch9wavefront6targetE0EEEvT1_
    .private_segment_fixed_size: 0
    .sgpr_count:     0
    .sgpr_spill_count: 0
    .symbol:         _ZN7rocprim17ROCPRIM_400000_NS6detail17trampoline_kernelINS0_14default_configENS1_25partition_config_selectorILNS1_17partition_subalgoE5ElNS0_10empty_typeEbEEZZNS1_14partition_implILS5_5ELb0ES3_mN6hipcub16HIPCUB_304000_NS21CountingInputIteratorIllEEPS6_NSA_22TransformInputIteratorIbN2at6native12_GLOBAL__N_19NonZeroOpIfEEPKflEENS0_5tupleIJPlS6_EEENSN_IJSD_SD_EEES6_PiJS6_EEE10hipError_tPvRmT3_T4_T5_T6_T7_T9_mT8_P12ihipStream_tbDpT10_ENKUlT_T0_E_clISt17integral_constantIbLb0EES1A_IbLb1EEEEDaS16_S17_EUlS16_E_NS1_11comp_targetILNS1_3genE5ELNS1_11target_archE942ELNS1_3gpuE9ELNS1_3repE0EEENS1_30default_config_static_selectorELNS0_4arch9wavefront6targetE0EEEvT1_.kd
    .uniform_work_group_size: 1
    .uses_dynamic_stack: false
    .vgpr_count:     0
    .vgpr_spill_count: 0
    .wavefront_size: 32
    .workgroup_processor_mode: 1
  - .args:
      - .offset:         0
        .size:           136
        .value_kind:     by_value
    .group_segment_fixed_size: 0
    .kernarg_segment_align: 8
    .kernarg_segment_size: 136
    .language:       OpenCL C
    .language_version:
      - 2
      - 0
    .max_flat_workgroup_size: 192
    .name:           _ZN7rocprim17ROCPRIM_400000_NS6detail17trampoline_kernelINS0_14default_configENS1_25partition_config_selectorILNS1_17partition_subalgoE5ElNS0_10empty_typeEbEEZZNS1_14partition_implILS5_5ELb0ES3_mN6hipcub16HIPCUB_304000_NS21CountingInputIteratorIllEEPS6_NSA_22TransformInputIteratorIbN2at6native12_GLOBAL__N_19NonZeroOpIfEEPKflEENS0_5tupleIJPlS6_EEENSN_IJSD_SD_EEES6_PiJS6_EEE10hipError_tPvRmT3_T4_T5_T6_T7_T9_mT8_P12ihipStream_tbDpT10_ENKUlT_T0_E_clISt17integral_constantIbLb0EES1A_IbLb1EEEEDaS16_S17_EUlS16_E_NS1_11comp_targetILNS1_3genE4ELNS1_11target_archE910ELNS1_3gpuE8ELNS1_3repE0EEENS1_30default_config_static_selectorELNS0_4arch9wavefront6targetE0EEEvT1_
    .private_segment_fixed_size: 0
    .sgpr_count:     0
    .sgpr_spill_count: 0
    .symbol:         _ZN7rocprim17ROCPRIM_400000_NS6detail17trampoline_kernelINS0_14default_configENS1_25partition_config_selectorILNS1_17partition_subalgoE5ElNS0_10empty_typeEbEEZZNS1_14partition_implILS5_5ELb0ES3_mN6hipcub16HIPCUB_304000_NS21CountingInputIteratorIllEEPS6_NSA_22TransformInputIteratorIbN2at6native12_GLOBAL__N_19NonZeroOpIfEEPKflEENS0_5tupleIJPlS6_EEENSN_IJSD_SD_EEES6_PiJS6_EEE10hipError_tPvRmT3_T4_T5_T6_T7_T9_mT8_P12ihipStream_tbDpT10_ENKUlT_T0_E_clISt17integral_constantIbLb0EES1A_IbLb1EEEEDaS16_S17_EUlS16_E_NS1_11comp_targetILNS1_3genE4ELNS1_11target_archE910ELNS1_3gpuE8ELNS1_3repE0EEENS1_30default_config_static_selectorELNS0_4arch9wavefront6targetE0EEEvT1_.kd
    .uniform_work_group_size: 1
    .uses_dynamic_stack: false
    .vgpr_count:     0
    .vgpr_spill_count: 0
    .wavefront_size: 32
    .workgroup_processor_mode: 1
  - .args:
      - .offset:         0
        .size:           136
        .value_kind:     by_value
    .group_segment_fixed_size: 0
    .kernarg_segment_align: 8
    .kernarg_segment_size: 136
    .language:       OpenCL C
    .language_version:
      - 2
      - 0
    .max_flat_workgroup_size: 128
    .name:           _ZN7rocprim17ROCPRIM_400000_NS6detail17trampoline_kernelINS0_14default_configENS1_25partition_config_selectorILNS1_17partition_subalgoE5ElNS0_10empty_typeEbEEZZNS1_14partition_implILS5_5ELb0ES3_mN6hipcub16HIPCUB_304000_NS21CountingInputIteratorIllEEPS6_NSA_22TransformInputIteratorIbN2at6native12_GLOBAL__N_19NonZeroOpIfEEPKflEENS0_5tupleIJPlS6_EEENSN_IJSD_SD_EEES6_PiJS6_EEE10hipError_tPvRmT3_T4_T5_T6_T7_T9_mT8_P12ihipStream_tbDpT10_ENKUlT_T0_E_clISt17integral_constantIbLb0EES1A_IbLb1EEEEDaS16_S17_EUlS16_E_NS1_11comp_targetILNS1_3genE3ELNS1_11target_archE908ELNS1_3gpuE7ELNS1_3repE0EEENS1_30default_config_static_selectorELNS0_4arch9wavefront6targetE0EEEvT1_
    .private_segment_fixed_size: 0
    .sgpr_count:     0
    .sgpr_spill_count: 0
    .symbol:         _ZN7rocprim17ROCPRIM_400000_NS6detail17trampoline_kernelINS0_14default_configENS1_25partition_config_selectorILNS1_17partition_subalgoE5ElNS0_10empty_typeEbEEZZNS1_14partition_implILS5_5ELb0ES3_mN6hipcub16HIPCUB_304000_NS21CountingInputIteratorIllEEPS6_NSA_22TransformInputIteratorIbN2at6native12_GLOBAL__N_19NonZeroOpIfEEPKflEENS0_5tupleIJPlS6_EEENSN_IJSD_SD_EEES6_PiJS6_EEE10hipError_tPvRmT3_T4_T5_T6_T7_T9_mT8_P12ihipStream_tbDpT10_ENKUlT_T0_E_clISt17integral_constantIbLb0EES1A_IbLb1EEEEDaS16_S17_EUlS16_E_NS1_11comp_targetILNS1_3genE3ELNS1_11target_archE908ELNS1_3gpuE7ELNS1_3repE0EEENS1_30default_config_static_selectorELNS0_4arch9wavefront6targetE0EEEvT1_.kd
    .uniform_work_group_size: 1
    .uses_dynamic_stack: false
    .vgpr_count:     0
    .vgpr_spill_count: 0
    .wavefront_size: 32
    .workgroup_processor_mode: 1
  - .args:
      - .offset:         0
        .size:           136
        .value_kind:     by_value
    .group_segment_fixed_size: 0
    .kernarg_segment_align: 8
    .kernarg_segment_size: 136
    .language:       OpenCL C
    .language_version:
      - 2
      - 0
    .max_flat_workgroup_size: 256
    .name:           _ZN7rocprim17ROCPRIM_400000_NS6detail17trampoline_kernelINS0_14default_configENS1_25partition_config_selectorILNS1_17partition_subalgoE5ElNS0_10empty_typeEbEEZZNS1_14partition_implILS5_5ELb0ES3_mN6hipcub16HIPCUB_304000_NS21CountingInputIteratorIllEEPS6_NSA_22TransformInputIteratorIbN2at6native12_GLOBAL__N_19NonZeroOpIfEEPKflEENS0_5tupleIJPlS6_EEENSN_IJSD_SD_EEES6_PiJS6_EEE10hipError_tPvRmT3_T4_T5_T6_T7_T9_mT8_P12ihipStream_tbDpT10_ENKUlT_T0_E_clISt17integral_constantIbLb0EES1A_IbLb1EEEEDaS16_S17_EUlS16_E_NS1_11comp_targetILNS1_3genE2ELNS1_11target_archE906ELNS1_3gpuE6ELNS1_3repE0EEENS1_30default_config_static_selectorELNS0_4arch9wavefront6targetE0EEEvT1_
    .private_segment_fixed_size: 0
    .sgpr_count:     0
    .sgpr_spill_count: 0
    .symbol:         _ZN7rocprim17ROCPRIM_400000_NS6detail17trampoline_kernelINS0_14default_configENS1_25partition_config_selectorILNS1_17partition_subalgoE5ElNS0_10empty_typeEbEEZZNS1_14partition_implILS5_5ELb0ES3_mN6hipcub16HIPCUB_304000_NS21CountingInputIteratorIllEEPS6_NSA_22TransformInputIteratorIbN2at6native12_GLOBAL__N_19NonZeroOpIfEEPKflEENS0_5tupleIJPlS6_EEENSN_IJSD_SD_EEES6_PiJS6_EEE10hipError_tPvRmT3_T4_T5_T6_T7_T9_mT8_P12ihipStream_tbDpT10_ENKUlT_T0_E_clISt17integral_constantIbLb0EES1A_IbLb1EEEEDaS16_S17_EUlS16_E_NS1_11comp_targetILNS1_3genE2ELNS1_11target_archE906ELNS1_3gpuE6ELNS1_3repE0EEENS1_30default_config_static_selectorELNS0_4arch9wavefront6targetE0EEEvT1_.kd
    .uniform_work_group_size: 1
    .uses_dynamic_stack: false
    .vgpr_count:     0
    .vgpr_spill_count: 0
    .wavefront_size: 32
    .workgroup_processor_mode: 1
  - .args:
      - .offset:         0
        .size:           136
        .value_kind:     by_value
    .group_segment_fixed_size: 8464
    .kernarg_segment_align: 8
    .kernarg_segment_size: 136
    .language:       OpenCL C
    .language_version:
      - 2
      - 0
    .max_flat_workgroup_size: 256
    .name:           _ZN7rocprim17ROCPRIM_400000_NS6detail17trampoline_kernelINS0_14default_configENS1_25partition_config_selectorILNS1_17partition_subalgoE5ElNS0_10empty_typeEbEEZZNS1_14partition_implILS5_5ELb0ES3_mN6hipcub16HIPCUB_304000_NS21CountingInputIteratorIllEEPS6_NSA_22TransformInputIteratorIbN2at6native12_GLOBAL__N_19NonZeroOpIfEEPKflEENS0_5tupleIJPlS6_EEENSN_IJSD_SD_EEES6_PiJS6_EEE10hipError_tPvRmT3_T4_T5_T6_T7_T9_mT8_P12ihipStream_tbDpT10_ENKUlT_T0_E_clISt17integral_constantIbLb0EES1A_IbLb1EEEEDaS16_S17_EUlS16_E_NS1_11comp_targetILNS1_3genE10ELNS1_11target_archE1200ELNS1_3gpuE4ELNS1_3repE0EEENS1_30default_config_static_selectorELNS0_4arch9wavefront6targetE0EEEvT1_
    .private_segment_fixed_size: 0
    .sgpr_count:     26
    .sgpr_spill_count: 0
    .symbol:         _ZN7rocprim17ROCPRIM_400000_NS6detail17trampoline_kernelINS0_14default_configENS1_25partition_config_selectorILNS1_17partition_subalgoE5ElNS0_10empty_typeEbEEZZNS1_14partition_implILS5_5ELb0ES3_mN6hipcub16HIPCUB_304000_NS21CountingInputIteratorIllEEPS6_NSA_22TransformInputIteratorIbN2at6native12_GLOBAL__N_19NonZeroOpIfEEPKflEENS0_5tupleIJPlS6_EEENSN_IJSD_SD_EEES6_PiJS6_EEE10hipError_tPvRmT3_T4_T5_T6_T7_T9_mT8_P12ihipStream_tbDpT10_ENKUlT_T0_E_clISt17integral_constantIbLb0EES1A_IbLb1EEEEDaS16_S17_EUlS16_E_NS1_11comp_targetILNS1_3genE10ELNS1_11target_archE1200ELNS1_3gpuE4ELNS1_3repE0EEENS1_30default_config_static_selectorELNS0_4arch9wavefront6targetE0EEEvT1_.kd
    .uniform_work_group_size: 1
    .uses_dynamic_stack: false
    .vgpr_count:     48
    .vgpr_spill_count: 0
    .wavefront_size: 32
    .workgroup_processor_mode: 1
  - .args:
      - .offset:         0
        .size:           136
        .value_kind:     by_value
    .group_segment_fixed_size: 0
    .kernarg_segment_align: 8
    .kernarg_segment_size: 136
    .language:       OpenCL C
    .language_version:
      - 2
      - 0
    .max_flat_workgroup_size: 128
    .name:           _ZN7rocprim17ROCPRIM_400000_NS6detail17trampoline_kernelINS0_14default_configENS1_25partition_config_selectorILNS1_17partition_subalgoE5ElNS0_10empty_typeEbEEZZNS1_14partition_implILS5_5ELb0ES3_mN6hipcub16HIPCUB_304000_NS21CountingInputIteratorIllEEPS6_NSA_22TransformInputIteratorIbN2at6native12_GLOBAL__N_19NonZeroOpIfEEPKflEENS0_5tupleIJPlS6_EEENSN_IJSD_SD_EEES6_PiJS6_EEE10hipError_tPvRmT3_T4_T5_T6_T7_T9_mT8_P12ihipStream_tbDpT10_ENKUlT_T0_E_clISt17integral_constantIbLb0EES1A_IbLb1EEEEDaS16_S17_EUlS16_E_NS1_11comp_targetILNS1_3genE9ELNS1_11target_archE1100ELNS1_3gpuE3ELNS1_3repE0EEENS1_30default_config_static_selectorELNS0_4arch9wavefront6targetE0EEEvT1_
    .private_segment_fixed_size: 0
    .sgpr_count:     0
    .sgpr_spill_count: 0
    .symbol:         _ZN7rocprim17ROCPRIM_400000_NS6detail17trampoline_kernelINS0_14default_configENS1_25partition_config_selectorILNS1_17partition_subalgoE5ElNS0_10empty_typeEbEEZZNS1_14partition_implILS5_5ELb0ES3_mN6hipcub16HIPCUB_304000_NS21CountingInputIteratorIllEEPS6_NSA_22TransformInputIteratorIbN2at6native12_GLOBAL__N_19NonZeroOpIfEEPKflEENS0_5tupleIJPlS6_EEENSN_IJSD_SD_EEES6_PiJS6_EEE10hipError_tPvRmT3_T4_T5_T6_T7_T9_mT8_P12ihipStream_tbDpT10_ENKUlT_T0_E_clISt17integral_constantIbLb0EES1A_IbLb1EEEEDaS16_S17_EUlS16_E_NS1_11comp_targetILNS1_3genE9ELNS1_11target_archE1100ELNS1_3gpuE3ELNS1_3repE0EEENS1_30default_config_static_selectorELNS0_4arch9wavefront6targetE0EEEvT1_.kd
    .uniform_work_group_size: 1
    .uses_dynamic_stack: false
    .vgpr_count:     0
    .vgpr_spill_count: 0
    .wavefront_size: 32
    .workgroup_processor_mode: 1
  - .args:
      - .offset:         0
        .size:           136
        .value_kind:     by_value
    .group_segment_fixed_size: 0
    .kernarg_segment_align: 8
    .kernarg_segment_size: 136
    .language:       OpenCL C
    .language_version:
      - 2
      - 0
    .max_flat_workgroup_size: 512
    .name:           _ZN7rocprim17ROCPRIM_400000_NS6detail17trampoline_kernelINS0_14default_configENS1_25partition_config_selectorILNS1_17partition_subalgoE5ElNS0_10empty_typeEbEEZZNS1_14partition_implILS5_5ELb0ES3_mN6hipcub16HIPCUB_304000_NS21CountingInputIteratorIllEEPS6_NSA_22TransformInputIteratorIbN2at6native12_GLOBAL__N_19NonZeroOpIfEEPKflEENS0_5tupleIJPlS6_EEENSN_IJSD_SD_EEES6_PiJS6_EEE10hipError_tPvRmT3_T4_T5_T6_T7_T9_mT8_P12ihipStream_tbDpT10_ENKUlT_T0_E_clISt17integral_constantIbLb0EES1A_IbLb1EEEEDaS16_S17_EUlS16_E_NS1_11comp_targetILNS1_3genE8ELNS1_11target_archE1030ELNS1_3gpuE2ELNS1_3repE0EEENS1_30default_config_static_selectorELNS0_4arch9wavefront6targetE0EEEvT1_
    .private_segment_fixed_size: 0
    .sgpr_count:     0
    .sgpr_spill_count: 0
    .symbol:         _ZN7rocprim17ROCPRIM_400000_NS6detail17trampoline_kernelINS0_14default_configENS1_25partition_config_selectorILNS1_17partition_subalgoE5ElNS0_10empty_typeEbEEZZNS1_14partition_implILS5_5ELb0ES3_mN6hipcub16HIPCUB_304000_NS21CountingInputIteratorIllEEPS6_NSA_22TransformInputIteratorIbN2at6native12_GLOBAL__N_19NonZeroOpIfEEPKflEENS0_5tupleIJPlS6_EEENSN_IJSD_SD_EEES6_PiJS6_EEE10hipError_tPvRmT3_T4_T5_T6_T7_T9_mT8_P12ihipStream_tbDpT10_ENKUlT_T0_E_clISt17integral_constantIbLb0EES1A_IbLb1EEEEDaS16_S17_EUlS16_E_NS1_11comp_targetILNS1_3genE8ELNS1_11target_archE1030ELNS1_3gpuE2ELNS1_3repE0EEENS1_30default_config_static_selectorELNS0_4arch9wavefront6targetE0EEEvT1_.kd
    .uniform_work_group_size: 1
    .uses_dynamic_stack: false
    .vgpr_count:     0
    .vgpr_spill_count: 0
    .wavefront_size: 32
    .workgroup_processor_mode: 1
  - .args:
      - .offset:         0
        .size:           56
        .value_kind:     by_value
    .group_segment_fixed_size: 0
    .kernarg_segment_align: 8
    .kernarg_segment_size: 56
    .language:       OpenCL C
    .language_version:
      - 2
      - 0
    .max_flat_workgroup_size: 256
    .name:           _ZN7rocprim17ROCPRIM_400000_NS6detail17trampoline_kernelINS0_14default_configENS1_22reduce_config_selectorIiEEZNS1_11reduce_implILb1ES3_PiS7_iN6hipcub16HIPCUB_304000_NS6detail34convert_binary_result_type_wrapperINS9_3SumENS9_22TransformInputIteratorIbN2at6native12_GLOBAL__N_19NonZeroOpIN3c107complexIdEEEEPKSK_lEEiEEEE10hipError_tPvRmT1_T2_T3_mT4_P12ihipStream_tbEUlT_E0_NS1_11comp_targetILNS1_3genE0ELNS1_11target_archE4294967295ELNS1_3gpuE0ELNS1_3repE0EEENS1_30default_config_static_selectorELNS0_4arch9wavefront6targetE0EEEvST_
    .private_segment_fixed_size: 0
    .sgpr_count:     0
    .sgpr_spill_count: 0
    .symbol:         _ZN7rocprim17ROCPRIM_400000_NS6detail17trampoline_kernelINS0_14default_configENS1_22reduce_config_selectorIiEEZNS1_11reduce_implILb1ES3_PiS7_iN6hipcub16HIPCUB_304000_NS6detail34convert_binary_result_type_wrapperINS9_3SumENS9_22TransformInputIteratorIbN2at6native12_GLOBAL__N_19NonZeroOpIN3c107complexIdEEEEPKSK_lEEiEEEE10hipError_tPvRmT1_T2_T3_mT4_P12ihipStream_tbEUlT_E0_NS1_11comp_targetILNS1_3genE0ELNS1_11target_archE4294967295ELNS1_3gpuE0ELNS1_3repE0EEENS1_30default_config_static_selectorELNS0_4arch9wavefront6targetE0EEEvST_.kd
    .uniform_work_group_size: 1
    .uses_dynamic_stack: false
    .vgpr_count:     0
    .vgpr_spill_count: 0
    .wavefront_size: 32
    .workgroup_processor_mode: 1
  - .args:
      - .offset:         0
        .size:           56
        .value_kind:     by_value
    .group_segment_fixed_size: 0
    .kernarg_segment_align: 8
    .kernarg_segment_size: 56
    .language:       OpenCL C
    .language_version:
      - 2
      - 0
    .max_flat_workgroup_size: 256
    .name:           _ZN7rocprim17ROCPRIM_400000_NS6detail17trampoline_kernelINS0_14default_configENS1_22reduce_config_selectorIiEEZNS1_11reduce_implILb1ES3_PiS7_iN6hipcub16HIPCUB_304000_NS6detail34convert_binary_result_type_wrapperINS9_3SumENS9_22TransformInputIteratorIbN2at6native12_GLOBAL__N_19NonZeroOpIN3c107complexIdEEEEPKSK_lEEiEEEE10hipError_tPvRmT1_T2_T3_mT4_P12ihipStream_tbEUlT_E0_NS1_11comp_targetILNS1_3genE5ELNS1_11target_archE942ELNS1_3gpuE9ELNS1_3repE0EEENS1_30default_config_static_selectorELNS0_4arch9wavefront6targetE0EEEvST_
    .private_segment_fixed_size: 0
    .sgpr_count:     0
    .sgpr_spill_count: 0
    .symbol:         _ZN7rocprim17ROCPRIM_400000_NS6detail17trampoline_kernelINS0_14default_configENS1_22reduce_config_selectorIiEEZNS1_11reduce_implILb1ES3_PiS7_iN6hipcub16HIPCUB_304000_NS6detail34convert_binary_result_type_wrapperINS9_3SumENS9_22TransformInputIteratorIbN2at6native12_GLOBAL__N_19NonZeroOpIN3c107complexIdEEEEPKSK_lEEiEEEE10hipError_tPvRmT1_T2_T3_mT4_P12ihipStream_tbEUlT_E0_NS1_11comp_targetILNS1_3genE5ELNS1_11target_archE942ELNS1_3gpuE9ELNS1_3repE0EEENS1_30default_config_static_selectorELNS0_4arch9wavefront6targetE0EEEvST_.kd
    .uniform_work_group_size: 1
    .uses_dynamic_stack: false
    .vgpr_count:     0
    .vgpr_spill_count: 0
    .wavefront_size: 32
    .workgroup_processor_mode: 1
  - .args:
      - .offset:         0
        .size:           56
        .value_kind:     by_value
    .group_segment_fixed_size: 0
    .kernarg_segment_align: 8
    .kernarg_segment_size: 56
    .language:       OpenCL C
    .language_version:
      - 2
      - 0
    .max_flat_workgroup_size: 128
    .name:           _ZN7rocprim17ROCPRIM_400000_NS6detail17trampoline_kernelINS0_14default_configENS1_22reduce_config_selectorIiEEZNS1_11reduce_implILb1ES3_PiS7_iN6hipcub16HIPCUB_304000_NS6detail34convert_binary_result_type_wrapperINS9_3SumENS9_22TransformInputIteratorIbN2at6native12_GLOBAL__N_19NonZeroOpIN3c107complexIdEEEEPKSK_lEEiEEEE10hipError_tPvRmT1_T2_T3_mT4_P12ihipStream_tbEUlT_E0_NS1_11comp_targetILNS1_3genE4ELNS1_11target_archE910ELNS1_3gpuE8ELNS1_3repE0EEENS1_30default_config_static_selectorELNS0_4arch9wavefront6targetE0EEEvST_
    .private_segment_fixed_size: 0
    .sgpr_count:     0
    .sgpr_spill_count: 0
    .symbol:         _ZN7rocprim17ROCPRIM_400000_NS6detail17trampoline_kernelINS0_14default_configENS1_22reduce_config_selectorIiEEZNS1_11reduce_implILb1ES3_PiS7_iN6hipcub16HIPCUB_304000_NS6detail34convert_binary_result_type_wrapperINS9_3SumENS9_22TransformInputIteratorIbN2at6native12_GLOBAL__N_19NonZeroOpIN3c107complexIdEEEEPKSK_lEEiEEEE10hipError_tPvRmT1_T2_T3_mT4_P12ihipStream_tbEUlT_E0_NS1_11comp_targetILNS1_3genE4ELNS1_11target_archE910ELNS1_3gpuE8ELNS1_3repE0EEENS1_30default_config_static_selectorELNS0_4arch9wavefront6targetE0EEEvST_.kd
    .uniform_work_group_size: 1
    .uses_dynamic_stack: false
    .vgpr_count:     0
    .vgpr_spill_count: 0
    .wavefront_size: 32
    .workgroup_processor_mode: 1
  - .args:
      - .offset:         0
        .size:           56
        .value_kind:     by_value
    .group_segment_fixed_size: 0
    .kernarg_segment_align: 8
    .kernarg_segment_size: 56
    .language:       OpenCL C
    .language_version:
      - 2
      - 0
    .max_flat_workgroup_size: 256
    .name:           _ZN7rocprim17ROCPRIM_400000_NS6detail17trampoline_kernelINS0_14default_configENS1_22reduce_config_selectorIiEEZNS1_11reduce_implILb1ES3_PiS7_iN6hipcub16HIPCUB_304000_NS6detail34convert_binary_result_type_wrapperINS9_3SumENS9_22TransformInputIteratorIbN2at6native12_GLOBAL__N_19NonZeroOpIN3c107complexIdEEEEPKSK_lEEiEEEE10hipError_tPvRmT1_T2_T3_mT4_P12ihipStream_tbEUlT_E0_NS1_11comp_targetILNS1_3genE3ELNS1_11target_archE908ELNS1_3gpuE7ELNS1_3repE0EEENS1_30default_config_static_selectorELNS0_4arch9wavefront6targetE0EEEvST_
    .private_segment_fixed_size: 0
    .sgpr_count:     0
    .sgpr_spill_count: 0
    .symbol:         _ZN7rocprim17ROCPRIM_400000_NS6detail17trampoline_kernelINS0_14default_configENS1_22reduce_config_selectorIiEEZNS1_11reduce_implILb1ES3_PiS7_iN6hipcub16HIPCUB_304000_NS6detail34convert_binary_result_type_wrapperINS9_3SumENS9_22TransformInputIteratorIbN2at6native12_GLOBAL__N_19NonZeroOpIN3c107complexIdEEEEPKSK_lEEiEEEE10hipError_tPvRmT1_T2_T3_mT4_P12ihipStream_tbEUlT_E0_NS1_11comp_targetILNS1_3genE3ELNS1_11target_archE908ELNS1_3gpuE7ELNS1_3repE0EEENS1_30default_config_static_selectorELNS0_4arch9wavefront6targetE0EEEvST_.kd
    .uniform_work_group_size: 1
    .uses_dynamic_stack: false
    .vgpr_count:     0
    .vgpr_spill_count: 0
    .wavefront_size: 32
    .workgroup_processor_mode: 1
  - .args:
      - .offset:         0
        .size:           56
        .value_kind:     by_value
    .group_segment_fixed_size: 0
    .kernarg_segment_align: 8
    .kernarg_segment_size: 56
    .language:       OpenCL C
    .language_version:
      - 2
      - 0
    .max_flat_workgroup_size: 256
    .name:           _ZN7rocprim17ROCPRIM_400000_NS6detail17trampoline_kernelINS0_14default_configENS1_22reduce_config_selectorIiEEZNS1_11reduce_implILb1ES3_PiS7_iN6hipcub16HIPCUB_304000_NS6detail34convert_binary_result_type_wrapperINS9_3SumENS9_22TransformInputIteratorIbN2at6native12_GLOBAL__N_19NonZeroOpIN3c107complexIdEEEEPKSK_lEEiEEEE10hipError_tPvRmT1_T2_T3_mT4_P12ihipStream_tbEUlT_E0_NS1_11comp_targetILNS1_3genE2ELNS1_11target_archE906ELNS1_3gpuE6ELNS1_3repE0EEENS1_30default_config_static_selectorELNS0_4arch9wavefront6targetE0EEEvST_
    .private_segment_fixed_size: 0
    .sgpr_count:     0
    .sgpr_spill_count: 0
    .symbol:         _ZN7rocprim17ROCPRIM_400000_NS6detail17trampoline_kernelINS0_14default_configENS1_22reduce_config_selectorIiEEZNS1_11reduce_implILb1ES3_PiS7_iN6hipcub16HIPCUB_304000_NS6detail34convert_binary_result_type_wrapperINS9_3SumENS9_22TransformInputIteratorIbN2at6native12_GLOBAL__N_19NonZeroOpIN3c107complexIdEEEEPKSK_lEEiEEEE10hipError_tPvRmT1_T2_T3_mT4_P12ihipStream_tbEUlT_E0_NS1_11comp_targetILNS1_3genE2ELNS1_11target_archE906ELNS1_3gpuE6ELNS1_3repE0EEENS1_30default_config_static_selectorELNS0_4arch9wavefront6targetE0EEEvST_.kd
    .uniform_work_group_size: 1
    .uses_dynamic_stack: false
    .vgpr_count:     0
    .vgpr_spill_count: 0
    .wavefront_size: 32
    .workgroup_processor_mode: 1
  - .args:
      - .offset:         0
        .size:           56
        .value_kind:     by_value
    .group_segment_fixed_size: 64
    .kernarg_segment_align: 8
    .kernarg_segment_size: 56
    .language:       OpenCL C
    .language_version:
      - 2
      - 0
    .max_flat_workgroup_size: 256
    .name:           _ZN7rocprim17ROCPRIM_400000_NS6detail17trampoline_kernelINS0_14default_configENS1_22reduce_config_selectorIiEEZNS1_11reduce_implILb1ES3_PiS7_iN6hipcub16HIPCUB_304000_NS6detail34convert_binary_result_type_wrapperINS9_3SumENS9_22TransformInputIteratorIbN2at6native12_GLOBAL__N_19NonZeroOpIN3c107complexIdEEEEPKSK_lEEiEEEE10hipError_tPvRmT1_T2_T3_mT4_P12ihipStream_tbEUlT_E0_NS1_11comp_targetILNS1_3genE10ELNS1_11target_archE1201ELNS1_3gpuE5ELNS1_3repE0EEENS1_30default_config_static_selectorELNS0_4arch9wavefront6targetE0EEEvST_
    .private_segment_fixed_size: 0
    .sgpr_count:     32
    .sgpr_spill_count: 0
    .symbol:         _ZN7rocprim17ROCPRIM_400000_NS6detail17trampoline_kernelINS0_14default_configENS1_22reduce_config_selectorIiEEZNS1_11reduce_implILb1ES3_PiS7_iN6hipcub16HIPCUB_304000_NS6detail34convert_binary_result_type_wrapperINS9_3SumENS9_22TransformInputIteratorIbN2at6native12_GLOBAL__N_19NonZeroOpIN3c107complexIdEEEEPKSK_lEEiEEEE10hipError_tPvRmT1_T2_T3_mT4_P12ihipStream_tbEUlT_E0_NS1_11comp_targetILNS1_3genE10ELNS1_11target_archE1201ELNS1_3gpuE5ELNS1_3repE0EEENS1_30default_config_static_selectorELNS0_4arch9wavefront6targetE0EEEvST_.kd
    .uniform_work_group_size: 1
    .uses_dynamic_stack: false
    .vgpr_count:     20
    .vgpr_spill_count: 0
    .wavefront_size: 32
    .workgroup_processor_mode: 1
  - .args:
      - .offset:         0
        .size:           56
        .value_kind:     by_value
    .group_segment_fixed_size: 0
    .kernarg_segment_align: 8
    .kernarg_segment_size: 56
    .language:       OpenCL C
    .language_version:
      - 2
      - 0
    .max_flat_workgroup_size: 256
    .name:           _ZN7rocprim17ROCPRIM_400000_NS6detail17trampoline_kernelINS0_14default_configENS1_22reduce_config_selectorIiEEZNS1_11reduce_implILb1ES3_PiS7_iN6hipcub16HIPCUB_304000_NS6detail34convert_binary_result_type_wrapperINS9_3SumENS9_22TransformInputIteratorIbN2at6native12_GLOBAL__N_19NonZeroOpIN3c107complexIdEEEEPKSK_lEEiEEEE10hipError_tPvRmT1_T2_T3_mT4_P12ihipStream_tbEUlT_E0_NS1_11comp_targetILNS1_3genE10ELNS1_11target_archE1200ELNS1_3gpuE4ELNS1_3repE0EEENS1_30default_config_static_selectorELNS0_4arch9wavefront6targetE0EEEvST_
    .private_segment_fixed_size: 0
    .sgpr_count:     0
    .sgpr_spill_count: 0
    .symbol:         _ZN7rocprim17ROCPRIM_400000_NS6detail17trampoline_kernelINS0_14default_configENS1_22reduce_config_selectorIiEEZNS1_11reduce_implILb1ES3_PiS7_iN6hipcub16HIPCUB_304000_NS6detail34convert_binary_result_type_wrapperINS9_3SumENS9_22TransformInputIteratorIbN2at6native12_GLOBAL__N_19NonZeroOpIN3c107complexIdEEEEPKSK_lEEiEEEE10hipError_tPvRmT1_T2_T3_mT4_P12ihipStream_tbEUlT_E0_NS1_11comp_targetILNS1_3genE10ELNS1_11target_archE1200ELNS1_3gpuE4ELNS1_3repE0EEENS1_30default_config_static_selectorELNS0_4arch9wavefront6targetE0EEEvST_.kd
    .uniform_work_group_size: 1
    .uses_dynamic_stack: false
    .vgpr_count:     0
    .vgpr_spill_count: 0
    .wavefront_size: 32
    .workgroup_processor_mode: 1
  - .args:
      - .offset:         0
        .size:           56
        .value_kind:     by_value
    .group_segment_fixed_size: 0
    .kernarg_segment_align: 8
    .kernarg_segment_size: 56
    .language:       OpenCL C
    .language_version:
      - 2
      - 0
    .max_flat_workgroup_size: 256
    .name:           _ZN7rocprim17ROCPRIM_400000_NS6detail17trampoline_kernelINS0_14default_configENS1_22reduce_config_selectorIiEEZNS1_11reduce_implILb1ES3_PiS7_iN6hipcub16HIPCUB_304000_NS6detail34convert_binary_result_type_wrapperINS9_3SumENS9_22TransformInputIteratorIbN2at6native12_GLOBAL__N_19NonZeroOpIN3c107complexIdEEEEPKSK_lEEiEEEE10hipError_tPvRmT1_T2_T3_mT4_P12ihipStream_tbEUlT_E0_NS1_11comp_targetILNS1_3genE9ELNS1_11target_archE1100ELNS1_3gpuE3ELNS1_3repE0EEENS1_30default_config_static_selectorELNS0_4arch9wavefront6targetE0EEEvST_
    .private_segment_fixed_size: 0
    .sgpr_count:     0
    .sgpr_spill_count: 0
    .symbol:         _ZN7rocprim17ROCPRIM_400000_NS6detail17trampoline_kernelINS0_14default_configENS1_22reduce_config_selectorIiEEZNS1_11reduce_implILb1ES3_PiS7_iN6hipcub16HIPCUB_304000_NS6detail34convert_binary_result_type_wrapperINS9_3SumENS9_22TransformInputIteratorIbN2at6native12_GLOBAL__N_19NonZeroOpIN3c107complexIdEEEEPKSK_lEEiEEEE10hipError_tPvRmT1_T2_T3_mT4_P12ihipStream_tbEUlT_E0_NS1_11comp_targetILNS1_3genE9ELNS1_11target_archE1100ELNS1_3gpuE3ELNS1_3repE0EEENS1_30default_config_static_selectorELNS0_4arch9wavefront6targetE0EEEvST_.kd
    .uniform_work_group_size: 1
    .uses_dynamic_stack: false
    .vgpr_count:     0
    .vgpr_spill_count: 0
    .wavefront_size: 32
    .workgroup_processor_mode: 1
  - .args:
      - .offset:         0
        .size:           56
        .value_kind:     by_value
    .group_segment_fixed_size: 0
    .kernarg_segment_align: 8
    .kernarg_segment_size: 56
    .language:       OpenCL C
    .language_version:
      - 2
      - 0
    .max_flat_workgroup_size: 256
    .name:           _ZN7rocprim17ROCPRIM_400000_NS6detail17trampoline_kernelINS0_14default_configENS1_22reduce_config_selectorIiEEZNS1_11reduce_implILb1ES3_PiS7_iN6hipcub16HIPCUB_304000_NS6detail34convert_binary_result_type_wrapperINS9_3SumENS9_22TransformInputIteratorIbN2at6native12_GLOBAL__N_19NonZeroOpIN3c107complexIdEEEEPKSK_lEEiEEEE10hipError_tPvRmT1_T2_T3_mT4_P12ihipStream_tbEUlT_E0_NS1_11comp_targetILNS1_3genE8ELNS1_11target_archE1030ELNS1_3gpuE2ELNS1_3repE0EEENS1_30default_config_static_selectorELNS0_4arch9wavefront6targetE0EEEvST_
    .private_segment_fixed_size: 0
    .sgpr_count:     0
    .sgpr_spill_count: 0
    .symbol:         _ZN7rocprim17ROCPRIM_400000_NS6detail17trampoline_kernelINS0_14default_configENS1_22reduce_config_selectorIiEEZNS1_11reduce_implILb1ES3_PiS7_iN6hipcub16HIPCUB_304000_NS6detail34convert_binary_result_type_wrapperINS9_3SumENS9_22TransformInputIteratorIbN2at6native12_GLOBAL__N_19NonZeroOpIN3c107complexIdEEEEPKSK_lEEiEEEE10hipError_tPvRmT1_T2_T3_mT4_P12ihipStream_tbEUlT_E0_NS1_11comp_targetILNS1_3genE8ELNS1_11target_archE1030ELNS1_3gpuE2ELNS1_3repE0EEENS1_30default_config_static_selectorELNS0_4arch9wavefront6targetE0EEEvST_.kd
    .uniform_work_group_size: 1
    .uses_dynamic_stack: false
    .vgpr_count:     0
    .vgpr_spill_count: 0
    .wavefront_size: 32
    .workgroup_processor_mode: 1
  - .args:
      - .offset:         0
        .size:           40
        .value_kind:     by_value
    .group_segment_fixed_size: 0
    .kernarg_segment_align: 8
    .kernarg_segment_size: 40
    .language:       OpenCL C
    .language_version:
      - 2
      - 0
    .max_flat_workgroup_size: 256
    .name:           _ZN7rocprim17ROCPRIM_400000_NS6detail17trampoline_kernelINS0_14default_configENS1_22reduce_config_selectorIiEEZNS1_11reduce_implILb1ES3_PiS7_iN6hipcub16HIPCUB_304000_NS6detail34convert_binary_result_type_wrapperINS9_3SumENS9_22TransformInputIteratorIbN2at6native12_GLOBAL__N_19NonZeroOpIN3c107complexIdEEEEPKSK_lEEiEEEE10hipError_tPvRmT1_T2_T3_mT4_P12ihipStream_tbEUlT_E1_NS1_11comp_targetILNS1_3genE0ELNS1_11target_archE4294967295ELNS1_3gpuE0ELNS1_3repE0EEENS1_30default_config_static_selectorELNS0_4arch9wavefront6targetE0EEEvST_
    .private_segment_fixed_size: 0
    .sgpr_count:     0
    .sgpr_spill_count: 0
    .symbol:         _ZN7rocprim17ROCPRIM_400000_NS6detail17trampoline_kernelINS0_14default_configENS1_22reduce_config_selectorIiEEZNS1_11reduce_implILb1ES3_PiS7_iN6hipcub16HIPCUB_304000_NS6detail34convert_binary_result_type_wrapperINS9_3SumENS9_22TransformInputIteratorIbN2at6native12_GLOBAL__N_19NonZeroOpIN3c107complexIdEEEEPKSK_lEEiEEEE10hipError_tPvRmT1_T2_T3_mT4_P12ihipStream_tbEUlT_E1_NS1_11comp_targetILNS1_3genE0ELNS1_11target_archE4294967295ELNS1_3gpuE0ELNS1_3repE0EEENS1_30default_config_static_selectorELNS0_4arch9wavefront6targetE0EEEvST_.kd
    .uniform_work_group_size: 1
    .uses_dynamic_stack: false
    .vgpr_count:     0
    .vgpr_spill_count: 0
    .wavefront_size: 32
    .workgroup_processor_mode: 1
  - .args:
      - .offset:         0
        .size:           40
        .value_kind:     by_value
    .group_segment_fixed_size: 0
    .kernarg_segment_align: 8
    .kernarg_segment_size: 40
    .language:       OpenCL C
    .language_version:
      - 2
      - 0
    .max_flat_workgroup_size: 256
    .name:           _ZN7rocprim17ROCPRIM_400000_NS6detail17trampoline_kernelINS0_14default_configENS1_22reduce_config_selectorIiEEZNS1_11reduce_implILb1ES3_PiS7_iN6hipcub16HIPCUB_304000_NS6detail34convert_binary_result_type_wrapperINS9_3SumENS9_22TransformInputIteratorIbN2at6native12_GLOBAL__N_19NonZeroOpIN3c107complexIdEEEEPKSK_lEEiEEEE10hipError_tPvRmT1_T2_T3_mT4_P12ihipStream_tbEUlT_E1_NS1_11comp_targetILNS1_3genE5ELNS1_11target_archE942ELNS1_3gpuE9ELNS1_3repE0EEENS1_30default_config_static_selectorELNS0_4arch9wavefront6targetE0EEEvST_
    .private_segment_fixed_size: 0
    .sgpr_count:     0
    .sgpr_spill_count: 0
    .symbol:         _ZN7rocprim17ROCPRIM_400000_NS6detail17trampoline_kernelINS0_14default_configENS1_22reduce_config_selectorIiEEZNS1_11reduce_implILb1ES3_PiS7_iN6hipcub16HIPCUB_304000_NS6detail34convert_binary_result_type_wrapperINS9_3SumENS9_22TransformInputIteratorIbN2at6native12_GLOBAL__N_19NonZeroOpIN3c107complexIdEEEEPKSK_lEEiEEEE10hipError_tPvRmT1_T2_T3_mT4_P12ihipStream_tbEUlT_E1_NS1_11comp_targetILNS1_3genE5ELNS1_11target_archE942ELNS1_3gpuE9ELNS1_3repE0EEENS1_30default_config_static_selectorELNS0_4arch9wavefront6targetE0EEEvST_.kd
    .uniform_work_group_size: 1
    .uses_dynamic_stack: false
    .vgpr_count:     0
    .vgpr_spill_count: 0
    .wavefront_size: 32
    .workgroup_processor_mode: 1
  - .args:
      - .offset:         0
        .size:           40
        .value_kind:     by_value
    .group_segment_fixed_size: 0
    .kernarg_segment_align: 8
    .kernarg_segment_size: 40
    .language:       OpenCL C
    .language_version:
      - 2
      - 0
    .max_flat_workgroup_size: 128
    .name:           _ZN7rocprim17ROCPRIM_400000_NS6detail17trampoline_kernelINS0_14default_configENS1_22reduce_config_selectorIiEEZNS1_11reduce_implILb1ES3_PiS7_iN6hipcub16HIPCUB_304000_NS6detail34convert_binary_result_type_wrapperINS9_3SumENS9_22TransformInputIteratorIbN2at6native12_GLOBAL__N_19NonZeroOpIN3c107complexIdEEEEPKSK_lEEiEEEE10hipError_tPvRmT1_T2_T3_mT4_P12ihipStream_tbEUlT_E1_NS1_11comp_targetILNS1_3genE4ELNS1_11target_archE910ELNS1_3gpuE8ELNS1_3repE0EEENS1_30default_config_static_selectorELNS0_4arch9wavefront6targetE0EEEvST_
    .private_segment_fixed_size: 0
    .sgpr_count:     0
    .sgpr_spill_count: 0
    .symbol:         _ZN7rocprim17ROCPRIM_400000_NS6detail17trampoline_kernelINS0_14default_configENS1_22reduce_config_selectorIiEEZNS1_11reduce_implILb1ES3_PiS7_iN6hipcub16HIPCUB_304000_NS6detail34convert_binary_result_type_wrapperINS9_3SumENS9_22TransformInputIteratorIbN2at6native12_GLOBAL__N_19NonZeroOpIN3c107complexIdEEEEPKSK_lEEiEEEE10hipError_tPvRmT1_T2_T3_mT4_P12ihipStream_tbEUlT_E1_NS1_11comp_targetILNS1_3genE4ELNS1_11target_archE910ELNS1_3gpuE8ELNS1_3repE0EEENS1_30default_config_static_selectorELNS0_4arch9wavefront6targetE0EEEvST_.kd
    .uniform_work_group_size: 1
    .uses_dynamic_stack: false
    .vgpr_count:     0
    .vgpr_spill_count: 0
    .wavefront_size: 32
    .workgroup_processor_mode: 1
  - .args:
      - .offset:         0
        .size:           40
        .value_kind:     by_value
    .group_segment_fixed_size: 0
    .kernarg_segment_align: 8
    .kernarg_segment_size: 40
    .language:       OpenCL C
    .language_version:
      - 2
      - 0
    .max_flat_workgroup_size: 256
    .name:           _ZN7rocprim17ROCPRIM_400000_NS6detail17trampoline_kernelINS0_14default_configENS1_22reduce_config_selectorIiEEZNS1_11reduce_implILb1ES3_PiS7_iN6hipcub16HIPCUB_304000_NS6detail34convert_binary_result_type_wrapperINS9_3SumENS9_22TransformInputIteratorIbN2at6native12_GLOBAL__N_19NonZeroOpIN3c107complexIdEEEEPKSK_lEEiEEEE10hipError_tPvRmT1_T2_T3_mT4_P12ihipStream_tbEUlT_E1_NS1_11comp_targetILNS1_3genE3ELNS1_11target_archE908ELNS1_3gpuE7ELNS1_3repE0EEENS1_30default_config_static_selectorELNS0_4arch9wavefront6targetE0EEEvST_
    .private_segment_fixed_size: 0
    .sgpr_count:     0
    .sgpr_spill_count: 0
    .symbol:         _ZN7rocprim17ROCPRIM_400000_NS6detail17trampoline_kernelINS0_14default_configENS1_22reduce_config_selectorIiEEZNS1_11reduce_implILb1ES3_PiS7_iN6hipcub16HIPCUB_304000_NS6detail34convert_binary_result_type_wrapperINS9_3SumENS9_22TransformInputIteratorIbN2at6native12_GLOBAL__N_19NonZeroOpIN3c107complexIdEEEEPKSK_lEEiEEEE10hipError_tPvRmT1_T2_T3_mT4_P12ihipStream_tbEUlT_E1_NS1_11comp_targetILNS1_3genE3ELNS1_11target_archE908ELNS1_3gpuE7ELNS1_3repE0EEENS1_30default_config_static_selectorELNS0_4arch9wavefront6targetE0EEEvST_.kd
    .uniform_work_group_size: 1
    .uses_dynamic_stack: false
    .vgpr_count:     0
    .vgpr_spill_count: 0
    .wavefront_size: 32
    .workgroup_processor_mode: 1
  - .args:
      - .offset:         0
        .size:           40
        .value_kind:     by_value
    .group_segment_fixed_size: 0
    .kernarg_segment_align: 8
    .kernarg_segment_size: 40
    .language:       OpenCL C
    .language_version:
      - 2
      - 0
    .max_flat_workgroup_size: 256
    .name:           _ZN7rocprim17ROCPRIM_400000_NS6detail17trampoline_kernelINS0_14default_configENS1_22reduce_config_selectorIiEEZNS1_11reduce_implILb1ES3_PiS7_iN6hipcub16HIPCUB_304000_NS6detail34convert_binary_result_type_wrapperINS9_3SumENS9_22TransformInputIteratorIbN2at6native12_GLOBAL__N_19NonZeroOpIN3c107complexIdEEEEPKSK_lEEiEEEE10hipError_tPvRmT1_T2_T3_mT4_P12ihipStream_tbEUlT_E1_NS1_11comp_targetILNS1_3genE2ELNS1_11target_archE906ELNS1_3gpuE6ELNS1_3repE0EEENS1_30default_config_static_selectorELNS0_4arch9wavefront6targetE0EEEvST_
    .private_segment_fixed_size: 0
    .sgpr_count:     0
    .sgpr_spill_count: 0
    .symbol:         _ZN7rocprim17ROCPRIM_400000_NS6detail17trampoline_kernelINS0_14default_configENS1_22reduce_config_selectorIiEEZNS1_11reduce_implILb1ES3_PiS7_iN6hipcub16HIPCUB_304000_NS6detail34convert_binary_result_type_wrapperINS9_3SumENS9_22TransformInputIteratorIbN2at6native12_GLOBAL__N_19NonZeroOpIN3c107complexIdEEEEPKSK_lEEiEEEE10hipError_tPvRmT1_T2_T3_mT4_P12ihipStream_tbEUlT_E1_NS1_11comp_targetILNS1_3genE2ELNS1_11target_archE906ELNS1_3gpuE6ELNS1_3repE0EEENS1_30default_config_static_selectorELNS0_4arch9wavefront6targetE0EEEvST_.kd
    .uniform_work_group_size: 1
    .uses_dynamic_stack: false
    .vgpr_count:     0
    .vgpr_spill_count: 0
    .wavefront_size: 32
    .workgroup_processor_mode: 1
  - .args:
      - .offset:         0
        .size:           40
        .value_kind:     by_value
    .group_segment_fixed_size: 224
    .kernarg_segment_align: 8
    .kernarg_segment_size: 40
    .language:       OpenCL C
    .language_version:
      - 2
      - 0
    .max_flat_workgroup_size: 256
    .name:           _ZN7rocprim17ROCPRIM_400000_NS6detail17trampoline_kernelINS0_14default_configENS1_22reduce_config_selectorIiEEZNS1_11reduce_implILb1ES3_PiS7_iN6hipcub16HIPCUB_304000_NS6detail34convert_binary_result_type_wrapperINS9_3SumENS9_22TransformInputIteratorIbN2at6native12_GLOBAL__N_19NonZeroOpIN3c107complexIdEEEEPKSK_lEEiEEEE10hipError_tPvRmT1_T2_T3_mT4_P12ihipStream_tbEUlT_E1_NS1_11comp_targetILNS1_3genE10ELNS1_11target_archE1201ELNS1_3gpuE5ELNS1_3repE0EEENS1_30default_config_static_selectorELNS0_4arch9wavefront6targetE0EEEvST_
    .private_segment_fixed_size: 0
    .sgpr_count:     47
    .sgpr_spill_count: 0
    .symbol:         _ZN7rocprim17ROCPRIM_400000_NS6detail17trampoline_kernelINS0_14default_configENS1_22reduce_config_selectorIiEEZNS1_11reduce_implILb1ES3_PiS7_iN6hipcub16HIPCUB_304000_NS6detail34convert_binary_result_type_wrapperINS9_3SumENS9_22TransformInputIteratorIbN2at6native12_GLOBAL__N_19NonZeroOpIN3c107complexIdEEEEPKSK_lEEiEEEE10hipError_tPvRmT1_T2_T3_mT4_P12ihipStream_tbEUlT_E1_NS1_11comp_targetILNS1_3genE10ELNS1_11target_archE1201ELNS1_3gpuE5ELNS1_3repE0EEENS1_30default_config_static_selectorELNS0_4arch9wavefront6targetE0EEEvST_.kd
    .uniform_work_group_size: 1
    .uses_dynamic_stack: false
    .vgpr_count:     34
    .vgpr_spill_count: 0
    .wavefront_size: 32
    .workgroup_processor_mode: 1
  - .args:
      - .offset:         0
        .size:           40
        .value_kind:     by_value
    .group_segment_fixed_size: 0
    .kernarg_segment_align: 8
    .kernarg_segment_size: 40
    .language:       OpenCL C
    .language_version:
      - 2
      - 0
    .max_flat_workgroup_size: 256
    .name:           _ZN7rocprim17ROCPRIM_400000_NS6detail17trampoline_kernelINS0_14default_configENS1_22reduce_config_selectorIiEEZNS1_11reduce_implILb1ES3_PiS7_iN6hipcub16HIPCUB_304000_NS6detail34convert_binary_result_type_wrapperINS9_3SumENS9_22TransformInputIteratorIbN2at6native12_GLOBAL__N_19NonZeroOpIN3c107complexIdEEEEPKSK_lEEiEEEE10hipError_tPvRmT1_T2_T3_mT4_P12ihipStream_tbEUlT_E1_NS1_11comp_targetILNS1_3genE10ELNS1_11target_archE1200ELNS1_3gpuE4ELNS1_3repE0EEENS1_30default_config_static_selectorELNS0_4arch9wavefront6targetE0EEEvST_
    .private_segment_fixed_size: 0
    .sgpr_count:     0
    .sgpr_spill_count: 0
    .symbol:         _ZN7rocprim17ROCPRIM_400000_NS6detail17trampoline_kernelINS0_14default_configENS1_22reduce_config_selectorIiEEZNS1_11reduce_implILb1ES3_PiS7_iN6hipcub16HIPCUB_304000_NS6detail34convert_binary_result_type_wrapperINS9_3SumENS9_22TransformInputIteratorIbN2at6native12_GLOBAL__N_19NonZeroOpIN3c107complexIdEEEEPKSK_lEEiEEEE10hipError_tPvRmT1_T2_T3_mT4_P12ihipStream_tbEUlT_E1_NS1_11comp_targetILNS1_3genE10ELNS1_11target_archE1200ELNS1_3gpuE4ELNS1_3repE0EEENS1_30default_config_static_selectorELNS0_4arch9wavefront6targetE0EEEvST_.kd
    .uniform_work_group_size: 1
    .uses_dynamic_stack: false
    .vgpr_count:     0
    .vgpr_spill_count: 0
    .wavefront_size: 32
    .workgroup_processor_mode: 1
  - .args:
      - .offset:         0
        .size:           40
        .value_kind:     by_value
    .group_segment_fixed_size: 0
    .kernarg_segment_align: 8
    .kernarg_segment_size: 40
    .language:       OpenCL C
    .language_version:
      - 2
      - 0
    .max_flat_workgroup_size: 256
    .name:           _ZN7rocprim17ROCPRIM_400000_NS6detail17trampoline_kernelINS0_14default_configENS1_22reduce_config_selectorIiEEZNS1_11reduce_implILb1ES3_PiS7_iN6hipcub16HIPCUB_304000_NS6detail34convert_binary_result_type_wrapperINS9_3SumENS9_22TransformInputIteratorIbN2at6native12_GLOBAL__N_19NonZeroOpIN3c107complexIdEEEEPKSK_lEEiEEEE10hipError_tPvRmT1_T2_T3_mT4_P12ihipStream_tbEUlT_E1_NS1_11comp_targetILNS1_3genE9ELNS1_11target_archE1100ELNS1_3gpuE3ELNS1_3repE0EEENS1_30default_config_static_selectorELNS0_4arch9wavefront6targetE0EEEvST_
    .private_segment_fixed_size: 0
    .sgpr_count:     0
    .sgpr_spill_count: 0
    .symbol:         _ZN7rocprim17ROCPRIM_400000_NS6detail17trampoline_kernelINS0_14default_configENS1_22reduce_config_selectorIiEEZNS1_11reduce_implILb1ES3_PiS7_iN6hipcub16HIPCUB_304000_NS6detail34convert_binary_result_type_wrapperINS9_3SumENS9_22TransformInputIteratorIbN2at6native12_GLOBAL__N_19NonZeroOpIN3c107complexIdEEEEPKSK_lEEiEEEE10hipError_tPvRmT1_T2_T3_mT4_P12ihipStream_tbEUlT_E1_NS1_11comp_targetILNS1_3genE9ELNS1_11target_archE1100ELNS1_3gpuE3ELNS1_3repE0EEENS1_30default_config_static_selectorELNS0_4arch9wavefront6targetE0EEEvST_.kd
    .uniform_work_group_size: 1
    .uses_dynamic_stack: false
    .vgpr_count:     0
    .vgpr_spill_count: 0
    .wavefront_size: 32
    .workgroup_processor_mode: 1
  - .args:
      - .offset:         0
        .size:           40
        .value_kind:     by_value
    .group_segment_fixed_size: 0
    .kernarg_segment_align: 8
    .kernarg_segment_size: 40
    .language:       OpenCL C
    .language_version:
      - 2
      - 0
    .max_flat_workgroup_size: 256
    .name:           _ZN7rocprim17ROCPRIM_400000_NS6detail17trampoline_kernelINS0_14default_configENS1_22reduce_config_selectorIiEEZNS1_11reduce_implILb1ES3_PiS7_iN6hipcub16HIPCUB_304000_NS6detail34convert_binary_result_type_wrapperINS9_3SumENS9_22TransformInputIteratorIbN2at6native12_GLOBAL__N_19NonZeroOpIN3c107complexIdEEEEPKSK_lEEiEEEE10hipError_tPvRmT1_T2_T3_mT4_P12ihipStream_tbEUlT_E1_NS1_11comp_targetILNS1_3genE8ELNS1_11target_archE1030ELNS1_3gpuE2ELNS1_3repE0EEENS1_30default_config_static_selectorELNS0_4arch9wavefront6targetE0EEEvST_
    .private_segment_fixed_size: 0
    .sgpr_count:     0
    .sgpr_spill_count: 0
    .symbol:         _ZN7rocprim17ROCPRIM_400000_NS6detail17trampoline_kernelINS0_14default_configENS1_22reduce_config_selectorIiEEZNS1_11reduce_implILb1ES3_PiS7_iN6hipcub16HIPCUB_304000_NS6detail34convert_binary_result_type_wrapperINS9_3SumENS9_22TransformInputIteratorIbN2at6native12_GLOBAL__N_19NonZeroOpIN3c107complexIdEEEEPKSK_lEEiEEEE10hipError_tPvRmT1_T2_T3_mT4_P12ihipStream_tbEUlT_E1_NS1_11comp_targetILNS1_3genE8ELNS1_11target_archE1030ELNS1_3gpuE2ELNS1_3repE0EEENS1_30default_config_static_selectorELNS0_4arch9wavefront6targetE0EEEvST_.kd
    .uniform_work_group_size: 1
    .uses_dynamic_stack: false
    .vgpr_count:     0
    .vgpr_spill_count: 0
    .wavefront_size: 32
    .workgroup_processor_mode: 1
  - .args:
      - .offset:         0
        .size:           64
        .value_kind:     by_value
    .group_segment_fixed_size: 0
    .kernarg_segment_align: 8
    .kernarg_segment_size: 64
    .language:       OpenCL C
    .language_version:
      - 2
      - 0
    .max_flat_workgroup_size: 256
    .name:           _ZN7rocprim17ROCPRIM_400000_NS6detail17trampoline_kernelINS0_14default_configENS1_22reduce_config_selectorIbEEZNS1_11reduce_implILb1ES3_N6hipcub16HIPCUB_304000_NS22TransformInputIteratorIbN2at6native12_GLOBAL__N_19NonZeroOpIN3c107complexIdEEEEPKSG_lEEPiiNS8_6detail34convert_binary_result_type_wrapperINS8_3SumESK_iEEEE10hipError_tPvRmT1_T2_T3_mT4_P12ihipStream_tbEUlT_E0_NS1_11comp_targetILNS1_3genE0ELNS1_11target_archE4294967295ELNS1_3gpuE0ELNS1_3repE0EEENS1_30default_config_static_selectorELNS0_4arch9wavefront6targetE0EEEvST_
    .private_segment_fixed_size: 0
    .sgpr_count:     0
    .sgpr_spill_count: 0
    .symbol:         _ZN7rocprim17ROCPRIM_400000_NS6detail17trampoline_kernelINS0_14default_configENS1_22reduce_config_selectorIbEEZNS1_11reduce_implILb1ES3_N6hipcub16HIPCUB_304000_NS22TransformInputIteratorIbN2at6native12_GLOBAL__N_19NonZeroOpIN3c107complexIdEEEEPKSG_lEEPiiNS8_6detail34convert_binary_result_type_wrapperINS8_3SumESK_iEEEE10hipError_tPvRmT1_T2_T3_mT4_P12ihipStream_tbEUlT_E0_NS1_11comp_targetILNS1_3genE0ELNS1_11target_archE4294967295ELNS1_3gpuE0ELNS1_3repE0EEENS1_30default_config_static_selectorELNS0_4arch9wavefront6targetE0EEEvST_.kd
    .uniform_work_group_size: 1
    .uses_dynamic_stack: false
    .vgpr_count:     0
    .vgpr_spill_count: 0
    .wavefront_size: 32
    .workgroup_processor_mode: 1
  - .args:
      - .offset:         0
        .size:           64
        .value_kind:     by_value
    .group_segment_fixed_size: 0
    .kernarg_segment_align: 8
    .kernarg_segment_size: 64
    .language:       OpenCL C
    .language_version:
      - 2
      - 0
    .max_flat_workgroup_size: 256
    .name:           _ZN7rocprim17ROCPRIM_400000_NS6detail17trampoline_kernelINS0_14default_configENS1_22reduce_config_selectorIbEEZNS1_11reduce_implILb1ES3_N6hipcub16HIPCUB_304000_NS22TransformInputIteratorIbN2at6native12_GLOBAL__N_19NonZeroOpIN3c107complexIdEEEEPKSG_lEEPiiNS8_6detail34convert_binary_result_type_wrapperINS8_3SumESK_iEEEE10hipError_tPvRmT1_T2_T3_mT4_P12ihipStream_tbEUlT_E0_NS1_11comp_targetILNS1_3genE5ELNS1_11target_archE942ELNS1_3gpuE9ELNS1_3repE0EEENS1_30default_config_static_selectorELNS0_4arch9wavefront6targetE0EEEvST_
    .private_segment_fixed_size: 0
    .sgpr_count:     0
    .sgpr_spill_count: 0
    .symbol:         _ZN7rocprim17ROCPRIM_400000_NS6detail17trampoline_kernelINS0_14default_configENS1_22reduce_config_selectorIbEEZNS1_11reduce_implILb1ES3_N6hipcub16HIPCUB_304000_NS22TransformInputIteratorIbN2at6native12_GLOBAL__N_19NonZeroOpIN3c107complexIdEEEEPKSG_lEEPiiNS8_6detail34convert_binary_result_type_wrapperINS8_3SumESK_iEEEE10hipError_tPvRmT1_T2_T3_mT4_P12ihipStream_tbEUlT_E0_NS1_11comp_targetILNS1_3genE5ELNS1_11target_archE942ELNS1_3gpuE9ELNS1_3repE0EEENS1_30default_config_static_selectorELNS0_4arch9wavefront6targetE0EEEvST_.kd
    .uniform_work_group_size: 1
    .uses_dynamic_stack: false
    .vgpr_count:     0
    .vgpr_spill_count: 0
    .wavefront_size: 32
    .workgroup_processor_mode: 1
  - .args:
      - .offset:         0
        .size:           64
        .value_kind:     by_value
    .group_segment_fixed_size: 0
    .kernarg_segment_align: 8
    .kernarg_segment_size: 64
    .language:       OpenCL C
    .language_version:
      - 2
      - 0
    .max_flat_workgroup_size: 128
    .name:           _ZN7rocprim17ROCPRIM_400000_NS6detail17trampoline_kernelINS0_14default_configENS1_22reduce_config_selectorIbEEZNS1_11reduce_implILb1ES3_N6hipcub16HIPCUB_304000_NS22TransformInputIteratorIbN2at6native12_GLOBAL__N_19NonZeroOpIN3c107complexIdEEEEPKSG_lEEPiiNS8_6detail34convert_binary_result_type_wrapperINS8_3SumESK_iEEEE10hipError_tPvRmT1_T2_T3_mT4_P12ihipStream_tbEUlT_E0_NS1_11comp_targetILNS1_3genE4ELNS1_11target_archE910ELNS1_3gpuE8ELNS1_3repE0EEENS1_30default_config_static_selectorELNS0_4arch9wavefront6targetE0EEEvST_
    .private_segment_fixed_size: 0
    .sgpr_count:     0
    .sgpr_spill_count: 0
    .symbol:         _ZN7rocprim17ROCPRIM_400000_NS6detail17trampoline_kernelINS0_14default_configENS1_22reduce_config_selectorIbEEZNS1_11reduce_implILb1ES3_N6hipcub16HIPCUB_304000_NS22TransformInputIteratorIbN2at6native12_GLOBAL__N_19NonZeroOpIN3c107complexIdEEEEPKSG_lEEPiiNS8_6detail34convert_binary_result_type_wrapperINS8_3SumESK_iEEEE10hipError_tPvRmT1_T2_T3_mT4_P12ihipStream_tbEUlT_E0_NS1_11comp_targetILNS1_3genE4ELNS1_11target_archE910ELNS1_3gpuE8ELNS1_3repE0EEENS1_30default_config_static_selectorELNS0_4arch9wavefront6targetE0EEEvST_.kd
    .uniform_work_group_size: 1
    .uses_dynamic_stack: false
    .vgpr_count:     0
    .vgpr_spill_count: 0
    .wavefront_size: 32
    .workgroup_processor_mode: 1
  - .args:
      - .offset:         0
        .size:           64
        .value_kind:     by_value
    .group_segment_fixed_size: 0
    .kernarg_segment_align: 8
    .kernarg_segment_size: 64
    .language:       OpenCL C
    .language_version:
      - 2
      - 0
    .max_flat_workgroup_size: 256
    .name:           _ZN7rocprim17ROCPRIM_400000_NS6detail17trampoline_kernelINS0_14default_configENS1_22reduce_config_selectorIbEEZNS1_11reduce_implILb1ES3_N6hipcub16HIPCUB_304000_NS22TransformInputIteratorIbN2at6native12_GLOBAL__N_19NonZeroOpIN3c107complexIdEEEEPKSG_lEEPiiNS8_6detail34convert_binary_result_type_wrapperINS8_3SumESK_iEEEE10hipError_tPvRmT1_T2_T3_mT4_P12ihipStream_tbEUlT_E0_NS1_11comp_targetILNS1_3genE3ELNS1_11target_archE908ELNS1_3gpuE7ELNS1_3repE0EEENS1_30default_config_static_selectorELNS0_4arch9wavefront6targetE0EEEvST_
    .private_segment_fixed_size: 0
    .sgpr_count:     0
    .sgpr_spill_count: 0
    .symbol:         _ZN7rocprim17ROCPRIM_400000_NS6detail17trampoline_kernelINS0_14default_configENS1_22reduce_config_selectorIbEEZNS1_11reduce_implILb1ES3_N6hipcub16HIPCUB_304000_NS22TransformInputIteratorIbN2at6native12_GLOBAL__N_19NonZeroOpIN3c107complexIdEEEEPKSG_lEEPiiNS8_6detail34convert_binary_result_type_wrapperINS8_3SumESK_iEEEE10hipError_tPvRmT1_T2_T3_mT4_P12ihipStream_tbEUlT_E0_NS1_11comp_targetILNS1_3genE3ELNS1_11target_archE908ELNS1_3gpuE7ELNS1_3repE0EEENS1_30default_config_static_selectorELNS0_4arch9wavefront6targetE0EEEvST_.kd
    .uniform_work_group_size: 1
    .uses_dynamic_stack: false
    .vgpr_count:     0
    .vgpr_spill_count: 0
    .wavefront_size: 32
    .workgroup_processor_mode: 1
  - .args:
      - .offset:         0
        .size:           64
        .value_kind:     by_value
    .group_segment_fixed_size: 0
    .kernarg_segment_align: 8
    .kernarg_segment_size: 64
    .language:       OpenCL C
    .language_version:
      - 2
      - 0
    .max_flat_workgroup_size: 128
    .name:           _ZN7rocprim17ROCPRIM_400000_NS6detail17trampoline_kernelINS0_14default_configENS1_22reduce_config_selectorIbEEZNS1_11reduce_implILb1ES3_N6hipcub16HIPCUB_304000_NS22TransformInputIteratorIbN2at6native12_GLOBAL__N_19NonZeroOpIN3c107complexIdEEEEPKSG_lEEPiiNS8_6detail34convert_binary_result_type_wrapperINS8_3SumESK_iEEEE10hipError_tPvRmT1_T2_T3_mT4_P12ihipStream_tbEUlT_E0_NS1_11comp_targetILNS1_3genE2ELNS1_11target_archE906ELNS1_3gpuE6ELNS1_3repE0EEENS1_30default_config_static_selectorELNS0_4arch9wavefront6targetE0EEEvST_
    .private_segment_fixed_size: 0
    .sgpr_count:     0
    .sgpr_spill_count: 0
    .symbol:         _ZN7rocprim17ROCPRIM_400000_NS6detail17trampoline_kernelINS0_14default_configENS1_22reduce_config_selectorIbEEZNS1_11reduce_implILb1ES3_N6hipcub16HIPCUB_304000_NS22TransformInputIteratorIbN2at6native12_GLOBAL__N_19NonZeroOpIN3c107complexIdEEEEPKSG_lEEPiiNS8_6detail34convert_binary_result_type_wrapperINS8_3SumESK_iEEEE10hipError_tPvRmT1_T2_T3_mT4_P12ihipStream_tbEUlT_E0_NS1_11comp_targetILNS1_3genE2ELNS1_11target_archE906ELNS1_3gpuE6ELNS1_3repE0EEENS1_30default_config_static_selectorELNS0_4arch9wavefront6targetE0EEEvST_.kd
    .uniform_work_group_size: 1
    .uses_dynamic_stack: false
    .vgpr_count:     0
    .vgpr_spill_count: 0
    .wavefront_size: 32
    .workgroup_processor_mode: 1
  - .args:
      - .offset:         0
        .size:           64
        .value_kind:     by_value
    .group_segment_fixed_size: 64
    .kernarg_segment_align: 8
    .kernarg_segment_size: 64
    .language:       OpenCL C
    .language_version:
      - 2
      - 0
    .max_flat_workgroup_size: 256
    .name:           _ZN7rocprim17ROCPRIM_400000_NS6detail17trampoline_kernelINS0_14default_configENS1_22reduce_config_selectorIbEEZNS1_11reduce_implILb1ES3_N6hipcub16HIPCUB_304000_NS22TransformInputIteratorIbN2at6native12_GLOBAL__N_19NonZeroOpIN3c107complexIdEEEEPKSG_lEEPiiNS8_6detail34convert_binary_result_type_wrapperINS8_3SumESK_iEEEE10hipError_tPvRmT1_T2_T3_mT4_P12ihipStream_tbEUlT_E0_NS1_11comp_targetILNS1_3genE10ELNS1_11target_archE1201ELNS1_3gpuE5ELNS1_3repE0EEENS1_30default_config_static_selectorELNS0_4arch9wavefront6targetE0EEEvST_
    .private_segment_fixed_size: 0
    .sgpr_count:     50
    .sgpr_spill_count: 0
    .symbol:         _ZN7rocprim17ROCPRIM_400000_NS6detail17trampoline_kernelINS0_14default_configENS1_22reduce_config_selectorIbEEZNS1_11reduce_implILb1ES3_N6hipcub16HIPCUB_304000_NS22TransformInputIteratorIbN2at6native12_GLOBAL__N_19NonZeroOpIN3c107complexIdEEEEPKSG_lEEPiiNS8_6detail34convert_binary_result_type_wrapperINS8_3SumESK_iEEEE10hipError_tPvRmT1_T2_T3_mT4_P12ihipStream_tbEUlT_E0_NS1_11comp_targetILNS1_3genE10ELNS1_11target_archE1201ELNS1_3gpuE5ELNS1_3repE0EEENS1_30default_config_static_selectorELNS0_4arch9wavefront6targetE0EEEvST_.kd
    .uniform_work_group_size: 1
    .uses_dynamic_stack: false
    .vgpr_count:     68
    .vgpr_spill_count: 0
    .wavefront_size: 32
    .workgroup_processor_mode: 1
  - .args:
      - .offset:         0
        .size:           64
        .value_kind:     by_value
    .group_segment_fixed_size: 0
    .kernarg_segment_align: 8
    .kernarg_segment_size: 64
    .language:       OpenCL C
    .language_version:
      - 2
      - 0
    .max_flat_workgroup_size: 256
    .name:           _ZN7rocprim17ROCPRIM_400000_NS6detail17trampoline_kernelINS0_14default_configENS1_22reduce_config_selectorIbEEZNS1_11reduce_implILb1ES3_N6hipcub16HIPCUB_304000_NS22TransformInputIteratorIbN2at6native12_GLOBAL__N_19NonZeroOpIN3c107complexIdEEEEPKSG_lEEPiiNS8_6detail34convert_binary_result_type_wrapperINS8_3SumESK_iEEEE10hipError_tPvRmT1_T2_T3_mT4_P12ihipStream_tbEUlT_E0_NS1_11comp_targetILNS1_3genE10ELNS1_11target_archE1200ELNS1_3gpuE4ELNS1_3repE0EEENS1_30default_config_static_selectorELNS0_4arch9wavefront6targetE0EEEvST_
    .private_segment_fixed_size: 0
    .sgpr_count:     0
    .sgpr_spill_count: 0
    .symbol:         _ZN7rocprim17ROCPRIM_400000_NS6detail17trampoline_kernelINS0_14default_configENS1_22reduce_config_selectorIbEEZNS1_11reduce_implILb1ES3_N6hipcub16HIPCUB_304000_NS22TransformInputIteratorIbN2at6native12_GLOBAL__N_19NonZeroOpIN3c107complexIdEEEEPKSG_lEEPiiNS8_6detail34convert_binary_result_type_wrapperINS8_3SumESK_iEEEE10hipError_tPvRmT1_T2_T3_mT4_P12ihipStream_tbEUlT_E0_NS1_11comp_targetILNS1_3genE10ELNS1_11target_archE1200ELNS1_3gpuE4ELNS1_3repE0EEENS1_30default_config_static_selectorELNS0_4arch9wavefront6targetE0EEEvST_.kd
    .uniform_work_group_size: 1
    .uses_dynamic_stack: false
    .vgpr_count:     0
    .vgpr_spill_count: 0
    .wavefront_size: 32
    .workgroup_processor_mode: 1
  - .args:
      - .offset:         0
        .size:           64
        .value_kind:     by_value
    .group_segment_fixed_size: 0
    .kernarg_segment_align: 8
    .kernarg_segment_size: 64
    .language:       OpenCL C
    .language_version:
      - 2
      - 0
    .max_flat_workgroup_size: 128
    .name:           _ZN7rocprim17ROCPRIM_400000_NS6detail17trampoline_kernelINS0_14default_configENS1_22reduce_config_selectorIbEEZNS1_11reduce_implILb1ES3_N6hipcub16HIPCUB_304000_NS22TransformInputIteratorIbN2at6native12_GLOBAL__N_19NonZeroOpIN3c107complexIdEEEEPKSG_lEEPiiNS8_6detail34convert_binary_result_type_wrapperINS8_3SumESK_iEEEE10hipError_tPvRmT1_T2_T3_mT4_P12ihipStream_tbEUlT_E0_NS1_11comp_targetILNS1_3genE9ELNS1_11target_archE1100ELNS1_3gpuE3ELNS1_3repE0EEENS1_30default_config_static_selectorELNS0_4arch9wavefront6targetE0EEEvST_
    .private_segment_fixed_size: 0
    .sgpr_count:     0
    .sgpr_spill_count: 0
    .symbol:         _ZN7rocprim17ROCPRIM_400000_NS6detail17trampoline_kernelINS0_14default_configENS1_22reduce_config_selectorIbEEZNS1_11reduce_implILb1ES3_N6hipcub16HIPCUB_304000_NS22TransformInputIteratorIbN2at6native12_GLOBAL__N_19NonZeroOpIN3c107complexIdEEEEPKSG_lEEPiiNS8_6detail34convert_binary_result_type_wrapperINS8_3SumESK_iEEEE10hipError_tPvRmT1_T2_T3_mT4_P12ihipStream_tbEUlT_E0_NS1_11comp_targetILNS1_3genE9ELNS1_11target_archE1100ELNS1_3gpuE3ELNS1_3repE0EEENS1_30default_config_static_selectorELNS0_4arch9wavefront6targetE0EEEvST_.kd
    .uniform_work_group_size: 1
    .uses_dynamic_stack: false
    .vgpr_count:     0
    .vgpr_spill_count: 0
    .wavefront_size: 32
    .workgroup_processor_mode: 1
  - .args:
      - .offset:         0
        .size:           64
        .value_kind:     by_value
    .group_segment_fixed_size: 0
    .kernarg_segment_align: 8
    .kernarg_segment_size: 64
    .language:       OpenCL C
    .language_version:
      - 2
      - 0
    .max_flat_workgroup_size: 256
    .name:           _ZN7rocprim17ROCPRIM_400000_NS6detail17trampoline_kernelINS0_14default_configENS1_22reduce_config_selectorIbEEZNS1_11reduce_implILb1ES3_N6hipcub16HIPCUB_304000_NS22TransformInputIteratorIbN2at6native12_GLOBAL__N_19NonZeroOpIN3c107complexIdEEEEPKSG_lEEPiiNS8_6detail34convert_binary_result_type_wrapperINS8_3SumESK_iEEEE10hipError_tPvRmT1_T2_T3_mT4_P12ihipStream_tbEUlT_E0_NS1_11comp_targetILNS1_3genE8ELNS1_11target_archE1030ELNS1_3gpuE2ELNS1_3repE0EEENS1_30default_config_static_selectorELNS0_4arch9wavefront6targetE0EEEvST_
    .private_segment_fixed_size: 0
    .sgpr_count:     0
    .sgpr_spill_count: 0
    .symbol:         _ZN7rocprim17ROCPRIM_400000_NS6detail17trampoline_kernelINS0_14default_configENS1_22reduce_config_selectorIbEEZNS1_11reduce_implILb1ES3_N6hipcub16HIPCUB_304000_NS22TransformInputIteratorIbN2at6native12_GLOBAL__N_19NonZeroOpIN3c107complexIdEEEEPKSG_lEEPiiNS8_6detail34convert_binary_result_type_wrapperINS8_3SumESK_iEEEE10hipError_tPvRmT1_T2_T3_mT4_P12ihipStream_tbEUlT_E0_NS1_11comp_targetILNS1_3genE8ELNS1_11target_archE1030ELNS1_3gpuE2ELNS1_3repE0EEENS1_30default_config_static_selectorELNS0_4arch9wavefront6targetE0EEEvST_.kd
    .uniform_work_group_size: 1
    .uses_dynamic_stack: false
    .vgpr_count:     0
    .vgpr_spill_count: 0
    .wavefront_size: 32
    .workgroup_processor_mode: 1
  - .args:
      - .offset:         0
        .size:           48
        .value_kind:     by_value
    .group_segment_fixed_size: 0
    .kernarg_segment_align: 8
    .kernarg_segment_size: 48
    .language:       OpenCL C
    .language_version:
      - 2
      - 0
    .max_flat_workgroup_size: 256
    .name:           _ZN7rocprim17ROCPRIM_400000_NS6detail17trampoline_kernelINS0_14default_configENS1_22reduce_config_selectorIbEEZNS1_11reduce_implILb1ES3_N6hipcub16HIPCUB_304000_NS22TransformInputIteratorIbN2at6native12_GLOBAL__N_19NonZeroOpIN3c107complexIdEEEEPKSG_lEEPiiNS8_6detail34convert_binary_result_type_wrapperINS8_3SumESK_iEEEE10hipError_tPvRmT1_T2_T3_mT4_P12ihipStream_tbEUlT_E1_NS1_11comp_targetILNS1_3genE0ELNS1_11target_archE4294967295ELNS1_3gpuE0ELNS1_3repE0EEENS1_30default_config_static_selectorELNS0_4arch9wavefront6targetE0EEEvST_
    .private_segment_fixed_size: 0
    .sgpr_count:     0
    .sgpr_spill_count: 0
    .symbol:         _ZN7rocprim17ROCPRIM_400000_NS6detail17trampoline_kernelINS0_14default_configENS1_22reduce_config_selectorIbEEZNS1_11reduce_implILb1ES3_N6hipcub16HIPCUB_304000_NS22TransformInputIteratorIbN2at6native12_GLOBAL__N_19NonZeroOpIN3c107complexIdEEEEPKSG_lEEPiiNS8_6detail34convert_binary_result_type_wrapperINS8_3SumESK_iEEEE10hipError_tPvRmT1_T2_T3_mT4_P12ihipStream_tbEUlT_E1_NS1_11comp_targetILNS1_3genE0ELNS1_11target_archE4294967295ELNS1_3gpuE0ELNS1_3repE0EEENS1_30default_config_static_selectorELNS0_4arch9wavefront6targetE0EEEvST_.kd
    .uniform_work_group_size: 1
    .uses_dynamic_stack: false
    .vgpr_count:     0
    .vgpr_spill_count: 0
    .wavefront_size: 32
    .workgroup_processor_mode: 1
  - .args:
      - .offset:         0
        .size:           48
        .value_kind:     by_value
    .group_segment_fixed_size: 0
    .kernarg_segment_align: 8
    .kernarg_segment_size: 48
    .language:       OpenCL C
    .language_version:
      - 2
      - 0
    .max_flat_workgroup_size: 256
    .name:           _ZN7rocprim17ROCPRIM_400000_NS6detail17trampoline_kernelINS0_14default_configENS1_22reduce_config_selectorIbEEZNS1_11reduce_implILb1ES3_N6hipcub16HIPCUB_304000_NS22TransformInputIteratorIbN2at6native12_GLOBAL__N_19NonZeroOpIN3c107complexIdEEEEPKSG_lEEPiiNS8_6detail34convert_binary_result_type_wrapperINS8_3SumESK_iEEEE10hipError_tPvRmT1_T2_T3_mT4_P12ihipStream_tbEUlT_E1_NS1_11comp_targetILNS1_3genE5ELNS1_11target_archE942ELNS1_3gpuE9ELNS1_3repE0EEENS1_30default_config_static_selectorELNS0_4arch9wavefront6targetE0EEEvST_
    .private_segment_fixed_size: 0
    .sgpr_count:     0
    .sgpr_spill_count: 0
    .symbol:         _ZN7rocprim17ROCPRIM_400000_NS6detail17trampoline_kernelINS0_14default_configENS1_22reduce_config_selectorIbEEZNS1_11reduce_implILb1ES3_N6hipcub16HIPCUB_304000_NS22TransformInputIteratorIbN2at6native12_GLOBAL__N_19NonZeroOpIN3c107complexIdEEEEPKSG_lEEPiiNS8_6detail34convert_binary_result_type_wrapperINS8_3SumESK_iEEEE10hipError_tPvRmT1_T2_T3_mT4_P12ihipStream_tbEUlT_E1_NS1_11comp_targetILNS1_3genE5ELNS1_11target_archE942ELNS1_3gpuE9ELNS1_3repE0EEENS1_30default_config_static_selectorELNS0_4arch9wavefront6targetE0EEEvST_.kd
    .uniform_work_group_size: 1
    .uses_dynamic_stack: false
    .vgpr_count:     0
    .vgpr_spill_count: 0
    .wavefront_size: 32
    .workgroup_processor_mode: 1
  - .args:
      - .offset:         0
        .size:           48
        .value_kind:     by_value
    .group_segment_fixed_size: 0
    .kernarg_segment_align: 8
    .kernarg_segment_size: 48
    .language:       OpenCL C
    .language_version:
      - 2
      - 0
    .max_flat_workgroup_size: 128
    .name:           _ZN7rocprim17ROCPRIM_400000_NS6detail17trampoline_kernelINS0_14default_configENS1_22reduce_config_selectorIbEEZNS1_11reduce_implILb1ES3_N6hipcub16HIPCUB_304000_NS22TransformInputIteratorIbN2at6native12_GLOBAL__N_19NonZeroOpIN3c107complexIdEEEEPKSG_lEEPiiNS8_6detail34convert_binary_result_type_wrapperINS8_3SumESK_iEEEE10hipError_tPvRmT1_T2_T3_mT4_P12ihipStream_tbEUlT_E1_NS1_11comp_targetILNS1_3genE4ELNS1_11target_archE910ELNS1_3gpuE8ELNS1_3repE0EEENS1_30default_config_static_selectorELNS0_4arch9wavefront6targetE0EEEvST_
    .private_segment_fixed_size: 0
    .sgpr_count:     0
    .sgpr_spill_count: 0
    .symbol:         _ZN7rocprim17ROCPRIM_400000_NS6detail17trampoline_kernelINS0_14default_configENS1_22reduce_config_selectorIbEEZNS1_11reduce_implILb1ES3_N6hipcub16HIPCUB_304000_NS22TransformInputIteratorIbN2at6native12_GLOBAL__N_19NonZeroOpIN3c107complexIdEEEEPKSG_lEEPiiNS8_6detail34convert_binary_result_type_wrapperINS8_3SumESK_iEEEE10hipError_tPvRmT1_T2_T3_mT4_P12ihipStream_tbEUlT_E1_NS1_11comp_targetILNS1_3genE4ELNS1_11target_archE910ELNS1_3gpuE8ELNS1_3repE0EEENS1_30default_config_static_selectorELNS0_4arch9wavefront6targetE0EEEvST_.kd
    .uniform_work_group_size: 1
    .uses_dynamic_stack: false
    .vgpr_count:     0
    .vgpr_spill_count: 0
    .wavefront_size: 32
    .workgroup_processor_mode: 1
  - .args:
      - .offset:         0
        .size:           48
        .value_kind:     by_value
    .group_segment_fixed_size: 0
    .kernarg_segment_align: 8
    .kernarg_segment_size: 48
    .language:       OpenCL C
    .language_version:
      - 2
      - 0
    .max_flat_workgroup_size: 256
    .name:           _ZN7rocprim17ROCPRIM_400000_NS6detail17trampoline_kernelINS0_14default_configENS1_22reduce_config_selectorIbEEZNS1_11reduce_implILb1ES3_N6hipcub16HIPCUB_304000_NS22TransformInputIteratorIbN2at6native12_GLOBAL__N_19NonZeroOpIN3c107complexIdEEEEPKSG_lEEPiiNS8_6detail34convert_binary_result_type_wrapperINS8_3SumESK_iEEEE10hipError_tPvRmT1_T2_T3_mT4_P12ihipStream_tbEUlT_E1_NS1_11comp_targetILNS1_3genE3ELNS1_11target_archE908ELNS1_3gpuE7ELNS1_3repE0EEENS1_30default_config_static_selectorELNS0_4arch9wavefront6targetE0EEEvST_
    .private_segment_fixed_size: 0
    .sgpr_count:     0
    .sgpr_spill_count: 0
    .symbol:         _ZN7rocprim17ROCPRIM_400000_NS6detail17trampoline_kernelINS0_14default_configENS1_22reduce_config_selectorIbEEZNS1_11reduce_implILb1ES3_N6hipcub16HIPCUB_304000_NS22TransformInputIteratorIbN2at6native12_GLOBAL__N_19NonZeroOpIN3c107complexIdEEEEPKSG_lEEPiiNS8_6detail34convert_binary_result_type_wrapperINS8_3SumESK_iEEEE10hipError_tPvRmT1_T2_T3_mT4_P12ihipStream_tbEUlT_E1_NS1_11comp_targetILNS1_3genE3ELNS1_11target_archE908ELNS1_3gpuE7ELNS1_3repE0EEENS1_30default_config_static_selectorELNS0_4arch9wavefront6targetE0EEEvST_.kd
    .uniform_work_group_size: 1
    .uses_dynamic_stack: false
    .vgpr_count:     0
    .vgpr_spill_count: 0
    .wavefront_size: 32
    .workgroup_processor_mode: 1
  - .args:
      - .offset:         0
        .size:           48
        .value_kind:     by_value
    .group_segment_fixed_size: 0
    .kernarg_segment_align: 8
    .kernarg_segment_size: 48
    .language:       OpenCL C
    .language_version:
      - 2
      - 0
    .max_flat_workgroup_size: 128
    .name:           _ZN7rocprim17ROCPRIM_400000_NS6detail17trampoline_kernelINS0_14default_configENS1_22reduce_config_selectorIbEEZNS1_11reduce_implILb1ES3_N6hipcub16HIPCUB_304000_NS22TransformInputIteratorIbN2at6native12_GLOBAL__N_19NonZeroOpIN3c107complexIdEEEEPKSG_lEEPiiNS8_6detail34convert_binary_result_type_wrapperINS8_3SumESK_iEEEE10hipError_tPvRmT1_T2_T3_mT4_P12ihipStream_tbEUlT_E1_NS1_11comp_targetILNS1_3genE2ELNS1_11target_archE906ELNS1_3gpuE6ELNS1_3repE0EEENS1_30default_config_static_selectorELNS0_4arch9wavefront6targetE0EEEvST_
    .private_segment_fixed_size: 0
    .sgpr_count:     0
    .sgpr_spill_count: 0
    .symbol:         _ZN7rocprim17ROCPRIM_400000_NS6detail17trampoline_kernelINS0_14default_configENS1_22reduce_config_selectorIbEEZNS1_11reduce_implILb1ES3_N6hipcub16HIPCUB_304000_NS22TransformInputIteratorIbN2at6native12_GLOBAL__N_19NonZeroOpIN3c107complexIdEEEEPKSG_lEEPiiNS8_6detail34convert_binary_result_type_wrapperINS8_3SumESK_iEEEE10hipError_tPvRmT1_T2_T3_mT4_P12ihipStream_tbEUlT_E1_NS1_11comp_targetILNS1_3genE2ELNS1_11target_archE906ELNS1_3gpuE6ELNS1_3repE0EEENS1_30default_config_static_selectorELNS0_4arch9wavefront6targetE0EEEvST_.kd
    .uniform_work_group_size: 1
    .uses_dynamic_stack: false
    .vgpr_count:     0
    .vgpr_spill_count: 0
    .wavefront_size: 32
    .workgroup_processor_mode: 1
  - .args:
      - .offset:         0
        .size:           48
        .value_kind:     by_value
    .group_segment_fixed_size: 288
    .kernarg_segment_align: 8
    .kernarg_segment_size: 48
    .language:       OpenCL C
    .language_version:
      - 2
      - 0
    .max_flat_workgroup_size: 256
    .name:           _ZN7rocprim17ROCPRIM_400000_NS6detail17trampoline_kernelINS0_14default_configENS1_22reduce_config_selectorIbEEZNS1_11reduce_implILb1ES3_N6hipcub16HIPCUB_304000_NS22TransformInputIteratorIbN2at6native12_GLOBAL__N_19NonZeroOpIN3c107complexIdEEEEPKSG_lEEPiiNS8_6detail34convert_binary_result_type_wrapperINS8_3SumESK_iEEEE10hipError_tPvRmT1_T2_T3_mT4_P12ihipStream_tbEUlT_E1_NS1_11comp_targetILNS1_3genE10ELNS1_11target_archE1201ELNS1_3gpuE5ELNS1_3repE0EEENS1_30default_config_static_selectorELNS0_4arch9wavefront6targetE0EEEvST_
    .private_segment_fixed_size: 0
    .sgpr_count:     107
    .sgpr_spill_count: 36
    .symbol:         _ZN7rocprim17ROCPRIM_400000_NS6detail17trampoline_kernelINS0_14default_configENS1_22reduce_config_selectorIbEEZNS1_11reduce_implILb1ES3_N6hipcub16HIPCUB_304000_NS22TransformInputIteratorIbN2at6native12_GLOBAL__N_19NonZeroOpIN3c107complexIdEEEEPKSG_lEEPiiNS8_6detail34convert_binary_result_type_wrapperINS8_3SumESK_iEEEE10hipError_tPvRmT1_T2_T3_mT4_P12ihipStream_tbEUlT_E1_NS1_11comp_targetILNS1_3genE10ELNS1_11target_archE1201ELNS1_3gpuE5ELNS1_3repE0EEENS1_30default_config_static_selectorELNS0_4arch9wavefront6targetE0EEEvST_.kd
    .uniform_work_group_size: 1
    .uses_dynamic_stack: false
    .vgpr_count:     133
    .vgpr_spill_count: 0
    .wavefront_size: 32
    .workgroup_processor_mode: 1
  - .args:
      - .offset:         0
        .size:           48
        .value_kind:     by_value
    .group_segment_fixed_size: 0
    .kernarg_segment_align: 8
    .kernarg_segment_size: 48
    .language:       OpenCL C
    .language_version:
      - 2
      - 0
    .max_flat_workgroup_size: 256
    .name:           _ZN7rocprim17ROCPRIM_400000_NS6detail17trampoline_kernelINS0_14default_configENS1_22reduce_config_selectorIbEEZNS1_11reduce_implILb1ES3_N6hipcub16HIPCUB_304000_NS22TransformInputIteratorIbN2at6native12_GLOBAL__N_19NonZeroOpIN3c107complexIdEEEEPKSG_lEEPiiNS8_6detail34convert_binary_result_type_wrapperINS8_3SumESK_iEEEE10hipError_tPvRmT1_T2_T3_mT4_P12ihipStream_tbEUlT_E1_NS1_11comp_targetILNS1_3genE10ELNS1_11target_archE1200ELNS1_3gpuE4ELNS1_3repE0EEENS1_30default_config_static_selectorELNS0_4arch9wavefront6targetE0EEEvST_
    .private_segment_fixed_size: 0
    .sgpr_count:     0
    .sgpr_spill_count: 0
    .symbol:         _ZN7rocprim17ROCPRIM_400000_NS6detail17trampoline_kernelINS0_14default_configENS1_22reduce_config_selectorIbEEZNS1_11reduce_implILb1ES3_N6hipcub16HIPCUB_304000_NS22TransformInputIteratorIbN2at6native12_GLOBAL__N_19NonZeroOpIN3c107complexIdEEEEPKSG_lEEPiiNS8_6detail34convert_binary_result_type_wrapperINS8_3SumESK_iEEEE10hipError_tPvRmT1_T2_T3_mT4_P12ihipStream_tbEUlT_E1_NS1_11comp_targetILNS1_3genE10ELNS1_11target_archE1200ELNS1_3gpuE4ELNS1_3repE0EEENS1_30default_config_static_selectorELNS0_4arch9wavefront6targetE0EEEvST_.kd
    .uniform_work_group_size: 1
    .uses_dynamic_stack: false
    .vgpr_count:     0
    .vgpr_spill_count: 0
    .wavefront_size: 32
    .workgroup_processor_mode: 1
  - .args:
      - .offset:         0
        .size:           48
        .value_kind:     by_value
    .group_segment_fixed_size: 0
    .kernarg_segment_align: 8
    .kernarg_segment_size: 48
    .language:       OpenCL C
    .language_version:
      - 2
      - 0
    .max_flat_workgroup_size: 128
    .name:           _ZN7rocprim17ROCPRIM_400000_NS6detail17trampoline_kernelINS0_14default_configENS1_22reduce_config_selectorIbEEZNS1_11reduce_implILb1ES3_N6hipcub16HIPCUB_304000_NS22TransformInputIteratorIbN2at6native12_GLOBAL__N_19NonZeroOpIN3c107complexIdEEEEPKSG_lEEPiiNS8_6detail34convert_binary_result_type_wrapperINS8_3SumESK_iEEEE10hipError_tPvRmT1_T2_T3_mT4_P12ihipStream_tbEUlT_E1_NS1_11comp_targetILNS1_3genE9ELNS1_11target_archE1100ELNS1_3gpuE3ELNS1_3repE0EEENS1_30default_config_static_selectorELNS0_4arch9wavefront6targetE0EEEvST_
    .private_segment_fixed_size: 0
    .sgpr_count:     0
    .sgpr_spill_count: 0
    .symbol:         _ZN7rocprim17ROCPRIM_400000_NS6detail17trampoline_kernelINS0_14default_configENS1_22reduce_config_selectorIbEEZNS1_11reduce_implILb1ES3_N6hipcub16HIPCUB_304000_NS22TransformInputIteratorIbN2at6native12_GLOBAL__N_19NonZeroOpIN3c107complexIdEEEEPKSG_lEEPiiNS8_6detail34convert_binary_result_type_wrapperINS8_3SumESK_iEEEE10hipError_tPvRmT1_T2_T3_mT4_P12ihipStream_tbEUlT_E1_NS1_11comp_targetILNS1_3genE9ELNS1_11target_archE1100ELNS1_3gpuE3ELNS1_3repE0EEENS1_30default_config_static_selectorELNS0_4arch9wavefront6targetE0EEEvST_.kd
    .uniform_work_group_size: 1
    .uses_dynamic_stack: false
    .vgpr_count:     0
    .vgpr_spill_count: 0
    .wavefront_size: 32
    .workgroup_processor_mode: 1
  - .args:
      - .offset:         0
        .size:           48
        .value_kind:     by_value
    .group_segment_fixed_size: 0
    .kernarg_segment_align: 8
    .kernarg_segment_size: 48
    .language:       OpenCL C
    .language_version:
      - 2
      - 0
    .max_flat_workgroup_size: 256
    .name:           _ZN7rocprim17ROCPRIM_400000_NS6detail17trampoline_kernelINS0_14default_configENS1_22reduce_config_selectorIbEEZNS1_11reduce_implILb1ES3_N6hipcub16HIPCUB_304000_NS22TransformInputIteratorIbN2at6native12_GLOBAL__N_19NonZeroOpIN3c107complexIdEEEEPKSG_lEEPiiNS8_6detail34convert_binary_result_type_wrapperINS8_3SumESK_iEEEE10hipError_tPvRmT1_T2_T3_mT4_P12ihipStream_tbEUlT_E1_NS1_11comp_targetILNS1_3genE8ELNS1_11target_archE1030ELNS1_3gpuE2ELNS1_3repE0EEENS1_30default_config_static_selectorELNS0_4arch9wavefront6targetE0EEEvST_
    .private_segment_fixed_size: 0
    .sgpr_count:     0
    .sgpr_spill_count: 0
    .symbol:         _ZN7rocprim17ROCPRIM_400000_NS6detail17trampoline_kernelINS0_14default_configENS1_22reduce_config_selectorIbEEZNS1_11reduce_implILb1ES3_N6hipcub16HIPCUB_304000_NS22TransformInputIteratorIbN2at6native12_GLOBAL__N_19NonZeroOpIN3c107complexIdEEEEPKSG_lEEPiiNS8_6detail34convert_binary_result_type_wrapperINS8_3SumESK_iEEEE10hipError_tPvRmT1_T2_T3_mT4_P12ihipStream_tbEUlT_E1_NS1_11comp_targetILNS1_3genE8ELNS1_11target_archE1030ELNS1_3gpuE2ELNS1_3repE0EEENS1_30default_config_static_selectorELNS0_4arch9wavefront6targetE0EEEvST_.kd
    .uniform_work_group_size: 1
    .uses_dynamic_stack: false
    .vgpr_count:     0
    .vgpr_spill_count: 0
    .wavefront_size: 32
    .workgroup_processor_mode: 1
  - .args:
      - .offset:         0
        .size:           120
        .value_kind:     by_value
    .group_segment_fixed_size: 0
    .kernarg_segment_align: 8
    .kernarg_segment_size: 120
    .language:       OpenCL C
    .language_version:
      - 2
      - 0
    .max_flat_workgroup_size: 128
    .name:           _ZN7rocprim17ROCPRIM_400000_NS6detail17trampoline_kernelINS0_14default_configENS1_25partition_config_selectorILNS1_17partition_subalgoE5ElNS0_10empty_typeEbEEZZNS1_14partition_implILS5_5ELb0ES3_mN6hipcub16HIPCUB_304000_NS21CountingInputIteratorIllEEPS6_NSA_22TransformInputIteratorIbN2at6native12_GLOBAL__N_19NonZeroOpIN3c107complexIdEEEEPKSL_lEENS0_5tupleIJPlS6_EEENSQ_IJSD_SD_EEES6_PiJS6_EEE10hipError_tPvRmT3_T4_T5_T6_T7_T9_mT8_P12ihipStream_tbDpT10_ENKUlT_T0_E_clISt17integral_constantIbLb0EES1E_EEDaS19_S1A_EUlS19_E_NS1_11comp_targetILNS1_3genE0ELNS1_11target_archE4294967295ELNS1_3gpuE0ELNS1_3repE0EEENS1_30default_config_static_selectorELNS0_4arch9wavefront6targetE0EEEvT1_
    .private_segment_fixed_size: 0
    .sgpr_count:     0
    .sgpr_spill_count: 0
    .symbol:         _ZN7rocprim17ROCPRIM_400000_NS6detail17trampoline_kernelINS0_14default_configENS1_25partition_config_selectorILNS1_17partition_subalgoE5ElNS0_10empty_typeEbEEZZNS1_14partition_implILS5_5ELb0ES3_mN6hipcub16HIPCUB_304000_NS21CountingInputIteratorIllEEPS6_NSA_22TransformInputIteratorIbN2at6native12_GLOBAL__N_19NonZeroOpIN3c107complexIdEEEEPKSL_lEENS0_5tupleIJPlS6_EEENSQ_IJSD_SD_EEES6_PiJS6_EEE10hipError_tPvRmT3_T4_T5_T6_T7_T9_mT8_P12ihipStream_tbDpT10_ENKUlT_T0_E_clISt17integral_constantIbLb0EES1E_EEDaS19_S1A_EUlS19_E_NS1_11comp_targetILNS1_3genE0ELNS1_11target_archE4294967295ELNS1_3gpuE0ELNS1_3repE0EEENS1_30default_config_static_selectorELNS0_4arch9wavefront6targetE0EEEvT1_.kd
    .uniform_work_group_size: 1
    .uses_dynamic_stack: false
    .vgpr_count:     0
    .vgpr_spill_count: 0
    .wavefront_size: 32
    .workgroup_processor_mode: 1
  - .args:
      - .offset:         0
        .size:           120
        .value_kind:     by_value
    .group_segment_fixed_size: 0
    .kernarg_segment_align: 8
    .kernarg_segment_size: 120
    .language:       OpenCL C
    .language_version:
      - 2
      - 0
    .max_flat_workgroup_size: 512
    .name:           _ZN7rocprim17ROCPRIM_400000_NS6detail17trampoline_kernelINS0_14default_configENS1_25partition_config_selectorILNS1_17partition_subalgoE5ElNS0_10empty_typeEbEEZZNS1_14partition_implILS5_5ELb0ES3_mN6hipcub16HIPCUB_304000_NS21CountingInputIteratorIllEEPS6_NSA_22TransformInputIteratorIbN2at6native12_GLOBAL__N_19NonZeroOpIN3c107complexIdEEEEPKSL_lEENS0_5tupleIJPlS6_EEENSQ_IJSD_SD_EEES6_PiJS6_EEE10hipError_tPvRmT3_T4_T5_T6_T7_T9_mT8_P12ihipStream_tbDpT10_ENKUlT_T0_E_clISt17integral_constantIbLb0EES1E_EEDaS19_S1A_EUlS19_E_NS1_11comp_targetILNS1_3genE5ELNS1_11target_archE942ELNS1_3gpuE9ELNS1_3repE0EEENS1_30default_config_static_selectorELNS0_4arch9wavefront6targetE0EEEvT1_
    .private_segment_fixed_size: 0
    .sgpr_count:     0
    .sgpr_spill_count: 0
    .symbol:         _ZN7rocprim17ROCPRIM_400000_NS6detail17trampoline_kernelINS0_14default_configENS1_25partition_config_selectorILNS1_17partition_subalgoE5ElNS0_10empty_typeEbEEZZNS1_14partition_implILS5_5ELb0ES3_mN6hipcub16HIPCUB_304000_NS21CountingInputIteratorIllEEPS6_NSA_22TransformInputIteratorIbN2at6native12_GLOBAL__N_19NonZeroOpIN3c107complexIdEEEEPKSL_lEENS0_5tupleIJPlS6_EEENSQ_IJSD_SD_EEES6_PiJS6_EEE10hipError_tPvRmT3_T4_T5_T6_T7_T9_mT8_P12ihipStream_tbDpT10_ENKUlT_T0_E_clISt17integral_constantIbLb0EES1E_EEDaS19_S1A_EUlS19_E_NS1_11comp_targetILNS1_3genE5ELNS1_11target_archE942ELNS1_3gpuE9ELNS1_3repE0EEENS1_30default_config_static_selectorELNS0_4arch9wavefront6targetE0EEEvT1_.kd
    .uniform_work_group_size: 1
    .uses_dynamic_stack: false
    .vgpr_count:     0
    .vgpr_spill_count: 0
    .wavefront_size: 32
    .workgroup_processor_mode: 1
  - .args:
      - .offset:         0
        .size:           120
        .value_kind:     by_value
    .group_segment_fixed_size: 0
    .kernarg_segment_align: 8
    .kernarg_segment_size: 120
    .language:       OpenCL C
    .language_version:
      - 2
      - 0
    .max_flat_workgroup_size: 192
    .name:           _ZN7rocprim17ROCPRIM_400000_NS6detail17trampoline_kernelINS0_14default_configENS1_25partition_config_selectorILNS1_17partition_subalgoE5ElNS0_10empty_typeEbEEZZNS1_14partition_implILS5_5ELb0ES3_mN6hipcub16HIPCUB_304000_NS21CountingInputIteratorIllEEPS6_NSA_22TransformInputIteratorIbN2at6native12_GLOBAL__N_19NonZeroOpIN3c107complexIdEEEEPKSL_lEENS0_5tupleIJPlS6_EEENSQ_IJSD_SD_EEES6_PiJS6_EEE10hipError_tPvRmT3_T4_T5_T6_T7_T9_mT8_P12ihipStream_tbDpT10_ENKUlT_T0_E_clISt17integral_constantIbLb0EES1E_EEDaS19_S1A_EUlS19_E_NS1_11comp_targetILNS1_3genE4ELNS1_11target_archE910ELNS1_3gpuE8ELNS1_3repE0EEENS1_30default_config_static_selectorELNS0_4arch9wavefront6targetE0EEEvT1_
    .private_segment_fixed_size: 0
    .sgpr_count:     0
    .sgpr_spill_count: 0
    .symbol:         _ZN7rocprim17ROCPRIM_400000_NS6detail17trampoline_kernelINS0_14default_configENS1_25partition_config_selectorILNS1_17partition_subalgoE5ElNS0_10empty_typeEbEEZZNS1_14partition_implILS5_5ELb0ES3_mN6hipcub16HIPCUB_304000_NS21CountingInputIteratorIllEEPS6_NSA_22TransformInputIteratorIbN2at6native12_GLOBAL__N_19NonZeroOpIN3c107complexIdEEEEPKSL_lEENS0_5tupleIJPlS6_EEENSQ_IJSD_SD_EEES6_PiJS6_EEE10hipError_tPvRmT3_T4_T5_T6_T7_T9_mT8_P12ihipStream_tbDpT10_ENKUlT_T0_E_clISt17integral_constantIbLb0EES1E_EEDaS19_S1A_EUlS19_E_NS1_11comp_targetILNS1_3genE4ELNS1_11target_archE910ELNS1_3gpuE8ELNS1_3repE0EEENS1_30default_config_static_selectorELNS0_4arch9wavefront6targetE0EEEvT1_.kd
    .uniform_work_group_size: 1
    .uses_dynamic_stack: false
    .vgpr_count:     0
    .vgpr_spill_count: 0
    .wavefront_size: 32
    .workgroup_processor_mode: 1
  - .args:
      - .offset:         0
        .size:           120
        .value_kind:     by_value
    .group_segment_fixed_size: 0
    .kernarg_segment_align: 8
    .kernarg_segment_size: 120
    .language:       OpenCL C
    .language_version:
      - 2
      - 0
    .max_flat_workgroup_size: 128
    .name:           _ZN7rocprim17ROCPRIM_400000_NS6detail17trampoline_kernelINS0_14default_configENS1_25partition_config_selectorILNS1_17partition_subalgoE5ElNS0_10empty_typeEbEEZZNS1_14partition_implILS5_5ELb0ES3_mN6hipcub16HIPCUB_304000_NS21CountingInputIteratorIllEEPS6_NSA_22TransformInputIteratorIbN2at6native12_GLOBAL__N_19NonZeroOpIN3c107complexIdEEEEPKSL_lEENS0_5tupleIJPlS6_EEENSQ_IJSD_SD_EEES6_PiJS6_EEE10hipError_tPvRmT3_T4_T5_T6_T7_T9_mT8_P12ihipStream_tbDpT10_ENKUlT_T0_E_clISt17integral_constantIbLb0EES1E_EEDaS19_S1A_EUlS19_E_NS1_11comp_targetILNS1_3genE3ELNS1_11target_archE908ELNS1_3gpuE7ELNS1_3repE0EEENS1_30default_config_static_selectorELNS0_4arch9wavefront6targetE0EEEvT1_
    .private_segment_fixed_size: 0
    .sgpr_count:     0
    .sgpr_spill_count: 0
    .symbol:         _ZN7rocprim17ROCPRIM_400000_NS6detail17trampoline_kernelINS0_14default_configENS1_25partition_config_selectorILNS1_17partition_subalgoE5ElNS0_10empty_typeEbEEZZNS1_14partition_implILS5_5ELb0ES3_mN6hipcub16HIPCUB_304000_NS21CountingInputIteratorIllEEPS6_NSA_22TransformInputIteratorIbN2at6native12_GLOBAL__N_19NonZeroOpIN3c107complexIdEEEEPKSL_lEENS0_5tupleIJPlS6_EEENSQ_IJSD_SD_EEES6_PiJS6_EEE10hipError_tPvRmT3_T4_T5_T6_T7_T9_mT8_P12ihipStream_tbDpT10_ENKUlT_T0_E_clISt17integral_constantIbLb0EES1E_EEDaS19_S1A_EUlS19_E_NS1_11comp_targetILNS1_3genE3ELNS1_11target_archE908ELNS1_3gpuE7ELNS1_3repE0EEENS1_30default_config_static_selectorELNS0_4arch9wavefront6targetE0EEEvT1_.kd
    .uniform_work_group_size: 1
    .uses_dynamic_stack: false
    .vgpr_count:     0
    .vgpr_spill_count: 0
    .wavefront_size: 32
    .workgroup_processor_mode: 1
  - .args:
      - .offset:         0
        .size:           120
        .value_kind:     by_value
    .group_segment_fixed_size: 0
    .kernarg_segment_align: 8
    .kernarg_segment_size: 120
    .language:       OpenCL C
    .language_version:
      - 2
      - 0
    .max_flat_workgroup_size: 256
    .name:           _ZN7rocprim17ROCPRIM_400000_NS6detail17trampoline_kernelINS0_14default_configENS1_25partition_config_selectorILNS1_17partition_subalgoE5ElNS0_10empty_typeEbEEZZNS1_14partition_implILS5_5ELb0ES3_mN6hipcub16HIPCUB_304000_NS21CountingInputIteratorIllEEPS6_NSA_22TransformInputIteratorIbN2at6native12_GLOBAL__N_19NonZeroOpIN3c107complexIdEEEEPKSL_lEENS0_5tupleIJPlS6_EEENSQ_IJSD_SD_EEES6_PiJS6_EEE10hipError_tPvRmT3_T4_T5_T6_T7_T9_mT8_P12ihipStream_tbDpT10_ENKUlT_T0_E_clISt17integral_constantIbLb0EES1E_EEDaS19_S1A_EUlS19_E_NS1_11comp_targetILNS1_3genE2ELNS1_11target_archE906ELNS1_3gpuE6ELNS1_3repE0EEENS1_30default_config_static_selectorELNS0_4arch9wavefront6targetE0EEEvT1_
    .private_segment_fixed_size: 0
    .sgpr_count:     0
    .sgpr_spill_count: 0
    .symbol:         _ZN7rocprim17ROCPRIM_400000_NS6detail17trampoline_kernelINS0_14default_configENS1_25partition_config_selectorILNS1_17partition_subalgoE5ElNS0_10empty_typeEbEEZZNS1_14partition_implILS5_5ELb0ES3_mN6hipcub16HIPCUB_304000_NS21CountingInputIteratorIllEEPS6_NSA_22TransformInputIteratorIbN2at6native12_GLOBAL__N_19NonZeroOpIN3c107complexIdEEEEPKSL_lEENS0_5tupleIJPlS6_EEENSQ_IJSD_SD_EEES6_PiJS6_EEE10hipError_tPvRmT3_T4_T5_T6_T7_T9_mT8_P12ihipStream_tbDpT10_ENKUlT_T0_E_clISt17integral_constantIbLb0EES1E_EEDaS19_S1A_EUlS19_E_NS1_11comp_targetILNS1_3genE2ELNS1_11target_archE906ELNS1_3gpuE6ELNS1_3repE0EEENS1_30default_config_static_selectorELNS0_4arch9wavefront6targetE0EEEvT1_.kd
    .uniform_work_group_size: 1
    .uses_dynamic_stack: false
    .vgpr_count:     0
    .vgpr_spill_count: 0
    .wavefront_size: 32
    .workgroup_processor_mode: 1
  - .args:
      - .offset:         0
        .size:           120
        .value_kind:     by_value
    .group_segment_fixed_size: 8464
    .kernarg_segment_align: 8
    .kernarg_segment_size: 120
    .language:       OpenCL C
    .language_version:
      - 2
      - 0
    .max_flat_workgroup_size: 256
    .name:           _ZN7rocprim17ROCPRIM_400000_NS6detail17trampoline_kernelINS0_14default_configENS1_25partition_config_selectorILNS1_17partition_subalgoE5ElNS0_10empty_typeEbEEZZNS1_14partition_implILS5_5ELb0ES3_mN6hipcub16HIPCUB_304000_NS21CountingInputIteratorIllEEPS6_NSA_22TransformInputIteratorIbN2at6native12_GLOBAL__N_19NonZeroOpIN3c107complexIdEEEEPKSL_lEENS0_5tupleIJPlS6_EEENSQ_IJSD_SD_EEES6_PiJS6_EEE10hipError_tPvRmT3_T4_T5_T6_T7_T9_mT8_P12ihipStream_tbDpT10_ENKUlT_T0_E_clISt17integral_constantIbLb0EES1E_EEDaS19_S1A_EUlS19_E_NS1_11comp_targetILNS1_3genE10ELNS1_11target_archE1200ELNS1_3gpuE4ELNS1_3repE0EEENS1_30default_config_static_selectorELNS0_4arch9wavefront6targetE0EEEvT1_
    .private_segment_fixed_size: 0
    .sgpr_count:     22
    .sgpr_spill_count: 0
    .symbol:         _ZN7rocprim17ROCPRIM_400000_NS6detail17trampoline_kernelINS0_14default_configENS1_25partition_config_selectorILNS1_17partition_subalgoE5ElNS0_10empty_typeEbEEZZNS1_14partition_implILS5_5ELb0ES3_mN6hipcub16HIPCUB_304000_NS21CountingInputIteratorIllEEPS6_NSA_22TransformInputIteratorIbN2at6native12_GLOBAL__N_19NonZeroOpIN3c107complexIdEEEEPKSL_lEENS0_5tupleIJPlS6_EEENSQ_IJSD_SD_EEES6_PiJS6_EEE10hipError_tPvRmT3_T4_T5_T6_T7_T9_mT8_P12ihipStream_tbDpT10_ENKUlT_T0_E_clISt17integral_constantIbLb0EES1E_EEDaS19_S1A_EUlS19_E_NS1_11comp_targetILNS1_3genE10ELNS1_11target_archE1200ELNS1_3gpuE4ELNS1_3repE0EEENS1_30default_config_static_selectorELNS0_4arch9wavefront6targetE0EEEvT1_.kd
    .uniform_work_group_size: 1
    .uses_dynamic_stack: false
    .vgpr_count:     46
    .vgpr_spill_count: 0
    .wavefront_size: 32
    .workgroup_processor_mode: 1
  - .args:
      - .offset:         0
        .size:           120
        .value_kind:     by_value
    .group_segment_fixed_size: 0
    .kernarg_segment_align: 8
    .kernarg_segment_size: 120
    .language:       OpenCL C
    .language_version:
      - 2
      - 0
    .max_flat_workgroup_size: 128
    .name:           _ZN7rocprim17ROCPRIM_400000_NS6detail17trampoline_kernelINS0_14default_configENS1_25partition_config_selectorILNS1_17partition_subalgoE5ElNS0_10empty_typeEbEEZZNS1_14partition_implILS5_5ELb0ES3_mN6hipcub16HIPCUB_304000_NS21CountingInputIteratorIllEEPS6_NSA_22TransformInputIteratorIbN2at6native12_GLOBAL__N_19NonZeroOpIN3c107complexIdEEEEPKSL_lEENS0_5tupleIJPlS6_EEENSQ_IJSD_SD_EEES6_PiJS6_EEE10hipError_tPvRmT3_T4_T5_T6_T7_T9_mT8_P12ihipStream_tbDpT10_ENKUlT_T0_E_clISt17integral_constantIbLb0EES1E_EEDaS19_S1A_EUlS19_E_NS1_11comp_targetILNS1_3genE9ELNS1_11target_archE1100ELNS1_3gpuE3ELNS1_3repE0EEENS1_30default_config_static_selectorELNS0_4arch9wavefront6targetE0EEEvT1_
    .private_segment_fixed_size: 0
    .sgpr_count:     0
    .sgpr_spill_count: 0
    .symbol:         _ZN7rocprim17ROCPRIM_400000_NS6detail17trampoline_kernelINS0_14default_configENS1_25partition_config_selectorILNS1_17partition_subalgoE5ElNS0_10empty_typeEbEEZZNS1_14partition_implILS5_5ELb0ES3_mN6hipcub16HIPCUB_304000_NS21CountingInputIteratorIllEEPS6_NSA_22TransformInputIteratorIbN2at6native12_GLOBAL__N_19NonZeroOpIN3c107complexIdEEEEPKSL_lEENS0_5tupleIJPlS6_EEENSQ_IJSD_SD_EEES6_PiJS6_EEE10hipError_tPvRmT3_T4_T5_T6_T7_T9_mT8_P12ihipStream_tbDpT10_ENKUlT_T0_E_clISt17integral_constantIbLb0EES1E_EEDaS19_S1A_EUlS19_E_NS1_11comp_targetILNS1_3genE9ELNS1_11target_archE1100ELNS1_3gpuE3ELNS1_3repE0EEENS1_30default_config_static_selectorELNS0_4arch9wavefront6targetE0EEEvT1_.kd
    .uniform_work_group_size: 1
    .uses_dynamic_stack: false
    .vgpr_count:     0
    .vgpr_spill_count: 0
    .wavefront_size: 32
    .workgroup_processor_mode: 1
  - .args:
      - .offset:         0
        .size:           120
        .value_kind:     by_value
    .group_segment_fixed_size: 0
    .kernarg_segment_align: 8
    .kernarg_segment_size: 120
    .language:       OpenCL C
    .language_version:
      - 2
      - 0
    .max_flat_workgroup_size: 512
    .name:           _ZN7rocprim17ROCPRIM_400000_NS6detail17trampoline_kernelINS0_14default_configENS1_25partition_config_selectorILNS1_17partition_subalgoE5ElNS0_10empty_typeEbEEZZNS1_14partition_implILS5_5ELb0ES3_mN6hipcub16HIPCUB_304000_NS21CountingInputIteratorIllEEPS6_NSA_22TransformInputIteratorIbN2at6native12_GLOBAL__N_19NonZeroOpIN3c107complexIdEEEEPKSL_lEENS0_5tupleIJPlS6_EEENSQ_IJSD_SD_EEES6_PiJS6_EEE10hipError_tPvRmT3_T4_T5_T6_T7_T9_mT8_P12ihipStream_tbDpT10_ENKUlT_T0_E_clISt17integral_constantIbLb0EES1E_EEDaS19_S1A_EUlS19_E_NS1_11comp_targetILNS1_3genE8ELNS1_11target_archE1030ELNS1_3gpuE2ELNS1_3repE0EEENS1_30default_config_static_selectorELNS0_4arch9wavefront6targetE0EEEvT1_
    .private_segment_fixed_size: 0
    .sgpr_count:     0
    .sgpr_spill_count: 0
    .symbol:         _ZN7rocprim17ROCPRIM_400000_NS6detail17trampoline_kernelINS0_14default_configENS1_25partition_config_selectorILNS1_17partition_subalgoE5ElNS0_10empty_typeEbEEZZNS1_14partition_implILS5_5ELb0ES3_mN6hipcub16HIPCUB_304000_NS21CountingInputIteratorIllEEPS6_NSA_22TransformInputIteratorIbN2at6native12_GLOBAL__N_19NonZeroOpIN3c107complexIdEEEEPKSL_lEENS0_5tupleIJPlS6_EEENSQ_IJSD_SD_EEES6_PiJS6_EEE10hipError_tPvRmT3_T4_T5_T6_T7_T9_mT8_P12ihipStream_tbDpT10_ENKUlT_T0_E_clISt17integral_constantIbLb0EES1E_EEDaS19_S1A_EUlS19_E_NS1_11comp_targetILNS1_3genE8ELNS1_11target_archE1030ELNS1_3gpuE2ELNS1_3repE0EEENS1_30default_config_static_selectorELNS0_4arch9wavefront6targetE0EEEvT1_.kd
    .uniform_work_group_size: 1
    .uses_dynamic_stack: false
    .vgpr_count:     0
    .vgpr_spill_count: 0
    .wavefront_size: 32
    .workgroup_processor_mode: 1
  - .args:
      - .offset:         0
        .size:           136
        .value_kind:     by_value
    .group_segment_fixed_size: 0
    .kernarg_segment_align: 8
    .kernarg_segment_size: 136
    .language:       OpenCL C
    .language_version:
      - 2
      - 0
    .max_flat_workgroup_size: 128
    .name:           _ZN7rocprim17ROCPRIM_400000_NS6detail17trampoline_kernelINS0_14default_configENS1_25partition_config_selectorILNS1_17partition_subalgoE5ElNS0_10empty_typeEbEEZZNS1_14partition_implILS5_5ELb0ES3_mN6hipcub16HIPCUB_304000_NS21CountingInputIteratorIllEEPS6_NSA_22TransformInputIteratorIbN2at6native12_GLOBAL__N_19NonZeroOpIN3c107complexIdEEEEPKSL_lEENS0_5tupleIJPlS6_EEENSQ_IJSD_SD_EEES6_PiJS6_EEE10hipError_tPvRmT3_T4_T5_T6_T7_T9_mT8_P12ihipStream_tbDpT10_ENKUlT_T0_E_clISt17integral_constantIbLb1EES1E_EEDaS19_S1A_EUlS19_E_NS1_11comp_targetILNS1_3genE0ELNS1_11target_archE4294967295ELNS1_3gpuE0ELNS1_3repE0EEENS1_30default_config_static_selectorELNS0_4arch9wavefront6targetE0EEEvT1_
    .private_segment_fixed_size: 0
    .sgpr_count:     0
    .sgpr_spill_count: 0
    .symbol:         _ZN7rocprim17ROCPRIM_400000_NS6detail17trampoline_kernelINS0_14default_configENS1_25partition_config_selectorILNS1_17partition_subalgoE5ElNS0_10empty_typeEbEEZZNS1_14partition_implILS5_5ELb0ES3_mN6hipcub16HIPCUB_304000_NS21CountingInputIteratorIllEEPS6_NSA_22TransformInputIteratorIbN2at6native12_GLOBAL__N_19NonZeroOpIN3c107complexIdEEEEPKSL_lEENS0_5tupleIJPlS6_EEENSQ_IJSD_SD_EEES6_PiJS6_EEE10hipError_tPvRmT3_T4_T5_T6_T7_T9_mT8_P12ihipStream_tbDpT10_ENKUlT_T0_E_clISt17integral_constantIbLb1EES1E_EEDaS19_S1A_EUlS19_E_NS1_11comp_targetILNS1_3genE0ELNS1_11target_archE4294967295ELNS1_3gpuE0ELNS1_3repE0EEENS1_30default_config_static_selectorELNS0_4arch9wavefront6targetE0EEEvT1_.kd
    .uniform_work_group_size: 1
    .uses_dynamic_stack: false
    .vgpr_count:     0
    .vgpr_spill_count: 0
    .wavefront_size: 32
    .workgroup_processor_mode: 1
  - .args:
      - .offset:         0
        .size:           136
        .value_kind:     by_value
    .group_segment_fixed_size: 0
    .kernarg_segment_align: 8
    .kernarg_segment_size: 136
    .language:       OpenCL C
    .language_version:
      - 2
      - 0
    .max_flat_workgroup_size: 512
    .name:           _ZN7rocprim17ROCPRIM_400000_NS6detail17trampoline_kernelINS0_14default_configENS1_25partition_config_selectorILNS1_17partition_subalgoE5ElNS0_10empty_typeEbEEZZNS1_14partition_implILS5_5ELb0ES3_mN6hipcub16HIPCUB_304000_NS21CountingInputIteratorIllEEPS6_NSA_22TransformInputIteratorIbN2at6native12_GLOBAL__N_19NonZeroOpIN3c107complexIdEEEEPKSL_lEENS0_5tupleIJPlS6_EEENSQ_IJSD_SD_EEES6_PiJS6_EEE10hipError_tPvRmT3_T4_T5_T6_T7_T9_mT8_P12ihipStream_tbDpT10_ENKUlT_T0_E_clISt17integral_constantIbLb1EES1E_EEDaS19_S1A_EUlS19_E_NS1_11comp_targetILNS1_3genE5ELNS1_11target_archE942ELNS1_3gpuE9ELNS1_3repE0EEENS1_30default_config_static_selectorELNS0_4arch9wavefront6targetE0EEEvT1_
    .private_segment_fixed_size: 0
    .sgpr_count:     0
    .sgpr_spill_count: 0
    .symbol:         _ZN7rocprim17ROCPRIM_400000_NS6detail17trampoline_kernelINS0_14default_configENS1_25partition_config_selectorILNS1_17partition_subalgoE5ElNS0_10empty_typeEbEEZZNS1_14partition_implILS5_5ELb0ES3_mN6hipcub16HIPCUB_304000_NS21CountingInputIteratorIllEEPS6_NSA_22TransformInputIteratorIbN2at6native12_GLOBAL__N_19NonZeroOpIN3c107complexIdEEEEPKSL_lEENS0_5tupleIJPlS6_EEENSQ_IJSD_SD_EEES6_PiJS6_EEE10hipError_tPvRmT3_T4_T5_T6_T7_T9_mT8_P12ihipStream_tbDpT10_ENKUlT_T0_E_clISt17integral_constantIbLb1EES1E_EEDaS19_S1A_EUlS19_E_NS1_11comp_targetILNS1_3genE5ELNS1_11target_archE942ELNS1_3gpuE9ELNS1_3repE0EEENS1_30default_config_static_selectorELNS0_4arch9wavefront6targetE0EEEvT1_.kd
    .uniform_work_group_size: 1
    .uses_dynamic_stack: false
    .vgpr_count:     0
    .vgpr_spill_count: 0
    .wavefront_size: 32
    .workgroup_processor_mode: 1
  - .args:
      - .offset:         0
        .size:           136
        .value_kind:     by_value
    .group_segment_fixed_size: 0
    .kernarg_segment_align: 8
    .kernarg_segment_size: 136
    .language:       OpenCL C
    .language_version:
      - 2
      - 0
    .max_flat_workgroup_size: 192
    .name:           _ZN7rocprim17ROCPRIM_400000_NS6detail17trampoline_kernelINS0_14default_configENS1_25partition_config_selectorILNS1_17partition_subalgoE5ElNS0_10empty_typeEbEEZZNS1_14partition_implILS5_5ELb0ES3_mN6hipcub16HIPCUB_304000_NS21CountingInputIteratorIllEEPS6_NSA_22TransformInputIteratorIbN2at6native12_GLOBAL__N_19NonZeroOpIN3c107complexIdEEEEPKSL_lEENS0_5tupleIJPlS6_EEENSQ_IJSD_SD_EEES6_PiJS6_EEE10hipError_tPvRmT3_T4_T5_T6_T7_T9_mT8_P12ihipStream_tbDpT10_ENKUlT_T0_E_clISt17integral_constantIbLb1EES1E_EEDaS19_S1A_EUlS19_E_NS1_11comp_targetILNS1_3genE4ELNS1_11target_archE910ELNS1_3gpuE8ELNS1_3repE0EEENS1_30default_config_static_selectorELNS0_4arch9wavefront6targetE0EEEvT1_
    .private_segment_fixed_size: 0
    .sgpr_count:     0
    .sgpr_spill_count: 0
    .symbol:         _ZN7rocprim17ROCPRIM_400000_NS6detail17trampoline_kernelINS0_14default_configENS1_25partition_config_selectorILNS1_17partition_subalgoE5ElNS0_10empty_typeEbEEZZNS1_14partition_implILS5_5ELb0ES3_mN6hipcub16HIPCUB_304000_NS21CountingInputIteratorIllEEPS6_NSA_22TransformInputIteratorIbN2at6native12_GLOBAL__N_19NonZeroOpIN3c107complexIdEEEEPKSL_lEENS0_5tupleIJPlS6_EEENSQ_IJSD_SD_EEES6_PiJS6_EEE10hipError_tPvRmT3_T4_T5_T6_T7_T9_mT8_P12ihipStream_tbDpT10_ENKUlT_T0_E_clISt17integral_constantIbLb1EES1E_EEDaS19_S1A_EUlS19_E_NS1_11comp_targetILNS1_3genE4ELNS1_11target_archE910ELNS1_3gpuE8ELNS1_3repE0EEENS1_30default_config_static_selectorELNS0_4arch9wavefront6targetE0EEEvT1_.kd
    .uniform_work_group_size: 1
    .uses_dynamic_stack: false
    .vgpr_count:     0
    .vgpr_spill_count: 0
    .wavefront_size: 32
    .workgroup_processor_mode: 1
  - .args:
      - .offset:         0
        .size:           136
        .value_kind:     by_value
    .group_segment_fixed_size: 0
    .kernarg_segment_align: 8
    .kernarg_segment_size: 136
    .language:       OpenCL C
    .language_version:
      - 2
      - 0
    .max_flat_workgroup_size: 128
    .name:           _ZN7rocprim17ROCPRIM_400000_NS6detail17trampoline_kernelINS0_14default_configENS1_25partition_config_selectorILNS1_17partition_subalgoE5ElNS0_10empty_typeEbEEZZNS1_14partition_implILS5_5ELb0ES3_mN6hipcub16HIPCUB_304000_NS21CountingInputIteratorIllEEPS6_NSA_22TransformInputIteratorIbN2at6native12_GLOBAL__N_19NonZeroOpIN3c107complexIdEEEEPKSL_lEENS0_5tupleIJPlS6_EEENSQ_IJSD_SD_EEES6_PiJS6_EEE10hipError_tPvRmT3_T4_T5_T6_T7_T9_mT8_P12ihipStream_tbDpT10_ENKUlT_T0_E_clISt17integral_constantIbLb1EES1E_EEDaS19_S1A_EUlS19_E_NS1_11comp_targetILNS1_3genE3ELNS1_11target_archE908ELNS1_3gpuE7ELNS1_3repE0EEENS1_30default_config_static_selectorELNS0_4arch9wavefront6targetE0EEEvT1_
    .private_segment_fixed_size: 0
    .sgpr_count:     0
    .sgpr_spill_count: 0
    .symbol:         _ZN7rocprim17ROCPRIM_400000_NS6detail17trampoline_kernelINS0_14default_configENS1_25partition_config_selectorILNS1_17partition_subalgoE5ElNS0_10empty_typeEbEEZZNS1_14partition_implILS5_5ELb0ES3_mN6hipcub16HIPCUB_304000_NS21CountingInputIteratorIllEEPS6_NSA_22TransformInputIteratorIbN2at6native12_GLOBAL__N_19NonZeroOpIN3c107complexIdEEEEPKSL_lEENS0_5tupleIJPlS6_EEENSQ_IJSD_SD_EEES6_PiJS6_EEE10hipError_tPvRmT3_T4_T5_T6_T7_T9_mT8_P12ihipStream_tbDpT10_ENKUlT_T0_E_clISt17integral_constantIbLb1EES1E_EEDaS19_S1A_EUlS19_E_NS1_11comp_targetILNS1_3genE3ELNS1_11target_archE908ELNS1_3gpuE7ELNS1_3repE0EEENS1_30default_config_static_selectorELNS0_4arch9wavefront6targetE0EEEvT1_.kd
    .uniform_work_group_size: 1
    .uses_dynamic_stack: false
    .vgpr_count:     0
    .vgpr_spill_count: 0
    .wavefront_size: 32
    .workgroup_processor_mode: 1
  - .args:
      - .offset:         0
        .size:           136
        .value_kind:     by_value
    .group_segment_fixed_size: 0
    .kernarg_segment_align: 8
    .kernarg_segment_size: 136
    .language:       OpenCL C
    .language_version:
      - 2
      - 0
    .max_flat_workgroup_size: 256
    .name:           _ZN7rocprim17ROCPRIM_400000_NS6detail17trampoline_kernelINS0_14default_configENS1_25partition_config_selectorILNS1_17partition_subalgoE5ElNS0_10empty_typeEbEEZZNS1_14partition_implILS5_5ELb0ES3_mN6hipcub16HIPCUB_304000_NS21CountingInputIteratorIllEEPS6_NSA_22TransformInputIteratorIbN2at6native12_GLOBAL__N_19NonZeroOpIN3c107complexIdEEEEPKSL_lEENS0_5tupleIJPlS6_EEENSQ_IJSD_SD_EEES6_PiJS6_EEE10hipError_tPvRmT3_T4_T5_T6_T7_T9_mT8_P12ihipStream_tbDpT10_ENKUlT_T0_E_clISt17integral_constantIbLb1EES1E_EEDaS19_S1A_EUlS19_E_NS1_11comp_targetILNS1_3genE2ELNS1_11target_archE906ELNS1_3gpuE6ELNS1_3repE0EEENS1_30default_config_static_selectorELNS0_4arch9wavefront6targetE0EEEvT1_
    .private_segment_fixed_size: 0
    .sgpr_count:     0
    .sgpr_spill_count: 0
    .symbol:         _ZN7rocprim17ROCPRIM_400000_NS6detail17trampoline_kernelINS0_14default_configENS1_25partition_config_selectorILNS1_17partition_subalgoE5ElNS0_10empty_typeEbEEZZNS1_14partition_implILS5_5ELb0ES3_mN6hipcub16HIPCUB_304000_NS21CountingInputIteratorIllEEPS6_NSA_22TransformInputIteratorIbN2at6native12_GLOBAL__N_19NonZeroOpIN3c107complexIdEEEEPKSL_lEENS0_5tupleIJPlS6_EEENSQ_IJSD_SD_EEES6_PiJS6_EEE10hipError_tPvRmT3_T4_T5_T6_T7_T9_mT8_P12ihipStream_tbDpT10_ENKUlT_T0_E_clISt17integral_constantIbLb1EES1E_EEDaS19_S1A_EUlS19_E_NS1_11comp_targetILNS1_3genE2ELNS1_11target_archE906ELNS1_3gpuE6ELNS1_3repE0EEENS1_30default_config_static_selectorELNS0_4arch9wavefront6targetE0EEEvT1_.kd
    .uniform_work_group_size: 1
    .uses_dynamic_stack: false
    .vgpr_count:     0
    .vgpr_spill_count: 0
    .wavefront_size: 32
    .workgroup_processor_mode: 1
  - .args:
      - .offset:         0
        .size:           136
        .value_kind:     by_value
    .group_segment_fixed_size: 0
    .kernarg_segment_align: 8
    .kernarg_segment_size: 136
    .language:       OpenCL C
    .language_version:
      - 2
      - 0
    .max_flat_workgroup_size: 256
    .name:           _ZN7rocprim17ROCPRIM_400000_NS6detail17trampoline_kernelINS0_14default_configENS1_25partition_config_selectorILNS1_17partition_subalgoE5ElNS0_10empty_typeEbEEZZNS1_14partition_implILS5_5ELb0ES3_mN6hipcub16HIPCUB_304000_NS21CountingInputIteratorIllEEPS6_NSA_22TransformInputIteratorIbN2at6native12_GLOBAL__N_19NonZeroOpIN3c107complexIdEEEEPKSL_lEENS0_5tupleIJPlS6_EEENSQ_IJSD_SD_EEES6_PiJS6_EEE10hipError_tPvRmT3_T4_T5_T6_T7_T9_mT8_P12ihipStream_tbDpT10_ENKUlT_T0_E_clISt17integral_constantIbLb1EES1E_EEDaS19_S1A_EUlS19_E_NS1_11comp_targetILNS1_3genE10ELNS1_11target_archE1200ELNS1_3gpuE4ELNS1_3repE0EEENS1_30default_config_static_selectorELNS0_4arch9wavefront6targetE0EEEvT1_
    .private_segment_fixed_size: 0
    .sgpr_count:     0
    .sgpr_spill_count: 0
    .symbol:         _ZN7rocprim17ROCPRIM_400000_NS6detail17trampoline_kernelINS0_14default_configENS1_25partition_config_selectorILNS1_17partition_subalgoE5ElNS0_10empty_typeEbEEZZNS1_14partition_implILS5_5ELb0ES3_mN6hipcub16HIPCUB_304000_NS21CountingInputIteratorIllEEPS6_NSA_22TransformInputIteratorIbN2at6native12_GLOBAL__N_19NonZeroOpIN3c107complexIdEEEEPKSL_lEENS0_5tupleIJPlS6_EEENSQ_IJSD_SD_EEES6_PiJS6_EEE10hipError_tPvRmT3_T4_T5_T6_T7_T9_mT8_P12ihipStream_tbDpT10_ENKUlT_T0_E_clISt17integral_constantIbLb1EES1E_EEDaS19_S1A_EUlS19_E_NS1_11comp_targetILNS1_3genE10ELNS1_11target_archE1200ELNS1_3gpuE4ELNS1_3repE0EEENS1_30default_config_static_selectorELNS0_4arch9wavefront6targetE0EEEvT1_.kd
    .uniform_work_group_size: 1
    .uses_dynamic_stack: false
    .vgpr_count:     0
    .vgpr_spill_count: 0
    .wavefront_size: 32
    .workgroup_processor_mode: 1
  - .args:
      - .offset:         0
        .size:           136
        .value_kind:     by_value
    .group_segment_fixed_size: 0
    .kernarg_segment_align: 8
    .kernarg_segment_size: 136
    .language:       OpenCL C
    .language_version:
      - 2
      - 0
    .max_flat_workgroup_size: 128
    .name:           _ZN7rocprim17ROCPRIM_400000_NS6detail17trampoline_kernelINS0_14default_configENS1_25partition_config_selectorILNS1_17partition_subalgoE5ElNS0_10empty_typeEbEEZZNS1_14partition_implILS5_5ELb0ES3_mN6hipcub16HIPCUB_304000_NS21CountingInputIteratorIllEEPS6_NSA_22TransformInputIteratorIbN2at6native12_GLOBAL__N_19NonZeroOpIN3c107complexIdEEEEPKSL_lEENS0_5tupleIJPlS6_EEENSQ_IJSD_SD_EEES6_PiJS6_EEE10hipError_tPvRmT3_T4_T5_T6_T7_T9_mT8_P12ihipStream_tbDpT10_ENKUlT_T0_E_clISt17integral_constantIbLb1EES1E_EEDaS19_S1A_EUlS19_E_NS1_11comp_targetILNS1_3genE9ELNS1_11target_archE1100ELNS1_3gpuE3ELNS1_3repE0EEENS1_30default_config_static_selectorELNS0_4arch9wavefront6targetE0EEEvT1_
    .private_segment_fixed_size: 0
    .sgpr_count:     0
    .sgpr_spill_count: 0
    .symbol:         _ZN7rocprim17ROCPRIM_400000_NS6detail17trampoline_kernelINS0_14default_configENS1_25partition_config_selectorILNS1_17partition_subalgoE5ElNS0_10empty_typeEbEEZZNS1_14partition_implILS5_5ELb0ES3_mN6hipcub16HIPCUB_304000_NS21CountingInputIteratorIllEEPS6_NSA_22TransformInputIteratorIbN2at6native12_GLOBAL__N_19NonZeroOpIN3c107complexIdEEEEPKSL_lEENS0_5tupleIJPlS6_EEENSQ_IJSD_SD_EEES6_PiJS6_EEE10hipError_tPvRmT3_T4_T5_T6_T7_T9_mT8_P12ihipStream_tbDpT10_ENKUlT_T0_E_clISt17integral_constantIbLb1EES1E_EEDaS19_S1A_EUlS19_E_NS1_11comp_targetILNS1_3genE9ELNS1_11target_archE1100ELNS1_3gpuE3ELNS1_3repE0EEENS1_30default_config_static_selectorELNS0_4arch9wavefront6targetE0EEEvT1_.kd
    .uniform_work_group_size: 1
    .uses_dynamic_stack: false
    .vgpr_count:     0
    .vgpr_spill_count: 0
    .wavefront_size: 32
    .workgroup_processor_mode: 1
  - .args:
      - .offset:         0
        .size:           136
        .value_kind:     by_value
    .group_segment_fixed_size: 0
    .kernarg_segment_align: 8
    .kernarg_segment_size: 136
    .language:       OpenCL C
    .language_version:
      - 2
      - 0
    .max_flat_workgroup_size: 512
    .name:           _ZN7rocprim17ROCPRIM_400000_NS6detail17trampoline_kernelINS0_14default_configENS1_25partition_config_selectorILNS1_17partition_subalgoE5ElNS0_10empty_typeEbEEZZNS1_14partition_implILS5_5ELb0ES3_mN6hipcub16HIPCUB_304000_NS21CountingInputIteratorIllEEPS6_NSA_22TransformInputIteratorIbN2at6native12_GLOBAL__N_19NonZeroOpIN3c107complexIdEEEEPKSL_lEENS0_5tupleIJPlS6_EEENSQ_IJSD_SD_EEES6_PiJS6_EEE10hipError_tPvRmT3_T4_T5_T6_T7_T9_mT8_P12ihipStream_tbDpT10_ENKUlT_T0_E_clISt17integral_constantIbLb1EES1E_EEDaS19_S1A_EUlS19_E_NS1_11comp_targetILNS1_3genE8ELNS1_11target_archE1030ELNS1_3gpuE2ELNS1_3repE0EEENS1_30default_config_static_selectorELNS0_4arch9wavefront6targetE0EEEvT1_
    .private_segment_fixed_size: 0
    .sgpr_count:     0
    .sgpr_spill_count: 0
    .symbol:         _ZN7rocprim17ROCPRIM_400000_NS6detail17trampoline_kernelINS0_14default_configENS1_25partition_config_selectorILNS1_17partition_subalgoE5ElNS0_10empty_typeEbEEZZNS1_14partition_implILS5_5ELb0ES3_mN6hipcub16HIPCUB_304000_NS21CountingInputIteratorIllEEPS6_NSA_22TransformInputIteratorIbN2at6native12_GLOBAL__N_19NonZeroOpIN3c107complexIdEEEEPKSL_lEENS0_5tupleIJPlS6_EEENSQ_IJSD_SD_EEES6_PiJS6_EEE10hipError_tPvRmT3_T4_T5_T6_T7_T9_mT8_P12ihipStream_tbDpT10_ENKUlT_T0_E_clISt17integral_constantIbLb1EES1E_EEDaS19_S1A_EUlS19_E_NS1_11comp_targetILNS1_3genE8ELNS1_11target_archE1030ELNS1_3gpuE2ELNS1_3repE0EEENS1_30default_config_static_selectorELNS0_4arch9wavefront6targetE0EEEvT1_.kd
    .uniform_work_group_size: 1
    .uses_dynamic_stack: false
    .vgpr_count:     0
    .vgpr_spill_count: 0
    .wavefront_size: 32
    .workgroup_processor_mode: 1
  - .args:
      - .offset:         0
        .size:           120
        .value_kind:     by_value
    .group_segment_fixed_size: 0
    .kernarg_segment_align: 8
    .kernarg_segment_size: 120
    .language:       OpenCL C
    .language_version:
      - 2
      - 0
    .max_flat_workgroup_size: 128
    .name:           _ZN7rocprim17ROCPRIM_400000_NS6detail17trampoline_kernelINS0_14default_configENS1_25partition_config_selectorILNS1_17partition_subalgoE5ElNS0_10empty_typeEbEEZZNS1_14partition_implILS5_5ELb0ES3_mN6hipcub16HIPCUB_304000_NS21CountingInputIteratorIllEEPS6_NSA_22TransformInputIteratorIbN2at6native12_GLOBAL__N_19NonZeroOpIN3c107complexIdEEEEPKSL_lEENS0_5tupleIJPlS6_EEENSQ_IJSD_SD_EEES6_PiJS6_EEE10hipError_tPvRmT3_T4_T5_T6_T7_T9_mT8_P12ihipStream_tbDpT10_ENKUlT_T0_E_clISt17integral_constantIbLb1EES1D_IbLb0EEEEDaS19_S1A_EUlS19_E_NS1_11comp_targetILNS1_3genE0ELNS1_11target_archE4294967295ELNS1_3gpuE0ELNS1_3repE0EEENS1_30default_config_static_selectorELNS0_4arch9wavefront6targetE0EEEvT1_
    .private_segment_fixed_size: 0
    .sgpr_count:     0
    .sgpr_spill_count: 0
    .symbol:         _ZN7rocprim17ROCPRIM_400000_NS6detail17trampoline_kernelINS0_14default_configENS1_25partition_config_selectorILNS1_17partition_subalgoE5ElNS0_10empty_typeEbEEZZNS1_14partition_implILS5_5ELb0ES3_mN6hipcub16HIPCUB_304000_NS21CountingInputIteratorIllEEPS6_NSA_22TransformInputIteratorIbN2at6native12_GLOBAL__N_19NonZeroOpIN3c107complexIdEEEEPKSL_lEENS0_5tupleIJPlS6_EEENSQ_IJSD_SD_EEES6_PiJS6_EEE10hipError_tPvRmT3_T4_T5_T6_T7_T9_mT8_P12ihipStream_tbDpT10_ENKUlT_T0_E_clISt17integral_constantIbLb1EES1D_IbLb0EEEEDaS19_S1A_EUlS19_E_NS1_11comp_targetILNS1_3genE0ELNS1_11target_archE4294967295ELNS1_3gpuE0ELNS1_3repE0EEENS1_30default_config_static_selectorELNS0_4arch9wavefront6targetE0EEEvT1_.kd
    .uniform_work_group_size: 1
    .uses_dynamic_stack: false
    .vgpr_count:     0
    .vgpr_spill_count: 0
    .wavefront_size: 32
    .workgroup_processor_mode: 1
  - .args:
      - .offset:         0
        .size:           120
        .value_kind:     by_value
    .group_segment_fixed_size: 0
    .kernarg_segment_align: 8
    .kernarg_segment_size: 120
    .language:       OpenCL C
    .language_version:
      - 2
      - 0
    .max_flat_workgroup_size: 512
    .name:           _ZN7rocprim17ROCPRIM_400000_NS6detail17trampoline_kernelINS0_14default_configENS1_25partition_config_selectorILNS1_17partition_subalgoE5ElNS0_10empty_typeEbEEZZNS1_14partition_implILS5_5ELb0ES3_mN6hipcub16HIPCUB_304000_NS21CountingInputIteratorIllEEPS6_NSA_22TransformInputIteratorIbN2at6native12_GLOBAL__N_19NonZeroOpIN3c107complexIdEEEEPKSL_lEENS0_5tupleIJPlS6_EEENSQ_IJSD_SD_EEES6_PiJS6_EEE10hipError_tPvRmT3_T4_T5_T6_T7_T9_mT8_P12ihipStream_tbDpT10_ENKUlT_T0_E_clISt17integral_constantIbLb1EES1D_IbLb0EEEEDaS19_S1A_EUlS19_E_NS1_11comp_targetILNS1_3genE5ELNS1_11target_archE942ELNS1_3gpuE9ELNS1_3repE0EEENS1_30default_config_static_selectorELNS0_4arch9wavefront6targetE0EEEvT1_
    .private_segment_fixed_size: 0
    .sgpr_count:     0
    .sgpr_spill_count: 0
    .symbol:         _ZN7rocprim17ROCPRIM_400000_NS6detail17trampoline_kernelINS0_14default_configENS1_25partition_config_selectorILNS1_17partition_subalgoE5ElNS0_10empty_typeEbEEZZNS1_14partition_implILS5_5ELb0ES3_mN6hipcub16HIPCUB_304000_NS21CountingInputIteratorIllEEPS6_NSA_22TransformInputIteratorIbN2at6native12_GLOBAL__N_19NonZeroOpIN3c107complexIdEEEEPKSL_lEENS0_5tupleIJPlS6_EEENSQ_IJSD_SD_EEES6_PiJS6_EEE10hipError_tPvRmT3_T4_T5_T6_T7_T9_mT8_P12ihipStream_tbDpT10_ENKUlT_T0_E_clISt17integral_constantIbLb1EES1D_IbLb0EEEEDaS19_S1A_EUlS19_E_NS1_11comp_targetILNS1_3genE5ELNS1_11target_archE942ELNS1_3gpuE9ELNS1_3repE0EEENS1_30default_config_static_selectorELNS0_4arch9wavefront6targetE0EEEvT1_.kd
    .uniform_work_group_size: 1
    .uses_dynamic_stack: false
    .vgpr_count:     0
    .vgpr_spill_count: 0
    .wavefront_size: 32
    .workgroup_processor_mode: 1
  - .args:
      - .offset:         0
        .size:           120
        .value_kind:     by_value
    .group_segment_fixed_size: 0
    .kernarg_segment_align: 8
    .kernarg_segment_size: 120
    .language:       OpenCL C
    .language_version:
      - 2
      - 0
    .max_flat_workgroup_size: 192
    .name:           _ZN7rocprim17ROCPRIM_400000_NS6detail17trampoline_kernelINS0_14default_configENS1_25partition_config_selectorILNS1_17partition_subalgoE5ElNS0_10empty_typeEbEEZZNS1_14partition_implILS5_5ELb0ES3_mN6hipcub16HIPCUB_304000_NS21CountingInputIteratorIllEEPS6_NSA_22TransformInputIteratorIbN2at6native12_GLOBAL__N_19NonZeroOpIN3c107complexIdEEEEPKSL_lEENS0_5tupleIJPlS6_EEENSQ_IJSD_SD_EEES6_PiJS6_EEE10hipError_tPvRmT3_T4_T5_T6_T7_T9_mT8_P12ihipStream_tbDpT10_ENKUlT_T0_E_clISt17integral_constantIbLb1EES1D_IbLb0EEEEDaS19_S1A_EUlS19_E_NS1_11comp_targetILNS1_3genE4ELNS1_11target_archE910ELNS1_3gpuE8ELNS1_3repE0EEENS1_30default_config_static_selectorELNS0_4arch9wavefront6targetE0EEEvT1_
    .private_segment_fixed_size: 0
    .sgpr_count:     0
    .sgpr_spill_count: 0
    .symbol:         _ZN7rocprim17ROCPRIM_400000_NS6detail17trampoline_kernelINS0_14default_configENS1_25partition_config_selectorILNS1_17partition_subalgoE5ElNS0_10empty_typeEbEEZZNS1_14partition_implILS5_5ELb0ES3_mN6hipcub16HIPCUB_304000_NS21CountingInputIteratorIllEEPS6_NSA_22TransformInputIteratorIbN2at6native12_GLOBAL__N_19NonZeroOpIN3c107complexIdEEEEPKSL_lEENS0_5tupleIJPlS6_EEENSQ_IJSD_SD_EEES6_PiJS6_EEE10hipError_tPvRmT3_T4_T5_T6_T7_T9_mT8_P12ihipStream_tbDpT10_ENKUlT_T0_E_clISt17integral_constantIbLb1EES1D_IbLb0EEEEDaS19_S1A_EUlS19_E_NS1_11comp_targetILNS1_3genE4ELNS1_11target_archE910ELNS1_3gpuE8ELNS1_3repE0EEENS1_30default_config_static_selectorELNS0_4arch9wavefront6targetE0EEEvT1_.kd
    .uniform_work_group_size: 1
    .uses_dynamic_stack: false
    .vgpr_count:     0
    .vgpr_spill_count: 0
    .wavefront_size: 32
    .workgroup_processor_mode: 1
  - .args:
      - .offset:         0
        .size:           120
        .value_kind:     by_value
    .group_segment_fixed_size: 0
    .kernarg_segment_align: 8
    .kernarg_segment_size: 120
    .language:       OpenCL C
    .language_version:
      - 2
      - 0
    .max_flat_workgroup_size: 128
    .name:           _ZN7rocprim17ROCPRIM_400000_NS6detail17trampoline_kernelINS0_14default_configENS1_25partition_config_selectorILNS1_17partition_subalgoE5ElNS0_10empty_typeEbEEZZNS1_14partition_implILS5_5ELb0ES3_mN6hipcub16HIPCUB_304000_NS21CountingInputIteratorIllEEPS6_NSA_22TransformInputIteratorIbN2at6native12_GLOBAL__N_19NonZeroOpIN3c107complexIdEEEEPKSL_lEENS0_5tupleIJPlS6_EEENSQ_IJSD_SD_EEES6_PiJS6_EEE10hipError_tPvRmT3_T4_T5_T6_T7_T9_mT8_P12ihipStream_tbDpT10_ENKUlT_T0_E_clISt17integral_constantIbLb1EES1D_IbLb0EEEEDaS19_S1A_EUlS19_E_NS1_11comp_targetILNS1_3genE3ELNS1_11target_archE908ELNS1_3gpuE7ELNS1_3repE0EEENS1_30default_config_static_selectorELNS0_4arch9wavefront6targetE0EEEvT1_
    .private_segment_fixed_size: 0
    .sgpr_count:     0
    .sgpr_spill_count: 0
    .symbol:         _ZN7rocprim17ROCPRIM_400000_NS6detail17trampoline_kernelINS0_14default_configENS1_25partition_config_selectorILNS1_17partition_subalgoE5ElNS0_10empty_typeEbEEZZNS1_14partition_implILS5_5ELb0ES3_mN6hipcub16HIPCUB_304000_NS21CountingInputIteratorIllEEPS6_NSA_22TransformInputIteratorIbN2at6native12_GLOBAL__N_19NonZeroOpIN3c107complexIdEEEEPKSL_lEENS0_5tupleIJPlS6_EEENSQ_IJSD_SD_EEES6_PiJS6_EEE10hipError_tPvRmT3_T4_T5_T6_T7_T9_mT8_P12ihipStream_tbDpT10_ENKUlT_T0_E_clISt17integral_constantIbLb1EES1D_IbLb0EEEEDaS19_S1A_EUlS19_E_NS1_11comp_targetILNS1_3genE3ELNS1_11target_archE908ELNS1_3gpuE7ELNS1_3repE0EEENS1_30default_config_static_selectorELNS0_4arch9wavefront6targetE0EEEvT1_.kd
    .uniform_work_group_size: 1
    .uses_dynamic_stack: false
    .vgpr_count:     0
    .vgpr_spill_count: 0
    .wavefront_size: 32
    .workgroup_processor_mode: 1
  - .args:
      - .offset:         0
        .size:           120
        .value_kind:     by_value
    .group_segment_fixed_size: 0
    .kernarg_segment_align: 8
    .kernarg_segment_size: 120
    .language:       OpenCL C
    .language_version:
      - 2
      - 0
    .max_flat_workgroup_size: 256
    .name:           _ZN7rocprim17ROCPRIM_400000_NS6detail17trampoline_kernelINS0_14default_configENS1_25partition_config_selectorILNS1_17partition_subalgoE5ElNS0_10empty_typeEbEEZZNS1_14partition_implILS5_5ELb0ES3_mN6hipcub16HIPCUB_304000_NS21CountingInputIteratorIllEEPS6_NSA_22TransformInputIteratorIbN2at6native12_GLOBAL__N_19NonZeroOpIN3c107complexIdEEEEPKSL_lEENS0_5tupleIJPlS6_EEENSQ_IJSD_SD_EEES6_PiJS6_EEE10hipError_tPvRmT3_T4_T5_T6_T7_T9_mT8_P12ihipStream_tbDpT10_ENKUlT_T0_E_clISt17integral_constantIbLb1EES1D_IbLb0EEEEDaS19_S1A_EUlS19_E_NS1_11comp_targetILNS1_3genE2ELNS1_11target_archE906ELNS1_3gpuE6ELNS1_3repE0EEENS1_30default_config_static_selectorELNS0_4arch9wavefront6targetE0EEEvT1_
    .private_segment_fixed_size: 0
    .sgpr_count:     0
    .sgpr_spill_count: 0
    .symbol:         _ZN7rocprim17ROCPRIM_400000_NS6detail17trampoline_kernelINS0_14default_configENS1_25partition_config_selectorILNS1_17partition_subalgoE5ElNS0_10empty_typeEbEEZZNS1_14partition_implILS5_5ELb0ES3_mN6hipcub16HIPCUB_304000_NS21CountingInputIteratorIllEEPS6_NSA_22TransformInputIteratorIbN2at6native12_GLOBAL__N_19NonZeroOpIN3c107complexIdEEEEPKSL_lEENS0_5tupleIJPlS6_EEENSQ_IJSD_SD_EEES6_PiJS6_EEE10hipError_tPvRmT3_T4_T5_T6_T7_T9_mT8_P12ihipStream_tbDpT10_ENKUlT_T0_E_clISt17integral_constantIbLb1EES1D_IbLb0EEEEDaS19_S1A_EUlS19_E_NS1_11comp_targetILNS1_3genE2ELNS1_11target_archE906ELNS1_3gpuE6ELNS1_3repE0EEENS1_30default_config_static_selectorELNS0_4arch9wavefront6targetE0EEEvT1_.kd
    .uniform_work_group_size: 1
    .uses_dynamic_stack: false
    .vgpr_count:     0
    .vgpr_spill_count: 0
    .wavefront_size: 32
    .workgroup_processor_mode: 1
  - .args:
      - .offset:         0
        .size:           120
        .value_kind:     by_value
    .group_segment_fixed_size: 0
    .kernarg_segment_align: 8
    .kernarg_segment_size: 120
    .language:       OpenCL C
    .language_version:
      - 2
      - 0
    .max_flat_workgroup_size: 256
    .name:           _ZN7rocprim17ROCPRIM_400000_NS6detail17trampoline_kernelINS0_14default_configENS1_25partition_config_selectorILNS1_17partition_subalgoE5ElNS0_10empty_typeEbEEZZNS1_14partition_implILS5_5ELb0ES3_mN6hipcub16HIPCUB_304000_NS21CountingInputIteratorIllEEPS6_NSA_22TransformInputIteratorIbN2at6native12_GLOBAL__N_19NonZeroOpIN3c107complexIdEEEEPKSL_lEENS0_5tupleIJPlS6_EEENSQ_IJSD_SD_EEES6_PiJS6_EEE10hipError_tPvRmT3_T4_T5_T6_T7_T9_mT8_P12ihipStream_tbDpT10_ENKUlT_T0_E_clISt17integral_constantIbLb1EES1D_IbLb0EEEEDaS19_S1A_EUlS19_E_NS1_11comp_targetILNS1_3genE10ELNS1_11target_archE1200ELNS1_3gpuE4ELNS1_3repE0EEENS1_30default_config_static_selectorELNS0_4arch9wavefront6targetE0EEEvT1_
    .private_segment_fixed_size: 0
    .sgpr_count:     0
    .sgpr_spill_count: 0
    .symbol:         _ZN7rocprim17ROCPRIM_400000_NS6detail17trampoline_kernelINS0_14default_configENS1_25partition_config_selectorILNS1_17partition_subalgoE5ElNS0_10empty_typeEbEEZZNS1_14partition_implILS5_5ELb0ES3_mN6hipcub16HIPCUB_304000_NS21CountingInputIteratorIllEEPS6_NSA_22TransformInputIteratorIbN2at6native12_GLOBAL__N_19NonZeroOpIN3c107complexIdEEEEPKSL_lEENS0_5tupleIJPlS6_EEENSQ_IJSD_SD_EEES6_PiJS6_EEE10hipError_tPvRmT3_T4_T5_T6_T7_T9_mT8_P12ihipStream_tbDpT10_ENKUlT_T0_E_clISt17integral_constantIbLb1EES1D_IbLb0EEEEDaS19_S1A_EUlS19_E_NS1_11comp_targetILNS1_3genE10ELNS1_11target_archE1200ELNS1_3gpuE4ELNS1_3repE0EEENS1_30default_config_static_selectorELNS0_4arch9wavefront6targetE0EEEvT1_.kd
    .uniform_work_group_size: 1
    .uses_dynamic_stack: false
    .vgpr_count:     0
    .vgpr_spill_count: 0
    .wavefront_size: 32
    .workgroup_processor_mode: 1
  - .args:
      - .offset:         0
        .size:           120
        .value_kind:     by_value
    .group_segment_fixed_size: 0
    .kernarg_segment_align: 8
    .kernarg_segment_size: 120
    .language:       OpenCL C
    .language_version:
      - 2
      - 0
    .max_flat_workgroup_size: 128
    .name:           _ZN7rocprim17ROCPRIM_400000_NS6detail17trampoline_kernelINS0_14default_configENS1_25partition_config_selectorILNS1_17partition_subalgoE5ElNS0_10empty_typeEbEEZZNS1_14partition_implILS5_5ELb0ES3_mN6hipcub16HIPCUB_304000_NS21CountingInputIteratorIllEEPS6_NSA_22TransformInputIteratorIbN2at6native12_GLOBAL__N_19NonZeroOpIN3c107complexIdEEEEPKSL_lEENS0_5tupleIJPlS6_EEENSQ_IJSD_SD_EEES6_PiJS6_EEE10hipError_tPvRmT3_T4_T5_T6_T7_T9_mT8_P12ihipStream_tbDpT10_ENKUlT_T0_E_clISt17integral_constantIbLb1EES1D_IbLb0EEEEDaS19_S1A_EUlS19_E_NS1_11comp_targetILNS1_3genE9ELNS1_11target_archE1100ELNS1_3gpuE3ELNS1_3repE0EEENS1_30default_config_static_selectorELNS0_4arch9wavefront6targetE0EEEvT1_
    .private_segment_fixed_size: 0
    .sgpr_count:     0
    .sgpr_spill_count: 0
    .symbol:         _ZN7rocprim17ROCPRIM_400000_NS6detail17trampoline_kernelINS0_14default_configENS1_25partition_config_selectorILNS1_17partition_subalgoE5ElNS0_10empty_typeEbEEZZNS1_14partition_implILS5_5ELb0ES3_mN6hipcub16HIPCUB_304000_NS21CountingInputIteratorIllEEPS6_NSA_22TransformInputIteratorIbN2at6native12_GLOBAL__N_19NonZeroOpIN3c107complexIdEEEEPKSL_lEENS0_5tupleIJPlS6_EEENSQ_IJSD_SD_EEES6_PiJS6_EEE10hipError_tPvRmT3_T4_T5_T6_T7_T9_mT8_P12ihipStream_tbDpT10_ENKUlT_T0_E_clISt17integral_constantIbLb1EES1D_IbLb0EEEEDaS19_S1A_EUlS19_E_NS1_11comp_targetILNS1_3genE9ELNS1_11target_archE1100ELNS1_3gpuE3ELNS1_3repE0EEENS1_30default_config_static_selectorELNS0_4arch9wavefront6targetE0EEEvT1_.kd
    .uniform_work_group_size: 1
    .uses_dynamic_stack: false
    .vgpr_count:     0
    .vgpr_spill_count: 0
    .wavefront_size: 32
    .workgroup_processor_mode: 1
  - .args:
      - .offset:         0
        .size:           120
        .value_kind:     by_value
    .group_segment_fixed_size: 0
    .kernarg_segment_align: 8
    .kernarg_segment_size: 120
    .language:       OpenCL C
    .language_version:
      - 2
      - 0
    .max_flat_workgroup_size: 512
    .name:           _ZN7rocprim17ROCPRIM_400000_NS6detail17trampoline_kernelINS0_14default_configENS1_25partition_config_selectorILNS1_17partition_subalgoE5ElNS0_10empty_typeEbEEZZNS1_14partition_implILS5_5ELb0ES3_mN6hipcub16HIPCUB_304000_NS21CountingInputIteratorIllEEPS6_NSA_22TransformInputIteratorIbN2at6native12_GLOBAL__N_19NonZeroOpIN3c107complexIdEEEEPKSL_lEENS0_5tupleIJPlS6_EEENSQ_IJSD_SD_EEES6_PiJS6_EEE10hipError_tPvRmT3_T4_T5_T6_T7_T9_mT8_P12ihipStream_tbDpT10_ENKUlT_T0_E_clISt17integral_constantIbLb1EES1D_IbLb0EEEEDaS19_S1A_EUlS19_E_NS1_11comp_targetILNS1_3genE8ELNS1_11target_archE1030ELNS1_3gpuE2ELNS1_3repE0EEENS1_30default_config_static_selectorELNS0_4arch9wavefront6targetE0EEEvT1_
    .private_segment_fixed_size: 0
    .sgpr_count:     0
    .sgpr_spill_count: 0
    .symbol:         _ZN7rocprim17ROCPRIM_400000_NS6detail17trampoline_kernelINS0_14default_configENS1_25partition_config_selectorILNS1_17partition_subalgoE5ElNS0_10empty_typeEbEEZZNS1_14partition_implILS5_5ELb0ES3_mN6hipcub16HIPCUB_304000_NS21CountingInputIteratorIllEEPS6_NSA_22TransformInputIteratorIbN2at6native12_GLOBAL__N_19NonZeroOpIN3c107complexIdEEEEPKSL_lEENS0_5tupleIJPlS6_EEENSQ_IJSD_SD_EEES6_PiJS6_EEE10hipError_tPvRmT3_T4_T5_T6_T7_T9_mT8_P12ihipStream_tbDpT10_ENKUlT_T0_E_clISt17integral_constantIbLb1EES1D_IbLb0EEEEDaS19_S1A_EUlS19_E_NS1_11comp_targetILNS1_3genE8ELNS1_11target_archE1030ELNS1_3gpuE2ELNS1_3repE0EEENS1_30default_config_static_selectorELNS0_4arch9wavefront6targetE0EEEvT1_.kd
    .uniform_work_group_size: 1
    .uses_dynamic_stack: false
    .vgpr_count:     0
    .vgpr_spill_count: 0
    .wavefront_size: 32
    .workgroup_processor_mode: 1
  - .args:
      - .offset:         0
        .size:           136
        .value_kind:     by_value
    .group_segment_fixed_size: 0
    .kernarg_segment_align: 8
    .kernarg_segment_size: 136
    .language:       OpenCL C
    .language_version:
      - 2
      - 0
    .max_flat_workgroup_size: 128
    .name:           _ZN7rocprim17ROCPRIM_400000_NS6detail17trampoline_kernelINS0_14default_configENS1_25partition_config_selectorILNS1_17partition_subalgoE5ElNS0_10empty_typeEbEEZZNS1_14partition_implILS5_5ELb0ES3_mN6hipcub16HIPCUB_304000_NS21CountingInputIteratorIllEEPS6_NSA_22TransformInputIteratorIbN2at6native12_GLOBAL__N_19NonZeroOpIN3c107complexIdEEEEPKSL_lEENS0_5tupleIJPlS6_EEENSQ_IJSD_SD_EEES6_PiJS6_EEE10hipError_tPvRmT3_T4_T5_T6_T7_T9_mT8_P12ihipStream_tbDpT10_ENKUlT_T0_E_clISt17integral_constantIbLb0EES1D_IbLb1EEEEDaS19_S1A_EUlS19_E_NS1_11comp_targetILNS1_3genE0ELNS1_11target_archE4294967295ELNS1_3gpuE0ELNS1_3repE0EEENS1_30default_config_static_selectorELNS0_4arch9wavefront6targetE0EEEvT1_
    .private_segment_fixed_size: 0
    .sgpr_count:     0
    .sgpr_spill_count: 0
    .symbol:         _ZN7rocprim17ROCPRIM_400000_NS6detail17trampoline_kernelINS0_14default_configENS1_25partition_config_selectorILNS1_17partition_subalgoE5ElNS0_10empty_typeEbEEZZNS1_14partition_implILS5_5ELb0ES3_mN6hipcub16HIPCUB_304000_NS21CountingInputIteratorIllEEPS6_NSA_22TransformInputIteratorIbN2at6native12_GLOBAL__N_19NonZeroOpIN3c107complexIdEEEEPKSL_lEENS0_5tupleIJPlS6_EEENSQ_IJSD_SD_EEES6_PiJS6_EEE10hipError_tPvRmT3_T4_T5_T6_T7_T9_mT8_P12ihipStream_tbDpT10_ENKUlT_T0_E_clISt17integral_constantIbLb0EES1D_IbLb1EEEEDaS19_S1A_EUlS19_E_NS1_11comp_targetILNS1_3genE0ELNS1_11target_archE4294967295ELNS1_3gpuE0ELNS1_3repE0EEENS1_30default_config_static_selectorELNS0_4arch9wavefront6targetE0EEEvT1_.kd
    .uniform_work_group_size: 1
    .uses_dynamic_stack: false
    .vgpr_count:     0
    .vgpr_spill_count: 0
    .wavefront_size: 32
    .workgroup_processor_mode: 1
  - .args:
      - .offset:         0
        .size:           136
        .value_kind:     by_value
    .group_segment_fixed_size: 0
    .kernarg_segment_align: 8
    .kernarg_segment_size: 136
    .language:       OpenCL C
    .language_version:
      - 2
      - 0
    .max_flat_workgroup_size: 512
    .name:           _ZN7rocprim17ROCPRIM_400000_NS6detail17trampoline_kernelINS0_14default_configENS1_25partition_config_selectorILNS1_17partition_subalgoE5ElNS0_10empty_typeEbEEZZNS1_14partition_implILS5_5ELb0ES3_mN6hipcub16HIPCUB_304000_NS21CountingInputIteratorIllEEPS6_NSA_22TransformInputIteratorIbN2at6native12_GLOBAL__N_19NonZeroOpIN3c107complexIdEEEEPKSL_lEENS0_5tupleIJPlS6_EEENSQ_IJSD_SD_EEES6_PiJS6_EEE10hipError_tPvRmT3_T4_T5_T6_T7_T9_mT8_P12ihipStream_tbDpT10_ENKUlT_T0_E_clISt17integral_constantIbLb0EES1D_IbLb1EEEEDaS19_S1A_EUlS19_E_NS1_11comp_targetILNS1_3genE5ELNS1_11target_archE942ELNS1_3gpuE9ELNS1_3repE0EEENS1_30default_config_static_selectorELNS0_4arch9wavefront6targetE0EEEvT1_
    .private_segment_fixed_size: 0
    .sgpr_count:     0
    .sgpr_spill_count: 0
    .symbol:         _ZN7rocprim17ROCPRIM_400000_NS6detail17trampoline_kernelINS0_14default_configENS1_25partition_config_selectorILNS1_17partition_subalgoE5ElNS0_10empty_typeEbEEZZNS1_14partition_implILS5_5ELb0ES3_mN6hipcub16HIPCUB_304000_NS21CountingInputIteratorIllEEPS6_NSA_22TransformInputIteratorIbN2at6native12_GLOBAL__N_19NonZeroOpIN3c107complexIdEEEEPKSL_lEENS0_5tupleIJPlS6_EEENSQ_IJSD_SD_EEES6_PiJS6_EEE10hipError_tPvRmT3_T4_T5_T6_T7_T9_mT8_P12ihipStream_tbDpT10_ENKUlT_T0_E_clISt17integral_constantIbLb0EES1D_IbLb1EEEEDaS19_S1A_EUlS19_E_NS1_11comp_targetILNS1_3genE5ELNS1_11target_archE942ELNS1_3gpuE9ELNS1_3repE0EEENS1_30default_config_static_selectorELNS0_4arch9wavefront6targetE0EEEvT1_.kd
    .uniform_work_group_size: 1
    .uses_dynamic_stack: false
    .vgpr_count:     0
    .vgpr_spill_count: 0
    .wavefront_size: 32
    .workgroup_processor_mode: 1
  - .args:
      - .offset:         0
        .size:           136
        .value_kind:     by_value
    .group_segment_fixed_size: 0
    .kernarg_segment_align: 8
    .kernarg_segment_size: 136
    .language:       OpenCL C
    .language_version:
      - 2
      - 0
    .max_flat_workgroup_size: 192
    .name:           _ZN7rocprim17ROCPRIM_400000_NS6detail17trampoline_kernelINS0_14default_configENS1_25partition_config_selectorILNS1_17partition_subalgoE5ElNS0_10empty_typeEbEEZZNS1_14partition_implILS5_5ELb0ES3_mN6hipcub16HIPCUB_304000_NS21CountingInputIteratorIllEEPS6_NSA_22TransformInputIteratorIbN2at6native12_GLOBAL__N_19NonZeroOpIN3c107complexIdEEEEPKSL_lEENS0_5tupleIJPlS6_EEENSQ_IJSD_SD_EEES6_PiJS6_EEE10hipError_tPvRmT3_T4_T5_T6_T7_T9_mT8_P12ihipStream_tbDpT10_ENKUlT_T0_E_clISt17integral_constantIbLb0EES1D_IbLb1EEEEDaS19_S1A_EUlS19_E_NS1_11comp_targetILNS1_3genE4ELNS1_11target_archE910ELNS1_3gpuE8ELNS1_3repE0EEENS1_30default_config_static_selectorELNS0_4arch9wavefront6targetE0EEEvT1_
    .private_segment_fixed_size: 0
    .sgpr_count:     0
    .sgpr_spill_count: 0
    .symbol:         _ZN7rocprim17ROCPRIM_400000_NS6detail17trampoline_kernelINS0_14default_configENS1_25partition_config_selectorILNS1_17partition_subalgoE5ElNS0_10empty_typeEbEEZZNS1_14partition_implILS5_5ELb0ES3_mN6hipcub16HIPCUB_304000_NS21CountingInputIteratorIllEEPS6_NSA_22TransformInputIteratorIbN2at6native12_GLOBAL__N_19NonZeroOpIN3c107complexIdEEEEPKSL_lEENS0_5tupleIJPlS6_EEENSQ_IJSD_SD_EEES6_PiJS6_EEE10hipError_tPvRmT3_T4_T5_T6_T7_T9_mT8_P12ihipStream_tbDpT10_ENKUlT_T0_E_clISt17integral_constantIbLb0EES1D_IbLb1EEEEDaS19_S1A_EUlS19_E_NS1_11comp_targetILNS1_3genE4ELNS1_11target_archE910ELNS1_3gpuE8ELNS1_3repE0EEENS1_30default_config_static_selectorELNS0_4arch9wavefront6targetE0EEEvT1_.kd
    .uniform_work_group_size: 1
    .uses_dynamic_stack: false
    .vgpr_count:     0
    .vgpr_spill_count: 0
    .wavefront_size: 32
    .workgroup_processor_mode: 1
  - .args:
      - .offset:         0
        .size:           136
        .value_kind:     by_value
    .group_segment_fixed_size: 0
    .kernarg_segment_align: 8
    .kernarg_segment_size: 136
    .language:       OpenCL C
    .language_version:
      - 2
      - 0
    .max_flat_workgroup_size: 128
    .name:           _ZN7rocprim17ROCPRIM_400000_NS6detail17trampoline_kernelINS0_14default_configENS1_25partition_config_selectorILNS1_17partition_subalgoE5ElNS0_10empty_typeEbEEZZNS1_14partition_implILS5_5ELb0ES3_mN6hipcub16HIPCUB_304000_NS21CountingInputIteratorIllEEPS6_NSA_22TransformInputIteratorIbN2at6native12_GLOBAL__N_19NonZeroOpIN3c107complexIdEEEEPKSL_lEENS0_5tupleIJPlS6_EEENSQ_IJSD_SD_EEES6_PiJS6_EEE10hipError_tPvRmT3_T4_T5_T6_T7_T9_mT8_P12ihipStream_tbDpT10_ENKUlT_T0_E_clISt17integral_constantIbLb0EES1D_IbLb1EEEEDaS19_S1A_EUlS19_E_NS1_11comp_targetILNS1_3genE3ELNS1_11target_archE908ELNS1_3gpuE7ELNS1_3repE0EEENS1_30default_config_static_selectorELNS0_4arch9wavefront6targetE0EEEvT1_
    .private_segment_fixed_size: 0
    .sgpr_count:     0
    .sgpr_spill_count: 0
    .symbol:         _ZN7rocprim17ROCPRIM_400000_NS6detail17trampoline_kernelINS0_14default_configENS1_25partition_config_selectorILNS1_17partition_subalgoE5ElNS0_10empty_typeEbEEZZNS1_14partition_implILS5_5ELb0ES3_mN6hipcub16HIPCUB_304000_NS21CountingInputIteratorIllEEPS6_NSA_22TransformInputIteratorIbN2at6native12_GLOBAL__N_19NonZeroOpIN3c107complexIdEEEEPKSL_lEENS0_5tupleIJPlS6_EEENSQ_IJSD_SD_EEES6_PiJS6_EEE10hipError_tPvRmT3_T4_T5_T6_T7_T9_mT8_P12ihipStream_tbDpT10_ENKUlT_T0_E_clISt17integral_constantIbLb0EES1D_IbLb1EEEEDaS19_S1A_EUlS19_E_NS1_11comp_targetILNS1_3genE3ELNS1_11target_archE908ELNS1_3gpuE7ELNS1_3repE0EEENS1_30default_config_static_selectorELNS0_4arch9wavefront6targetE0EEEvT1_.kd
    .uniform_work_group_size: 1
    .uses_dynamic_stack: false
    .vgpr_count:     0
    .vgpr_spill_count: 0
    .wavefront_size: 32
    .workgroup_processor_mode: 1
  - .args:
      - .offset:         0
        .size:           136
        .value_kind:     by_value
    .group_segment_fixed_size: 0
    .kernarg_segment_align: 8
    .kernarg_segment_size: 136
    .language:       OpenCL C
    .language_version:
      - 2
      - 0
    .max_flat_workgroup_size: 256
    .name:           _ZN7rocprim17ROCPRIM_400000_NS6detail17trampoline_kernelINS0_14default_configENS1_25partition_config_selectorILNS1_17partition_subalgoE5ElNS0_10empty_typeEbEEZZNS1_14partition_implILS5_5ELb0ES3_mN6hipcub16HIPCUB_304000_NS21CountingInputIteratorIllEEPS6_NSA_22TransformInputIteratorIbN2at6native12_GLOBAL__N_19NonZeroOpIN3c107complexIdEEEEPKSL_lEENS0_5tupleIJPlS6_EEENSQ_IJSD_SD_EEES6_PiJS6_EEE10hipError_tPvRmT3_T4_T5_T6_T7_T9_mT8_P12ihipStream_tbDpT10_ENKUlT_T0_E_clISt17integral_constantIbLb0EES1D_IbLb1EEEEDaS19_S1A_EUlS19_E_NS1_11comp_targetILNS1_3genE2ELNS1_11target_archE906ELNS1_3gpuE6ELNS1_3repE0EEENS1_30default_config_static_selectorELNS0_4arch9wavefront6targetE0EEEvT1_
    .private_segment_fixed_size: 0
    .sgpr_count:     0
    .sgpr_spill_count: 0
    .symbol:         _ZN7rocprim17ROCPRIM_400000_NS6detail17trampoline_kernelINS0_14default_configENS1_25partition_config_selectorILNS1_17partition_subalgoE5ElNS0_10empty_typeEbEEZZNS1_14partition_implILS5_5ELb0ES3_mN6hipcub16HIPCUB_304000_NS21CountingInputIteratorIllEEPS6_NSA_22TransformInputIteratorIbN2at6native12_GLOBAL__N_19NonZeroOpIN3c107complexIdEEEEPKSL_lEENS0_5tupleIJPlS6_EEENSQ_IJSD_SD_EEES6_PiJS6_EEE10hipError_tPvRmT3_T4_T5_T6_T7_T9_mT8_P12ihipStream_tbDpT10_ENKUlT_T0_E_clISt17integral_constantIbLb0EES1D_IbLb1EEEEDaS19_S1A_EUlS19_E_NS1_11comp_targetILNS1_3genE2ELNS1_11target_archE906ELNS1_3gpuE6ELNS1_3repE0EEENS1_30default_config_static_selectorELNS0_4arch9wavefront6targetE0EEEvT1_.kd
    .uniform_work_group_size: 1
    .uses_dynamic_stack: false
    .vgpr_count:     0
    .vgpr_spill_count: 0
    .wavefront_size: 32
    .workgroup_processor_mode: 1
  - .args:
      - .offset:         0
        .size:           136
        .value_kind:     by_value
    .group_segment_fixed_size: 8464
    .kernarg_segment_align: 8
    .kernarg_segment_size: 136
    .language:       OpenCL C
    .language_version:
      - 2
      - 0
    .max_flat_workgroup_size: 256
    .name:           _ZN7rocprim17ROCPRIM_400000_NS6detail17trampoline_kernelINS0_14default_configENS1_25partition_config_selectorILNS1_17partition_subalgoE5ElNS0_10empty_typeEbEEZZNS1_14partition_implILS5_5ELb0ES3_mN6hipcub16HIPCUB_304000_NS21CountingInputIteratorIllEEPS6_NSA_22TransformInputIteratorIbN2at6native12_GLOBAL__N_19NonZeroOpIN3c107complexIdEEEEPKSL_lEENS0_5tupleIJPlS6_EEENSQ_IJSD_SD_EEES6_PiJS6_EEE10hipError_tPvRmT3_T4_T5_T6_T7_T9_mT8_P12ihipStream_tbDpT10_ENKUlT_T0_E_clISt17integral_constantIbLb0EES1D_IbLb1EEEEDaS19_S1A_EUlS19_E_NS1_11comp_targetILNS1_3genE10ELNS1_11target_archE1200ELNS1_3gpuE4ELNS1_3repE0EEENS1_30default_config_static_selectorELNS0_4arch9wavefront6targetE0EEEvT1_
    .private_segment_fixed_size: 0
    .sgpr_count:     26
    .sgpr_spill_count: 0
    .symbol:         _ZN7rocprim17ROCPRIM_400000_NS6detail17trampoline_kernelINS0_14default_configENS1_25partition_config_selectorILNS1_17partition_subalgoE5ElNS0_10empty_typeEbEEZZNS1_14partition_implILS5_5ELb0ES3_mN6hipcub16HIPCUB_304000_NS21CountingInputIteratorIllEEPS6_NSA_22TransformInputIteratorIbN2at6native12_GLOBAL__N_19NonZeroOpIN3c107complexIdEEEEPKSL_lEENS0_5tupleIJPlS6_EEENSQ_IJSD_SD_EEES6_PiJS6_EEE10hipError_tPvRmT3_T4_T5_T6_T7_T9_mT8_P12ihipStream_tbDpT10_ENKUlT_T0_E_clISt17integral_constantIbLb0EES1D_IbLb1EEEEDaS19_S1A_EUlS19_E_NS1_11comp_targetILNS1_3genE10ELNS1_11target_archE1200ELNS1_3gpuE4ELNS1_3repE0EEENS1_30default_config_static_selectorELNS0_4arch9wavefront6targetE0EEEvT1_.kd
    .uniform_work_group_size: 1
    .uses_dynamic_stack: false
    .vgpr_count:     48
    .vgpr_spill_count: 0
    .wavefront_size: 32
    .workgroup_processor_mode: 1
  - .args:
      - .offset:         0
        .size:           136
        .value_kind:     by_value
    .group_segment_fixed_size: 0
    .kernarg_segment_align: 8
    .kernarg_segment_size: 136
    .language:       OpenCL C
    .language_version:
      - 2
      - 0
    .max_flat_workgroup_size: 128
    .name:           _ZN7rocprim17ROCPRIM_400000_NS6detail17trampoline_kernelINS0_14default_configENS1_25partition_config_selectorILNS1_17partition_subalgoE5ElNS0_10empty_typeEbEEZZNS1_14partition_implILS5_5ELb0ES3_mN6hipcub16HIPCUB_304000_NS21CountingInputIteratorIllEEPS6_NSA_22TransformInputIteratorIbN2at6native12_GLOBAL__N_19NonZeroOpIN3c107complexIdEEEEPKSL_lEENS0_5tupleIJPlS6_EEENSQ_IJSD_SD_EEES6_PiJS6_EEE10hipError_tPvRmT3_T4_T5_T6_T7_T9_mT8_P12ihipStream_tbDpT10_ENKUlT_T0_E_clISt17integral_constantIbLb0EES1D_IbLb1EEEEDaS19_S1A_EUlS19_E_NS1_11comp_targetILNS1_3genE9ELNS1_11target_archE1100ELNS1_3gpuE3ELNS1_3repE0EEENS1_30default_config_static_selectorELNS0_4arch9wavefront6targetE0EEEvT1_
    .private_segment_fixed_size: 0
    .sgpr_count:     0
    .sgpr_spill_count: 0
    .symbol:         _ZN7rocprim17ROCPRIM_400000_NS6detail17trampoline_kernelINS0_14default_configENS1_25partition_config_selectorILNS1_17partition_subalgoE5ElNS0_10empty_typeEbEEZZNS1_14partition_implILS5_5ELb0ES3_mN6hipcub16HIPCUB_304000_NS21CountingInputIteratorIllEEPS6_NSA_22TransformInputIteratorIbN2at6native12_GLOBAL__N_19NonZeroOpIN3c107complexIdEEEEPKSL_lEENS0_5tupleIJPlS6_EEENSQ_IJSD_SD_EEES6_PiJS6_EEE10hipError_tPvRmT3_T4_T5_T6_T7_T9_mT8_P12ihipStream_tbDpT10_ENKUlT_T0_E_clISt17integral_constantIbLb0EES1D_IbLb1EEEEDaS19_S1A_EUlS19_E_NS1_11comp_targetILNS1_3genE9ELNS1_11target_archE1100ELNS1_3gpuE3ELNS1_3repE0EEENS1_30default_config_static_selectorELNS0_4arch9wavefront6targetE0EEEvT1_.kd
    .uniform_work_group_size: 1
    .uses_dynamic_stack: false
    .vgpr_count:     0
    .vgpr_spill_count: 0
    .wavefront_size: 32
    .workgroup_processor_mode: 1
  - .args:
      - .offset:         0
        .size:           136
        .value_kind:     by_value
    .group_segment_fixed_size: 0
    .kernarg_segment_align: 8
    .kernarg_segment_size: 136
    .language:       OpenCL C
    .language_version:
      - 2
      - 0
    .max_flat_workgroup_size: 512
    .name:           _ZN7rocprim17ROCPRIM_400000_NS6detail17trampoline_kernelINS0_14default_configENS1_25partition_config_selectorILNS1_17partition_subalgoE5ElNS0_10empty_typeEbEEZZNS1_14partition_implILS5_5ELb0ES3_mN6hipcub16HIPCUB_304000_NS21CountingInputIteratorIllEEPS6_NSA_22TransformInputIteratorIbN2at6native12_GLOBAL__N_19NonZeroOpIN3c107complexIdEEEEPKSL_lEENS0_5tupleIJPlS6_EEENSQ_IJSD_SD_EEES6_PiJS6_EEE10hipError_tPvRmT3_T4_T5_T6_T7_T9_mT8_P12ihipStream_tbDpT10_ENKUlT_T0_E_clISt17integral_constantIbLb0EES1D_IbLb1EEEEDaS19_S1A_EUlS19_E_NS1_11comp_targetILNS1_3genE8ELNS1_11target_archE1030ELNS1_3gpuE2ELNS1_3repE0EEENS1_30default_config_static_selectorELNS0_4arch9wavefront6targetE0EEEvT1_
    .private_segment_fixed_size: 0
    .sgpr_count:     0
    .sgpr_spill_count: 0
    .symbol:         _ZN7rocprim17ROCPRIM_400000_NS6detail17trampoline_kernelINS0_14default_configENS1_25partition_config_selectorILNS1_17partition_subalgoE5ElNS0_10empty_typeEbEEZZNS1_14partition_implILS5_5ELb0ES3_mN6hipcub16HIPCUB_304000_NS21CountingInputIteratorIllEEPS6_NSA_22TransformInputIteratorIbN2at6native12_GLOBAL__N_19NonZeroOpIN3c107complexIdEEEEPKSL_lEENS0_5tupleIJPlS6_EEENSQ_IJSD_SD_EEES6_PiJS6_EEE10hipError_tPvRmT3_T4_T5_T6_T7_T9_mT8_P12ihipStream_tbDpT10_ENKUlT_T0_E_clISt17integral_constantIbLb0EES1D_IbLb1EEEEDaS19_S1A_EUlS19_E_NS1_11comp_targetILNS1_3genE8ELNS1_11target_archE1030ELNS1_3gpuE2ELNS1_3repE0EEENS1_30default_config_static_selectorELNS0_4arch9wavefront6targetE0EEEvT1_.kd
    .uniform_work_group_size: 1
    .uses_dynamic_stack: false
    .vgpr_count:     0
    .vgpr_spill_count: 0
    .wavefront_size: 32
    .workgroup_processor_mode: 1
  - .args:
      - .offset:         0
        .size:           56
        .value_kind:     by_value
    .group_segment_fixed_size: 0
    .kernarg_segment_align: 8
    .kernarg_segment_size: 56
    .language:       OpenCL C
    .language_version:
      - 2
      - 0
    .max_flat_workgroup_size: 256
    .name:           _ZN7rocprim17ROCPRIM_400000_NS6detail17trampoline_kernelINS0_14default_configENS1_22reduce_config_selectorIiEEZNS1_11reduce_implILb1ES3_PiS7_iN6hipcub16HIPCUB_304000_NS6detail34convert_binary_result_type_wrapperINS9_3SumENS9_22TransformInputIteratorIbN2at6native12_GLOBAL__N_19NonZeroOpIN3c107complexIfEEEEPKSK_lEEiEEEE10hipError_tPvRmT1_T2_T3_mT4_P12ihipStream_tbEUlT_E0_NS1_11comp_targetILNS1_3genE0ELNS1_11target_archE4294967295ELNS1_3gpuE0ELNS1_3repE0EEENS1_30default_config_static_selectorELNS0_4arch9wavefront6targetE0EEEvST_
    .private_segment_fixed_size: 0
    .sgpr_count:     0
    .sgpr_spill_count: 0
    .symbol:         _ZN7rocprim17ROCPRIM_400000_NS6detail17trampoline_kernelINS0_14default_configENS1_22reduce_config_selectorIiEEZNS1_11reduce_implILb1ES3_PiS7_iN6hipcub16HIPCUB_304000_NS6detail34convert_binary_result_type_wrapperINS9_3SumENS9_22TransformInputIteratorIbN2at6native12_GLOBAL__N_19NonZeroOpIN3c107complexIfEEEEPKSK_lEEiEEEE10hipError_tPvRmT1_T2_T3_mT4_P12ihipStream_tbEUlT_E0_NS1_11comp_targetILNS1_3genE0ELNS1_11target_archE4294967295ELNS1_3gpuE0ELNS1_3repE0EEENS1_30default_config_static_selectorELNS0_4arch9wavefront6targetE0EEEvST_.kd
    .uniform_work_group_size: 1
    .uses_dynamic_stack: false
    .vgpr_count:     0
    .vgpr_spill_count: 0
    .wavefront_size: 32
    .workgroup_processor_mode: 1
  - .args:
      - .offset:         0
        .size:           56
        .value_kind:     by_value
    .group_segment_fixed_size: 0
    .kernarg_segment_align: 8
    .kernarg_segment_size: 56
    .language:       OpenCL C
    .language_version:
      - 2
      - 0
    .max_flat_workgroup_size: 256
    .name:           _ZN7rocprim17ROCPRIM_400000_NS6detail17trampoline_kernelINS0_14default_configENS1_22reduce_config_selectorIiEEZNS1_11reduce_implILb1ES3_PiS7_iN6hipcub16HIPCUB_304000_NS6detail34convert_binary_result_type_wrapperINS9_3SumENS9_22TransformInputIteratorIbN2at6native12_GLOBAL__N_19NonZeroOpIN3c107complexIfEEEEPKSK_lEEiEEEE10hipError_tPvRmT1_T2_T3_mT4_P12ihipStream_tbEUlT_E0_NS1_11comp_targetILNS1_3genE5ELNS1_11target_archE942ELNS1_3gpuE9ELNS1_3repE0EEENS1_30default_config_static_selectorELNS0_4arch9wavefront6targetE0EEEvST_
    .private_segment_fixed_size: 0
    .sgpr_count:     0
    .sgpr_spill_count: 0
    .symbol:         _ZN7rocprim17ROCPRIM_400000_NS6detail17trampoline_kernelINS0_14default_configENS1_22reduce_config_selectorIiEEZNS1_11reduce_implILb1ES3_PiS7_iN6hipcub16HIPCUB_304000_NS6detail34convert_binary_result_type_wrapperINS9_3SumENS9_22TransformInputIteratorIbN2at6native12_GLOBAL__N_19NonZeroOpIN3c107complexIfEEEEPKSK_lEEiEEEE10hipError_tPvRmT1_T2_T3_mT4_P12ihipStream_tbEUlT_E0_NS1_11comp_targetILNS1_3genE5ELNS1_11target_archE942ELNS1_3gpuE9ELNS1_3repE0EEENS1_30default_config_static_selectorELNS0_4arch9wavefront6targetE0EEEvST_.kd
    .uniform_work_group_size: 1
    .uses_dynamic_stack: false
    .vgpr_count:     0
    .vgpr_spill_count: 0
    .wavefront_size: 32
    .workgroup_processor_mode: 1
  - .args:
      - .offset:         0
        .size:           56
        .value_kind:     by_value
    .group_segment_fixed_size: 0
    .kernarg_segment_align: 8
    .kernarg_segment_size: 56
    .language:       OpenCL C
    .language_version:
      - 2
      - 0
    .max_flat_workgroup_size: 128
    .name:           _ZN7rocprim17ROCPRIM_400000_NS6detail17trampoline_kernelINS0_14default_configENS1_22reduce_config_selectorIiEEZNS1_11reduce_implILb1ES3_PiS7_iN6hipcub16HIPCUB_304000_NS6detail34convert_binary_result_type_wrapperINS9_3SumENS9_22TransformInputIteratorIbN2at6native12_GLOBAL__N_19NonZeroOpIN3c107complexIfEEEEPKSK_lEEiEEEE10hipError_tPvRmT1_T2_T3_mT4_P12ihipStream_tbEUlT_E0_NS1_11comp_targetILNS1_3genE4ELNS1_11target_archE910ELNS1_3gpuE8ELNS1_3repE0EEENS1_30default_config_static_selectorELNS0_4arch9wavefront6targetE0EEEvST_
    .private_segment_fixed_size: 0
    .sgpr_count:     0
    .sgpr_spill_count: 0
    .symbol:         _ZN7rocprim17ROCPRIM_400000_NS6detail17trampoline_kernelINS0_14default_configENS1_22reduce_config_selectorIiEEZNS1_11reduce_implILb1ES3_PiS7_iN6hipcub16HIPCUB_304000_NS6detail34convert_binary_result_type_wrapperINS9_3SumENS9_22TransformInputIteratorIbN2at6native12_GLOBAL__N_19NonZeroOpIN3c107complexIfEEEEPKSK_lEEiEEEE10hipError_tPvRmT1_T2_T3_mT4_P12ihipStream_tbEUlT_E0_NS1_11comp_targetILNS1_3genE4ELNS1_11target_archE910ELNS1_3gpuE8ELNS1_3repE0EEENS1_30default_config_static_selectorELNS0_4arch9wavefront6targetE0EEEvST_.kd
    .uniform_work_group_size: 1
    .uses_dynamic_stack: false
    .vgpr_count:     0
    .vgpr_spill_count: 0
    .wavefront_size: 32
    .workgroup_processor_mode: 1
  - .args:
      - .offset:         0
        .size:           56
        .value_kind:     by_value
    .group_segment_fixed_size: 0
    .kernarg_segment_align: 8
    .kernarg_segment_size: 56
    .language:       OpenCL C
    .language_version:
      - 2
      - 0
    .max_flat_workgroup_size: 256
    .name:           _ZN7rocprim17ROCPRIM_400000_NS6detail17trampoline_kernelINS0_14default_configENS1_22reduce_config_selectorIiEEZNS1_11reduce_implILb1ES3_PiS7_iN6hipcub16HIPCUB_304000_NS6detail34convert_binary_result_type_wrapperINS9_3SumENS9_22TransformInputIteratorIbN2at6native12_GLOBAL__N_19NonZeroOpIN3c107complexIfEEEEPKSK_lEEiEEEE10hipError_tPvRmT1_T2_T3_mT4_P12ihipStream_tbEUlT_E0_NS1_11comp_targetILNS1_3genE3ELNS1_11target_archE908ELNS1_3gpuE7ELNS1_3repE0EEENS1_30default_config_static_selectorELNS0_4arch9wavefront6targetE0EEEvST_
    .private_segment_fixed_size: 0
    .sgpr_count:     0
    .sgpr_spill_count: 0
    .symbol:         _ZN7rocprim17ROCPRIM_400000_NS6detail17trampoline_kernelINS0_14default_configENS1_22reduce_config_selectorIiEEZNS1_11reduce_implILb1ES3_PiS7_iN6hipcub16HIPCUB_304000_NS6detail34convert_binary_result_type_wrapperINS9_3SumENS9_22TransformInputIteratorIbN2at6native12_GLOBAL__N_19NonZeroOpIN3c107complexIfEEEEPKSK_lEEiEEEE10hipError_tPvRmT1_T2_T3_mT4_P12ihipStream_tbEUlT_E0_NS1_11comp_targetILNS1_3genE3ELNS1_11target_archE908ELNS1_3gpuE7ELNS1_3repE0EEENS1_30default_config_static_selectorELNS0_4arch9wavefront6targetE0EEEvST_.kd
    .uniform_work_group_size: 1
    .uses_dynamic_stack: false
    .vgpr_count:     0
    .vgpr_spill_count: 0
    .wavefront_size: 32
    .workgroup_processor_mode: 1
  - .args:
      - .offset:         0
        .size:           56
        .value_kind:     by_value
    .group_segment_fixed_size: 0
    .kernarg_segment_align: 8
    .kernarg_segment_size: 56
    .language:       OpenCL C
    .language_version:
      - 2
      - 0
    .max_flat_workgroup_size: 256
    .name:           _ZN7rocprim17ROCPRIM_400000_NS6detail17trampoline_kernelINS0_14default_configENS1_22reduce_config_selectorIiEEZNS1_11reduce_implILb1ES3_PiS7_iN6hipcub16HIPCUB_304000_NS6detail34convert_binary_result_type_wrapperINS9_3SumENS9_22TransformInputIteratorIbN2at6native12_GLOBAL__N_19NonZeroOpIN3c107complexIfEEEEPKSK_lEEiEEEE10hipError_tPvRmT1_T2_T3_mT4_P12ihipStream_tbEUlT_E0_NS1_11comp_targetILNS1_3genE2ELNS1_11target_archE906ELNS1_3gpuE6ELNS1_3repE0EEENS1_30default_config_static_selectorELNS0_4arch9wavefront6targetE0EEEvST_
    .private_segment_fixed_size: 0
    .sgpr_count:     0
    .sgpr_spill_count: 0
    .symbol:         _ZN7rocprim17ROCPRIM_400000_NS6detail17trampoline_kernelINS0_14default_configENS1_22reduce_config_selectorIiEEZNS1_11reduce_implILb1ES3_PiS7_iN6hipcub16HIPCUB_304000_NS6detail34convert_binary_result_type_wrapperINS9_3SumENS9_22TransformInputIteratorIbN2at6native12_GLOBAL__N_19NonZeroOpIN3c107complexIfEEEEPKSK_lEEiEEEE10hipError_tPvRmT1_T2_T3_mT4_P12ihipStream_tbEUlT_E0_NS1_11comp_targetILNS1_3genE2ELNS1_11target_archE906ELNS1_3gpuE6ELNS1_3repE0EEENS1_30default_config_static_selectorELNS0_4arch9wavefront6targetE0EEEvST_.kd
    .uniform_work_group_size: 1
    .uses_dynamic_stack: false
    .vgpr_count:     0
    .vgpr_spill_count: 0
    .wavefront_size: 32
    .workgroup_processor_mode: 1
  - .args:
      - .offset:         0
        .size:           56
        .value_kind:     by_value
    .group_segment_fixed_size: 64
    .kernarg_segment_align: 8
    .kernarg_segment_size: 56
    .language:       OpenCL C
    .language_version:
      - 2
      - 0
    .max_flat_workgroup_size: 256
    .name:           _ZN7rocprim17ROCPRIM_400000_NS6detail17trampoline_kernelINS0_14default_configENS1_22reduce_config_selectorIiEEZNS1_11reduce_implILb1ES3_PiS7_iN6hipcub16HIPCUB_304000_NS6detail34convert_binary_result_type_wrapperINS9_3SumENS9_22TransformInputIteratorIbN2at6native12_GLOBAL__N_19NonZeroOpIN3c107complexIfEEEEPKSK_lEEiEEEE10hipError_tPvRmT1_T2_T3_mT4_P12ihipStream_tbEUlT_E0_NS1_11comp_targetILNS1_3genE10ELNS1_11target_archE1201ELNS1_3gpuE5ELNS1_3repE0EEENS1_30default_config_static_selectorELNS0_4arch9wavefront6targetE0EEEvST_
    .private_segment_fixed_size: 0
    .sgpr_count:     32
    .sgpr_spill_count: 0
    .symbol:         _ZN7rocprim17ROCPRIM_400000_NS6detail17trampoline_kernelINS0_14default_configENS1_22reduce_config_selectorIiEEZNS1_11reduce_implILb1ES3_PiS7_iN6hipcub16HIPCUB_304000_NS6detail34convert_binary_result_type_wrapperINS9_3SumENS9_22TransformInputIteratorIbN2at6native12_GLOBAL__N_19NonZeroOpIN3c107complexIfEEEEPKSK_lEEiEEEE10hipError_tPvRmT1_T2_T3_mT4_P12ihipStream_tbEUlT_E0_NS1_11comp_targetILNS1_3genE10ELNS1_11target_archE1201ELNS1_3gpuE5ELNS1_3repE0EEENS1_30default_config_static_selectorELNS0_4arch9wavefront6targetE0EEEvST_.kd
    .uniform_work_group_size: 1
    .uses_dynamic_stack: false
    .vgpr_count:     20
    .vgpr_spill_count: 0
    .wavefront_size: 32
    .workgroup_processor_mode: 1
  - .args:
      - .offset:         0
        .size:           56
        .value_kind:     by_value
    .group_segment_fixed_size: 0
    .kernarg_segment_align: 8
    .kernarg_segment_size: 56
    .language:       OpenCL C
    .language_version:
      - 2
      - 0
    .max_flat_workgroup_size: 256
    .name:           _ZN7rocprim17ROCPRIM_400000_NS6detail17trampoline_kernelINS0_14default_configENS1_22reduce_config_selectorIiEEZNS1_11reduce_implILb1ES3_PiS7_iN6hipcub16HIPCUB_304000_NS6detail34convert_binary_result_type_wrapperINS9_3SumENS9_22TransformInputIteratorIbN2at6native12_GLOBAL__N_19NonZeroOpIN3c107complexIfEEEEPKSK_lEEiEEEE10hipError_tPvRmT1_T2_T3_mT4_P12ihipStream_tbEUlT_E0_NS1_11comp_targetILNS1_3genE10ELNS1_11target_archE1200ELNS1_3gpuE4ELNS1_3repE0EEENS1_30default_config_static_selectorELNS0_4arch9wavefront6targetE0EEEvST_
    .private_segment_fixed_size: 0
    .sgpr_count:     0
    .sgpr_spill_count: 0
    .symbol:         _ZN7rocprim17ROCPRIM_400000_NS6detail17trampoline_kernelINS0_14default_configENS1_22reduce_config_selectorIiEEZNS1_11reduce_implILb1ES3_PiS7_iN6hipcub16HIPCUB_304000_NS6detail34convert_binary_result_type_wrapperINS9_3SumENS9_22TransformInputIteratorIbN2at6native12_GLOBAL__N_19NonZeroOpIN3c107complexIfEEEEPKSK_lEEiEEEE10hipError_tPvRmT1_T2_T3_mT4_P12ihipStream_tbEUlT_E0_NS1_11comp_targetILNS1_3genE10ELNS1_11target_archE1200ELNS1_3gpuE4ELNS1_3repE0EEENS1_30default_config_static_selectorELNS0_4arch9wavefront6targetE0EEEvST_.kd
    .uniform_work_group_size: 1
    .uses_dynamic_stack: false
    .vgpr_count:     0
    .vgpr_spill_count: 0
    .wavefront_size: 32
    .workgroup_processor_mode: 1
  - .args:
      - .offset:         0
        .size:           56
        .value_kind:     by_value
    .group_segment_fixed_size: 0
    .kernarg_segment_align: 8
    .kernarg_segment_size: 56
    .language:       OpenCL C
    .language_version:
      - 2
      - 0
    .max_flat_workgroup_size: 256
    .name:           _ZN7rocprim17ROCPRIM_400000_NS6detail17trampoline_kernelINS0_14default_configENS1_22reduce_config_selectorIiEEZNS1_11reduce_implILb1ES3_PiS7_iN6hipcub16HIPCUB_304000_NS6detail34convert_binary_result_type_wrapperINS9_3SumENS9_22TransformInputIteratorIbN2at6native12_GLOBAL__N_19NonZeroOpIN3c107complexIfEEEEPKSK_lEEiEEEE10hipError_tPvRmT1_T2_T3_mT4_P12ihipStream_tbEUlT_E0_NS1_11comp_targetILNS1_3genE9ELNS1_11target_archE1100ELNS1_3gpuE3ELNS1_3repE0EEENS1_30default_config_static_selectorELNS0_4arch9wavefront6targetE0EEEvST_
    .private_segment_fixed_size: 0
    .sgpr_count:     0
    .sgpr_spill_count: 0
    .symbol:         _ZN7rocprim17ROCPRIM_400000_NS6detail17trampoline_kernelINS0_14default_configENS1_22reduce_config_selectorIiEEZNS1_11reduce_implILb1ES3_PiS7_iN6hipcub16HIPCUB_304000_NS6detail34convert_binary_result_type_wrapperINS9_3SumENS9_22TransformInputIteratorIbN2at6native12_GLOBAL__N_19NonZeroOpIN3c107complexIfEEEEPKSK_lEEiEEEE10hipError_tPvRmT1_T2_T3_mT4_P12ihipStream_tbEUlT_E0_NS1_11comp_targetILNS1_3genE9ELNS1_11target_archE1100ELNS1_3gpuE3ELNS1_3repE0EEENS1_30default_config_static_selectorELNS0_4arch9wavefront6targetE0EEEvST_.kd
    .uniform_work_group_size: 1
    .uses_dynamic_stack: false
    .vgpr_count:     0
    .vgpr_spill_count: 0
    .wavefront_size: 32
    .workgroup_processor_mode: 1
  - .args:
      - .offset:         0
        .size:           56
        .value_kind:     by_value
    .group_segment_fixed_size: 0
    .kernarg_segment_align: 8
    .kernarg_segment_size: 56
    .language:       OpenCL C
    .language_version:
      - 2
      - 0
    .max_flat_workgroup_size: 256
    .name:           _ZN7rocprim17ROCPRIM_400000_NS6detail17trampoline_kernelINS0_14default_configENS1_22reduce_config_selectorIiEEZNS1_11reduce_implILb1ES3_PiS7_iN6hipcub16HIPCUB_304000_NS6detail34convert_binary_result_type_wrapperINS9_3SumENS9_22TransformInputIteratorIbN2at6native12_GLOBAL__N_19NonZeroOpIN3c107complexIfEEEEPKSK_lEEiEEEE10hipError_tPvRmT1_T2_T3_mT4_P12ihipStream_tbEUlT_E0_NS1_11comp_targetILNS1_3genE8ELNS1_11target_archE1030ELNS1_3gpuE2ELNS1_3repE0EEENS1_30default_config_static_selectorELNS0_4arch9wavefront6targetE0EEEvST_
    .private_segment_fixed_size: 0
    .sgpr_count:     0
    .sgpr_spill_count: 0
    .symbol:         _ZN7rocprim17ROCPRIM_400000_NS6detail17trampoline_kernelINS0_14default_configENS1_22reduce_config_selectorIiEEZNS1_11reduce_implILb1ES3_PiS7_iN6hipcub16HIPCUB_304000_NS6detail34convert_binary_result_type_wrapperINS9_3SumENS9_22TransformInputIteratorIbN2at6native12_GLOBAL__N_19NonZeroOpIN3c107complexIfEEEEPKSK_lEEiEEEE10hipError_tPvRmT1_T2_T3_mT4_P12ihipStream_tbEUlT_E0_NS1_11comp_targetILNS1_3genE8ELNS1_11target_archE1030ELNS1_3gpuE2ELNS1_3repE0EEENS1_30default_config_static_selectorELNS0_4arch9wavefront6targetE0EEEvST_.kd
    .uniform_work_group_size: 1
    .uses_dynamic_stack: false
    .vgpr_count:     0
    .vgpr_spill_count: 0
    .wavefront_size: 32
    .workgroup_processor_mode: 1
  - .args:
      - .offset:         0
        .size:           40
        .value_kind:     by_value
    .group_segment_fixed_size: 0
    .kernarg_segment_align: 8
    .kernarg_segment_size: 40
    .language:       OpenCL C
    .language_version:
      - 2
      - 0
    .max_flat_workgroup_size: 256
    .name:           _ZN7rocprim17ROCPRIM_400000_NS6detail17trampoline_kernelINS0_14default_configENS1_22reduce_config_selectorIiEEZNS1_11reduce_implILb1ES3_PiS7_iN6hipcub16HIPCUB_304000_NS6detail34convert_binary_result_type_wrapperINS9_3SumENS9_22TransformInputIteratorIbN2at6native12_GLOBAL__N_19NonZeroOpIN3c107complexIfEEEEPKSK_lEEiEEEE10hipError_tPvRmT1_T2_T3_mT4_P12ihipStream_tbEUlT_E1_NS1_11comp_targetILNS1_3genE0ELNS1_11target_archE4294967295ELNS1_3gpuE0ELNS1_3repE0EEENS1_30default_config_static_selectorELNS0_4arch9wavefront6targetE0EEEvST_
    .private_segment_fixed_size: 0
    .sgpr_count:     0
    .sgpr_spill_count: 0
    .symbol:         _ZN7rocprim17ROCPRIM_400000_NS6detail17trampoline_kernelINS0_14default_configENS1_22reduce_config_selectorIiEEZNS1_11reduce_implILb1ES3_PiS7_iN6hipcub16HIPCUB_304000_NS6detail34convert_binary_result_type_wrapperINS9_3SumENS9_22TransformInputIteratorIbN2at6native12_GLOBAL__N_19NonZeroOpIN3c107complexIfEEEEPKSK_lEEiEEEE10hipError_tPvRmT1_T2_T3_mT4_P12ihipStream_tbEUlT_E1_NS1_11comp_targetILNS1_3genE0ELNS1_11target_archE4294967295ELNS1_3gpuE0ELNS1_3repE0EEENS1_30default_config_static_selectorELNS0_4arch9wavefront6targetE0EEEvST_.kd
    .uniform_work_group_size: 1
    .uses_dynamic_stack: false
    .vgpr_count:     0
    .vgpr_spill_count: 0
    .wavefront_size: 32
    .workgroup_processor_mode: 1
  - .args:
      - .offset:         0
        .size:           40
        .value_kind:     by_value
    .group_segment_fixed_size: 0
    .kernarg_segment_align: 8
    .kernarg_segment_size: 40
    .language:       OpenCL C
    .language_version:
      - 2
      - 0
    .max_flat_workgroup_size: 256
    .name:           _ZN7rocprim17ROCPRIM_400000_NS6detail17trampoline_kernelINS0_14default_configENS1_22reduce_config_selectorIiEEZNS1_11reduce_implILb1ES3_PiS7_iN6hipcub16HIPCUB_304000_NS6detail34convert_binary_result_type_wrapperINS9_3SumENS9_22TransformInputIteratorIbN2at6native12_GLOBAL__N_19NonZeroOpIN3c107complexIfEEEEPKSK_lEEiEEEE10hipError_tPvRmT1_T2_T3_mT4_P12ihipStream_tbEUlT_E1_NS1_11comp_targetILNS1_3genE5ELNS1_11target_archE942ELNS1_3gpuE9ELNS1_3repE0EEENS1_30default_config_static_selectorELNS0_4arch9wavefront6targetE0EEEvST_
    .private_segment_fixed_size: 0
    .sgpr_count:     0
    .sgpr_spill_count: 0
    .symbol:         _ZN7rocprim17ROCPRIM_400000_NS6detail17trampoline_kernelINS0_14default_configENS1_22reduce_config_selectorIiEEZNS1_11reduce_implILb1ES3_PiS7_iN6hipcub16HIPCUB_304000_NS6detail34convert_binary_result_type_wrapperINS9_3SumENS9_22TransformInputIteratorIbN2at6native12_GLOBAL__N_19NonZeroOpIN3c107complexIfEEEEPKSK_lEEiEEEE10hipError_tPvRmT1_T2_T3_mT4_P12ihipStream_tbEUlT_E1_NS1_11comp_targetILNS1_3genE5ELNS1_11target_archE942ELNS1_3gpuE9ELNS1_3repE0EEENS1_30default_config_static_selectorELNS0_4arch9wavefront6targetE0EEEvST_.kd
    .uniform_work_group_size: 1
    .uses_dynamic_stack: false
    .vgpr_count:     0
    .vgpr_spill_count: 0
    .wavefront_size: 32
    .workgroup_processor_mode: 1
  - .args:
      - .offset:         0
        .size:           40
        .value_kind:     by_value
    .group_segment_fixed_size: 0
    .kernarg_segment_align: 8
    .kernarg_segment_size: 40
    .language:       OpenCL C
    .language_version:
      - 2
      - 0
    .max_flat_workgroup_size: 128
    .name:           _ZN7rocprim17ROCPRIM_400000_NS6detail17trampoline_kernelINS0_14default_configENS1_22reduce_config_selectorIiEEZNS1_11reduce_implILb1ES3_PiS7_iN6hipcub16HIPCUB_304000_NS6detail34convert_binary_result_type_wrapperINS9_3SumENS9_22TransformInputIteratorIbN2at6native12_GLOBAL__N_19NonZeroOpIN3c107complexIfEEEEPKSK_lEEiEEEE10hipError_tPvRmT1_T2_T3_mT4_P12ihipStream_tbEUlT_E1_NS1_11comp_targetILNS1_3genE4ELNS1_11target_archE910ELNS1_3gpuE8ELNS1_3repE0EEENS1_30default_config_static_selectorELNS0_4arch9wavefront6targetE0EEEvST_
    .private_segment_fixed_size: 0
    .sgpr_count:     0
    .sgpr_spill_count: 0
    .symbol:         _ZN7rocprim17ROCPRIM_400000_NS6detail17trampoline_kernelINS0_14default_configENS1_22reduce_config_selectorIiEEZNS1_11reduce_implILb1ES3_PiS7_iN6hipcub16HIPCUB_304000_NS6detail34convert_binary_result_type_wrapperINS9_3SumENS9_22TransformInputIteratorIbN2at6native12_GLOBAL__N_19NonZeroOpIN3c107complexIfEEEEPKSK_lEEiEEEE10hipError_tPvRmT1_T2_T3_mT4_P12ihipStream_tbEUlT_E1_NS1_11comp_targetILNS1_3genE4ELNS1_11target_archE910ELNS1_3gpuE8ELNS1_3repE0EEENS1_30default_config_static_selectorELNS0_4arch9wavefront6targetE0EEEvST_.kd
    .uniform_work_group_size: 1
    .uses_dynamic_stack: false
    .vgpr_count:     0
    .vgpr_spill_count: 0
    .wavefront_size: 32
    .workgroup_processor_mode: 1
  - .args:
      - .offset:         0
        .size:           40
        .value_kind:     by_value
    .group_segment_fixed_size: 0
    .kernarg_segment_align: 8
    .kernarg_segment_size: 40
    .language:       OpenCL C
    .language_version:
      - 2
      - 0
    .max_flat_workgroup_size: 256
    .name:           _ZN7rocprim17ROCPRIM_400000_NS6detail17trampoline_kernelINS0_14default_configENS1_22reduce_config_selectorIiEEZNS1_11reduce_implILb1ES3_PiS7_iN6hipcub16HIPCUB_304000_NS6detail34convert_binary_result_type_wrapperINS9_3SumENS9_22TransformInputIteratorIbN2at6native12_GLOBAL__N_19NonZeroOpIN3c107complexIfEEEEPKSK_lEEiEEEE10hipError_tPvRmT1_T2_T3_mT4_P12ihipStream_tbEUlT_E1_NS1_11comp_targetILNS1_3genE3ELNS1_11target_archE908ELNS1_3gpuE7ELNS1_3repE0EEENS1_30default_config_static_selectorELNS0_4arch9wavefront6targetE0EEEvST_
    .private_segment_fixed_size: 0
    .sgpr_count:     0
    .sgpr_spill_count: 0
    .symbol:         _ZN7rocprim17ROCPRIM_400000_NS6detail17trampoline_kernelINS0_14default_configENS1_22reduce_config_selectorIiEEZNS1_11reduce_implILb1ES3_PiS7_iN6hipcub16HIPCUB_304000_NS6detail34convert_binary_result_type_wrapperINS9_3SumENS9_22TransformInputIteratorIbN2at6native12_GLOBAL__N_19NonZeroOpIN3c107complexIfEEEEPKSK_lEEiEEEE10hipError_tPvRmT1_T2_T3_mT4_P12ihipStream_tbEUlT_E1_NS1_11comp_targetILNS1_3genE3ELNS1_11target_archE908ELNS1_3gpuE7ELNS1_3repE0EEENS1_30default_config_static_selectorELNS0_4arch9wavefront6targetE0EEEvST_.kd
    .uniform_work_group_size: 1
    .uses_dynamic_stack: false
    .vgpr_count:     0
    .vgpr_spill_count: 0
    .wavefront_size: 32
    .workgroup_processor_mode: 1
  - .args:
      - .offset:         0
        .size:           40
        .value_kind:     by_value
    .group_segment_fixed_size: 0
    .kernarg_segment_align: 8
    .kernarg_segment_size: 40
    .language:       OpenCL C
    .language_version:
      - 2
      - 0
    .max_flat_workgroup_size: 256
    .name:           _ZN7rocprim17ROCPRIM_400000_NS6detail17trampoline_kernelINS0_14default_configENS1_22reduce_config_selectorIiEEZNS1_11reduce_implILb1ES3_PiS7_iN6hipcub16HIPCUB_304000_NS6detail34convert_binary_result_type_wrapperINS9_3SumENS9_22TransformInputIteratorIbN2at6native12_GLOBAL__N_19NonZeroOpIN3c107complexIfEEEEPKSK_lEEiEEEE10hipError_tPvRmT1_T2_T3_mT4_P12ihipStream_tbEUlT_E1_NS1_11comp_targetILNS1_3genE2ELNS1_11target_archE906ELNS1_3gpuE6ELNS1_3repE0EEENS1_30default_config_static_selectorELNS0_4arch9wavefront6targetE0EEEvST_
    .private_segment_fixed_size: 0
    .sgpr_count:     0
    .sgpr_spill_count: 0
    .symbol:         _ZN7rocprim17ROCPRIM_400000_NS6detail17trampoline_kernelINS0_14default_configENS1_22reduce_config_selectorIiEEZNS1_11reduce_implILb1ES3_PiS7_iN6hipcub16HIPCUB_304000_NS6detail34convert_binary_result_type_wrapperINS9_3SumENS9_22TransformInputIteratorIbN2at6native12_GLOBAL__N_19NonZeroOpIN3c107complexIfEEEEPKSK_lEEiEEEE10hipError_tPvRmT1_T2_T3_mT4_P12ihipStream_tbEUlT_E1_NS1_11comp_targetILNS1_3genE2ELNS1_11target_archE906ELNS1_3gpuE6ELNS1_3repE0EEENS1_30default_config_static_selectorELNS0_4arch9wavefront6targetE0EEEvST_.kd
    .uniform_work_group_size: 1
    .uses_dynamic_stack: false
    .vgpr_count:     0
    .vgpr_spill_count: 0
    .wavefront_size: 32
    .workgroup_processor_mode: 1
  - .args:
      - .offset:         0
        .size:           40
        .value_kind:     by_value
    .group_segment_fixed_size: 224
    .kernarg_segment_align: 8
    .kernarg_segment_size: 40
    .language:       OpenCL C
    .language_version:
      - 2
      - 0
    .max_flat_workgroup_size: 256
    .name:           _ZN7rocprim17ROCPRIM_400000_NS6detail17trampoline_kernelINS0_14default_configENS1_22reduce_config_selectorIiEEZNS1_11reduce_implILb1ES3_PiS7_iN6hipcub16HIPCUB_304000_NS6detail34convert_binary_result_type_wrapperINS9_3SumENS9_22TransformInputIteratorIbN2at6native12_GLOBAL__N_19NonZeroOpIN3c107complexIfEEEEPKSK_lEEiEEEE10hipError_tPvRmT1_T2_T3_mT4_P12ihipStream_tbEUlT_E1_NS1_11comp_targetILNS1_3genE10ELNS1_11target_archE1201ELNS1_3gpuE5ELNS1_3repE0EEENS1_30default_config_static_selectorELNS0_4arch9wavefront6targetE0EEEvST_
    .private_segment_fixed_size: 0
    .sgpr_count:     47
    .sgpr_spill_count: 0
    .symbol:         _ZN7rocprim17ROCPRIM_400000_NS6detail17trampoline_kernelINS0_14default_configENS1_22reduce_config_selectorIiEEZNS1_11reduce_implILb1ES3_PiS7_iN6hipcub16HIPCUB_304000_NS6detail34convert_binary_result_type_wrapperINS9_3SumENS9_22TransformInputIteratorIbN2at6native12_GLOBAL__N_19NonZeroOpIN3c107complexIfEEEEPKSK_lEEiEEEE10hipError_tPvRmT1_T2_T3_mT4_P12ihipStream_tbEUlT_E1_NS1_11comp_targetILNS1_3genE10ELNS1_11target_archE1201ELNS1_3gpuE5ELNS1_3repE0EEENS1_30default_config_static_selectorELNS0_4arch9wavefront6targetE0EEEvST_.kd
    .uniform_work_group_size: 1
    .uses_dynamic_stack: false
    .vgpr_count:     34
    .vgpr_spill_count: 0
    .wavefront_size: 32
    .workgroup_processor_mode: 1
  - .args:
      - .offset:         0
        .size:           40
        .value_kind:     by_value
    .group_segment_fixed_size: 0
    .kernarg_segment_align: 8
    .kernarg_segment_size: 40
    .language:       OpenCL C
    .language_version:
      - 2
      - 0
    .max_flat_workgroup_size: 256
    .name:           _ZN7rocprim17ROCPRIM_400000_NS6detail17trampoline_kernelINS0_14default_configENS1_22reduce_config_selectorIiEEZNS1_11reduce_implILb1ES3_PiS7_iN6hipcub16HIPCUB_304000_NS6detail34convert_binary_result_type_wrapperINS9_3SumENS9_22TransformInputIteratorIbN2at6native12_GLOBAL__N_19NonZeroOpIN3c107complexIfEEEEPKSK_lEEiEEEE10hipError_tPvRmT1_T2_T3_mT4_P12ihipStream_tbEUlT_E1_NS1_11comp_targetILNS1_3genE10ELNS1_11target_archE1200ELNS1_3gpuE4ELNS1_3repE0EEENS1_30default_config_static_selectorELNS0_4arch9wavefront6targetE0EEEvST_
    .private_segment_fixed_size: 0
    .sgpr_count:     0
    .sgpr_spill_count: 0
    .symbol:         _ZN7rocprim17ROCPRIM_400000_NS6detail17trampoline_kernelINS0_14default_configENS1_22reduce_config_selectorIiEEZNS1_11reduce_implILb1ES3_PiS7_iN6hipcub16HIPCUB_304000_NS6detail34convert_binary_result_type_wrapperINS9_3SumENS9_22TransformInputIteratorIbN2at6native12_GLOBAL__N_19NonZeroOpIN3c107complexIfEEEEPKSK_lEEiEEEE10hipError_tPvRmT1_T2_T3_mT4_P12ihipStream_tbEUlT_E1_NS1_11comp_targetILNS1_3genE10ELNS1_11target_archE1200ELNS1_3gpuE4ELNS1_3repE0EEENS1_30default_config_static_selectorELNS0_4arch9wavefront6targetE0EEEvST_.kd
    .uniform_work_group_size: 1
    .uses_dynamic_stack: false
    .vgpr_count:     0
    .vgpr_spill_count: 0
    .wavefront_size: 32
    .workgroup_processor_mode: 1
  - .args:
      - .offset:         0
        .size:           40
        .value_kind:     by_value
    .group_segment_fixed_size: 0
    .kernarg_segment_align: 8
    .kernarg_segment_size: 40
    .language:       OpenCL C
    .language_version:
      - 2
      - 0
    .max_flat_workgroup_size: 256
    .name:           _ZN7rocprim17ROCPRIM_400000_NS6detail17trampoline_kernelINS0_14default_configENS1_22reduce_config_selectorIiEEZNS1_11reduce_implILb1ES3_PiS7_iN6hipcub16HIPCUB_304000_NS6detail34convert_binary_result_type_wrapperINS9_3SumENS9_22TransformInputIteratorIbN2at6native12_GLOBAL__N_19NonZeroOpIN3c107complexIfEEEEPKSK_lEEiEEEE10hipError_tPvRmT1_T2_T3_mT4_P12ihipStream_tbEUlT_E1_NS1_11comp_targetILNS1_3genE9ELNS1_11target_archE1100ELNS1_3gpuE3ELNS1_3repE0EEENS1_30default_config_static_selectorELNS0_4arch9wavefront6targetE0EEEvST_
    .private_segment_fixed_size: 0
    .sgpr_count:     0
    .sgpr_spill_count: 0
    .symbol:         _ZN7rocprim17ROCPRIM_400000_NS6detail17trampoline_kernelINS0_14default_configENS1_22reduce_config_selectorIiEEZNS1_11reduce_implILb1ES3_PiS7_iN6hipcub16HIPCUB_304000_NS6detail34convert_binary_result_type_wrapperINS9_3SumENS9_22TransformInputIteratorIbN2at6native12_GLOBAL__N_19NonZeroOpIN3c107complexIfEEEEPKSK_lEEiEEEE10hipError_tPvRmT1_T2_T3_mT4_P12ihipStream_tbEUlT_E1_NS1_11comp_targetILNS1_3genE9ELNS1_11target_archE1100ELNS1_3gpuE3ELNS1_3repE0EEENS1_30default_config_static_selectorELNS0_4arch9wavefront6targetE0EEEvST_.kd
    .uniform_work_group_size: 1
    .uses_dynamic_stack: false
    .vgpr_count:     0
    .vgpr_spill_count: 0
    .wavefront_size: 32
    .workgroup_processor_mode: 1
  - .args:
      - .offset:         0
        .size:           40
        .value_kind:     by_value
    .group_segment_fixed_size: 0
    .kernarg_segment_align: 8
    .kernarg_segment_size: 40
    .language:       OpenCL C
    .language_version:
      - 2
      - 0
    .max_flat_workgroup_size: 256
    .name:           _ZN7rocprim17ROCPRIM_400000_NS6detail17trampoline_kernelINS0_14default_configENS1_22reduce_config_selectorIiEEZNS1_11reduce_implILb1ES3_PiS7_iN6hipcub16HIPCUB_304000_NS6detail34convert_binary_result_type_wrapperINS9_3SumENS9_22TransformInputIteratorIbN2at6native12_GLOBAL__N_19NonZeroOpIN3c107complexIfEEEEPKSK_lEEiEEEE10hipError_tPvRmT1_T2_T3_mT4_P12ihipStream_tbEUlT_E1_NS1_11comp_targetILNS1_3genE8ELNS1_11target_archE1030ELNS1_3gpuE2ELNS1_3repE0EEENS1_30default_config_static_selectorELNS0_4arch9wavefront6targetE0EEEvST_
    .private_segment_fixed_size: 0
    .sgpr_count:     0
    .sgpr_spill_count: 0
    .symbol:         _ZN7rocprim17ROCPRIM_400000_NS6detail17trampoline_kernelINS0_14default_configENS1_22reduce_config_selectorIiEEZNS1_11reduce_implILb1ES3_PiS7_iN6hipcub16HIPCUB_304000_NS6detail34convert_binary_result_type_wrapperINS9_3SumENS9_22TransformInputIteratorIbN2at6native12_GLOBAL__N_19NonZeroOpIN3c107complexIfEEEEPKSK_lEEiEEEE10hipError_tPvRmT1_T2_T3_mT4_P12ihipStream_tbEUlT_E1_NS1_11comp_targetILNS1_3genE8ELNS1_11target_archE1030ELNS1_3gpuE2ELNS1_3repE0EEENS1_30default_config_static_selectorELNS0_4arch9wavefront6targetE0EEEvST_.kd
    .uniform_work_group_size: 1
    .uses_dynamic_stack: false
    .vgpr_count:     0
    .vgpr_spill_count: 0
    .wavefront_size: 32
    .workgroup_processor_mode: 1
  - .args:
      - .offset:         0
        .size:           64
        .value_kind:     by_value
    .group_segment_fixed_size: 0
    .kernarg_segment_align: 8
    .kernarg_segment_size: 64
    .language:       OpenCL C
    .language_version:
      - 2
      - 0
    .max_flat_workgroup_size: 256
    .name:           _ZN7rocprim17ROCPRIM_400000_NS6detail17trampoline_kernelINS0_14default_configENS1_22reduce_config_selectorIbEEZNS1_11reduce_implILb1ES3_N6hipcub16HIPCUB_304000_NS22TransformInputIteratorIbN2at6native12_GLOBAL__N_19NonZeroOpIN3c107complexIfEEEEPKSG_lEEPiiNS8_6detail34convert_binary_result_type_wrapperINS8_3SumESK_iEEEE10hipError_tPvRmT1_T2_T3_mT4_P12ihipStream_tbEUlT_E0_NS1_11comp_targetILNS1_3genE0ELNS1_11target_archE4294967295ELNS1_3gpuE0ELNS1_3repE0EEENS1_30default_config_static_selectorELNS0_4arch9wavefront6targetE0EEEvST_
    .private_segment_fixed_size: 0
    .sgpr_count:     0
    .sgpr_spill_count: 0
    .symbol:         _ZN7rocprim17ROCPRIM_400000_NS6detail17trampoline_kernelINS0_14default_configENS1_22reduce_config_selectorIbEEZNS1_11reduce_implILb1ES3_N6hipcub16HIPCUB_304000_NS22TransformInputIteratorIbN2at6native12_GLOBAL__N_19NonZeroOpIN3c107complexIfEEEEPKSG_lEEPiiNS8_6detail34convert_binary_result_type_wrapperINS8_3SumESK_iEEEE10hipError_tPvRmT1_T2_T3_mT4_P12ihipStream_tbEUlT_E0_NS1_11comp_targetILNS1_3genE0ELNS1_11target_archE4294967295ELNS1_3gpuE0ELNS1_3repE0EEENS1_30default_config_static_selectorELNS0_4arch9wavefront6targetE0EEEvST_.kd
    .uniform_work_group_size: 1
    .uses_dynamic_stack: false
    .vgpr_count:     0
    .vgpr_spill_count: 0
    .wavefront_size: 32
    .workgroup_processor_mode: 1
  - .args:
      - .offset:         0
        .size:           64
        .value_kind:     by_value
    .group_segment_fixed_size: 0
    .kernarg_segment_align: 8
    .kernarg_segment_size: 64
    .language:       OpenCL C
    .language_version:
      - 2
      - 0
    .max_flat_workgroup_size: 256
    .name:           _ZN7rocprim17ROCPRIM_400000_NS6detail17trampoline_kernelINS0_14default_configENS1_22reduce_config_selectorIbEEZNS1_11reduce_implILb1ES3_N6hipcub16HIPCUB_304000_NS22TransformInputIteratorIbN2at6native12_GLOBAL__N_19NonZeroOpIN3c107complexIfEEEEPKSG_lEEPiiNS8_6detail34convert_binary_result_type_wrapperINS8_3SumESK_iEEEE10hipError_tPvRmT1_T2_T3_mT4_P12ihipStream_tbEUlT_E0_NS1_11comp_targetILNS1_3genE5ELNS1_11target_archE942ELNS1_3gpuE9ELNS1_3repE0EEENS1_30default_config_static_selectorELNS0_4arch9wavefront6targetE0EEEvST_
    .private_segment_fixed_size: 0
    .sgpr_count:     0
    .sgpr_spill_count: 0
    .symbol:         _ZN7rocprim17ROCPRIM_400000_NS6detail17trampoline_kernelINS0_14default_configENS1_22reduce_config_selectorIbEEZNS1_11reduce_implILb1ES3_N6hipcub16HIPCUB_304000_NS22TransformInputIteratorIbN2at6native12_GLOBAL__N_19NonZeroOpIN3c107complexIfEEEEPKSG_lEEPiiNS8_6detail34convert_binary_result_type_wrapperINS8_3SumESK_iEEEE10hipError_tPvRmT1_T2_T3_mT4_P12ihipStream_tbEUlT_E0_NS1_11comp_targetILNS1_3genE5ELNS1_11target_archE942ELNS1_3gpuE9ELNS1_3repE0EEENS1_30default_config_static_selectorELNS0_4arch9wavefront6targetE0EEEvST_.kd
    .uniform_work_group_size: 1
    .uses_dynamic_stack: false
    .vgpr_count:     0
    .vgpr_spill_count: 0
    .wavefront_size: 32
    .workgroup_processor_mode: 1
  - .args:
      - .offset:         0
        .size:           64
        .value_kind:     by_value
    .group_segment_fixed_size: 0
    .kernarg_segment_align: 8
    .kernarg_segment_size: 64
    .language:       OpenCL C
    .language_version:
      - 2
      - 0
    .max_flat_workgroup_size: 128
    .name:           _ZN7rocprim17ROCPRIM_400000_NS6detail17trampoline_kernelINS0_14default_configENS1_22reduce_config_selectorIbEEZNS1_11reduce_implILb1ES3_N6hipcub16HIPCUB_304000_NS22TransformInputIteratorIbN2at6native12_GLOBAL__N_19NonZeroOpIN3c107complexIfEEEEPKSG_lEEPiiNS8_6detail34convert_binary_result_type_wrapperINS8_3SumESK_iEEEE10hipError_tPvRmT1_T2_T3_mT4_P12ihipStream_tbEUlT_E0_NS1_11comp_targetILNS1_3genE4ELNS1_11target_archE910ELNS1_3gpuE8ELNS1_3repE0EEENS1_30default_config_static_selectorELNS0_4arch9wavefront6targetE0EEEvST_
    .private_segment_fixed_size: 0
    .sgpr_count:     0
    .sgpr_spill_count: 0
    .symbol:         _ZN7rocprim17ROCPRIM_400000_NS6detail17trampoline_kernelINS0_14default_configENS1_22reduce_config_selectorIbEEZNS1_11reduce_implILb1ES3_N6hipcub16HIPCUB_304000_NS22TransformInputIteratorIbN2at6native12_GLOBAL__N_19NonZeroOpIN3c107complexIfEEEEPKSG_lEEPiiNS8_6detail34convert_binary_result_type_wrapperINS8_3SumESK_iEEEE10hipError_tPvRmT1_T2_T3_mT4_P12ihipStream_tbEUlT_E0_NS1_11comp_targetILNS1_3genE4ELNS1_11target_archE910ELNS1_3gpuE8ELNS1_3repE0EEENS1_30default_config_static_selectorELNS0_4arch9wavefront6targetE0EEEvST_.kd
    .uniform_work_group_size: 1
    .uses_dynamic_stack: false
    .vgpr_count:     0
    .vgpr_spill_count: 0
    .wavefront_size: 32
    .workgroup_processor_mode: 1
  - .args:
      - .offset:         0
        .size:           64
        .value_kind:     by_value
    .group_segment_fixed_size: 0
    .kernarg_segment_align: 8
    .kernarg_segment_size: 64
    .language:       OpenCL C
    .language_version:
      - 2
      - 0
    .max_flat_workgroup_size: 256
    .name:           _ZN7rocprim17ROCPRIM_400000_NS6detail17trampoline_kernelINS0_14default_configENS1_22reduce_config_selectorIbEEZNS1_11reduce_implILb1ES3_N6hipcub16HIPCUB_304000_NS22TransformInputIteratorIbN2at6native12_GLOBAL__N_19NonZeroOpIN3c107complexIfEEEEPKSG_lEEPiiNS8_6detail34convert_binary_result_type_wrapperINS8_3SumESK_iEEEE10hipError_tPvRmT1_T2_T3_mT4_P12ihipStream_tbEUlT_E0_NS1_11comp_targetILNS1_3genE3ELNS1_11target_archE908ELNS1_3gpuE7ELNS1_3repE0EEENS1_30default_config_static_selectorELNS0_4arch9wavefront6targetE0EEEvST_
    .private_segment_fixed_size: 0
    .sgpr_count:     0
    .sgpr_spill_count: 0
    .symbol:         _ZN7rocprim17ROCPRIM_400000_NS6detail17trampoline_kernelINS0_14default_configENS1_22reduce_config_selectorIbEEZNS1_11reduce_implILb1ES3_N6hipcub16HIPCUB_304000_NS22TransformInputIteratorIbN2at6native12_GLOBAL__N_19NonZeroOpIN3c107complexIfEEEEPKSG_lEEPiiNS8_6detail34convert_binary_result_type_wrapperINS8_3SumESK_iEEEE10hipError_tPvRmT1_T2_T3_mT4_P12ihipStream_tbEUlT_E0_NS1_11comp_targetILNS1_3genE3ELNS1_11target_archE908ELNS1_3gpuE7ELNS1_3repE0EEENS1_30default_config_static_selectorELNS0_4arch9wavefront6targetE0EEEvST_.kd
    .uniform_work_group_size: 1
    .uses_dynamic_stack: false
    .vgpr_count:     0
    .vgpr_spill_count: 0
    .wavefront_size: 32
    .workgroup_processor_mode: 1
  - .args:
      - .offset:         0
        .size:           64
        .value_kind:     by_value
    .group_segment_fixed_size: 0
    .kernarg_segment_align: 8
    .kernarg_segment_size: 64
    .language:       OpenCL C
    .language_version:
      - 2
      - 0
    .max_flat_workgroup_size: 128
    .name:           _ZN7rocprim17ROCPRIM_400000_NS6detail17trampoline_kernelINS0_14default_configENS1_22reduce_config_selectorIbEEZNS1_11reduce_implILb1ES3_N6hipcub16HIPCUB_304000_NS22TransformInputIteratorIbN2at6native12_GLOBAL__N_19NonZeroOpIN3c107complexIfEEEEPKSG_lEEPiiNS8_6detail34convert_binary_result_type_wrapperINS8_3SumESK_iEEEE10hipError_tPvRmT1_T2_T3_mT4_P12ihipStream_tbEUlT_E0_NS1_11comp_targetILNS1_3genE2ELNS1_11target_archE906ELNS1_3gpuE6ELNS1_3repE0EEENS1_30default_config_static_selectorELNS0_4arch9wavefront6targetE0EEEvST_
    .private_segment_fixed_size: 0
    .sgpr_count:     0
    .sgpr_spill_count: 0
    .symbol:         _ZN7rocprim17ROCPRIM_400000_NS6detail17trampoline_kernelINS0_14default_configENS1_22reduce_config_selectorIbEEZNS1_11reduce_implILb1ES3_N6hipcub16HIPCUB_304000_NS22TransformInputIteratorIbN2at6native12_GLOBAL__N_19NonZeroOpIN3c107complexIfEEEEPKSG_lEEPiiNS8_6detail34convert_binary_result_type_wrapperINS8_3SumESK_iEEEE10hipError_tPvRmT1_T2_T3_mT4_P12ihipStream_tbEUlT_E0_NS1_11comp_targetILNS1_3genE2ELNS1_11target_archE906ELNS1_3gpuE6ELNS1_3repE0EEENS1_30default_config_static_selectorELNS0_4arch9wavefront6targetE0EEEvST_.kd
    .uniform_work_group_size: 1
    .uses_dynamic_stack: false
    .vgpr_count:     0
    .vgpr_spill_count: 0
    .wavefront_size: 32
    .workgroup_processor_mode: 1
  - .args:
      - .offset:         0
        .size:           64
        .value_kind:     by_value
    .group_segment_fixed_size: 64
    .kernarg_segment_align: 8
    .kernarg_segment_size: 64
    .language:       OpenCL C
    .language_version:
      - 2
      - 0
    .max_flat_workgroup_size: 256
    .name:           _ZN7rocprim17ROCPRIM_400000_NS6detail17trampoline_kernelINS0_14default_configENS1_22reduce_config_selectorIbEEZNS1_11reduce_implILb1ES3_N6hipcub16HIPCUB_304000_NS22TransformInputIteratorIbN2at6native12_GLOBAL__N_19NonZeroOpIN3c107complexIfEEEEPKSG_lEEPiiNS8_6detail34convert_binary_result_type_wrapperINS8_3SumESK_iEEEE10hipError_tPvRmT1_T2_T3_mT4_P12ihipStream_tbEUlT_E0_NS1_11comp_targetILNS1_3genE10ELNS1_11target_archE1201ELNS1_3gpuE5ELNS1_3repE0EEENS1_30default_config_static_selectorELNS0_4arch9wavefront6targetE0EEEvST_
    .private_segment_fixed_size: 0
    .sgpr_count:     50
    .sgpr_spill_count: 0
    .symbol:         _ZN7rocprim17ROCPRIM_400000_NS6detail17trampoline_kernelINS0_14default_configENS1_22reduce_config_selectorIbEEZNS1_11reduce_implILb1ES3_N6hipcub16HIPCUB_304000_NS22TransformInputIteratorIbN2at6native12_GLOBAL__N_19NonZeroOpIN3c107complexIfEEEEPKSG_lEEPiiNS8_6detail34convert_binary_result_type_wrapperINS8_3SumESK_iEEEE10hipError_tPvRmT1_T2_T3_mT4_P12ihipStream_tbEUlT_E0_NS1_11comp_targetILNS1_3genE10ELNS1_11target_archE1201ELNS1_3gpuE5ELNS1_3repE0EEENS1_30default_config_static_selectorELNS0_4arch9wavefront6targetE0EEEvST_.kd
    .uniform_work_group_size: 1
    .uses_dynamic_stack: false
    .vgpr_count:     36
    .vgpr_spill_count: 0
    .wavefront_size: 32
    .workgroup_processor_mode: 1
  - .args:
      - .offset:         0
        .size:           64
        .value_kind:     by_value
    .group_segment_fixed_size: 0
    .kernarg_segment_align: 8
    .kernarg_segment_size: 64
    .language:       OpenCL C
    .language_version:
      - 2
      - 0
    .max_flat_workgroup_size: 256
    .name:           _ZN7rocprim17ROCPRIM_400000_NS6detail17trampoline_kernelINS0_14default_configENS1_22reduce_config_selectorIbEEZNS1_11reduce_implILb1ES3_N6hipcub16HIPCUB_304000_NS22TransformInputIteratorIbN2at6native12_GLOBAL__N_19NonZeroOpIN3c107complexIfEEEEPKSG_lEEPiiNS8_6detail34convert_binary_result_type_wrapperINS8_3SumESK_iEEEE10hipError_tPvRmT1_T2_T3_mT4_P12ihipStream_tbEUlT_E0_NS1_11comp_targetILNS1_3genE10ELNS1_11target_archE1200ELNS1_3gpuE4ELNS1_3repE0EEENS1_30default_config_static_selectorELNS0_4arch9wavefront6targetE0EEEvST_
    .private_segment_fixed_size: 0
    .sgpr_count:     0
    .sgpr_spill_count: 0
    .symbol:         _ZN7rocprim17ROCPRIM_400000_NS6detail17trampoline_kernelINS0_14default_configENS1_22reduce_config_selectorIbEEZNS1_11reduce_implILb1ES3_N6hipcub16HIPCUB_304000_NS22TransformInputIteratorIbN2at6native12_GLOBAL__N_19NonZeroOpIN3c107complexIfEEEEPKSG_lEEPiiNS8_6detail34convert_binary_result_type_wrapperINS8_3SumESK_iEEEE10hipError_tPvRmT1_T2_T3_mT4_P12ihipStream_tbEUlT_E0_NS1_11comp_targetILNS1_3genE10ELNS1_11target_archE1200ELNS1_3gpuE4ELNS1_3repE0EEENS1_30default_config_static_selectorELNS0_4arch9wavefront6targetE0EEEvST_.kd
    .uniform_work_group_size: 1
    .uses_dynamic_stack: false
    .vgpr_count:     0
    .vgpr_spill_count: 0
    .wavefront_size: 32
    .workgroup_processor_mode: 1
  - .args:
      - .offset:         0
        .size:           64
        .value_kind:     by_value
    .group_segment_fixed_size: 0
    .kernarg_segment_align: 8
    .kernarg_segment_size: 64
    .language:       OpenCL C
    .language_version:
      - 2
      - 0
    .max_flat_workgroup_size: 128
    .name:           _ZN7rocprim17ROCPRIM_400000_NS6detail17trampoline_kernelINS0_14default_configENS1_22reduce_config_selectorIbEEZNS1_11reduce_implILb1ES3_N6hipcub16HIPCUB_304000_NS22TransformInputIteratorIbN2at6native12_GLOBAL__N_19NonZeroOpIN3c107complexIfEEEEPKSG_lEEPiiNS8_6detail34convert_binary_result_type_wrapperINS8_3SumESK_iEEEE10hipError_tPvRmT1_T2_T3_mT4_P12ihipStream_tbEUlT_E0_NS1_11comp_targetILNS1_3genE9ELNS1_11target_archE1100ELNS1_3gpuE3ELNS1_3repE0EEENS1_30default_config_static_selectorELNS0_4arch9wavefront6targetE0EEEvST_
    .private_segment_fixed_size: 0
    .sgpr_count:     0
    .sgpr_spill_count: 0
    .symbol:         _ZN7rocprim17ROCPRIM_400000_NS6detail17trampoline_kernelINS0_14default_configENS1_22reduce_config_selectorIbEEZNS1_11reduce_implILb1ES3_N6hipcub16HIPCUB_304000_NS22TransformInputIteratorIbN2at6native12_GLOBAL__N_19NonZeroOpIN3c107complexIfEEEEPKSG_lEEPiiNS8_6detail34convert_binary_result_type_wrapperINS8_3SumESK_iEEEE10hipError_tPvRmT1_T2_T3_mT4_P12ihipStream_tbEUlT_E0_NS1_11comp_targetILNS1_3genE9ELNS1_11target_archE1100ELNS1_3gpuE3ELNS1_3repE0EEENS1_30default_config_static_selectorELNS0_4arch9wavefront6targetE0EEEvST_.kd
    .uniform_work_group_size: 1
    .uses_dynamic_stack: false
    .vgpr_count:     0
    .vgpr_spill_count: 0
    .wavefront_size: 32
    .workgroup_processor_mode: 1
  - .args:
      - .offset:         0
        .size:           64
        .value_kind:     by_value
    .group_segment_fixed_size: 0
    .kernarg_segment_align: 8
    .kernarg_segment_size: 64
    .language:       OpenCL C
    .language_version:
      - 2
      - 0
    .max_flat_workgroup_size: 256
    .name:           _ZN7rocprim17ROCPRIM_400000_NS6detail17trampoline_kernelINS0_14default_configENS1_22reduce_config_selectorIbEEZNS1_11reduce_implILb1ES3_N6hipcub16HIPCUB_304000_NS22TransformInputIteratorIbN2at6native12_GLOBAL__N_19NonZeroOpIN3c107complexIfEEEEPKSG_lEEPiiNS8_6detail34convert_binary_result_type_wrapperINS8_3SumESK_iEEEE10hipError_tPvRmT1_T2_T3_mT4_P12ihipStream_tbEUlT_E0_NS1_11comp_targetILNS1_3genE8ELNS1_11target_archE1030ELNS1_3gpuE2ELNS1_3repE0EEENS1_30default_config_static_selectorELNS0_4arch9wavefront6targetE0EEEvST_
    .private_segment_fixed_size: 0
    .sgpr_count:     0
    .sgpr_spill_count: 0
    .symbol:         _ZN7rocprim17ROCPRIM_400000_NS6detail17trampoline_kernelINS0_14default_configENS1_22reduce_config_selectorIbEEZNS1_11reduce_implILb1ES3_N6hipcub16HIPCUB_304000_NS22TransformInputIteratorIbN2at6native12_GLOBAL__N_19NonZeroOpIN3c107complexIfEEEEPKSG_lEEPiiNS8_6detail34convert_binary_result_type_wrapperINS8_3SumESK_iEEEE10hipError_tPvRmT1_T2_T3_mT4_P12ihipStream_tbEUlT_E0_NS1_11comp_targetILNS1_3genE8ELNS1_11target_archE1030ELNS1_3gpuE2ELNS1_3repE0EEENS1_30default_config_static_selectorELNS0_4arch9wavefront6targetE0EEEvST_.kd
    .uniform_work_group_size: 1
    .uses_dynamic_stack: false
    .vgpr_count:     0
    .vgpr_spill_count: 0
    .wavefront_size: 32
    .workgroup_processor_mode: 1
  - .args:
      - .offset:         0
        .size:           48
        .value_kind:     by_value
    .group_segment_fixed_size: 0
    .kernarg_segment_align: 8
    .kernarg_segment_size: 48
    .language:       OpenCL C
    .language_version:
      - 2
      - 0
    .max_flat_workgroup_size: 256
    .name:           _ZN7rocprim17ROCPRIM_400000_NS6detail17trampoline_kernelINS0_14default_configENS1_22reduce_config_selectorIbEEZNS1_11reduce_implILb1ES3_N6hipcub16HIPCUB_304000_NS22TransformInputIteratorIbN2at6native12_GLOBAL__N_19NonZeroOpIN3c107complexIfEEEEPKSG_lEEPiiNS8_6detail34convert_binary_result_type_wrapperINS8_3SumESK_iEEEE10hipError_tPvRmT1_T2_T3_mT4_P12ihipStream_tbEUlT_E1_NS1_11comp_targetILNS1_3genE0ELNS1_11target_archE4294967295ELNS1_3gpuE0ELNS1_3repE0EEENS1_30default_config_static_selectorELNS0_4arch9wavefront6targetE0EEEvST_
    .private_segment_fixed_size: 0
    .sgpr_count:     0
    .sgpr_spill_count: 0
    .symbol:         _ZN7rocprim17ROCPRIM_400000_NS6detail17trampoline_kernelINS0_14default_configENS1_22reduce_config_selectorIbEEZNS1_11reduce_implILb1ES3_N6hipcub16HIPCUB_304000_NS22TransformInputIteratorIbN2at6native12_GLOBAL__N_19NonZeroOpIN3c107complexIfEEEEPKSG_lEEPiiNS8_6detail34convert_binary_result_type_wrapperINS8_3SumESK_iEEEE10hipError_tPvRmT1_T2_T3_mT4_P12ihipStream_tbEUlT_E1_NS1_11comp_targetILNS1_3genE0ELNS1_11target_archE4294967295ELNS1_3gpuE0ELNS1_3repE0EEENS1_30default_config_static_selectorELNS0_4arch9wavefront6targetE0EEEvST_.kd
    .uniform_work_group_size: 1
    .uses_dynamic_stack: false
    .vgpr_count:     0
    .vgpr_spill_count: 0
    .wavefront_size: 32
    .workgroup_processor_mode: 1
  - .args:
      - .offset:         0
        .size:           48
        .value_kind:     by_value
    .group_segment_fixed_size: 0
    .kernarg_segment_align: 8
    .kernarg_segment_size: 48
    .language:       OpenCL C
    .language_version:
      - 2
      - 0
    .max_flat_workgroup_size: 256
    .name:           _ZN7rocprim17ROCPRIM_400000_NS6detail17trampoline_kernelINS0_14default_configENS1_22reduce_config_selectorIbEEZNS1_11reduce_implILb1ES3_N6hipcub16HIPCUB_304000_NS22TransformInputIteratorIbN2at6native12_GLOBAL__N_19NonZeroOpIN3c107complexIfEEEEPKSG_lEEPiiNS8_6detail34convert_binary_result_type_wrapperINS8_3SumESK_iEEEE10hipError_tPvRmT1_T2_T3_mT4_P12ihipStream_tbEUlT_E1_NS1_11comp_targetILNS1_3genE5ELNS1_11target_archE942ELNS1_3gpuE9ELNS1_3repE0EEENS1_30default_config_static_selectorELNS0_4arch9wavefront6targetE0EEEvST_
    .private_segment_fixed_size: 0
    .sgpr_count:     0
    .sgpr_spill_count: 0
    .symbol:         _ZN7rocprim17ROCPRIM_400000_NS6detail17trampoline_kernelINS0_14default_configENS1_22reduce_config_selectorIbEEZNS1_11reduce_implILb1ES3_N6hipcub16HIPCUB_304000_NS22TransformInputIteratorIbN2at6native12_GLOBAL__N_19NonZeroOpIN3c107complexIfEEEEPKSG_lEEPiiNS8_6detail34convert_binary_result_type_wrapperINS8_3SumESK_iEEEE10hipError_tPvRmT1_T2_T3_mT4_P12ihipStream_tbEUlT_E1_NS1_11comp_targetILNS1_3genE5ELNS1_11target_archE942ELNS1_3gpuE9ELNS1_3repE0EEENS1_30default_config_static_selectorELNS0_4arch9wavefront6targetE0EEEvST_.kd
    .uniform_work_group_size: 1
    .uses_dynamic_stack: false
    .vgpr_count:     0
    .vgpr_spill_count: 0
    .wavefront_size: 32
    .workgroup_processor_mode: 1
  - .args:
      - .offset:         0
        .size:           48
        .value_kind:     by_value
    .group_segment_fixed_size: 0
    .kernarg_segment_align: 8
    .kernarg_segment_size: 48
    .language:       OpenCL C
    .language_version:
      - 2
      - 0
    .max_flat_workgroup_size: 128
    .name:           _ZN7rocprim17ROCPRIM_400000_NS6detail17trampoline_kernelINS0_14default_configENS1_22reduce_config_selectorIbEEZNS1_11reduce_implILb1ES3_N6hipcub16HIPCUB_304000_NS22TransformInputIteratorIbN2at6native12_GLOBAL__N_19NonZeroOpIN3c107complexIfEEEEPKSG_lEEPiiNS8_6detail34convert_binary_result_type_wrapperINS8_3SumESK_iEEEE10hipError_tPvRmT1_T2_T3_mT4_P12ihipStream_tbEUlT_E1_NS1_11comp_targetILNS1_3genE4ELNS1_11target_archE910ELNS1_3gpuE8ELNS1_3repE0EEENS1_30default_config_static_selectorELNS0_4arch9wavefront6targetE0EEEvST_
    .private_segment_fixed_size: 0
    .sgpr_count:     0
    .sgpr_spill_count: 0
    .symbol:         _ZN7rocprim17ROCPRIM_400000_NS6detail17trampoline_kernelINS0_14default_configENS1_22reduce_config_selectorIbEEZNS1_11reduce_implILb1ES3_N6hipcub16HIPCUB_304000_NS22TransformInputIteratorIbN2at6native12_GLOBAL__N_19NonZeroOpIN3c107complexIfEEEEPKSG_lEEPiiNS8_6detail34convert_binary_result_type_wrapperINS8_3SumESK_iEEEE10hipError_tPvRmT1_T2_T3_mT4_P12ihipStream_tbEUlT_E1_NS1_11comp_targetILNS1_3genE4ELNS1_11target_archE910ELNS1_3gpuE8ELNS1_3repE0EEENS1_30default_config_static_selectorELNS0_4arch9wavefront6targetE0EEEvST_.kd
    .uniform_work_group_size: 1
    .uses_dynamic_stack: false
    .vgpr_count:     0
    .vgpr_spill_count: 0
    .wavefront_size: 32
    .workgroup_processor_mode: 1
  - .args:
      - .offset:         0
        .size:           48
        .value_kind:     by_value
    .group_segment_fixed_size: 0
    .kernarg_segment_align: 8
    .kernarg_segment_size: 48
    .language:       OpenCL C
    .language_version:
      - 2
      - 0
    .max_flat_workgroup_size: 256
    .name:           _ZN7rocprim17ROCPRIM_400000_NS6detail17trampoline_kernelINS0_14default_configENS1_22reduce_config_selectorIbEEZNS1_11reduce_implILb1ES3_N6hipcub16HIPCUB_304000_NS22TransformInputIteratorIbN2at6native12_GLOBAL__N_19NonZeroOpIN3c107complexIfEEEEPKSG_lEEPiiNS8_6detail34convert_binary_result_type_wrapperINS8_3SumESK_iEEEE10hipError_tPvRmT1_T2_T3_mT4_P12ihipStream_tbEUlT_E1_NS1_11comp_targetILNS1_3genE3ELNS1_11target_archE908ELNS1_3gpuE7ELNS1_3repE0EEENS1_30default_config_static_selectorELNS0_4arch9wavefront6targetE0EEEvST_
    .private_segment_fixed_size: 0
    .sgpr_count:     0
    .sgpr_spill_count: 0
    .symbol:         _ZN7rocprim17ROCPRIM_400000_NS6detail17trampoline_kernelINS0_14default_configENS1_22reduce_config_selectorIbEEZNS1_11reduce_implILb1ES3_N6hipcub16HIPCUB_304000_NS22TransformInputIteratorIbN2at6native12_GLOBAL__N_19NonZeroOpIN3c107complexIfEEEEPKSG_lEEPiiNS8_6detail34convert_binary_result_type_wrapperINS8_3SumESK_iEEEE10hipError_tPvRmT1_T2_T3_mT4_P12ihipStream_tbEUlT_E1_NS1_11comp_targetILNS1_3genE3ELNS1_11target_archE908ELNS1_3gpuE7ELNS1_3repE0EEENS1_30default_config_static_selectorELNS0_4arch9wavefront6targetE0EEEvST_.kd
    .uniform_work_group_size: 1
    .uses_dynamic_stack: false
    .vgpr_count:     0
    .vgpr_spill_count: 0
    .wavefront_size: 32
    .workgroup_processor_mode: 1
  - .args:
      - .offset:         0
        .size:           48
        .value_kind:     by_value
    .group_segment_fixed_size: 0
    .kernarg_segment_align: 8
    .kernarg_segment_size: 48
    .language:       OpenCL C
    .language_version:
      - 2
      - 0
    .max_flat_workgroup_size: 128
    .name:           _ZN7rocprim17ROCPRIM_400000_NS6detail17trampoline_kernelINS0_14default_configENS1_22reduce_config_selectorIbEEZNS1_11reduce_implILb1ES3_N6hipcub16HIPCUB_304000_NS22TransformInputIteratorIbN2at6native12_GLOBAL__N_19NonZeroOpIN3c107complexIfEEEEPKSG_lEEPiiNS8_6detail34convert_binary_result_type_wrapperINS8_3SumESK_iEEEE10hipError_tPvRmT1_T2_T3_mT4_P12ihipStream_tbEUlT_E1_NS1_11comp_targetILNS1_3genE2ELNS1_11target_archE906ELNS1_3gpuE6ELNS1_3repE0EEENS1_30default_config_static_selectorELNS0_4arch9wavefront6targetE0EEEvST_
    .private_segment_fixed_size: 0
    .sgpr_count:     0
    .sgpr_spill_count: 0
    .symbol:         _ZN7rocprim17ROCPRIM_400000_NS6detail17trampoline_kernelINS0_14default_configENS1_22reduce_config_selectorIbEEZNS1_11reduce_implILb1ES3_N6hipcub16HIPCUB_304000_NS22TransformInputIteratorIbN2at6native12_GLOBAL__N_19NonZeroOpIN3c107complexIfEEEEPKSG_lEEPiiNS8_6detail34convert_binary_result_type_wrapperINS8_3SumESK_iEEEE10hipError_tPvRmT1_T2_T3_mT4_P12ihipStream_tbEUlT_E1_NS1_11comp_targetILNS1_3genE2ELNS1_11target_archE906ELNS1_3gpuE6ELNS1_3repE0EEENS1_30default_config_static_selectorELNS0_4arch9wavefront6targetE0EEEvST_.kd
    .uniform_work_group_size: 1
    .uses_dynamic_stack: false
    .vgpr_count:     0
    .vgpr_spill_count: 0
    .wavefront_size: 32
    .workgroup_processor_mode: 1
  - .args:
      - .offset:         0
        .size:           48
        .value_kind:     by_value
    .group_segment_fixed_size: 288
    .kernarg_segment_align: 8
    .kernarg_segment_size: 48
    .language:       OpenCL C
    .language_version:
      - 2
      - 0
    .max_flat_workgroup_size: 256
    .name:           _ZN7rocprim17ROCPRIM_400000_NS6detail17trampoline_kernelINS0_14default_configENS1_22reduce_config_selectorIbEEZNS1_11reduce_implILb1ES3_N6hipcub16HIPCUB_304000_NS22TransformInputIteratorIbN2at6native12_GLOBAL__N_19NonZeroOpIN3c107complexIfEEEEPKSG_lEEPiiNS8_6detail34convert_binary_result_type_wrapperINS8_3SumESK_iEEEE10hipError_tPvRmT1_T2_T3_mT4_P12ihipStream_tbEUlT_E1_NS1_11comp_targetILNS1_3genE10ELNS1_11target_archE1201ELNS1_3gpuE5ELNS1_3repE0EEENS1_30default_config_static_selectorELNS0_4arch9wavefront6targetE0EEEvST_
    .private_segment_fixed_size: 0
    .sgpr_count:     107
    .sgpr_spill_count: 24
    .symbol:         _ZN7rocprim17ROCPRIM_400000_NS6detail17trampoline_kernelINS0_14default_configENS1_22reduce_config_selectorIbEEZNS1_11reduce_implILb1ES3_N6hipcub16HIPCUB_304000_NS22TransformInputIteratorIbN2at6native12_GLOBAL__N_19NonZeroOpIN3c107complexIfEEEEPKSG_lEEPiiNS8_6detail34convert_binary_result_type_wrapperINS8_3SumESK_iEEEE10hipError_tPvRmT1_T2_T3_mT4_P12ihipStream_tbEUlT_E1_NS1_11comp_targetILNS1_3genE10ELNS1_11target_archE1201ELNS1_3gpuE5ELNS1_3repE0EEENS1_30default_config_static_selectorELNS0_4arch9wavefront6targetE0EEEvST_.kd
    .uniform_work_group_size: 1
    .uses_dynamic_stack: false
    .vgpr_count:     131
    .vgpr_spill_count: 0
    .wavefront_size: 32
    .workgroup_processor_mode: 1
  - .args:
      - .offset:         0
        .size:           48
        .value_kind:     by_value
    .group_segment_fixed_size: 0
    .kernarg_segment_align: 8
    .kernarg_segment_size: 48
    .language:       OpenCL C
    .language_version:
      - 2
      - 0
    .max_flat_workgroup_size: 256
    .name:           _ZN7rocprim17ROCPRIM_400000_NS6detail17trampoline_kernelINS0_14default_configENS1_22reduce_config_selectorIbEEZNS1_11reduce_implILb1ES3_N6hipcub16HIPCUB_304000_NS22TransformInputIteratorIbN2at6native12_GLOBAL__N_19NonZeroOpIN3c107complexIfEEEEPKSG_lEEPiiNS8_6detail34convert_binary_result_type_wrapperINS8_3SumESK_iEEEE10hipError_tPvRmT1_T2_T3_mT4_P12ihipStream_tbEUlT_E1_NS1_11comp_targetILNS1_3genE10ELNS1_11target_archE1200ELNS1_3gpuE4ELNS1_3repE0EEENS1_30default_config_static_selectorELNS0_4arch9wavefront6targetE0EEEvST_
    .private_segment_fixed_size: 0
    .sgpr_count:     0
    .sgpr_spill_count: 0
    .symbol:         _ZN7rocprim17ROCPRIM_400000_NS6detail17trampoline_kernelINS0_14default_configENS1_22reduce_config_selectorIbEEZNS1_11reduce_implILb1ES3_N6hipcub16HIPCUB_304000_NS22TransformInputIteratorIbN2at6native12_GLOBAL__N_19NonZeroOpIN3c107complexIfEEEEPKSG_lEEPiiNS8_6detail34convert_binary_result_type_wrapperINS8_3SumESK_iEEEE10hipError_tPvRmT1_T2_T3_mT4_P12ihipStream_tbEUlT_E1_NS1_11comp_targetILNS1_3genE10ELNS1_11target_archE1200ELNS1_3gpuE4ELNS1_3repE0EEENS1_30default_config_static_selectorELNS0_4arch9wavefront6targetE0EEEvST_.kd
    .uniform_work_group_size: 1
    .uses_dynamic_stack: false
    .vgpr_count:     0
    .vgpr_spill_count: 0
    .wavefront_size: 32
    .workgroup_processor_mode: 1
  - .args:
      - .offset:         0
        .size:           48
        .value_kind:     by_value
    .group_segment_fixed_size: 0
    .kernarg_segment_align: 8
    .kernarg_segment_size: 48
    .language:       OpenCL C
    .language_version:
      - 2
      - 0
    .max_flat_workgroup_size: 128
    .name:           _ZN7rocprim17ROCPRIM_400000_NS6detail17trampoline_kernelINS0_14default_configENS1_22reduce_config_selectorIbEEZNS1_11reduce_implILb1ES3_N6hipcub16HIPCUB_304000_NS22TransformInputIteratorIbN2at6native12_GLOBAL__N_19NonZeroOpIN3c107complexIfEEEEPKSG_lEEPiiNS8_6detail34convert_binary_result_type_wrapperINS8_3SumESK_iEEEE10hipError_tPvRmT1_T2_T3_mT4_P12ihipStream_tbEUlT_E1_NS1_11comp_targetILNS1_3genE9ELNS1_11target_archE1100ELNS1_3gpuE3ELNS1_3repE0EEENS1_30default_config_static_selectorELNS0_4arch9wavefront6targetE0EEEvST_
    .private_segment_fixed_size: 0
    .sgpr_count:     0
    .sgpr_spill_count: 0
    .symbol:         _ZN7rocprim17ROCPRIM_400000_NS6detail17trampoline_kernelINS0_14default_configENS1_22reduce_config_selectorIbEEZNS1_11reduce_implILb1ES3_N6hipcub16HIPCUB_304000_NS22TransformInputIteratorIbN2at6native12_GLOBAL__N_19NonZeroOpIN3c107complexIfEEEEPKSG_lEEPiiNS8_6detail34convert_binary_result_type_wrapperINS8_3SumESK_iEEEE10hipError_tPvRmT1_T2_T3_mT4_P12ihipStream_tbEUlT_E1_NS1_11comp_targetILNS1_3genE9ELNS1_11target_archE1100ELNS1_3gpuE3ELNS1_3repE0EEENS1_30default_config_static_selectorELNS0_4arch9wavefront6targetE0EEEvST_.kd
    .uniform_work_group_size: 1
    .uses_dynamic_stack: false
    .vgpr_count:     0
    .vgpr_spill_count: 0
    .wavefront_size: 32
    .workgroup_processor_mode: 1
  - .args:
      - .offset:         0
        .size:           48
        .value_kind:     by_value
    .group_segment_fixed_size: 0
    .kernarg_segment_align: 8
    .kernarg_segment_size: 48
    .language:       OpenCL C
    .language_version:
      - 2
      - 0
    .max_flat_workgroup_size: 256
    .name:           _ZN7rocprim17ROCPRIM_400000_NS6detail17trampoline_kernelINS0_14default_configENS1_22reduce_config_selectorIbEEZNS1_11reduce_implILb1ES3_N6hipcub16HIPCUB_304000_NS22TransformInputIteratorIbN2at6native12_GLOBAL__N_19NonZeroOpIN3c107complexIfEEEEPKSG_lEEPiiNS8_6detail34convert_binary_result_type_wrapperINS8_3SumESK_iEEEE10hipError_tPvRmT1_T2_T3_mT4_P12ihipStream_tbEUlT_E1_NS1_11comp_targetILNS1_3genE8ELNS1_11target_archE1030ELNS1_3gpuE2ELNS1_3repE0EEENS1_30default_config_static_selectorELNS0_4arch9wavefront6targetE0EEEvST_
    .private_segment_fixed_size: 0
    .sgpr_count:     0
    .sgpr_spill_count: 0
    .symbol:         _ZN7rocprim17ROCPRIM_400000_NS6detail17trampoline_kernelINS0_14default_configENS1_22reduce_config_selectorIbEEZNS1_11reduce_implILb1ES3_N6hipcub16HIPCUB_304000_NS22TransformInputIteratorIbN2at6native12_GLOBAL__N_19NonZeroOpIN3c107complexIfEEEEPKSG_lEEPiiNS8_6detail34convert_binary_result_type_wrapperINS8_3SumESK_iEEEE10hipError_tPvRmT1_T2_T3_mT4_P12ihipStream_tbEUlT_E1_NS1_11comp_targetILNS1_3genE8ELNS1_11target_archE1030ELNS1_3gpuE2ELNS1_3repE0EEENS1_30default_config_static_selectorELNS0_4arch9wavefront6targetE0EEEvST_.kd
    .uniform_work_group_size: 1
    .uses_dynamic_stack: false
    .vgpr_count:     0
    .vgpr_spill_count: 0
    .wavefront_size: 32
    .workgroup_processor_mode: 1
  - .args:
      - .offset:         0
        .size:           120
        .value_kind:     by_value
    .group_segment_fixed_size: 0
    .kernarg_segment_align: 8
    .kernarg_segment_size: 120
    .language:       OpenCL C
    .language_version:
      - 2
      - 0
    .max_flat_workgroup_size: 128
    .name:           _ZN7rocprim17ROCPRIM_400000_NS6detail17trampoline_kernelINS0_14default_configENS1_25partition_config_selectorILNS1_17partition_subalgoE5ElNS0_10empty_typeEbEEZZNS1_14partition_implILS5_5ELb0ES3_mN6hipcub16HIPCUB_304000_NS21CountingInputIteratorIllEEPS6_NSA_22TransformInputIteratorIbN2at6native12_GLOBAL__N_19NonZeroOpIN3c107complexIfEEEEPKSL_lEENS0_5tupleIJPlS6_EEENSQ_IJSD_SD_EEES6_PiJS6_EEE10hipError_tPvRmT3_T4_T5_T6_T7_T9_mT8_P12ihipStream_tbDpT10_ENKUlT_T0_E_clISt17integral_constantIbLb0EES1E_EEDaS19_S1A_EUlS19_E_NS1_11comp_targetILNS1_3genE0ELNS1_11target_archE4294967295ELNS1_3gpuE0ELNS1_3repE0EEENS1_30default_config_static_selectorELNS0_4arch9wavefront6targetE0EEEvT1_
    .private_segment_fixed_size: 0
    .sgpr_count:     0
    .sgpr_spill_count: 0
    .symbol:         _ZN7rocprim17ROCPRIM_400000_NS6detail17trampoline_kernelINS0_14default_configENS1_25partition_config_selectorILNS1_17partition_subalgoE5ElNS0_10empty_typeEbEEZZNS1_14partition_implILS5_5ELb0ES3_mN6hipcub16HIPCUB_304000_NS21CountingInputIteratorIllEEPS6_NSA_22TransformInputIteratorIbN2at6native12_GLOBAL__N_19NonZeroOpIN3c107complexIfEEEEPKSL_lEENS0_5tupleIJPlS6_EEENSQ_IJSD_SD_EEES6_PiJS6_EEE10hipError_tPvRmT3_T4_T5_T6_T7_T9_mT8_P12ihipStream_tbDpT10_ENKUlT_T0_E_clISt17integral_constantIbLb0EES1E_EEDaS19_S1A_EUlS19_E_NS1_11comp_targetILNS1_3genE0ELNS1_11target_archE4294967295ELNS1_3gpuE0ELNS1_3repE0EEENS1_30default_config_static_selectorELNS0_4arch9wavefront6targetE0EEEvT1_.kd
    .uniform_work_group_size: 1
    .uses_dynamic_stack: false
    .vgpr_count:     0
    .vgpr_spill_count: 0
    .wavefront_size: 32
    .workgroup_processor_mode: 1
  - .args:
      - .offset:         0
        .size:           120
        .value_kind:     by_value
    .group_segment_fixed_size: 0
    .kernarg_segment_align: 8
    .kernarg_segment_size: 120
    .language:       OpenCL C
    .language_version:
      - 2
      - 0
    .max_flat_workgroup_size: 512
    .name:           _ZN7rocprim17ROCPRIM_400000_NS6detail17trampoline_kernelINS0_14default_configENS1_25partition_config_selectorILNS1_17partition_subalgoE5ElNS0_10empty_typeEbEEZZNS1_14partition_implILS5_5ELb0ES3_mN6hipcub16HIPCUB_304000_NS21CountingInputIteratorIllEEPS6_NSA_22TransformInputIteratorIbN2at6native12_GLOBAL__N_19NonZeroOpIN3c107complexIfEEEEPKSL_lEENS0_5tupleIJPlS6_EEENSQ_IJSD_SD_EEES6_PiJS6_EEE10hipError_tPvRmT3_T4_T5_T6_T7_T9_mT8_P12ihipStream_tbDpT10_ENKUlT_T0_E_clISt17integral_constantIbLb0EES1E_EEDaS19_S1A_EUlS19_E_NS1_11comp_targetILNS1_3genE5ELNS1_11target_archE942ELNS1_3gpuE9ELNS1_3repE0EEENS1_30default_config_static_selectorELNS0_4arch9wavefront6targetE0EEEvT1_
    .private_segment_fixed_size: 0
    .sgpr_count:     0
    .sgpr_spill_count: 0
    .symbol:         _ZN7rocprim17ROCPRIM_400000_NS6detail17trampoline_kernelINS0_14default_configENS1_25partition_config_selectorILNS1_17partition_subalgoE5ElNS0_10empty_typeEbEEZZNS1_14partition_implILS5_5ELb0ES3_mN6hipcub16HIPCUB_304000_NS21CountingInputIteratorIllEEPS6_NSA_22TransformInputIteratorIbN2at6native12_GLOBAL__N_19NonZeroOpIN3c107complexIfEEEEPKSL_lEENS0_5tupleIJPlS6_EEENSQ_IJSD_SD_EEES6_PiJS6_EEE10hipError_tPvRmT3_T4_T5_T6_T7_T9_mT8_P12ihipStream_tbDpT10_ENKUlT_T0_E_clISt17integral_constantIbLb0EES1E_EEDaS19_S1A_EUlS19_E_NS1_11comp_targetILNS1_3genE5ELNS1_11target_archE942ELNS1_3gpuE9ELNS1_3repE0EEENS1_30default_config_static_selectorELNS0_4arch9wavefront6targetE0EEEvT1_.kd
    .uniform_work_group_size: 1
    .uses_dynamic_stack: false
    .vgpr_count:     0
    .vgpr_spill_count: 0
    .wavefront_size: 32
    .workgroup_processor_mode: 1
  - .args:
      - .offset:         0
        .size:           120
        .value_kind:     by_value
    .group_segment_fixed_size: 0
    .kernarg_segment_align: 8
    .kernarg_segment_size: 120
    .language:       OpenCL C
    .language_version:
      - 2
      - 0
    .max_flat_workgroup_size: 192
    .name:           _ZN7rocprim17ROCPRIM_400000_NS6detail17trampoline_kernelINS0_14default_configENS1_25partition_config_selectorILNS1_17partition_subalgoE5ElNS0_10empty_typeEbEEZZNS1_14partition_implILS5_5ELb0ES3_mN6hipcub16HIPCUB_304000_NS21CountingInputIteratorIllEEPS6_NSA_22TransformInputIteratorIbN2at6native12_GLOBAL__N_19NonZeroOpIN3c107complexIfEEEEPKSL_lEENS0_5tupleIJPlS6_EEENSQ_IJSD_SD_EEES6_PiJS6_EEE10hipError_tPvRmT3_T4_T5_T6_T7_T9_mT8_P12ihipStream_tbDpT10_ENKUlT_T0_E_clISt17integral_constantIbLb0EES1E_EEDaS19_S1A_EUlS19_E_NS1_11comp_targetILNS1_3genE4ELNS1_11target_archE910ELNS1_3gpuE8ELNS1_3repE0EEENS1_30default_config_static_selectorELNS0_4arch9wavefront6targetE0EEEvT1_
    .private_segment_fixed_size: 0
    .sgpr_count:     0
    .sgpr_spill_count: 0
    .symbol:         _ZN7rocprim17ROCPRIM_400000_NS6detail17trampoline_kernelINS0_14default_configENS1_25partition_config_selectorILNS1_17partition_subalgoE5ElNS0_10empty_typeEbEEZZNS1_14partition_implILS5_5ELb0ES3_mN6hipcub16HIPCUB_304000_NS21CountingInputIteratorIllEEPS6_NSA_22TransformInputIteratorIbN2at6native12_GLOBAL__N_19NonZeroOpIN3c107complexIfEEEEPKSL_lEENS0_5tupleIJPlS6_EEENSQ_IJSD_SD_EEES6_PiJS6_EEE10hipError_tPvRmT3_T4_T5_T6_T7_T9_mT8_P12ihipStream_tbDpT10_ENKUlT_T0_E_clISt17integral_constantIbLb0EES1E_EEDaS19_S1A_EUlS19_E_NS1_11comp_targetILNS1_3genE4ELNS1_11target_archE910ELNS1_3gpuE8ELNS1_3repE0EEENS1_30default_config_static_selectorELNS0_4arch9wavefront6targetE0EEEvT1_.kd
    .uniform_work_group_size: 1
    .uses_dynamic_stack: false
    .vgpr_count:     0
    .vgpr_spill_count: 0
    .wavefront_size: 32
    .workgroup_processor_mode: 1
  - .args:
      - .offset:         0
        .size:           120
        .value_kind:     by_value
    .group_segment_fixed_size: 0
    .kernarg_segment_align: 8
    .kernarg_segment_size: 120
    .language:       OpenCL C
    .language_version:
      - 2
      - 0
    .max_flat_workgroup_size: 128
    .name:           _ZN7rocprim17ROCPRIM_400000_NS6detail17trampoline_kernelINS0_14default_configENS1_25partition_config_selectorILNS1_17partition_subalgoE5ElNS0_10empty_typeEbEEZZNS1_14partition_implILS5_5ELb0ES3_mN6hipcub16HIPCUB_304000_NS21CountingInputIteratorIllEEPS6_NSA_22TransformInputIteratorIbN2at6native12_GLOBAL__N_19NonZeroOpIN3c107complexIfEEEEPKSL_lEENS0_5tupleIJPlS6_EEENSQ_IJSD_SD_EEES6_PiJS6_EEE10hipError_tPvRmT3_T4_T5_T6_T7_T9_mT8_P12ihipStream_tbDpT10_ENKUlT_T0_E_clISt17integral_constantIbLb0EES1E_EEDaS19_S1A_EUlS19_E_NS1_11comp_targetILNS1_3genE3ELNS1_11target_archE908ELNS1_3gpuE7ELNS1_3repE0EEENS1_30default_config_static_selectorELNS0_4arch9wavefront6targetE0EEEvT1_
    .private_segment_fixed_size: 0
    .sgpr_count:     0
    .sgpr_spill_count: 0
    .symbol:         _ZN7rocprim17ROCPRIM_400000_NS6detail17trampoline_kernelINS0_14default_configENS1_25partition_config_selectorILNS1_17partition_subalgoE5ElNS0_10empty_typeEbEEZZNS1_14partition_implILS5_5ELb0ES3_mN6hipcub16HIPCUB_304000_NS21CountingInputIteratorIllEEPS6_NSA_22TransformInputIteratorIbN2at6native12_GLOBAL__N_19NonZeroOpIN3c107complexIfEEEEPKSL_lEENS0_5tupleIJPlS6_EEENSQ_IJSD_SD_EEES6_PiJS6_EEE10hipError_tPvRmT3_T4_T5_T6_T7_T9_mT8_P12ihipStream_tbDpT10_ENKUlT_T0_E_clISt17integral_constantIbLb0EES1E_EEDaS19_S1A_EUlS19_E_NS1_11comp_targetILNS1_3genE3ELNS1_11target_archE908ELNS1_3gpuE7ELNS1_3repE0EEENS1_30default_config_static_selectorELNS0_4arch9wavefront6targetE0EEEvT1_.kd
    .uniform_work_group_size: 1
    .uses_dynamic_stack: false
    .vgpr_count:     0
    .vgpr_spill_count: 0
    .wavefront_size: 32
    .workgroup_processor_mode: 1
  - .args:
      - .offset:         0
        .size:           120
        .value_kind:     by_value
    .group_segment_fixed_size: 0
    .kernarg_segment_align: 8
    .kernarg_segment_size: 120
    .language:       OpenCL C
    .language_version:
      - 2
      - 0
    .max_flat_workgroup_size: 256
    .name:           _ZN7rocprim17ROCPRIM_400000_NS6detail17trampoline_kernelINS0_14default_configENS1_25partition_config_selectorILNS1_17partition_subalgoE5ElNS0_10empty_typeEbEEZZNS1_14partition_implILS5_5ELb0ES3_mN6hipcub16HIPCUB_304000_NS21CountingInputIteratorIllEEPS6_NSA_22TransformInputIteratorIbN2at6native12_GLOBAL__N_19NonZeroOpIN3c107complexIfEEEEPKSL_lEENS0_5tupleIJPlS6_EEENSQ_IJSD_SD_EEES6_PiJS6_EEE10hipError_tPvRmT3_T4_T5_T6_T7_T9_mT8_P12ihipStream_tbDpT10_ENKUlT_T0_E_clISt17integral_constantIbLb0EES1E_EEDaS19_S1A_EUlS19_E_NS1_11comp_targetILNS1_3genE2ELNS1_11target_archE906ELNS1_3gpuE6ELNS1_3repE0EEENS1_30default_config_static_selectorELNS0_4arch9wavefront6targetE0EEEvT1_
    .private_segment_fixed_size: 0
    .sgpr_count:     0
    .sgpr_spill_count: 0
    .symbol:         _ZN7rocprim17ROCPRIM_400000_NS6detail17trampoline_kernelINS0_14default_configENS1_25partition_config_selectorILNS1_17partition_subalgoE5ElNS0_10empty_typeEbEEZZNS1_14partition_implILS5_5ELb0ES3_mN6hipcub16HIPCUB_304000_NS21CountingInputIteratorIllEEPS6_NSA_22TransformInputIteratorIbN2at6native12_GLOBAL__N_19NonZeroOpIN3c107complexIfEEEEPKSL_lEENS0_5tupleIJPlS6_EEENSQ_IJSD_SD_EEES6_PiJS6_EEE10hipError_tPvRmT3_T4_T5_T6_T7_T9_mT8_P12ihipStream_tbDpT10_ENKUlT_T0_E_clISt17integral_constantIbLb0EES1E_EEDaS19_S1A_EUlS19_E_NS1_11comp_targetILNS1_3genE2ELNS1_11target_archE906ELNS1_3gpuE6ELNS1_3repE0EEENS1_30default_config_static_selectorELNS0_4arch9wavefront6targetE0EEEvT1_.kd
    .uniform_work_group_size: 1
    .uses_dynamic_stack: false
    .vgpr_count:     0
    .vgpr_spill_count: 0
    .wavefront_size: 32
    .workgroup_processor_mode: 1
  - .args:
      - .offset:         0
        .size:           120
        .value_kind:     by_value
    .group_segment_fixed_size: 8464
    .kernarg_segment_align: 8
    .kernarg_segment_size: 120
    .language:       OpenCL C
    .language_version:
      - 2
      - 0
    .max_flat_workgroup_size: 256
    .name:           _ZN7rocprim17ROCPRIM_400000_NS6detail17trampoline_kernelINS0_14default_configENS1_25partition_config_selectorILNS1_17partition_subalgoE5ElNS0_10empty_typeEbEEZZNS1_14partition_implILS5_5ELb0ES3_mN6hipcub16HIPCUB_304000_NS21CountingInputIteratorIllEEPS6_NSA_22TransformInputIteratorIbN2at6native12_GLOBAL__N_19NonZeroOpIN3c107complexIfEEEEPKSL_lEENS0_5tupleIJPlS6_EEENSQ_IJSD_SD_EEES6_PiJS6_EEE10hipError_tPvRmT3_T4_T5_T6_T7_T9_mT8_P12ihipStream_tbDpT10_ENKUlT_T0_E_clISt17integral_constantIbLb0EES1E_EEDaS19_S1A_EUlS19_E_NS1_11comp_targetILNS1_3genE10ELNS1_11target_archE1200ELNS1_3gpuE4ELNS1_3repE0EEENS1_30default_config_static_selectorELNS0_4arch9wavefront6targetE0EEEvT1_
    .private_segment_fixed_size: 0
    .sgpr_count:     22
    .sgpr_spill_count: 0
    .symbol:         _ZN7rocprim17ROCPRIM_400000_NS6detail17trampoline_kernelINS0_14default_configENS1_25partition_config_selectorILNS1_17partition_subalgoE5ElNS0_10empty_typeEbEEZZNS1_14partition_implILS5_5ELb0ES3_mN6hipcub16HIPCUB_304000_NS21CountingInputIteratorIllEEPS6_NSA_22TransformInputIteratorIbN2at6native12_GLOBAL__N_19NonZeroOpIN3c107complexIfEEEEPKSL_lEENS0_5tupleIJPlS6_EEENSQ_IJSD_SD_EEES6_PiJS6_EEE10hipError_tPvRmT3_T4_T5_T6_T7_T9_mT8_P12ihipStream_tbDpT10_ENKUlT_T0_E_clISt17integral_constantIbLb0EES1E_EEDaS19_S1A_EUlS19_E_NS1_11comp_targetILNS1_3genE10ELNS1_11target_archE1200ELNS1_3gpuE4ELNS1_3repE0EEENS1_30default_config_static_selectorELNS0_4arch9wavefront6targetE0EEEvT1_.kd
    .uniform_work_group_size: 1
    .uses_dynamic_stack: false
    .vgpr_count:     46
    .vgpr_spill_count: 0
    .wavefront_size: 32
    .workgroup_processor_mode: 1
  - .args:
      - .offset:         0
        .size:           120
        .value_kind:     by_value
    .group_segment_fixed_size: 0
    .kernarg_segment_align: 8
    .kernarg_segment_size: 120
    .language:       OpenCL C
    .language_version:
      - 2
      - 0
    .max_flat_workgroup_size: 128
    .name:           _ZN7rocprim17ROCPRIM_400000_NS6detail17trampoline_kernelINS0_14default_configENS1_25partition_config_selectorILNS1_17partition_subalgoE5ElNS0_10empty_typeEbEEZZNS1_14partition_implILS5_5ELb0ES3_mN6hipcub16HIPCUB_304000_NS21CountingInputIteratorIllEEPS6_NSA_22TransformInputIteratorIbN2at6native12_GLOBAL__N_19NonZeroOpIN3c107complexIfEEEEPKSL_lEENS0_5tupleIJPlS6_EEENSQ_IJSD_SD_EEES6_PiJS6_EEE10hipError_tPvRmT3_T4_T5_T6_T7_T9_mT8_P12ihipStream_tbDpT10_ENKUlT_T0_E_clISt17integral_constantIbLb0EES1E_EEDaS19_S1A_EUlS19_E_NS1_11comp_targetILNS1_3genE9ELNS1_11target_archE1100ELNS1_3gpuE3ELNS1_3repE0EEENS1_30default_config_static_selectorELNS0_4arch9wavefront6targetE0EEEvT1_
    .private_segment_fixed_size: 0
    .sgpr_count:     0
    .sgpr_spill_count: 0
    .symbol:         _ZN7rocprim17ROCPRIM_400000_NS6detail17trampoline_kernelINS0_14default_configENS1_25partition_config_selectorILNS1_17partition_subalgoE5ElNS0_10empty_typeEbEEZZNS1_14partition_implILS5_5ELb0ES3_mN6hipcub16HIPCUB_304000_NS21CountingInputIteratorIllEEPS6_NSA_22TransformInputIteratorIbN2at6native12_GLOBAL__N_19NonZeroOpIN3c107complexIfEEEEPKSL_lEENS0_5tupleIJPlS6_EEENSQ_IJSD_SD_EEES6_PiJS6_EEE10hipError_tPvRmT3_T4_T5_T6_T7_T9_mT8_P12ihipStream_tbDpT10_ENKUlT_T0_E_clISt17integral_constantIbLb0EES1E_EEDaS19_S1A_EUlS19_E_NS1_11comp_targetILNS1_3genE9ELNS1_11target_archE1100ELNS1_3gpuE3ELNS1_3repE0EEENS1_30default_config_static_selectorELNS0_4arch9wavefront6targetE0EEEvT1_.kd
    .uniform_work_group_size: 1
    .uses_dynamic_stack: false
    .vgpr_count:     0
    .vgpr_spill_count: 0
    .wavefront_size: 32
    .workgroup_processor_mode: 1
  - .args:
      - .offset:         0
        .size:           120
        .value_kind:     by_value
    .group_segment_fixed_size: 0
    .kernarg_segment_align: 8
    .kernarg_segment_size: 120
    .language:       OpenCL C
    .language_version:
      - 2
      - 0
    .max_flat_workgroup_size: 512
    .name:           _ZN7rocprim17ROCPRIM_400000_NS6detail17trampoline_kernelINS0_14default_configENS1_25partition_config_selectorILNS1_17partition_subalgoE5ElNS0_10empty_typeEbEEZZNS1_14partition_implILS5_5ELb0ES3_mN6hipcub16HIPCUB_304000_NS21CountingInputIteratorIllEEPS6_NSA_22TransformInputIteratorIbN2at6native12_GLOBAL__N_19NonZeroOpIN3c107complexIfEEEEPKSL_lEENS0_5tupleIJPlS6_EEENSQ_IJSD_SD_EEES6_PiJS6_EEE10hipError_tPvRmT3_T4_T5_T6_T7_T9_mT8_P12ihipStream_tbDpT10_ENKUlT_T0_E_clISt17integral_constantIbLb0EES1E_EEDaS19_S1A_EUlS19_E_NS1_11comp_targetILNS1_3genE8ELNS1_11target_archE1030ELNS1_3gpuE2ELNS1_3repE0EEENS1_30default_config_static_selectorELNS0_4arch9wavefront6targetE0EEEvT1_
    .private_segment_fixed_size: 0
    .sgpr_count:     0
    .sgpr_spill_count: 0
    .symbol:         _ZN7rocprim17ROCPRIM_400000_NS6detail17trampoline_kernelINS0_14default_configENS1_25partition_config_selectorILNS1_17partition_subalgoE5ElNS0_10empty_typeEbEEZZNS1_14partition_implILS5_5ELb0ES3_mN6hipcub16HIPCUB_304000_NS21CountingInputIteratorIllEEPS6_NSA_22TransformInputIteratorIbN2at6native12_GLOBAL__N_19NonZeroOpIN3c107complexIfEEEEPKSL_lEENS0_5tupleIJPlS6_EEENSQ_IJSD_SD_EEES6_PiJS6_EEE10hipError_tPvRmT3_T4_T5_T6_T7_T9_mT8_P12ihipStream_tbDpT10_ENKUlT_T0_E_clISt17integral_constantIbLb0EES1E_EEDaS19_S1A_EUlS19_E_NS1_11comp_targetILNS1_3genE8ELNS1_11target_archE1030ELNS1_3gpuE2ELNS1_3repE0EEENS1_30default_config_static_selectorELNS0_4arch9wavefront6targetE0EEEvT1_.kd
    .uniform_work_group_size: 1
    .uses_dynamic_stack: false
    .vgpr_count:     0
    .vgpr_spill_count: 0
    .wavefront_size: 32
    .workgroup_processor_mode: 1
  - .args:
      - .offset:         0
        .size:           136
        .value_kind:     by_value
    .group_segment_fixed_size: 0
    .kernarg_segment_align: 8
    .kernarg_segment_size: 136
    .language:       OpenCL C
    .language_version:
      - 2
      - 0
    .max_flat_workgroup_size: 128
    .name:           _ZN7rocprim17ROCPRIM_400000_NS6detail17trampoline_kernelINS0_14default_configENS1_25partition_config_selectorILNS1_17partition_subalgoE5ElNS0_10empty_typeEbEEZZNS1_14partition_implILS5_5ELb0ES3_mN6hipcub16HIPCUB_304000_NS21CountingInputIteratorIllEEPS6_NSA_22TransformInputIteratorIbN2at6native12_GLOBAL__N_19NonZeroOpIN3c107complexIfEEEEPKSL_lEENS0_5tupleIJPlS6_EEENSQ_IJSD_SD_EEES6_PiJS6_EEE10hipError_tPvRmT3_T4_T5_T6_T7_T9_mT8_P12ihipStream_tbDpT10_ENKUlT_T0_E_clISt17integral_constantIbLb1EES1E_EEDaS19_S1A_EUlS19_E_NS1_11comp_targetILNS1_3genE0ELNS1_11target_archE4294967295ELNS1_3gpuE0ELNS1_3repE0EEENS1_30default_config_static_selectorELNS0_4arch9wavefront6targetE0EEEvT1_
    .private_segment_fixed_size: 0
    .sgpr_count:     0
    .sgpr_spill_count: 0
    .symbol:         _ZN7rocprim17ROCPRIM_400000_NS6detail17trampoline_kernelINS0_14default_configENS1_25partition_config_selectorILNS1_17partition_subalgoE5ElNS0_10empty_typeEbEEZZNS1_14partition_implILS5_5ELb0ES3_mN6hipcub16HIPCUB_304000_NS21CountingInputIteratorIllEEPS6_NSA_22TransformInputIteratorIbN2at6native12_GLOBAL__N_19NonZeroOpIN3c107complexIfEEEEPKSL_lEENS0_5tupleIJPlS6_EEENSQ_IJSD_SD_EEES6_PiJS6_EEE10hipError_tPvRmT3_T4_T5_T6_T7_T9_mT8_P12ihipStream_tbDpT10_ENKUlT_T0_E_clISt17integral_constantIbLb1EES1E_EEDaS19_S1A_EUlS19_E_NS1_11comp_targetILNS1_3genE0ELNS1_11target_archE4294967295ELNS1_3gpuE0ELNS1_3repE0EEENS1_30default_config_static_selectorELNS0_4arch9wavefront6targetE0EEEvT1_.kd
    .uniform_work_group_size: 1
    .uses_dynamic_stack: false
    .vgpr_count:     0
    .vgpr_spill_count: 0
    .wavefront_size: 32
    .workgroup_processor_mode: 1
  - .args:
      - .offset:         0
        .size:           136
        .value_kind:     by_value
    .group_segment_fixed_size: 0
    .kernarg_segment_align: 8
    .kernarg_segment_size: 136
    .language:       OpenCL C
    .language_version:
      - 2
      - 0
    .max_flat_workgroup_size: 512
    .name:           _ZN7rocprim17ROCPRIM_400000_NS6detail17trampoline_kernelINS0_14default_configENS1_25partition_config_selectorILNS1_17partition_subalgoE5ElNS0_10empty_typeEbEEZZNS1_14partition_implILS5_5ELb0ES3_mN6hipcub16HIPCUB_304000_NS21CountingInputIteratorIllEEPS6_NSA_22TransformInputIteratorIbN2at6native12_GLOBAL__N_19NonZeroOpIN3c107complexIfEEEEPKSL_lEENS0_5tupleIJPlS6_EEENSQ_IJSD_SD_EEES6_PiJS6_EEE10hipError_tPvRmT3_T4_T5_T6_T7_T9_mT8_P12ihipStream_tbDpT10_ENKUlT_T0_E_clISt17integral_constantIbLb1EES1E_EEDaS19_S1A_EUlS19_E_NS1_11comp_targetILNS1_3genE5ELNS1_11target_archE942ELNS1_3gpuE9ELNS1_3repE0EEENS1_30default_config_static_selectorELNS0_4arch9wavefront6targetE0EEEvT1_
    .private_segment_fixed_size: 0
    .sgpr_count:     0
    .sgpr_spill_count: 0
    .symbol:         _ZN7rocprim17ROCPRIM_400000_NS6detail17trampoline_kernelINS0_14default_configENS1_25partition_config_selectorILNS1_17partition_subalgoE5ElNS0_10empty_typeEbEEZZNS1_14partition_implILS5_5ELb0ES3_mN6hipcub16HIPCUB_304000_NS21CountingInputIteratorIllEEPS6_NSA_22TransformInputIteratorIbN2at6native12_GLOBAL__N_19NonZeroOpIN3c107complexIfEEEEPKSL_lEENS0_5tupleIJPlS6_EEENSQ_IJSD_SD_EEES6_PiJS6_EEE10hipError_tPvRmT3_T4_T5_T6_T7_T9_mT8_P12ihipStream_tbDpT10_ENKUlT_T0_E_clISt17integral_constantIbLb1EES1E_EEDaS19_S1A_EUlS19_E_NS1_11comp_targetILNS1_3genE5ELNS1_11target_archE942ELNS1_3gpuE9ELNS1_3repE0EEENS1_30default_config_static_selectorELNS0_4arch9wavefront6targetE0EEEvT1_.kd
    .uniform_work_group_size: 1
    .uses_dynamic_stack: false
    .vgpr_count:     0
    .vgpr_spill_count: 0
    .wavefront_size: 32
    .workgroup_processor_mode: 1
  - .args:
      - .offset:         0
        .size:           136
        .value_kind:     by_value
    .group_segment_fixed_size: 0
    .kernarg_segment_align: 8
    .kernarg_segment_size: 136
    .language:       OpenCL C
    .language_version:
      - 2
      - 0
    .max_flat_workgroup_size: 192
    .name:           _ZN7rocprim17ROCPRIM_400000_NS6detail17trampoline_kernelINS0_14default_configENS1_25partition_config_selectorILNS1_17partition_subalgoE5ElNS0_10empty_typeEbEEZZNS1_14partition_implILS5_5ELb0ES3_mN6hipcub16HIPCUB_304000_NS21CountingInputIteratorIllEEPS6_NSA_22TransformInputIteratorIbN2at6native12_GLOBAL__N_19NonZeroOpIN3c107complexIfEEEEPKSL_lEENS0_5tupleIJPlS6_EEENSQ_IJSD_SD_EEES6_PiJS6_EEE10hipError_tPvRmT3_T4_T5_T6_T7_T9_mT8_P12ihipStream_tbDpT10_ENKUlT_T0_E_clISt17integral_constantIbLb1EES1E_EEDaS19_S1A_EUlS19_E_NS1_11comp_targetILNS1_3genE4ELNS1_11target_archE910ELNS1_3gpuE8ELNS1_3repE0EEENS1_30default_config_static_selectorELNS0_4arch9wavefront6targetE0EEEvT1_
    .private_segment_fixed_size: 0
    .sgpr_count:     0
    .sgpr_spill_count: 0
    .symbol:         _ZN7rocprim17ROCPRIM_400000_NS6detail17trampoline_kernelINS0_14default_configENS1_25partition_config_selectorILNS1_17partition_subalgoE5ElNS0_10empty_typeEbEEZZNS1_14partition_implILS5_5ELb0ES3_mN6hipcub16HIPCUB_304000_NS21CountingInputIteratorIllEEPS6_NSA_22TransformInputIteratorIbN2at6native12_GLOBAL__N_19NonZeroOpIN3c107complexIfEEEEPKSL_lEENS0_5tupleIJPlS6_EEENSQ_IJSD_SD_EEES6_PiJS6_EEE10hipError_tPvRmT3_T4_T5_T6_T7_T9_mT8_P12ihipStream_tbDpT10_ENKUlT_T0_E_clISt17integral_constantIbLb1EES1E_EEDaS19_S1A_EUlS19_E_NS1_11comp_targetILNS1_3genE4ELNS1_11target_archE910ELNS1_3gpuE8ELNS1_3repE0EEENS1_30default_config_static_selectorELNS0_4arch9wavefront6targetE0EEEvT1_.kd
    .uniform_work_group_size: 1
    .uses_dynamic_stack: false
    .vgpr_count:     0
    .vgpr_spill_count: 0
    .wavefront_size: 32
    .workgroup_processor_mode: 1
  - .args:
      - .offset:         0
        .size:           136
        .value_kind:     by_value
    .group_segment_fixed_size: 0
    .kernarg_segment_align: 8
    .kernarg_segment_size: 136
    .language:       OpenCL C
    .language_version:
      - 2
      - 0
    .max_flat_workgroup_size: 128
    .name:           _ZN7rocprim17ROCPRIM_400000_NS6detail17trampoline_kernelINS0_14default_configENS1_25partition_config_selectorILNS1_17partition_subalgoE5ElNS0_10empty_typeEbEEZZNS1_14partition_implILS5_5ELb0ES3_mN6hipcub16HIPCUB_304000_NS21CountingInputIteratorIllEEPS6_NSA_22TransformInputIteratorIbN2at6native12_GLOBAL__N_19NonZeroOpIN3c107complexIfEEEEPKSL_lEENS0_5tupleIJPlS6_EEENSQ_IJSD_SD_EEES6_PiJS6_EEE10hipError_tPvRmT3_T4_T5_T6_T7_T9_mT8_P12ihipStream_tbDpT10_ENKUlT_T0_E_clISt17integral_constantIbLb1EES1E_EEDaS19_S1A_EUlS19_E_NS1_11comp_targetILNS1_3genE3ELNS1_11target_archE908ELNS1_3gpuE7ELNS1_3repE0EEENS1_30default_config_static_selectorELNS0_4arch9wavefront6targetE0EEEvT1_
    .private_segment_fixed_size: 0
    .sgpr_count:     0
    .sgpr_spill_count: 0
    .symbol:         _ZN7rocprim17ROCPRIM_400000_NS6detail17trampoline_kernelINS0_14default_configENS1_25partition_config_selectorILNS1_17partition_subalgoE5ElNS0_10empty_typeEbEEZZNS1_14partition_implILS5_5ELb0ES3_mN6hipcub16HIPCUB_304000_NS21CountingInputIteratorIllEEPS6_NSA_22TransformInputIteratorIbN2at6native12_GLOBAL__N_19NonZeroOpIN3c107complexIfEEEEPKSL_lEENS0_5tupleIJPlS6_EEENSQ_IJSD_SD_EEES6_PiJS6_EEE10hipError_tPvRmT3_T4_T5_T6_T7_T9_mT8_P12ihipStream_tbDpT10_ENKUlT_T0_E_clISt17integral_constantIbLb1EES1E_EEDaS19_S1A_EUlS19_E_NS1_11comp_targetILNS1_3genE3ELNS1_11target_archE908ELNS1_3gpuE7ELNS1_3repE0EEENS1_30default_config_static_selectorELNS0_4arch9wavefront6targetE0EEEvT1_.kd
    .uniform_work_group_size: 1
    .uses_dynamic_stack: false
    .vgpr_count:     0
    .vgpr_spill_count: 0
    .wavefront_size: 32
    .workgroup_processor_mode: 1
  - .args:
      - .offset:         0
        .size:           136
        .value_kind:     by_value
    .group_segment_fixed_size: 0
    .kernarg_segment_align: 8
    .kernarg_segment_size: 136
    .language:       OpenCL C
    .language_version:
      - 2
      - 0
    .max_flat_workgroup_size: 256
    .name:           _ZN7rocprim17ROCPRIM_400000_NS6detail17trampoline_kernelINS0_14default_configENS1_25partition_config_selectorILNS1_17partition_subalgoE5ElNS0_10empty_typeEbEEZZNS1_14partition_implILS5_5ELb0ES3_mN6hipcub16HIPCUB_304000_NS21CountingInputIteratorIllEEPS6_NSA_22TransformInputIteratorIbN2at6native12_GLOBAL__N_19NonZeroOpIN3c107complexIfEEEEPKSL_lEENS0_5tupleIJPlS6_EEENSQ_IJSD_SD_EEES6_PiJS6_EEE10hipError_tPvRmT3_T4_T5_T6_T7_T9_mT8_P12ihipStream_tbDpT10_ENKUlT_T0_E_clISt17integral_constantIbLb1EES1E_EEDaS19_S1A_EUlS19_E_NS1_11comp_targetILNS1_3genE2ELNS1_11target_archE906ELNS1_3gpuE6ELNS1_3repE0EEENS1_30default_config_static_selectorELNS0_4arch9wavefront6targetE0EEEvT1_
    .private_segment_fixed_size: 0
    .sgpr_count:     0
    .sgpr_spill_count: 0
    .symbol:         _ZN7rocprim17ROCPRIM_400000_NS6detail17trampoline_kernelINS0_14default_configENS1_25partition_config_selectorILNS1_17partition_subalgoE5ElNS0_10empty_typeEbEEZZNS1_14partition_implILS5_5ELb0ES3_mN6hipcub16HIPCUB_304000_NS21CountingInputIteratorIllEEPS6_NSA_22TransformInputIteratorIbN2at6native12_GLOBAL__N_19NonZeroOpIN3c107complexIfEEEEPKSL_lEENS0_5tupleIJPlS6_EEENSQ_IJSD_SD_EEES6_PiJS6_EEE10hipError_tPvRmT3_T4_T5_T6_T7_T9_mT8_P12ihipStream_tbDpT10_ENKUlT_T0_E_clISt17integral_constantIbLb1EES1E_EEDaS19_S1A_EUlS19_E_NS1_11comp_targetILNS1_3genE2ELNS1_11target_archE906ELNS1_3gpuE6ELNS1_3repE0EEENS1_30default_config_static_selectorELNS0_4arch9wavefront6targetE0EEEvT1_.kd
    .uniform_work_group_size: 1
    .uses_dynamic_stack: false
    .vgpr_count:     0
    .vgpr_spill_count: 0
    .wavefront_size: 32
    .workgroup_processor_mode: 1
  - .args:
      - .offset:         0
        .size:           136
        .value_kind:     by_value
    .group_segment_fixed_size: 0
    .kernarg_segment_align: 8
    .kernarg_segment_size: 136
    .language:       OpenCL C
    .language_version:
      - 2
      - 0
    .max_flat_workgroup_size: 256
    .name:           _ZN7rocprim17ROCPRIM_400000_NS6detail17trampoline_kernelINS0_14default_configENS1_25partition_config_selectorILNS1_17partition_subalgoE5ElNS0_10empty_typeEbEEZZNS1_14partition_implILS5_5ELb0ES3_mN6hipcub16HIPCUB_304000_NS21CountingInputIteratorIllEEPS6_NSA_22TransformInputIteratorIbN2at6native12_GLOBAL__N_19NonZeroOpIN3c107complexIfEEEEPKSL_lEENS0_5tupleIJPlS6_EEENSQ_IJSD_SD_EEES6_PiJS6_EEE10hipError_tPvRmT3_T4_T5_T6_T7_T9_mT8_P12ihipStream_tbDpT10_ENKUlT_T0_E_clISt17integral_constantIbLb1EES1E_EEDaS19_S1A_EUlS19_E_NS1_11comp_targetILNS1_3genE10ELNS1_11target_archE1200ELNS1_3gpuE4ELNS1_3repE0EEENS1_30default_config_static_selectorELNS0_4arch9wavefront6targetE0EEEvT1_
    .private_segment_fixed_size: 0
    .sgpr_count:     0
    .sgpr_spill_count: 0
    .symbol:         _ZN7rocprim17ROCPRIM_400000_NS6detail17trampoline_kernelINS0_14default_configENS1_25partition_config_selectorILNS1_17partition_subalgoE5ElNS0_10empty_typeEbEEZZNS1_14partition_implILS5_5ELb0ES3_mN6hipcub16HIPCUB_304000_NS21CountingInputIteratorIllEEPS6_NSA_22TransformInputIteratorIbN2at6native12_GLOBAL__N_19NonZeroOpIN3c107complexIfEEEEPKSL_lEENS0_5tupleIJPlS6_EEENSQ_IJSD_SD_EEES6_PiJS6_EEE10hipError_tPvRmT3_T4_T5_T6_T7_T9_mT8_P12ihipStream_tbDpT10_ENKUlT_T0_E_clISt17integral_constantIbLb1EES1E_EEDaS19_S1A_EUlS19_E_NS1_11comp_targetILNS1_3genE10ELNS1_11target_archE1200ELNS1_3gpuE4ELNS1_3repE0EEENS1_30default_config_static_selectorELNS0_4arch9wavefront6targetE0EEEvT1_.kd
    .uniform_work_group_size: 1
    .uses_dynamic_stack: false
    .vgpr_count:     0
    .vgpr_spill_count: 0
    .wavefront_size: 32
    .workgroup_processor_mode: 1
  - .args:
      - .offset:         0
        .size:           136
        .value_kind:     by_value
    .group_segment_fixed_size: 0
    .kernarg_segment_align: 8
    .kernarg_segment_size: 136
    .language:       OpenCL C
    .language_version:
      - 2
      - 0
    .max_flat_workgroup_size: 128
    .name:           _ZN7rocprim17ROCPRIM_400000_NS6detail17trampoline_kernelINS0_14default_configENS1_25partition_config_selectorILNS1_17partition_subalgoE5ElNS0_10empty_typeEbEEZZNS1_14partition_implILS5_5ELb0ES3_mN6hipcub16HIPCUB_304000_NS21CountingInputIteratorIllEEPS6_NSA_22TransformInputIteratorIbN2at6native12_GLOBAL__N_19NonZeroOpIN3c107complexIfEEEEPKSL_lEENS0_5tupleIJPlS6_EEENSQ_IJSD_SD_EEES6_PiJS6_EEE10hipError_tPvRmT3_T4_T5_T6_T7_T9_mT8_P12ihipStream_tbDpT10_ENKUlT_T0_E_clISt17integral_constantIbLb1EES1E_EEDaS19_S1A_EUlS19_E_NS1_11comp_targetILNS1_3genE9ELNS1_11target_archE1100ELNS1_3gpuE3ELNS1_3repE0EEENS1_30default_config_static_selectorELNS0_4arch9wavefront6targetE0EEEvT1_
    .private_segment_fixed_size: 0
    .sgpr_count:     0
    .sgpr_spill_count: 0
    .symbol:         _ZN7rocprim17ROCPRIM_400000_NS6detail17trampoline_kernelINS0_14default_configENS1_25partition_config_selectorILNS1_17partition_subalgoE5ElNS0_10empty_typeEbEEZZNS1_14partition_implILS5_5ELb0ES3_mN6hipcub16HIPCUB_304000_NS21CountingInputIteratorIllEEPS6_NSA_22TransformInputIteratorIbN2at6native12_GLOBAL__N_19NonZeroOpIN3c107complexIfEEEEPKSL_lEENS0_5tupleIJPlS6_EEENSQ_IJSD_SD_EEES6_PiJS6_EEE10hipError_tPvRmT3_T4_T5_T6_T7_T9_mT8_P12ihipStream_tbDpT10_ENKUlT_T0_E_clISt17integral_constantIbLb1EES1E_EEDaS19_S1A_EUlS19_E_NS1_11comp_targetILNS1_3genE9ELNS1_11target_archE1100ELNS1_3gpuE3ELNS1_3repE0EEENS1_30default_config_static_selectorELNS0_4arch9wavefront6targetE0EEEvT1_.kd
    .uniform_work_group_size: 1
    .uses_dynamic_stack: false
    .vgpr_count:     0
    .vgpr_spill_count: 0
    .wavefront_size: 32
    .workgroup_processor_mode: 1
  - .args:
      - .offset:         0
        .size:           136
        .value_kind:     by_value
    .group_segment_fixed_size: 0
    .kernarg_segment_align: 8
    .kernarg_segment_size: 136
    .language:       OpenCL C
    .language_version:
      - 2
      - 0
    .max_flat_workgroup_size: 512
    .name:           _ZN7rocprim17ROCPRIM_400000_NS6detail17trampoline_kernelINS0_14default_configENS1_25partition_config_selectorILNS1_17partition_subalgoE5ElNS0_10empty_typeEbEEZZNS1_14partition_implILS5_5ELb0ES3_mN6hipcub16HIPCUB_304000_NS21CountingInputIteratorIllEEPS6_NSA_22TransformInputIteratorIbN2at6native12_GLOBAL__N_19NonZeroOpIN3c107complexIfEEEEPKSL_lEENS0_5tupleIJPlS6_EEENSQ_IJSD_SD_EEES6_PiJS6_EEE10hipError_tPvRmT3_T4_T5_T6_T7_T9_mT8_P12ihipStream_tbDpT10_ENKUlT_T0_E_clISt17integral_constantIbLb1EES1E_EEDaS19_S1A_EUlS19_E_NS1_11comp_targetILNS1_3genE8ELNS1_11target_archE1030ELNS1_3gpuE2ELNS1_3repE0EEENS1_30default_config_static_selectorELNS0_4arch9wavefront6targetE0EEEvT1_
    .private_segment_fixed_size: 0
    .sgpr_count:     0
    .sgpr_spill_count: 0
    .symbol:         _ZN7rocprim17ROCPRIM_400000_NS6detail17trampoline_kernelINS0_14default_configENS1_25partition_config_selectorILNS1_17partition_subalgoE5ElNS0_10empty_typeEbEEZZNS1_14partition_implILS5_5ELb0ES3_mN6hipcub16HIPCUB_304000_NS21CountingInputIteratorIllEEPS6_NSA_22TransformInputIteratorIbN2at6native12_GLOBAL__N_19NonZeroOpIN3c107complexIfEEEEPKSL_lEENS0_5tupleIJPlS6_EEENSQ_IJSD_SD_EEES6_PiJS6_EEE10hipError_tPvRmT3_T4_T5_T6_T7_T9_mT8_P12ihipStream_tbDpT10_ENKUlT_T0_E_clISt17integral_constantIbLb1EES1E_EEDaS19_S1A_EUlS19_E_NS1_11comp_targetILNS1_3genE8ELNS1_11target_archE1030ELNS1_3gpuE2ELNS1_3repE0EEENS1_30default_config_static_selectorELNS0_4arch9wavefront6targetE0EEEvT1_.kd
    .uniform_work_group_size: 1
    .uses_dynamic_stack: false
    .vgpr_count:     0
    .vgpr_spill_count: 0
    .wavefront_size: 32
    .workgroup_processor_mode: 1
  - .args:
      - .offset:         0
        .size:           120
        .value_kind:     by_value
    .group_segment_fixed_size: 0
    .kernarg_segment_align: 8
    .kernarg_segment_size: 120
    .language:       OpenCL C
    .language_version:
      - 2
      - 0
    .max_flat_workgroup_size: 128
    .name:           _ZN7rocprim17ROCPRIM_400000_NS6detail17trampoline_kernelINS0_14default_configENS1_25partition_config_selectorILNS1_17partition_subalgoE5ElNS0_10empty_typeEbEEZZNS1_14partition_implILS5_5ELb0ES3_mN6hipcub16HIPCUB_304000_NS21CountingInputIteratorIllEEPS6_NSA_22TransformInputIteratorIbN2at6native12_GLOBAL__N_19NonZeroOpIN3c107complexIfEEEEPKSL_lEENS0_5tupleIJPlS6_EEENSQ_IJSD_SD_EEES6_PiJS6_EEE10hipError_tPvRmT3_T4_T5_T6_T7_T9_mT8_P12ihipStream_tbDpT10_ENKUlT_T0_E_clISt17integral_constantIbLb1EES1D_IbLb0EEEEDaS19_S1A_EUlS19_E_NS1_11comp_targetILNS1_3genE0ELNS1_11target_archE4294967295ELNS1_3gpuE0ELNS1_3repE0EEENS1_30default_config_static_selectorELNS0_4arch9wavefront6targetE0EEEvT1_
    .private_segment_fixed_size: 0
    .sgpr_count:     0
    .sgpr_spill_count: 0
    .symbol:         _ZN7rocprim17ROCPRIM_400000_NS6detail17trampoline_kernelINS0_14default_configENS1_25partition_config_selectorILNS1_17partition_subalgoE5ElNS0_10empty_typeEbEEZZNS1_14partition_implILS5_5ELb0ES3_mN6hipcub16HIPCUB_304000_NS21CountingInputIteratorIllEEPS6_NSA_22TransformInputIteratorIbN2at6native12_GLOBAL__N_19NonZeroOpIN3c107complexIfEEEEPKSL_lEENS0_5tupleIJPlS6_EEENSQ_IJSD_SD_EEES6_PiJS6_EEE10hipError_tPvRmT3_T4_T5_T6_T7_T9_mT8_P12ihipStream_tbDpT10_ENKUlT_T0_E_clISt17integral_constantIbLb1EES1D_IbLb0EEEEDaS19_S1A_EUlS19_E_NS1_11comp_targetILNS1_3genE0ELNS1_11target_archE4294967295ELNS1_3gpuE0ELNS1_3repE0EEENS1_30default_config_static_selectorELNS0_4arch9wavefront6targetE0EEEvT1_.kd
    .uniform_work_group_size: 1
    .uses_dynamic_stack: false
    .vgpr_count:     0
    .vgpr_spill_count: 0
    .wavefront_size: 32
    .workgroup_processor_mode: 1
  - .args:
      - .offset:         0
        .size:           120
        .value_kind:     by_value
    .group_segment_fixed_size: 0
    .kernarg_segment_align: 8
    .kernarg_segment_size: 120
    .language:       OpenCL C
    .language_version:
      - 2
      - 0
    .max_flat_workgroup_size: 512
    .name:           _ZN7rocprim17ROCPRIM_400000_NS6detail17trampoline_kernelINS0_14default_configENS1_25partition_config_selectorILNS1_17partition_subalgoE5ElNS0_10empty_typeEbEEZZNS1_14partition_implILS5_5ELb0ES3_mN6hipcub16HIPCUB_304000_NS21CountingInputIteratorIllEEPS6_NSA_22TransformInputIteratorIbN2at6native12_GLOBAL__N_19NonZeroOpIN3c107complexIfEEEEPKSL_lEENS0_5tupleIJPlS6_EEENSQ_IJSD_SD_EEES6_PiJS6_EEE10hipError_tPvRmT3_T4_T5_T6_T7_T9_mT8_P12ihipStream_tbDpT10_ENKUlT_T0_E_clISt17integral_constantIbLb1EES1D_IbLb0EEEEDaS19_S1A_EUlS19_E_NS1_11comp_targetILNS1_3genE5ELNS1_11target_archE942ELNS1_3gpuE9ELNS1_3repE0EEENS1_30default_config_static_selectorELNS0_4arch9wavefront6targetE0EEEvT1_
    .private_segment_fixed_size: 0
    .sgpr_count:     0
    .sgpr_spill_count: 0
    .symbol:         _ZN7rocprim17ROCPRIM_400000_NS6detail17trampoline_kernelINS0_14default_configENS1_25partition_config_selectorILNS1_17partition_subalgoE5ElNS0_10empty_typeEbEEZZNS1_14partition_implILS5_5ELb0ES3_mN6hipcub16HIPCUB_304000_NS21CountingInputIteratorIllEEPS6_NSA_22TransformInputIteratorIbN2at6native12_GLOBAL__N_19NonZeroOpIN3c107complexIfEEEEPKSL_lEENS0_5tupleIJPlS6_EEENSQ_IJSD_SD_EEES6_PiJS6_EEE10hipError_tPvRmT3_T4_T5_T6_T7_T9_mT8_P12ihipStream_tbDpT10_ENKUlT_T0_E_clISt17integral_constantIbLb1EES1D_IbLb0EEEEDaS19_S1A_EUlS19_E_NS1_11comp_targetILNS1_3genE5ELNS1_11target_archE942ELNS1_3gpuE9ELNS1_3repE0EEENS1_30default_config_static_selectorELNS0_4arch9wavefront6targetE0EEEvT1_.kd
    .uniform_work_group_size: 1
    .uses_dynamic_stack: false
    .vgpr_count:     0
    .vgpr_spill_count: 0
    .wavefront_size: 32
    .workgroup_processor_mode: 1
  - .args:
      - .offset:         0
        .size:           120
        .value_kind:     by_value
    .group_segment_fixed_size: 0
    .kernarg_segment_align: 8
    .kernarg_segment_size: 120
    .language:       OpenCL C
    .language_version:
      - 2
      - 0
    .max_flat_workgroup_size: 192
    .name:           _ZN7rocprim17ROCPRIM_400000_NS6detail17trampoline_kernelINS0_14default_configENS1_25partition_config_selectorILNS1_17partition_subalgoE5ElNS0_10empty_typeEbEEZZNS1_14partition_implILS5_5ELb0ES3_mN6hipcub16HIPCUB_304000_NS21CountingInputIteratorIllEEPS6_NSA_22TransformInputIteratorIbN2at6native12_GLOBAL__N_19NonZeroOpIN3c107complexIfEEEEPKSL_lEENS0_5tupleIJPlS6_EEENSQ_IJSD_SD_EEES6_PiJS6_EEE10hipError_tPvRmT3_T4_T5_T6_T7_T9_mT8_P12ihipStream_tbDpT10_ENKUlT_T0_E_clISt17integral_constantIbLb1EES1D_IbLb0EEEEDaS19_S1A_EUlS19_E_NS1_11comp_targetILNS1_3genE4ELNS1_11target_archE910ELNS1_3gpuE8ELNS1_3repE0EEENS1_30default_config_static_selectorELNS0_4arch9wavefront6targetE0EEEvT1_
    .private_segment_fixed_size: 0
    .sgpr_count:     0
    .sgpr_spill_count: 0
    .symbol:         _ZN7rocprim17ROCPRIM_400000_NS6detail17trampoline_kernelINS0_14default_configENS1_25partition_config_selectorILNS1_17partition_subalgoE5ElNS0_10empty_typeEbEEZZNS1_14partition_implILS5_5ELb0ES3_mN6hipcub16HIPCUB_304000_NS21CountingInputIteratorIllEEPS6_NSA_22TransformInputIteratorIbN2at6native12_GLOBAL__N_19NonZeroOpIN3c107complexIfEEEEPKSL_lEENS0_5tupleIJPlS6_EEENSQ_IJSD_SD_EEES6_PiJS6_EEE10hipError_tPvRmT3_T4_T5_T6_T7_T9_mT8_P12ihipStream_tbDpT10_ENKUlT_T0_E_clISt17integral_constantIbLb1EES1D_IbLb0EEEEDaS19_S1A_EUlS19_E_NS1_11comp_targetILNS1_3genE4ELNS1_11target_archE910ELNS1_3gpuE8ELNS1_3repE0EEENS1_30default_config_static_selectorELNS0_4arch9wavefront6targetE0EEEvT1_.kd
    .uniform_work_group_size: 1
    .uses_dynamic_stack: false
    .vgpr_count:     0
    .vgpr_spill_count: 0
    .wavefront_size: 32
    .workgroup_processor_mode: 1
  - .args:
      - .offset:         0
        .size:           120
        .value_kind:     by_value
    .group_segment_fixed_size: 0
    .kernarg_segment_align: 8
    .kernarg_segment_size: 120
    .language:       OpenCL C
    .language_version:
      - 2
      - 0
    .max_flat_workgroup_size: 128
    .name:           _ZN7rocprim17ROCPRIM_400000_NS6detail17trampoline_kernelINS0_14default_configENS1_25partition_config_selectorILNS1_17partition_subalgoE5ElNS0_10empty_typeEbEEZZNS1_14partition_implILS5_5ELb0ES3_mN6hipcub16HIPCUB_304000_NS21CountingInputIteratorIllEEPS6_NSA_22TransformInputIteratorIbN2at6native12_GLOBAL__N_19NonZeroOpIN3c107complexIfEEEEPKSL_lEENS0_5tupleIJPlS6_EEENSQ_IJSD_SD_EEES6_PiJS6_EEE10hipError_tPvRmT3_T4_T5_T6_T7_T9_mT8_P12ihipStream_tbDpT10_ENKUlT_T0_E_clISt17integral_constantIbLb1EES1D_IbLb0EEEEDaS19_S1A_EUlS19_E_NS1_11comp_targetILNS1_3genE3ELNS1_11target_archE908ELNS1_3gpuE7ELNS1_3repE0EEENS1_30default_config_static_selectorELNS0_4arch9wavefront6targetE0EEEvT1_
    .private_segment_fixed_size: 0
    .sgpr_count:     0
    .sgpr_spill_count: 0
    .symbol:         _ZN7rocprim17ROCPRIM_400000_NS6detail17trampoline_kernelINS0_14default_configENS1_25partition_config_selectorILNS1_17partition_subalgoE5ElNS0_10empty_typeEbEEZZNS1_14partition_implILS5_5ELb0ES3_mN6hipcub16HIPCUB_304000_NS21CountingInputIteratorIllEEPS6_NSA_22TransformInputIteratorIbN2at6native12_GLOBAL__N_19NonZeroOpIN3c107complexIfEEEEPKSL_lEENS0_5tupleIJPlS6_EEENSQ_IJSD_SD_EEES6_PiJS6_EEE10hipError_tPvRmT3_T4_T5_T6_T7_T9_mT8_P12ihipStream_tbDpT10_ENKUlT_T0_E_clISt17integral_constantIbLb1EES1D_IbLb0EEEEDaS19_S1A_EUlS19_E_NS1_11comp_targetILNS1_3genE3ELNS1_11target_archE908ELNS1_3gpuE7ELNS1_3repE0EEENS1_30default_config_static_selectorELNS0_4arch9wavefront6targetE0EEEvT1_.kd
    .uniform_work_group_size: 1
    .uses_dynamic_stack: false
    .vgpr_count:     0
    .vgpr_spill_count: 0
    .wavefront_size: 32
    .workgroup_processor_mode: 1
  - .args:
      - .offset:         0
        .size:           120
        .value_kind:     by_value
    .group_segment_fixed_size: 0
    .kernarg_segment_align: 8
    .kernarg_segment_size: 120
    .language:       OpenCL C
    .language_version:
      - 2
      - 0
    .max_flat_workgroup_size: 256
    .name:           _ZN7rocprim17ROCPRIM_400000_NS6detail17trampoline_kernelINS0_14default_configENS1_25partition_config_selectorILNS1_17partition_subalgoE5ElNS0_10empty_typeEbEEZZNS1_14partition_implILS5_5ELb0ES3_mN6hipcub16HIPCUB_304000_NS21CountingInputIteratorIllEEPS6_NSA_22TransformInputIteratorIbN2at6native12_GLOBAL__N_19NonZeroOpIN3c107complexIfEEEEPKSL_lEENS0_5tupleIJPlS6_EEENSQ_IJSD_SD_EEES6_PiJS6_EEE10hipError_tPvRmT3_T4_T5_T6_T7_T9_mT8_P12ihipStream_tbDpT10_ENKUlT_T0_E_clISt17integral_constantIbLb1EES1D_IbLb0EEEEDaS19_S1A_EUlS19_E_NS1_11comp_targetILNS1_3genE2ELNS1_11target_archE906ELNS1_3gpuE6ELNS1_3repE0EEENS1_30default_config_static_selectorELNS0_4arch9wavefront6targetE0EEEvT1_
    .private_segment_fixed_size: 0
    .sgpr_count:     0
    .sgpr_spill_count: 0
    .symbol:         _ZN7rocprim17ROCPRIM_400000_NS6detail17trampoline_kernelINS0_14default_configENS1_25partition_config_selectorILNS1_17partition_subalgoE5ElNS0_10empty_typeEbEEZZNS1_14partition_implILS5_5ELb0ES3_mN6hipcub16HIPCUB_304000_NS21CountingInputIteratorIllEEPS6_NSA_22TransformInputIteratorIbN2at6native12_GLOBAL__N_19NonZeroOpIN3c107complexIfEEEEPKSL_lEENS0_5tupleIJPlS6_EEENSQ_IJSD_SD_EEES6_PiJS6_EEE10hipError_tPvRmT3_T4_T5_T6_T7_T9_mT8_P12ihipStream_tbDpT10_ENKUlT_T0_E_clISt17integral_constantIbLb1EES1D_IbLb0EEEEDaS19_S1A_EUlS19_E_NS1_11comp_targetILNS1_3genE2ELNS1_11target_archE906ELNS1_3gpuE6ELNS1_3repE0EEENS1_30default_config_static_selectorELNS0_4arch9wavefront6targetE0EEEvT1_.kd
    .uniform_work_group_size: 1
    .uses_dynamic_stack: false
    .vgpr_count:     0
    .vgpr_spill_count: 0
    .wavefront_size: 32
    .workgroup_processor_mode: 1
  - .args:
      - .offset:         0
        .size:           120
        .value_kind:     by_value
    .group_segment_fixed_size: 0
    .kernarg_segment_align: 8
    .kernarg_segment_size: 120
    .language:       OpenCL C
    .language_version:
      - 2
      - 0
    .max_flat_workgroup_size: 256
    .name:           _ZN7rocprim17ROCPRIM_400000_NS6detail17trampoline_kernelINS0_14default_configENS1_25partition_config_selectorILNS1_17partition_subalgoE5ElNS0_10empty_typeEbEEZZNS1_14partition_implILS5_5ELb0ES3_mN6hipcub16HIPCUB_304000_NS21CountingInputIteratorIllEEPS6_NSA_22TransformInputIteratorIbN2at6native12_GLOBAL__N_19NonZeroOpIN3c107complexIfEEEEPKSL_lEENS0_5tupleIJPlS6_EEENSQ_IJSD_SD_EEES6_PiJS6_EEE10hipError_tPvRmT3_T4_T5_T6_T7_T9_mT8_P12ihipStream_tbDpT10_ENKUlT_T0_E_clISt17integral_constantIbLb1EES1D_IbLb0EEEEDaS19_S1A_EUlS19_E_NS1_11comp_targetILNS1_3genE10ELNS1_11target_archE1200ELNS1_3gpuE4ELNS1_3repE0EEENS1_30default_config_static_selectorELNS0_4arch9wavefront6targetE0EEEvT1_
    .private_segment_fixed_size: 0
    .sgpr_count:     0
    .sgpr_spill_count: 0
    .symbol:         _ZN7rocprim17ROCPRIM_400000_NS6detail17trampoline_kernelINS0_14default_configENS1_25partition_config_selectorILNS1_17partition_subalgoE5ElNS0_10empty_typeEbEEZZNS1_14partition_implILS5_5ELb0ES3_mN6hipcub16HIPCUB_304000_NS21CountingInputIteratorIllEEPS6_NSA_22TransformInputIteratorIbN2at6native12_GLOBAL__N_19NonZeroOpIN3c107complexIfEEEEPKSL_lEENS0_5tupleIJPlS6_EEENSQ_IJSD_SD_EEES6_PiJS6_EEE10hipError_tPvRmT3_T4_T5_T6_T7_T9_mT8_P12ihipStream_tbDpT10_ENKUlT_T0_E_clISt17integral_constantIbLb1EES1D_IbLb0EEEEDaS19_S1A_EUlS19_E_NS1_11comp_targetILNS1_3genE10ELNS1_11target_archE1200ELNS1_3gpuE4ELNS1_3repE0EEENS1_30default_config_static_selectorELNS0_4arch9wavefront6targetE0EEEvT1_.kd
    .uniform_work_group_size: 1
    .uses_dynamic_stack: false
    .vgpr_count:     0
    .vgpr_spill_count: 0
    .wavefront_size: 32
    .workgroup_processor_mode: 1
  - .args:
      - .offset:         0
        .size:           120
        .value_kind:     by_value
    .group_segment_fixed_size: 0
    .kernarg_segment_align: 8
    .kernarg_segment_size: 120
    .language:       OpenCL C
    .language_version:
      - 2
      - 0
    .max_flat_workgroup_size: 128
    .name:           _ZN7rocprim17ROCPRIM_400000_NS6detail17trampoline_kernelINS0_14default_configENS1_25partition_config_selectorILNS1_17partition_subalgoE5ElNS0_10empty_typeEbEEZZNS1_14partition_implILS5_5ELb0ES3_mN6hipcub16HIPCUB_304000_NS21CountingInputIteratorIllEEPS6_NSA_22TransformInputIteratorIbN2at6native12_GLOBAL__N_19NonZeroOpIN3c107complexIfEEEEPKSL_lEENS0_5tupleIJPlS6_EEENSQ_IJSD_SD_EEES6_PiJS6_EEE10hipError_tPvRmT3_T4_T5_T6_T7_T9_mT8_P12ihipStream_tbDpT10_ENKUlT_T0_E_clISt17integral_constantIbLb1EES1D_IbLb0EEEEDaS19_S1A_EUlS19_E_NS1_11comp_targetILNS1_3genE9ELNS1_11target_archE1100ELNS1_3gpuE3ELNS1_3repE0EEENS1_30default_config_static_selectorELNS0_4arch9wavefront6targetE0EEEvT1_
    .private_segment_fixed_size: 0
    .sgpr_count:     0
    .sgpr_spill_count: 0
    .symbol:         _ZN7rocprim17ROCPRIM_400000_NS6detail17trampoline_kernelINS0_14default_configENS1_25partition_config_selectorILNS1_17partition_subalgoE5ElNS0_10empty_typeEbEEZZNS1_14partition_implILS5_5ELb0ES3_mN6hipcub16HIPCUB_304000_NS21CountingInputIteratorIllEEPS6_NSA_22TransformInputIteratorIbN2at6native12_GLOBAL__N_19NonZeroOpIN3c107complexIfEEEEPKSL_lEENS0_5tupleIJPlS6_EEENSQ_IJSD_SD_EEES6_PiJS6_EEE10hipError_tPvRmT3_T4_T5_T6_T7_T9_mT8_P12ihipStream_tbDpT10_ENKUlT_T0_E_clISt17integral_constantIbLb1EES1D_IbLb0EEEEDaS19_S1A_EUlS19_E_NS1_11comp_targetILNS1_3genE9ELNS1_11target_archE1100ELNS1_3gpuE3ELNS1_3repE0EEENS1_30default_config_static_selectorELNS0_4arch9wavefront6targetE0EEEvT1_.kd
    .uniform_work_group_size: 1
    .uses_dynamic_stack: false
    .vgpr_count:     0
    .vgpr_spill_count: 0
    .wavefront_size: 32
    .workgroup_processor_mode: 1
  - .args:
      - .offset:         0
        .size:           120
        .value_kind:     by_value
    .group_segment_fixed_size: 0
    .kernarg_segment_align: 8
    .kernarg_segment_size: 120
    .language:       OpenCL C
    .language_version:
      - 2
      - 0
    .max_flat_workgroup_size: 512
    .name:           _ZN7rocprim17ROCPRIM_400000_NS6detail17trampoline_kernelINS0_14default_configENS1_25partition_config_selectorILNS1_17partition_subalgoE5ElNS0_10empty_typeEbEEZZNS1_14partition_implILS5_5ELb0ES3_mN6hipcub16HIPCUB_304000_NS21CountingInputIteratorIllEEPS6_NSA_22TransformInputIteratorIbN2at6native12_GLOBAL__N_19NonZeroOpIN3c107complexIfEEEEPKSL_lEENS0_5tupleIJPlS6_EEENSQ_IJSD_SD_EEES6_PiJS6_EEE10hipError_tPvRmT3_T4_T5_T6_T7_T9_mT8_P12ihipStream_tbDpT10_ENKUlT_T0_E_clISt17integral_constantIbLb1EES1D_IbLb0EEEEDaS19_S1A_EUlS19_E_NS1_11comp_targetILNS1_3genE8ELNS1_11target_archE1030ELNS1_3gpuE2ELNS1_3repE0EEENS1_30default_config_static_selectorELNS0_4arch9wavefront6targetE0EEEvT1_
    .private_segment_fixed_size: 0
    .sgpr_count:     0
    .sgpr_spill_count: 0
    .symbol:         _ZN7rocprim17ROCPRIM_400000_NS6detail17trampoline_kernelINS0_14default_configENS1_25partition_config_selectorILNS1_17partition_subalgoE5ElNS0_10empty_typeEbEEZZNS1_14partition_implILS5_5ELb0ES3_mN6hipcub16HIPCUB_304000_NS21CountingInputIteratorIllEEPS6_NSA_22TransformInputIteratorIbN2at6native12_GLOBAL__N_19NonZeroOpIN3c107complexIfEEEEPKSL_lEENS0_5tupleIJPlS6_EEENSQ_IJSD_SD_EEES6_PiJS6_EEE10hipError_tPvRmT3_T4_T5_T6_T7_T9_mT8_P12ihipStream_tbDpT10_ENKUlT_T0_E_clISt17integral_constantIbLb1EES1D_IbLb0EEEEDaS19_S1A_EUlS19_E_NS1_11comp_targetILNS1_3genE8ELNS1_11target_archE1030ELNS1_3gpuE2ELNS1_3repE0EEENS1_30default_config_static_selectorELNS0_4arch9wavefront6targetE0EEEvT1_.kd
    .uniform_work_group_size: 1
    .uses_dynamic_stack: false
    .vgpr_count:     0
    .vgpr_spill_count: 0
    .wavefront_size: 32
    .workgroup_processor_mode: 1
  - .args:
      - .offset:         0
        .size:           136
        .value_kind:     by_value
    .group_segment_fixed_size: 0
    .kernarg_segment_align: 8
    .kernarg_segment_size: 136
    .language:       OpenCL C
    .language_version:
      - 2
      - 0
    .max_flat_workgroup_size: 128
    .name:           _ZN7rocprim17ROCPRIM_400000_NS6detail17trampoline_kernelINS0_14default_configENS1_25partition_config_selectorILNS1_17partition_subalgoE5ElNS0_10empty_typeEbEEZZNS1_14partition_implILS5_5ELb0ES3_mN6hipcub16HIPCUB_304000_NS21CountingInputIteratorIllEEPS6_NSA_22TransformInputIteratorIbN2at6native12_GLOBAL__N_19NonZeroOpIN3c107complexIfEEEEPKSL_lEENS0_5tupleIJPlS6_EEENSQ_IJSD_SD_EEES6_PiJS6_EEE10hipError_tPvRmT3_T4_T5_T6_T7_T9_mT8_P12ihipStream_tbDpT10_ENKUlT_T0_E_clISt17integral_constantIbLb0EES1D_IbLb1EEEEDaS19_S1A_EUlS19_E_NS1_11comp_targetILNS1_3genE0ELNS1_11target_archE4294967295ELNS1_3gpuE0ELNS1_3repE0EEENS1_30default_config_static_selectorELNS0_4arch9wavefront6targetE0EEEvT1_
    .private_segment_fixed_size: 0
    .sgpr_count:     0
    .sgpr_spill_count: 0
    .symbol:         _ZN7rocprim17ROCPRIM_400000_NS6detail17trampoline_kernelINS0_14default_configENS1_25partition_config_selectorILNS1_17partition_subalgoE5ElNS0_10empty_typeEbEEZZNS1_14partition_implILS5_5ELb0ES3_mN6hipcub16HIPCUB_304000_NS21CountingInputIteratorIllEEPS6_NSA_22TransformInputIteratorIbN2at6native12_GLOBAL__N_19NonZeroOpIN3c107complexIfEEEEPKSL_lEENS0_5tupleIJPlS6_EEENSQ_IJSD_SD_EEES6_PiJS6_EEE10hipError_tPvRmT3_T4_T5_T6_T7_T9_mT8_P12ihipStream_tbDpT10_ENKUlT_T0_E_clISt17integral_constantIbLb0EES1D_IbLb1EEEEDaS19_S1A_EUlS19_E_NS1_11comp_targetILNS1_3genE0ELNS1_11target_archE4294967295ELNS1_3gpuE0ELNS1_3repE0EEENS1_30default_config_static_selectorELNS0_4arch9wavefront6targetE0EEEvT1_.kd
    .uniform_work_group_size: 1
    .uses_dynamic_stack: false
    .vgpr_count:     0
    .vgpr_spill_count: 0
    .wavefront_size: 32
    .workgroup_processor_mode: 1
  - .args:
      - .offset:         0
        .size:           136
        .value_kind:     by_value
    .group_segment_fixed_size: 0
    .kernarg_segment_align: 8
    .kernarg_segment_size: 136
    .language:       OpenCL C
    .language_version:
      - 2
      - 0
    .max_flat_workgroup_size: 512
    .name:           _ZN7rocprim17ROCPRIM_400000_NS6detail17trampoline_kernelINS0_14default_configENS1_25partition_config_selectorILNS1_17partition_subalgoE5ElNS0_10empty_typeEbEEZZNS1_14partition_implILS5_5ELb0ES3_mN6hipcub16HIPCUB_304000_NS21CountingInputIteratorIllEEPS6_NSA_22TransformInputIteratorIbN2at6native12_GLOBAL__N_19NonZeroOpIN3c107complexIfEEEEPKSL_lEENS0_5tupleIJPlS6_EEENSQ_IJSD_SD_EEES6_PiJS6_EEE10hipError_tPvRmT3_T4_T5_T6_T7_T9_mT8_P12ihipStream_tbDpT10_ENKUlT_T0_E_clISt17integral_constantIbLb0EES1D_IbLb1EEEEDaS19_S1A_EUlS19_E_NS1_11comp_targetILNS1_3genE5ELNS1_11target_archE942ELNS1_3gpuE9ELNS1_3repE0EEENS1_30default_config_static_selectorELNS0_4arch9wavefront6targetE0EEEvT1_
    .private_segment_fixed_size: 0
    .sgpr_count:     0
    .sgpr_spill_count: 0
    .symbol:         _ZN7rocprim17ROCPRIM_400000_NS6detail17trampoline_kernelINS0_14default_configENS1_25partition_config_selectorILNS1_17partition_subalgoE5ElNS0_10empty_typeEbEEZZNS1_14partition_implILS5_5ELb0ES3_mN6hipcub16HIPCUB_304000_NS21CountingInputIteratorIllEEPS6_NSA_22TransformInputIteratorIbN2at6native12_GLOBAL__N_19NonZeroOpIN3c107complexIfEEEEPKSL_lEENS0_5tupleIJPlS6_EEENSQ_IJSD_SD_EEES6_PiJS6_EEE10hipError_tPvRmT3_T4_T5_T6_T7_T9_mT8_P12ihipStream_tbDpT10_ENKUlT_T0_E_clISt17integral_constantIbLb0EES1D_IbLb1EEEEDaS19_S1A_EUlS19_E_NS1_11comp_targetILNS1_3genE5ELNS1_11target_archE942ELNS1_3gpuE9ELNS1_3repE0EEENS1_30default_config_static_selectorELNS0_4arch9wavefront6targetE0EEEvT1_.kd
    .uniform_work_group_size: 1
    .uses_dynamic_stack: false
    .vgpr_count:     0
    .vgpr_spill_count: 0
    .wavefront_size: 32
    .workgroup_processor_mode: 1
  - .args:
      - .offset:         0
        .size:           136
        .value_kind:     by_value
    .group_segment_fixed_size: 0
    .kernarg_segment_align: 8
    .kernarg_segment_size: 136
    .language:       OpenCL C
    .language_version:
      - 2
      - 0
    .max_flat_workgroup_size: 192
    .name:           _ZN7rocprim17ROCPRIM_400000_NS6detail17trampoline_kernelINS0_14default_configENS1_25partition_config_selectorILNS1_17partition_subalgoE5ElNS0_10empty_typeEbEEZZNS1_14partition_implILS5_5ELb0ES3_mN6hipcub16HIPCUB_304000_NS21CountingInputIteratorIllEEPS6_NSA_22TransformInputIteratorIbN2at6native12_GLOBAL__N_19NonZeroOpIN3c107complexIfEEEEPKSL_lEENS0_5tupleIJPlS6_EEENSQ_IJSD_SD_EEES6_PiJS6_EEE10hipError_tPvRmT3_T4_T5_T6_T7_T9_mT8_P12ihipStream_tbDpT10_ENKUlT_T0_E_clISt17integral_constantIbLb0EES1D_IbLb1EEEEDaS19_S1A_EUlS19_E_NS1_11comp_targetILNS1_3genE4ELNS1_11target_archE910ELNS1_3gpuE8ELNS1_3repE0EEENS1_30default_config_static_selectorELNS0_4arch9wavefront6targetE0EEEvT1_
    .private_segment_fixed_size: 0
    .sgpr_count:     0
    .sgpr_spill_count: 0
    .symbol:         _ZN7rocprim17ROCPRIM_400000_NS6detail17trampoline_kernelINS0_14default_configENS1_25partition_config_selectorILNS1_17partition_subalgoE5ElNS0_10empty_typeEbEEZZNS1_14partition_implILS5_5ELb0ES3_mN6hipcub16HIPCUB_304000_NS21CountingInputIteratorIllEEPS6_NSA_22TransformInputIteratorIbN2at6native12_GLOBAL__N_19NonZeroOpIN3c107complexIfEEEEPKSL_lEENS0_5tupleIJPlS6_EEENSQ_IJSD_SD_EEES6_PiJS6_EEE10hipError_tPvRmT3_T4_T5_T6_T7_T9_mT8_P12ihipStream_tbDpT10_ENKUlT_T0_E_clISt17integral_constantIbLb0EES1D_IbLb1EEEEDaS19_S1A_EUlS19_E_NS1_11comp_targetILNS1_3genE4ELNS1_11target_archE910ELNS1_3gpuE8ELNS1_3repE0EEENS1_30default_config_static_selectorELNS0_4arch9wavefront6targetE0EEEvT1_.kd
    .uniform_work_group_size: 1
    .uses_dynamic_stack: false
    .vgpr_count:     0
    .vgpr_spill_count: 0
    .wavefront_size: 32
    .workgroup_processor_mode: 1
  - .args:
      - .offset:         0
        .size:           136
        .value_kind:     by_value
    .group_segment_fixed_size: 0
    .kernarg_segment_align: 8
    .kernarg_segment_size: 136
    .language:       OpenCL C
    .language_version:
      - 2
      - 0
    .max_flat_workgroup_size: 128
    .name:           _ZN7rocprim17ROCPRIM_400000_NS6detail17trampoline_kernelINS0_14default_configENS1_25partition_config_selectorILNS1_17partition_subalgoE5ElNS0_10empty_typeEbEEZZNS1_14partition_implILS5_5ELb0ES3_mN6hipcub16HIPCUB_304000_NS21CountingInputIteratorIllEEPS6_NSA_22TransformInputIteratorIbN2at6native12_GLOBAL__N_19NonZeroOpIN3c107complexIfEEEEPKSL_lEENS0_5tupleIJPlS6_EEENSQ_IJSD_SD_EEES6_PiJS6_EEE10hipError_tPvRmT3_T4_T5_T6_T7_T9_mT8_P12ihipStream_tbDpT10_ENKUlT_T0_E_clISt17integral_constantIbLb0EES1D_IbLb1EEEEDaS19_S1A_EUlS19_E_NS1_11comp_targetILNS1_3genE3ELNS1_11target_archE908ELNS1_3gpuE7ELNS1_3repE0EEENS1_30default_config_static_selectorELNS0_4arch9wavefront6targetE0EEEvT1_
    .private_segment_fixed_size: 0
    .sgpr_count:     0
    .sgpr_spill_count: 0
    .symbol:         _ZN7rocprim17ROCPRIM_400000_NS6detail17trampoline_kernelINS0_14default_configENS1_25partition_config_selectorILNS1_17partition_subalgoE5ElNS0_10empty_typeEbEEZZNS1_14partition_implILS5_5ELb0ES3_mN6hipcub16HIPCUB_304000_NS21CountingInputIteratorIllEEPS6_NSA_22TransformInputIteratorIbN2at6native12_GLOBAL__N_19NonZeroOpIN3c107complexIfEEEEPKSL_lEENS0_5tupleIJPlS6_EEENSQ_IJSD_SD_EEES6_PiJS6_EEE10hipError_tPvRmT3_T4_T5_T6_T7_T9_mT8_P12ihipStream_tbDpT10_ENKUlT_T0_E_clISt17integral_constantIbLb0EES1D_IbLb1EEEEDaS19_S1A_EUlS19_E_NS1_11comp_targetILNS1_3genE3ELNS1_11target_archE908ELNS1_3gpuE7ELNS1_3repE0EEENS1_30default_config_static_selectorELNS0_4arch9wavefront6targetE0EEEvT1_.kd
    .uniform_work_group_size: 1
    .uses_dynamic_stack: false
    .vgpr_count:     0
    .vgpr_spill_count: 0
    .wavefront_size: 32
    .workgroup_processor_mode: 1
  - .args:
      - .offset:         0
        .size:           136
        .value_kind:     by_value
    .group_segment_fixed_size: 0
    .kernarg_segment_align: 8
    .kernarg_segment_size: 136
    .language:       OpenCL C
    .language_version:
      - 2
      - 0
    .max_flat_workgroup_size: 256
    .name:           _ZN7rocprim17ROCPRIM_400000_NS6detail17trampoline_kernelINS0_14default_configENS1_25partition_config_selectorILNS1_17partition_subalgoE5ElNS0_10empty_typeEbEEZZNS1_14partition_implILS5_5ELb0ES3_mN6hipcub16HIPCUB_304000_NS21CountingInputIteratorIllEEPS6_NSA_22TransformInputIteratorIbN2at6native12_GLOBAL__N_19NonZeroOpIN3c107complexIfEEEEPKSL_lEENS0_5tupleIJPlS6_EEENSQ_IJSD_SD_EEES6_PiJS6_EEE10hipError_tPvRmT3_T4_T5_T6_T7_T9_mT8_P12ihipStream_tbDpT10_ENKUlT_T0_E_clISt17integral_constantIbLb0EES1D_IbLb1EEEEDaS19_S1A_EUlS19_E_NS1_11comp_targetILNS1_3genE2ELNS1_11target_archE906ELNS1_3gpuE6ELNS1_3repE0EEENS1_30default_config_static_selectorELNS0_4arch9wavefront6targetE0EEEvT1_
    .private_segment_fixed_size: 0
    .sgpr_count:     0
    .sgpr_spill_count: 0
    .symbol:         _ZN7rocprim17ROCPRIM_400000_NS6detail17trampoline_kernelINS0_14default_configENS1_25partition_config_selectorILNS1_17partition_subalgoE5ElNS0_10empty_typeEbEEZZNS1_14partition_implILS5_5ELb0ES3_mN6hipcub16HIPCUB_304000_NS21CountingInputIteratorIllEEPS6_NSA_22TransformInputIteratorIbN2at6native12_GLOBAL__N_19NonZeroOpIN3c107complexIfEEEEPKSL_lEENS0_5tupleIJPlS6_EEENSQ_IJSD_SD_EEES6_PiJS6_EEE10hipError_tPvRmT3_T4_T5_T6_T7_T9_mT8_P12ihipStream_tbDpT10_ENKUlT_T0_E_clISt17integral_constantIbLb0EES1D_IbLb1EEEEDaS19_S1A_EUlS19_E_NS1_11comp_targetILNS1_3genE2ELNS1_11target_archE906ELNS1_3gpuE6ELNS1_3repE0EEENS1_30default_config_static_selectorELNS0_4arch9wavefront6targetE0EEEvT1_.kd
    .uniform_work_group_size: 1
    .uses_dynamic_stack: false
    .vgpr_count:     0
    .vgpr_spill_count: 0
    .wavefront_size: 32
    .workgroup_processor_mode: 1
  - .args:
      - .offset:         0
        .size:           136
        .value_kind:     by_value
    .group_segment_fixed_size: 8464
    .kernarg_segment_align: 8
    .kernarg_segment_size: 136
    .language:       OpenCL C
    .language_version:
      - 2
      - 0
    .max_flat_workgroup_size: 256
    .name:           _ZN7rocprim17ROCPRIM_400000_NS6detail17trampoline_kernelINS0_14default_configENS1_25partition_config_selectorILNS1_17partition_subalgoE5ElNS0_10empty_typeEbEEZZNS1_14partition_implILS5_5ELb0ES3_mN6hipcub16HIPCUB_304000_NS21CountingInputIteratorIllEEPS6_NSA_22TransformInputIteratorIbN2at6native12_GLOBAL__N_19NonZeroOpIN3c107complexIfEEEEPKSL_lEENS0_5tupleIJPlS6_EEENSQ_IJSD_SD_EEES6_PiJS6_EEE10hipError_tPvRmT3_T4_T5_T6_T7_T9_mT8_P12ihipStream_tbDpT10_ENKUlT_T0_E_clISt17integral_constantIbLb0EES1D_IbLb1EEEEDaS19_S1A_EUlS19_E_NS1_11comp_targetILNS1_3genE10ELNS1_11target_archE1200ELNS1_3gpuE4ELNS1_3repE0EEENS1_30default_config_static_selectorELNS0_4arch9wavefront6targetE0EEEvT1_
    .private_segment_fixed_size: 0
    .sgpr_count:     26
    .sgpr_spill_count: 0
    .symbol:         _ZN7rocprim17ROCPRIM_400000_NS6detail17trampoline_kernelINS0_14default_configENS1_25partition_config_selectorILNS1_17partition_subalgoE5ElNS0_10empty_typeEbEEZZNS1_14partition_implILS5_5ELb0ES3_mN6hipcub16HIPCUB_304000_NS21CountingInputIteratorIllEEPS6_NSA_22TransformInputIteratorIbN2at6native12_GLOBAL__N_19NonZeroOpIN3c107complexIfEEEEPKSL_lEENS0_5tupleIJPlS6_EEENSQ_IJSD_SD_EEES6_PiJS6_EEE10hipError_tPvRmT3_T4_T5_T6_T7_T9_mT8_P12ihipStream_tbDpT10_ENKUlT_T0_E_clISt17integral_constantIbLb0EES1D_IbLb1EEEEDaS19_S1A_EUlS19_E_NS1_11comp_targetILNS1_3genE10ELNS1_11target_archE1200ELNS1_3gpuE4ELNS1_3repE0EEENS1_30default_config_static_selectorELNS0_4arch9wavefront6targetE0EEEvT1_.kd
    .uniform_work_group_size: 1
    .uses_dynamic_stack: false
    .vgpr_count:     48
    .vgpr_spill_count: 0
    .wavefront_size: 32
    .workgroup_processor_mode: 1
  - .args:
      - .offset:         0
        .size:           136
        .value_kind:     by_value
    .group_segment_fixed_size: 0
    .kernarg_segment_align: 8
    .kernarg_segment_size: 136
    .language:       OpenCL C
    .language_version:
      - 2
      - 0
    .max_flat_workgroup_size: 128
    .name:           _ZN7rocprim17ROCPRIM_400000_NS6detail17trampoline_kernelINS0_14default_configENS1_25partition_config_selectorILNS1_17partition_subalgoE5ElNS0_10empty_typeEbEEZZNS1_14partition_implILS5_5ELb0ES3_mN6hipcub16HIPCUB_304000_NS21CountingInputIteratorIllEEPS6_NSA_22TransformInputIteratorIbN2at6native12_GLOBAL__N_19NonZeroOpIN3c107complexIfEEEEPKSL_lEENS0_5tupleIJPlS6_EEENSQ_IJSD_SD_EEES6_PiJS6_EEE10hipError_tPvRmT3_T4_T5_T6_T7_T9_mT8_P12ihipStream_tbDpT10_ENKUlT_T0_E_clISt17integral_constantIbLb0EES1D_IbLb1EEEEDaS19_S1A_EUlS19_E_NS1_11comp_targetILNS1_3genE9ELNS1_11target_archE1100ELNS1_3gpuE3ELNS1_3repE0EEENS1_30default_config_static_selectorELNS0_4arch9wavefront6targetE0EEEvT1_
    .private_segment_fixed_size: 0
    .sgpr_count:     0
    .sgpr_spill_count: 0
    .symbol:         _ZN7rocprim17ROCPRIM_400000_NS6detail17trampoline_kernelINS0_14default_configENS1_25partition_config_selectorILNS1_17partition_subalgoE5ElNS0_10empty_typeEbEEZZNS1_14partition_implILS5_5ELb0ES3_mN6hipcub16HIPCUB_304000_NS21CountingInputIteratorIllEEPS6_NSA_22TransformInputIteratorIbN2at6native12_GLOBAL__N_19NonZeroOpIN3c107complexIfEEEEPKSL_lEENS0_5tupleIJPlS6_EEENSQ_IJSD_SD_EEES6_PiJS6_EEE10hipError_tPvRmT3_T4_T5_T6_T7_T9_mT8_P12ihipStream_tbDpT10_ENKUlT_T0_E_clISt17integral_constantIbLb0EES1D_IbLb1EEEEDaS19_S1A_EUlS19_E_NS1_11comp_targetILNS1_3genE9ELNS1_11target_archE1100ELNS1_3gpuE3ELNS1_3repE0EEENS1_30default_config_static_selectorELNS0_4arch9wavefront6targetE0EEEvT1_.kd
    .uniform_work_group_size: 1
    .uses_dynamic_stack: false
    .vgpr_count:     0
    .vgpr_spill_count: 0
    .wavefront_size: 32
    .workgroup_processor_mode: 1
  - .args:
      - .offset:         0
        .size:           136
        .value_kind:     by_value
    .group_segment_fixed_size: 0
    .kernarg_segment_align: 8
    .kernarg_segment_size: 136
    .language:       OpenCL C
    .language_version:
      - 2
      - 0
    .max_flat_workgroup_size: 512
    .name:           _ZN7rocprim17ROCPRIM_400000_NS6detail17trampoline_kernelINS0_14default_configENS1_25partition_config_selectorILNS1_17partition_subalgoE5ElNS0_10empty_typeEbEEZZNS1_14partition_implILS5_5ELb0ES3_mN6hipcub16HIPCUB_304000_NS21CountingInputIteratorIllEEPS6_NSA_22TransformInputIteratorIbN2at6native12_GLOBAL__N_19NonZeroOpIN3c107complexIfEEEEPKSL_lEENS0_5tupleIJPlS6_EEENSQ_IJSD_SD_EEES6_PiJS6_EEE10hipError_tPvRmT3_T4_T5_T6_T7_T9_mT8_P12ihipStream_tbDpT10_ENKUlT_T0_E_clISt17integral_constantIbLb0EES1D_IbLb1EEEEDaS19_S1A_EUlS19_E_NS1_11comp_targetILNS1_3genE8ELNS1_11target_archE1030ELNS1_3gpuE2ELNS1_3repE0EEENS1_30default_config_static_selectorELNS0_4arch9wavefront6targetE0EEEvT1_
    .private_segment_fixed_size: 0
    .sgpr_count:     0
    .sgpr_spill_count: 0
    .symbol:         _ZN7rocprim17ROCPRIM_400000_NS6detail17trampoline_kernelINS0_14default_configENS1_25partition_config_selectorILNS1_17partition_subalgoE5ElNS0_10empty_typeEbEEZZNS1_14partition_implILS5_5ELb0ES3_mN6hipcub16HIPCUB_304000_NS21CountingInputIteratorIllEEPS6_NSA_22TransformInputIteratorIbN2at6native12_GLOBAL__N_19NonZeroOpIN3c107complexIfEEEEPKSL_lEENS0_5tupleIJPlS6_EEENSQ_IJSD_SD_EEES6_PiJS6_EEE10hipError_tPvRmT3_T4_T5_T6_T7_T9_mT8_P12ihipStream_tbDpT10_ENKUlT_T0_E_clISt17integral_constantIbLb0EES1D_IbLb1EEEEDaS19_S1A_EUlS19_E_NS1_11comp_targetILNS1_3genE8ELNS1_11target_archE1030ELNS1_3gpuE2ELNS1_3repE0EEENS1_30default_config_static_selectorELNS0_4arch9wavefront6targetE0EEEvT1_.kd
    .uniform_work_group_size: 1
    .uses_dynamic_stack: false
    .vgpr_count:     0
    .vgpr_spill_count: 0
    .wavefront_size: 32
    .workgroup_processor_mode: 1
  - .args:
      - .offset:         0
        .size:           56
        .value_kind:     by_value
    .group_segment_fixed_size: 0
    .kernarg_segment_align: 8
    .kernarg_segment_size: 56
    .language:       OpenCL C
    .language_version:
      - 2
      - 0
    .max_flat_workgroup_size: 256
    .name:           _ZN7rocprim17ROCPRIM_400000_NS6detail17trampoline_kernelINS0_14default_configENS1_22reduce_config_selectorIiEEZNS1_11reduce_implILb1ES3_PiS7_iN6hipcub16HIPCUB_304000_NS6detail34convert_binary_result_type_wrapperINS9_3SumENS9_22TransformInputIteratorIbN2at6native12_GLOBAL__N_19NonZeroOpIN3c107complexINSI_4HalfEEEEEPKSL_lEEiEEEE10hipError_tPvRmT1_T2_T3_mT4_P12ihipStream_tbEUlT_E0_NS1_11comp_targetILNS1_3genE0ELNS1_11target_archE4294967295ELNS1_3gpuE0ELNS1_3repE0EEENS1_30default_config_static_selectorELNS0_4arch9wavefront6targetE0EEEvSU_
    .private_segment_fixed_size: 0
    .sgpr_count:     0
    .sgpr_spill_count: 0
    .symbol:         _ZN7rocprim17ROCPRIM_400000_NS6detail17trampoline_kernelINS0_14default_configENS1_22reduce_config_selectorIiEEZNS1_11reduce_implILb1ES3_PiS7_iN6hipcub16HIPCUB_304000_NS6detail34convert_binary_result_type_wrapperINS9_3SumENS9_22TransformInputIteratorIbN2at6native12_GLOBAL__N_19NonZeroOpIN3c107complexINSI_4HalfEEEEEPKSL_lEEiEEEE10hipError_tPvRmT1_T2_T3_mT4_P12ihipStream_tbEUlT_E0_NS1_11comp_targetILNS1_3genE0ELNS1_11target_archE4294967295ELNS1_3gpuE0ELNS1_3repE0EEENS1_30default_config_static_selectorELNS0_4arch9wavefront6targetE0EEEvSU_.kd
    .uniform_work_group_size: 1
    .uses_dynamic_stack: false
    .vgpr_count:     0
    .vgpr_spill_count: 0
    .wavefront_size: 32
    .workgroup_processor_mode: 1
  - .args:
      - .offset:         0
        .size:           56
        .value_kind:     by_value
    .group_segment_fixed_size: 0
    .kernarg_segment_align: 8
    .kernarg_segment_size: 56
    .language:       OpenCL C
    .language_version:
      - 2
      - 0
    .max_flat_workgroup_size: 256
    .name:           _ZN7rocprim17ROCPRIM_400000_NS6detail17trampoline_kernelINS0_14default_configENS1_22reduce_config_selectorIiEEZNS1_11reduce_implILb1ES3_PiS7_iN6hipcub16HIPCUB_304000_NS6detail34convert_binary_result_type_wrapperINS9_3SumENS9_22TransformInputIteratorIbN2at6native12_GLOBAL__N_19NonZeroOpIN3c107complexINSI_4HalfEEEEEPKSL_lEEiEEEE10hipError_tPvRmT1_T2_T3_mT4_P12ihipStream_tbEUlT_E0_NS1_11comp_targetILNS1_3genE5ELNS1_11target_archE942ELNS1_3gpuE9ELNS1_3repE0EEENS1_30default_config_static_selectorELNS0_4arch9wavefront6targetE0EEEvSU_
    .private_segment_fixed_size: 0
    .sgpr_count:     0
    .sgpr_spill_count: 0
    .symbol:         _ZN7rocprim17ROCPRIM_400000_NS6detail17trampoline_kernelINS0_14default_configENS1_22reduce_config_selectorIiEEZNS1_11reduce_implILb1ES3_PiS7_iN6hipcub16HIPCUB_304000_NS6detail34convert_binary_result_type_wrapperINS9_3SumENS9_22TransformInputIteratorIbN2at6native12_GLOBAL__N_19NonZeroOpIN3c107complexINSI_4HalfEEEEEPKSL_lEEiEEEE10hipError_tPvRmT1_T2_T3_mT4_P12ihipStream_tbEUlT_E0_NS1_11comp_targetILNS1_3genE5ELNS1_11target_archE942ELNS1_3gpuE9ELNS1_3repE0EEENS1_30default_config_static_selectorELNS0_4arch9wavefront6targetE0EEEvSU_.kd
    .uniform_work_group_size: 1
    .uses_dynamic_stack: false
    .vgpr_count:     0
    .vgpr_spill_count: 0
    .wavefront_size: 32
    .workgroup_processor_mode: 1
  - .args:
      - .offset:         0
        .size:           56
        .value_kind:     by_value
    .group_segment_fixed_size: 0
    .kernarg_segment_align: 8
    .kernarg_segment_size: 56
    .language:       OpenCL C
    .language_version:
      - 2
      - 0
    .max_flat_workgroup_size: 128
    .name:           _ZN7rocprim17ROCPRIM_400000_NS6detail17trampoline_kernelINS0_14default_configENS1_22reduce_config_selectorIiEEZNS1_11reduce_implILb1ES3_PiS7_iN6hipcub16HIPCUB_304000_NS6detail34convert_binary_result_type_wrapperINS9_3SumENS9_22TransformInputIteratorIbN2at6native12_GLOBAL__N_19NonZeroOpIN3c107complexINSI_4HalfEEEEEPKSL_lEEiEEEE10hipError_tPvRmT1_T2_T3_mT4_P12ihipStream_tbEUlT_E0_NS1_11comp_targetILNS1_3genE4ELNS1_11target_archE910ELNS1_3gpuE8ELNS1_3repE0EEENS1_30default_config_static_selectorELNS0_4arch9wavefront6targetE0EEEvSU_
    .private_segment_fixed_size: 0
    .sgpr_count:     0
    .sgpr_spill_count: 0
    .symbol:         _ZN7rocprim17ROCPRIM_400000_NS6detail17trampoline_kernelINS0_14default_configENS1_22reduce_config_selectorIiEEZNS1_11reduce_implILb1ES3_PiS7_iN6hipcub16HIPCUB_304000_NS6detail34convert_binary_result_type_wrapperINS9_3SumENS9_22TransformInputIteratorIbN2at6native12_GLOBAL__N_19NonZeroOpIN3c107complexINSI_4HalfEEEEEPKSL_lEEiEEEE10hipError_tPvRmT1_T2_T3_mT4_P12ihipStream_tbEUlT_E0_NS1_11comp_targetILNS1_3genE4ELNS1_11target_archE910ELNS1_3gpuE8ELNS1_3repE0EEENS1_30default_config_static_selectorELNS0_4arch9wavefront6targetE0EEEvSU_.kd
    .uniform_work_group_size: 1
    .uses_dynamic_stack: false
    .vgpr_count:     0
    .vgpr_spill_count: 0
    .wavefront_size: 32
    .workgroup_processor_mode: 1
  - .args:
      - .offset:         0
        .size:           56
        .value_kind:     by_value
    .group_segment_fixed_size: 0
    .kernarg_segment_align: 8
    .kernarg_segment_size: 56
    .language:       OpenCL C
    .language_version:
      - 2
      - 0
    .max_flat_workgroup_size: 256
    .name:           _ZN7rocprim17ROCPRIM_400000_NS6detail17trampoline_kernelINS0_14default_configENS1_22reduce_config_selectorIiEEZNS1_11reduce_implILb1ES3_PiS7_iN6hipcub16HIPCUB_304000_NS6detail34convert_binary_result_type_wrapperINS9_3SumENS9_22TransformInputIteratorIbN2at6native12_GLOBAL__N_19NonZeroOpIN3c107complexINSI_4HalfEEEEEPKSL_lEEiEEEE10hipError_tPvRmT1_T2_T3_mT4_P12ihipStream_tbEUlT_E0_NS1_11comp_targetILNS1_3genE3ELNS1_11target_archE908ELNS1_3gpuE7ELNS1_3repE0EEENS1_30default_config_static_selectorELNS0_4arch9wavefront6targetE0EEEvSU_
    .private_segment_fixed_size: 0
    .sgpr_count:     0
    .sgpr_spill_count: 0
    .symbol:         _ZN7rocprim17ROCPRIM_400000_NS6detail17trampoline_kernelINS0_14default_configENS1_22reduce_config_selectorIiEEZNS1_11reduce_implILb1ES3_PiS7_iN6hipcub16HIPCUB_304000_NS6detail34convert_binary_result_type_wrapperINS9_3SumENS9_22TransformInputIteratorIbN2at6native12_GLOBAL__N_19NonZeroOpIN3c107complexINSI_4HalfEEEEEPKSL_lEEiEEEE10hipError_tPvRmT1_T2_T3_mT4_P12ihipStream_tbEUlT_E0_NS1_11comp_targetILNS1_3genE3ELNS1_11target_archE908ELNS1_3gpuE7ELNS1_3repE0EEENS1_30default_config_static_selectorELNS0_4arch9wavefront6targetE0EEEvSU_.kd
    .uniform_work_group_size: 1
    .uses_dynamic_stack: false
    .vgpr_count:     0
    .vgpr_spill_count: 0
    .wavefront_size: 32
    .workgroup_processor_mode: 1
  - .args:
      - .offset:         0
        .size:           56
        .value_kind:     by_value
    .group_segment_fixed_size: 0
    .kernarg_segment_align: 8
    .kernarg_segment_size: 56
    .language:       OpenCL C
    .language_version:
      - 2
      - 0
    .max_flat_workgroup_size: 256
    .name:           _ZN7rocprim17ROCPRIM_400000_NS6detail17trampoline_kernelINS0_14default_configENS1_22reduce_config_selectorIiEEZNS1_11reduce_implILb1ES3_PiS7_iN6hipcub16HIPCUB_304000_NS6detail34convert_binary_result_type_wrapperINS9_3SumENS9_22TransformInputIteratorIbN2at6native12_GLOBAL__N_19NonZeroOpIN3c107complexINSI_4HalfEEEEEPKSL_lEEiEEEE10hipError_tPvRmT1_T2_T3_mT4_P12ihipStream_tbEUlT_E0_NS1_11comp_targetILNS1_3genE2ELNS1_11target_archE906ELNS1_3gpuE6ELNS1_3repE0EEENS1_30default_config_static_selectorELNS0_4arch9wavefront6targetE0EEEvSU_
    .private_segment_fixed_size: 0
    .sgpr_count:     0
    .sgpr_spill_count: 0
    .symbol:         _ZN7rocprim17ROCPRIM_400000_NS6detail17trampoline_kernelINS0_14default_configENS1_22reduce_config_selectorIiEEZNS1_11reduce_implILb1ES3_PiS7_iN6hipcub16HIPCUB_304000_NS6detail34convert_binary_result_type_wrapperINS9_3SumENS9_22TransformInputIteratorIbN2at6native12_GLOBAL__N_19NonZeroOpIN3c107complexINSI_4HalfEEEEEPKSL_lEEiEEEE10hipError_tPvRmT1_T2_T3_mT4_P12ihipStream_tbEUlT_E0_NS1_11comp_targetILNS1_3genE2ELNS1_11target_archE906ELNS1_3gpuE6ELNS1_3repE0EEENS1_30default_config_static_selectorELNS0_4arch9wavefront6targetE0EEEvSU_.kd
    .uniform_work_group_size: 1
    .uses_dynamic_stack: false
    .vgpr_count:     0
    .vgpr_spill_count: 0
    .wavefront_size: 32
    .workgroup_processor_mode: 1
  - .args:
      - .offset:         0
        .size:           56
        .value_kind:     by_value
    .group_segment_fixed_size: 64
    .kernarg_segment_align: 8
    .kernarg_segment_size: 56
    .language:       OpenCL C
    .language_version:
      - 2
      - 0
    .max_flat_workgroup_size: 256
    .name:           _ZN7rocprim17ROCPRIM_400000_NS6detail17trampoline_kernelINS0_14default_configENS1_22reduce_config_selectorIiEEZNS1_11reduce_implILb1ES3_PiS7_iN6hipcub16HIPCUB_304000_NS6detail34convert_binary_result_type_wrapperINS9_3SumENS9_22TransformInputIteratorIbN2at6native12_GLOBAL__N_19NonZeroOpIN3c107complexINSI_4HalfEEEEEPKSL_lEEiEEEE10hipError_tPvRmT1_T2_T3_mT4_P12ihipStream_tbEUlT_E0_NS1_11comp_targetILNS1_3genE10ELNS1_11target_archE1201ELNS1_3gpuE5ELNS1_3repE0EEENS1_30default_config_static_selectorELNS0_4arch9wavefront6targetE0EEEvSU_
    .private_segment_fixed_size: 0
    .sgpr_count:     32
    .sgpr_spill_count: 0
    .symbol:         _ZN7rocprim17ROCPRIM_400000_NS6detail17trampoline_kernelINS0_14default_configENS1_22reduce_config_selectorIiEEZNS1_11reduce_implILb1ES3_PiS7_iN6hipcub16HIPCUB_304000_NS6detail34convert_binary_result_type_wrapperINS9_3SumENS9_22TransformInputIteratorIbN2at6native12_GLOBAL__N_19NonZeroOpIN3c107complexINSI_4HalfEEEEEPKSL_lEEiEEEE10hipError_tPvRmT1_T2_T3_mT4_P12ihipStream_tbEUlT_E0_NS1_11comp_targetILNS1_3genE10ELNS1_11target_archE1201ELNS1_3gpuE5ELNS1_3repE0EEENS1_30default_config_static_selectorELNS0_4arch9wavefront6targetE0EEEvSU_.kd
    .uniform_work_group_size: 1
    .uses_dynamic_stack: false
    .vgpr_count:     20
    .vgpr_spill_count: 0
    .wavefront_size: 32
    .workgroup_processor_mode: 1
  - .args:
      - .offset:         0
        .size:           56
        .value_kind:     by_value
    .group_segment_fixed_size: 0
    .kernarg_segment_align: 8
    .kernarg_segment_size: 56
    .language:       OpenCL C
    .language_version:
      - 2
      - 0
    .max_flat_workgroup_size: 256
    .name:           _ZN7rocprim17ROCPRIM_400000_NS6detail17trampoline_kernelINS0_14default_configENS1_22reduce_config_selectorIiEEZNS1_11reduce_implILb1ES3_PiS7_iN6hipcub16HIPCUB_304000_NS6detail34convert_binary_result_type_wrapperINS9_3SumENS9_22TransformInputIteratorIbN2at6native12_GLOBAL__N_19NonZeroOpIN3c107complexINSI_4HalfEEEEEPKSL_lEEiEEEE10hipError_tPvRmT1_T2_T3_mT4_P12ihipStream_tbEUlT_E0_NS1_11comp_targetILNS1_3genE10ELNS1_11target_archE1200ELNS1_3gpuE4ELNS1_3repE0EEENS1_30default_config_static_selectorELNS0_4arch9wavefront6targetE0EEEvSU_
    .private_segment_fixed_size: 0
    .sgpr_count:     0
    .sgpr_spill_count: 0
    .symbol:         _ZN7rocprim17ROCPRIM_400000_NS6detail17trampoline_kernelINS0_14default_configENS1_22reduce_config_selectorIiEEZNS1_11reduce_implILb1ES3_PiS7_iN6hipcub16HIPCUB_304000_NS6detail34convert_binary_result_type_wrapperINS9_3SumENS9_22TransformInputIteratorIbN2at6native12_GLOBAL__N_19NonZeroOpIN3c107complexINSI_4HalfEEEEEPKSL_lEEiEEEE10hipError_tPvRmT1_T2_T3_mT4_P12ihipStream_tbEUlT_E0_NS1_11comp_targetILNS1_3genE10ELNS1_11target_archE1200ELNS1_3gpuE4ELNS1_3repE0EEENS1_30default_config_static_selectorELNS0_4arch9wavefront6targetE0EEEvSU_.kd
    .uniform_work_group_size: 1
    .uses_dynamic_stack: false
    .vgpr_count:     0
    .vgpr_spill_count: 0
    .wavefront_size: 32
    .workgroup_processor_mode: 1
  - .args:
      - .offset:         0
        .size:           56
        .value_kind:     by_value
    .group_segment_fixed_size: 0
    .kernarg_segment_align: 8
    .kernarg_segment_size: 56
    .language:       OpenCL C
    .language_version:
      - 2
      - 0
    .max_flat_workgroup_size: 256
    .name:           _ZN7rocprim17ROCPRIM_400000_NS6detail17trampoline_kernelINS0_14default_configENS1_22reduce_config_selectorIiEEZNS1_11reduce_implILb1ES3_PiS7_iN6hipcub16HIPCUB_304000_NS6detail34convert_binary_result_type_wrapperINS9_3SumENS9_22TransformInputIteratorIbN2at6native12_GLOBAL__N_19NonZeroOpIN3c107complexINSI_4HalfEEEEEPKSL_lEEiEEEE10hipError_tPvRmT1_T2_T3_mT4_P12ihipStream_tbEUlT_E0_NS1_11comp_targetILNS1_3genE9ELNS1_11target_archE1100ELNS1_3gpuE3ELNS1_3repE0EEENS1_30default_config_static_selectorELNS0_4arch9wavefront6targetE0EEEvSU_
    .private_segment_fixed_size: 0
    .sgpr_count:     0
    .sgpr_spill_count: 0
    .symbol:         _ZN7rocprim17ROCPRIM_400000_NS6detail17trampoline_kernelINS0_14default_configENS1_22reduce_config_selectorIiEEZNS1_11reduce_implILb1ES3_PiS7_iN6hipcub16HIPCUB_304000_NS6detail34convert_binary_result_type_wrapperINS9_3SumENS9_22TransformInputIteratorIbN2at6native12_GLOBAL__N_19NonZeroOpIN3c107complexINSI_4HalfEEEEEPKSL_lEEiEEEE10hipError_tPvRmT1_T2_T3_mT4_P12ihipStream_tbEUlT_E0_NS1_11comp_targetILNS1_3genE9ELNS1_11target_archE1100ELNS1_3gpuE3ELNS1_3repE0EEENS1_30default_config_static_selectorELNS0_4arch9wavefront6targetE0EEEvSU_.kd
    .uniform_work_group_size: 1
    .uses_dynamic_stack: false
    .vgpr_count:     0
    .vgpr_spill_count: 0
    .wavefront_size: 32
    .workgroup_processor_mode: 1
  - .args:
      - .offset:         0
        .size:           56
        .value_kind:     by_value
    .group_segment_fixed_size: 0
    .kernarg_segment_align: 8
    .kernarg_segment_size: 56
    .language:       OpenCL C
    .language_version:
      - 2
      - 0
    .max_flat_workgroup_size: 256
    .name:           _ZN7rocprim17ROCPRIM_400000_NS6detail17trampoline_kernelINS0_14default_configENS1_22reduce_config_selectorIiEEZNS1_11reduce_implILb1ES3_PiS7_iN6hipcub16HIPCUB_304000_NS6detail34convert_binary_result_type_wrapperINS9_3SumENS9_22TransformInputIteratorIbN2at6native12_GLOBAL__N_19NonZeroOpIN3c107complexINSI_4HalfEEEEEPKSL_lEEiEEEE10hipError_tPvRmT1_T2_T3_mT4_P12ihipStream_tbEUlT_E0_NS1_11comp_targetILNS1_3genE8ELNS1_11target_archE1030ELNS1_3gpuE2ELNS1_3repE0EEENS1_30default_config_static_selectorELNS0_4arch9wavefront6targetE0EEEvSU_
    .private_segment_fixed_size: 0
    .sgpr_count:     0
    .sgpr_spill_count: 0
    .symbol:         _ZN7rocprim17ROCPRIM_400000_NS6detail17trampoline_kernelINS0_14default_configENS1_22reduce_config_selectorIiEEZNS1_11reduce_implILb1ES3_PiS7_iN6hipcub16HIPCUB_304000_NS6detail34convert_binary_result_type_wrapperINS9_3SumENS9_22TransformInputIteratorIbN2at6native12_GLOBAL__N_19NonZeroOpIN3c107complexINSI_4HalfEEEEEPKSL_lEEiEEEE10hipError_tPvRmT1_T2_T3_mT4_P12ihipStream_tbEUlT_E0_NS1_11comp_targetILNS1_3genE8ELNS1_11target_archE1030ELNS1_3gpuE2ELNS1_3repE0EEENS1_30default_config_static_selectorELNS0_4arch9wavefront6targetE0EEEvSU_.kd
    .uniform_work_group_size: 1
    .uses_dynamic_stack: false
    .vgpr_count:     0
    .vgpr_spill_count: 0
    .wavefront_size: 32
    .workgroup_processor_mode: 1
  - .args:
      - .offset:         0
        .size:           40
        .value_kind:     by_value
    .group_segment_fixed_size: 0
    .kernarg_segment_align: 8
    .kernarg_segment_size: 40
    .language:       OpenCL C
    .language_version:
      - 2
      - 0
    .max_flat_workgroup_size: 256
    .name:           _ZN7rocprim17ROCPRIM_400000_NS6detail17trampoline_kernelINS0_14default_configENS1_22reduce_config_selectorIiEEZNS1_11reduce_implILb1ES3_PiS7_iN6hipcub16HIPCUB_304000_NS6detail34convert_binary_result_type_wrapperINS9_3SumENS9_22TransformInputIteratorIbN2at6native12_GLOBAL__N_19NonZeroOpIN3c107complexINSI_4HalfEEEEEPKSL_lEEiEEEE10hipError_tPvRmT1_T2_T3_mT4_P12ihipStream_tbEUlT_E1_NS1_11comp_targetILNS1_3genE0ELNS1_11target_archE4294967295ELNS1_3gpuE0ELNS1_3repE0EEENS1_30default_config_static_selectorELNS0_4arch9wavefront6targetE0EEEvSU_
    .private_segment_fixed_size: 0
    .sgpr_count:     0
    .sgpr_spill_count: 0
    .symbol:         _ZN7rocprim17ROCPRIM_400000_NS6detail17trampoline_kernelINS0_14default_configENS1_22reduce_config_selectorIiEEZNS1_11reduce_implILb1ES3_PiS7_iN6hipcub16HIPCUB_304000_NS6detail34convert_binary_result_type_wrapperINS9_3SumENS9_22TransformInputIteratorIbN2at6native12_GLOBAL__N_19NonZeroOpIN3c107complexINSI_4HalfEEEEEPKSL_lEEiEEEE10hipError_tPvRmT1_T2_T3_mT4_P12ihipStream_tbEUlT_E1_NS1_11comp_targetILNS1_3genE0ELNS1_11target_archE4294967295ELNS1_3gpuE0ELNS1_3repE0EEENS1_30default_config_static_selectorELNS0_4arch9wavefront6targetE0EEEvSU_.kd
    .uniform_work_group_size: 1
    .uses_dynamic_stack: false
    .vgpr_count:     0
    .vgpr_spill_count: 0
    .wavefront_size: 32
    .workgroup_processor_mode: 1
  - .args:
      - .offset:         0
        .size:           40
        .value_kind:     by_value
    .group_segment_fixed_size: 0
    .kernarg_segment_align: 8
    .kernarg_segment_size: 40
    .language:       OpenCL C
    .language_version:
      - 2
      - 0
    .max_flat_workgroup_size: 256
    .name:           _ZN7rocprim17ROCPRIM_400000_NS6detail17trampoline_kernelINS0_14default_configENS1_22reduce_config_selectorIiEEZNS1_11reduce_implILb1ES3_PiS7_iN6hipcub16HIPCUB_304000_NS6detail34convert_binary_result_type_wrapperINS9_3SumENS9_22TransformInputIteratorIbN2at6native12_GLOBAL__N_19NonZeroOpIN3c107complexINSI_4HalfEEEEEPKSL_lEEiEEEE10hipError_tPvRmT1_T2_T3_mT4_P12ihipStream_tbEUlT_E1_NS1_11comp_targetILNS1_3genE5ELNS1_11target_archE942ELNS1_3gpuE9ELNS1_3repE0EEENS1_30default_config_static_selectorELNS0_4arch9wavefront6targetE0EEEvSU_
    .private_segment_fixed_size: 0
    .sgpr_count:     0
    .sgpr_spill_count: 0
    .symbol:         _ZN7rocprim17ROCPRIM_400000_NS6detail17trampoline_kernelINS0_14default_configENS1_22reduce_config_selectorIiEEZNS1_11reduce_implILb1ES3_PiS7_iN6hipcub16HIPCUB_304000_NS6detail34convert_binary_result_type_wrapperINS9_3SumENS9_22TransformInputIteratorIbN2at6native12_GLOBAL__N_19NonZeroOpIN3c107complexINSI_4HalfEEEEEPKSL_lEEiEEEE10hipError_tPvRmT1_T2_T3_mT4_P12ihipStream_tbEUlT_E1_NS1_11comp_targetILNS1_3genE5ELNS1_11target_archE942ELNS1_3gpuE9ELNS1_3repE0EEENS1_30default_config_static_selectorELNS0_4arch9wavefront6targetE0EEEvSU_.kd
    .uniform_work_group_size: 1
    .uses_dynamic_stack: false
    .vgpr_count:     0
    .vgpr_spill_count: 0
    .wavefront_size: 32
    .workgroup_processor_mode: 1
  - .args:
      - .offset:         0
        .size:           40
        .value_kind:     by_value
    .group_segment_fixed_size: 0
    .kernarg_segment_align: 8
    .kernarg_segment_size: 40
    .language:       OpenCL C
    .language_version:
      - 2
      - 0
    .max_flat_workgroup_size: 128
    .name:           _ZN7rocprim17ROCPRIM_400000_NS6detail17trampoline_kernelINS0_14default_configENS1_22reduce_config_selectorIiEEZNS1_11reduce_implILb1ES3_PiS7_iN6hipcub16HIPCUB_304000_NS6detail34convert_binary_result_type_wrapperINS9_3SumENS9_22TransformInputIteratorIbN2at6native12_GLOBAL__N_19NonZeroOpIN3c107complexINSI_4HalfEEEEEPKSL_lEEiEEEE10hipError_tPvRmT1_T2_T3_mT4_P12ihipStream_tbEUlT_E1_NS1_11comp_targetILNS1_3genE4ELNS1_11target_archE910ELNS1_3gpuE8ELNS1_3repE0EEENS1_30default_config_static_selectorELNS0_4arch9wavefront6targetE0EEEvSU_
    .private_segment_fixed_size: 0
    .sgpr_count:     0
    .sgpr_spill_count: 0
    .symbol:         _ZN7rocprim17ROCPRIM_400000_NS6detail17trampoline_kernelINS0_14default_configENS1_22reduce_config_selectorIiEEZNS1_11reduce_implILb1ES3_PiS7_iN6hipcub16HIPCUB_304000_NS6detail34convert_binary_result_type_wrapperINS9_3SumENS9_22TransformInputIteratorIbN2at6native12_GLOBAL__N_19NonZeroOpIN3c107complexINSI_4HalfEEEEEPKSL_lEEiEEEE10hipError_tPvRmT1_T2_T3_mT4_P12ihipStream_tbEUlT_E1_NS1_11comp_targetILNS1_3genE4ELNS1_11target_archE910ELNS1_3gpuE8ELNS1_3repE0EEENS1_30default_config_static_selectorELNS0_4arch9wavefront6targetE0EEEvSU_.kd
    .uniform_work_group_size: 1
    .uses_dynamic_stack: false
    .vgpr_count:     0
    .vgpr_spill_count: 0
    .wavefront_size: 32
    .workgroup_processor_mode: 1
  - .args:
      - .offset:         0
        .size:           40
        .value_kind:     by_value
    .group_segment_fixed_size: 0
    .kernarg_segment_align: 8
    .kernarg_segment_size: 40
    .language:       OpenCL C
    .language_version:
      - 2
      - 0
    .max_flat_workgroup_size: 256
    .name:           _ZN7rocprim17ROCPRIM_400000_NS6detail17trampoline_kernelINS0_14default_configENS1_22reduce_config_selectorIiEEZNS1_11reduce_implILb1ES3_PiS7_iN6hipcub16HIPCUB_304000_NS6detail34convert_binary_result_type_wrapperINS9_3SumENS9_22TransformInputIteratorIbN2at6native12_GLOBAL__N_19NonZeroOpIN3c107complexINSI_4HalfEEEEEPKSL_lEEiEEEE10hipError_tPvRmT1_T2_T3_mT4_P12ihipStream_tbEUlT_E1_NS1_11comp_targetILNS1_3genE3ELNS1_11target_archE908ELNS1_3gpuE7ELNS1_3repE0EEENS1_30default_config_static_selectorELNS0_4arch9wavefront6targetE0EEEvSU_
    .private_segment_fixed_size: 0
    .sgpr_count:     0
    .sgpr_spill_count: 0
    .symbol:         _ZN7rocprim17ROCPRIM_400000_NS6detail17trampoline_kernelINS0_14default_configENS1_22reduce_config_selectorIiEEZNS1_11reduce_implILb1ES3_PiS7_iN6hipcub16HIPCUB_304000_NS6detail34convert_binary_result_type_wrapperINS9_3SumENS9_22TransformInputIteratorIbN2at6native12_GLOBAL__N_19NonZeroOpIN3c107complexINSI_4HalfEEEEEPKSL_lEEiEEEE10hipError_tPvRmT1_T2_T3_mT4_P12ihipStream_tbEUlT_E1_NS1_11comp_targetILNS1_3genE3ELNS1_11target_archE908ELNS1_3gpuE7ELNS1_3repE0EEENS1_30default_config_static_selectorELNS0_4arch9wavefront6targetE0EEEvSU_.kd
    .uniform_work_group_size: 1
    .uses_dynamic_stack: false
    .vgpr_count:     0
    .vgpr_spill_count: 0
    .wavefront_size: 32
    .workgroup_processor_mode: 1
  - .args:
      - .offset:         0
        .size:           40
        .value_kind:     by_value
    .group_segment_fixed_size: 0
    .kernarg_segment_align: 8
    .kernarg_segment_size: 40
    .language:       OpenCL C
    .language_version:
      - 2
      - 0
    .max_flat_workgroup_size: 256
    .name:           _ZN7rocprim17ROCPRIM_400000_NS6detail17trampoline_kernelINS0_14default_configENS1_22reduce_config_selectorIiEEZNS1_11reduce_implILb1ES3_PiS7_iN6hipcub16HIPCUB_304000_NS6detail34convert_binary_result_type_wrapperINS9_3SumENS9_22TransformInputIteratorIbN2at6native12_GLOBAL__N_19NonZeroOpIN3c107complexINSI_4HalfEEEEEPKSL_lEEiEEEE10hipError_tPvRmT1_T2_T3_mT4_P12ihipStream_tbEUlT_E1_NS1_11comp_targetILNS1_3genE2ELNS1_11target_archE906ELNS1_3gpuE6ELNS1_3repE0EEENS1_30default_config_static_selectorELNS0_4arch9wavefront6targetE0EEEvSU_
    .private_segment_fixed_size: 0
    .sgpr_count:     0
    .sgpr_spill_count: 0
    .symbol:         _ZN7rocprim17ROCPRIM_400000_NS6detail17trampoline_kernelINS0_14default_configENS1_22reduce_config_selectorIiEEZNS1_11reduce_implILb1ES3_PiS7_iN6hipcub16HIPCUB_304000_NS6detail34convert_binary_result_type_wrapperINS9_3SumENS9_22TransformInputIteratorIbN2at6native12_GLOBAL__N_19NonZeroOpIN3c107complexINSI_4HalfEEEEEPKSL_lEEiEEEE10hipError_tPvRmT1_T2_T3_mT4_P12ihipStream_tbEUlT_E1_NS1_11comp_targetILNS1_3genE2ELNS1_11target_archE906ELNS1_3gpuE6ELNS1_3repE0EEENS1_30default_config_static_selectorELNS0_4arch9wavefront6targetE0EEEvSU_.kd
    .uniform_work_group_size: 1
    .uses_dynamic_stack: false
    .vgpr_count:     0
    .vgpr_spill_count: 0
    .wavefront_size: 32
    .workgroup_processor_mode: 1
  - .args:
      - .offset:         0
        .size:           40
        .value_kind:     by_value
    .group_segment_fixed_size: 224
    .kernarg_segment_align: 8
    .kernarg_segment_size: 40
    .language:       OpenCL C
    .language_version:
      - 2
      - 0
    .max_flat_workgroup_size: 256
    .name:           _ZN7rocprim17ROCPRIM_400000_NS6detail17trampoline_kernelINS0_14default_configENS1_22reduce_config_selectorIiEEZNS1_11reduce_implILb1ES3_PiS7_iN6hipcub16HIPCUB_304000_NS6detail34convert_binary_result_type_wrapperINS9_3SumENS9_22TransformInputIteratorIbN2at6native12_GLOBAL__N_19NonZeroOpIN3c107complexINSI_4HalfEEEEEPKSL_lEEiEEEE10hipError_tPvRmT1_T2_T3_mT4_P12ihipStream_tbEUlT_E1_NS1_11comp_targetILNS1_3genE10ELNS1_11target_archE1201ELNS1_3gpuE5ELNS1_3repE0EEENS1_30default_config_static_selectorELNS0_4arch9wavefront6targetE0EEEvSU_
    .private_segment_fixed_size: 0
    .sgpr_count:     47
    .sgpr_spill_count: 0
    .symbol:         _ZN7rocprim17ROCPRIM_400000_NS6detail17trampoline_kernelINS0_14default_configENS1_22reduce_config_selectorIiEEZNS1_11reduce_implILb1ES3_PiS7_iN6hipcub16HIPCUB_304000_NS6detail34convert_binary_result_type_wrapperINS9_3SumENS9_22TransformInputIteratorIbN2at6native12_GLOBAL__N_19NonZeroOpIN3c107complexINSI_4HalfEEEEEPKSL_lEEiEEEE10hipError_tPvRmT1_T2_T3_mT4_P12ihipStream_tbEUlT_E1_NS1_11comp_targetILNS1_3genE10ELNS1_11target_archE1201ELNS1_3gpuE5ELNS1_3repE0EEENS1_30default_config_static_selectorELNS0_4arch9wavefront6targetE0EEEvSU_.kd
    .uniform_work_group_size: 1
    .uses_dynamic_stack: false
    .vgpr_count:     34
    .vgpr_spill_count: 0
    .wavefront_size: 32
    .workgroup_processor_mode: 1
  - .args:
      - .offset:         0
        .size:           40
        .value_kind:     by_value
    .group_segment_fixed_size: 0
    .kernarg_segment_align: 8
    .kernarg_segment_size: 40
    .language:       OpenCL C
    .language_version:
      - 2
      - 0
    .max_flat_workgroup_size: 256
    .name:           _ZN7rocprim17ROCPRIM_400000_NS6detail17trampoline_kernelINS0_14default_configENS1_22reduce_config_selectorIiEEZNS1_11reduce_implILb1ES3_PiS7_iN6hipcub16HIPCUB_304000_NS6detail34convert_binary_result_type_wrapperINS9_3SumENS9_22TransformInputIteratorIbN2at6native12_GLOBAL__N_19NonZeroOpIN3c107complexINSI_4HalfEEEEEPKSL_lEEiEEEE10hipError_tPvRmT1_T2_T3_mT4_P12ihipStream_tbEUlT_E1_NS1_11comp_targetILNS1_3genE10ELNS1_11target_archE1200ELNS1_3gpuE4ELNS1_3repE0EEENS1_30default_config_static_selectorELNS0_4arch9wavefront6targetE0EEEvSU_
    .private_segment_fixed_size: 0
    .sgpr_count:     0
    .sgpr_spill_count: 0
    .symbol:         _ZN7rocprim17ROCPRIM_400000_NS6detail17trampoline_kernelINS0_14default_configENS1_22reduce_config_selectorIiEEZNS1_11reduce_implILb1ES3_PiS7_iN6hipcub16HIPCUB_304000_NS6detail34convert_binary_result_type_wrapperINS9_3SumENS9_22TransformInputIteratorIbN2at6native12_GLOBAL__N_19NonZeroOpIN3c107complexINSI_4HalfEEEEEPKSL_lEEiEEEE10hipError_tPvRmT1_T2_T3_mT4_P12ihipStream_tbEUlT_E1_NS1_11comp_targetILNS1_3genE10ELNS1_11target_archE1200ELNS1_3gpuE4ELNS1_3repE0EEENS1_30default_config_static_selectorELNS0_4arch9wavefront6targetE0EEEvSU_.kd
    .uniform_work_group_size: 1
    .uses_dynamic_stack: false
    .vgpr_count:     0
    .vgpr_spill_count: 0
    .wavefront_size: 32
    .workgroup_processor_mode: 1
  - .args:
      - .offset:         0
        .size:           40
        .value_kind:     by_value
    .group_segment_fixed_size: 0
    .kernarg_segment_align: 8
    .kernarg_segment_size: 40
    .language:       OpenCL C
    .language_version:
      - 2
      - 0
    .max_flat_workgroup_size: 256
    .name:           _ZN7rocprim17ROCPRIM_400000_NS6detail17trampoline_kernelINS0_14default_configENS1_22reduce_config_selectorIiEEZNS1_11reduce_implILb1ES3_PiS7_iN6hipcub16HIPCUB_304000_NS6detail34convert_binary_result_type_wrapperINS9_3SumENS9_22TransformInputIteratorIbN2at6native12_GLOBAL__N_19NonZeroOpIN3c107complexINSI_4HalfEEEEEPKSL_lEEiEEEE10hipError_tPvRmT1_T2_T3_mT4_P12ihipStream_tbEUlT_E1_NS1_11comp_targetILNS1_3genE9ELNS1_11target_archE1100ELNS1_3gpuE3ELNS1_3repE0EEENS1_30default_config_static_selectorELNS0_4arch9wavefront6targetE0EEEvSU_
    .private_segment_fixed_size: 0
    .sgpr_count:     0
    .sgpr_spill_count: 0
    .symbol:         _ZN7rocprim17ROCPRIM_400000_NS6detail17trampoline_kernelINS0_14default_configENS1_22reduce_config_selectorIiEEZNS1_11reduce_implILb1ES3_PiS7_iN6hipcub16HIPCUB_304000_NS6detail34convert_binary_result_type_wrapperINS9_3SumENS9_22TransformInputIteratorIbN2at6native12_GLOBAL__N_19NonZeroOpIN3c107complexINSI_4HalfEEEEEPKSL_lEEiEEEE10hipError_tPvRmT1_T2_T3_mT4_P12ihipStream_tbEUlT_E1_NS1_11comp_targetILNS1_3genE9ELNS1_11target_archE1100ELNS1_3gpuE3ELNS1_3repE0EEENS1_30default_config_static_selectorELNS0_4arch9wavefront6targetE0EEEvSU_.kd
    .uniform_work_group_size: 1
    .uses_dynamic_stack: false
    .vgpr_count:     0
    .vgpr_spill_count: 0
    .wavefront_size: 32
    .workgroup_processor_mode: 1
  - .args:
      - .offset:         0
        .size:           40
        .value_kind:     by_value
    .group_segment_fixed_size: 0
    .kernarg_segment_align: 8
    .kernarg_segment_size: 40
    .language:       OpenCL C
    .language_version:
      - 2
      - 0
    .max_flat_workgroup_size: 256
    .name:           _ZN7rocprim17ROCPRIM_400000_NS6detail17trampoline_kernelINS0_14default_configENS1_22reduce_config_selectorIiEEZNS1_11reduce_implILb1ES3_PiS7_iN6hipcub16HIPCUB_304000_NS6detail34convert_binary_result_type_wrapperINS9_3SumENS9_22TransformInputIteratorIbN2at6native12_GLOBAL__N_19NonZeroOpIN3c107complexINSI_4HalfEEEEEPKSL_lEEiEEEE10hipError_tPvRmT1_T2_T3_mT4_P12ihipStream_tbEUlT_E1_NS1_11comp_targetILNS1_3genE8ELNS1_11target_archE1030ELNS1_3gpuE2ELNS1_3repE0EEENS1_30default_config_static_selectorELNS0_4arch9wavefront6targetE0EEEvSU_
    .private_segment_fixed_size: 0
    .sgpr_count:     0
    .sgpr_spill_count: 0
    .symbol:         _ZN7rocprim17ROCPRIM_400000_NS6detail17trampoline_kernelINS0_14default_configENS1_22reduce_config_selectorIiEEZNS1_11reduce_implILb1ES3_PiS7_iN6hipcub16HIPCUB_304000_NS6detail34convert_binary_result_type_wrapperINS9_3SumENS9_22TransformInputIteratorIbN2at6native12_GLOBAL__N_19NonZeroOpIN3c107complexINSI_4HalfEEEEEPKSL_lEEiEEEE10hipError_tPvRmT1_T2_T3_mT4_P12ihipStream_tbEUlT_E1_NS1_11comp_targetILNS1_3genE8ELNS1_11target_archE1030ELNS1_3gpuE2ELNS1_3repE0EEENS1_30default_config_static_selectorELNS0_4arch9wavefront6targetE0EEEvSU_.kd
    .uniform_work_group_size: 1
    .uses_dynamic_stack: false
    .vgpr_count:     0
    .vgpr_spill_count: 0
    .wavefront_size: 32
    .workgroup_processor_mode: 1
  - .args:
      - .offset:         0
        .size:           64
        .value_kind:     by_value
    .group_segment_fixed_size: 0
    .kernarg_segment_align: 8
    .kernarg_segment_size: 64
    .language:       OpenCL C
    .language_version:
      - 2
      - 0
    .max_flat_workgroup_size: 256
    .name:           _ZN7rocprim17ROCPRIM_400000_NS6detail17trampoline_kernelINS0_14default_configENS1_22reduce_config_selectorIbEEZNS1_11reduce_implILb1ES3_N6hipcub16HIPCUB_304000_NS22TransformInputIteratorIbN2at6native12_GLOBAL__N_19NonZeroOpIN3c107complexINSE_4HalfEEEEEPKSH_lEEPiiNS8_6detail34convert_binary_result_type_wrapperINS8_3SumESL_iEEEE10hipError_tPvRmT1_T2_T3_mT4_P12ihipStream_tbEUlT_E0_NS1_11comp_targetILNS1_3genE0ELNS1_11target_archE4294967295ELNS1_3gpuE0ELNS1_3repE0EEENS1_30default_config_static_selectorELNS0_4arch9wavefront6targetE0EEEvSU_
    .private_segment_fixed_size: 0
    .sgpr_count:     0
    .sgpr_spill_count: 0
    .symbol:         _ZN7rocprim17ROCPRIM_400000_NS6detail17trampoline_kernelINS0_14default_configENS1_22reduce_config_selectorIbEEZNS1_11reduce_implILb1ES3_N6hipcub16HIPCUB_304000_NS22TransformInputIteratorIbN2at6native12_GLOBAL__N_19NonZeroOpIN3c107complexINSE_4HalfEEEEEPKSH_lEEPiiNS8_6detail34convert_binary_result_type_wrapperINS8_3SumESL_iEEEE10hipError_tPvRmT1_T2_T3_mT4_P12ihipStream_tbEUlT_E0_NS1_11comp_targetILNS1_3genE0ELNS1_11target_archE4294967295ELNS1_3gpuE0ELNS1_3repE0EEENS1_30default_config_static_selectorELNS0_4arch9wavefront6targetE0EEEvSU_.kd
    .uniform_work_group_size: 1
    .uses_dynamic_stack: false
    .vgpr_count:     0
    .vgpr_spill_count: 0
    .wavefront_size: 32
    .workgroup_processor_mode: 1
  - .args:
      - .offset:         0
        .size:           64
        .value_kind:     by_value
    .group_segment_fixed_size: 0
    .kernarg_segment_align: 8
    .kernarg_segment_size: 64
    .language:       OpenCL C
    .language_version:
      - 2
      - 0
    .max_flat_workgroup_size: 256
    .name:           _ZN7rocprim17ROCPRIM_400000_NS6detail17trampoline_kernelINS0_14default_configENS1_22reduce_config_selectorIbEEZNS1_11reduce_implILb1ES3_N6hipcub16HIPCUB_304000_NS22TransformInputIteratorIbN2at6native12_GLOBAL__N_19NonZeroOpIN3c107complexINSE_4HalfEEEEEPKSH_lEEPiiNS8_6detail34convert_binary_result_type_wrapperINS8_3SumESL_iEEEE10hipError_tPvRmT1_T2_T3_mT4_P12ihipStream_tbEUlT_E0_NS1_11comp_targetILNS1_3genE5ELNS1_11target_archE942ELNS1_3gpuE9ELNS1_3repE0EEENS1_30default_config_static_selectorELNS0_4arch9wavefront6targetE0EEEvSU_
    .private_segment_fixed_size: 0
    .sgpr_count:     0
    .sgpr_spill_count: 0
    .symbol:         _ZN7rocprim17ROCPRIM_400000_NS6detail17trampoline_kernelINS0_14default_configENS1_22reduce_config_selectorIbEEZNS1_11reduce_implILb1ES3_N6hipcub16HIPCUB_304000_NS22TransformInputIteratorIbN2at6native12_GLOBAL__N_19NonZeroOpIN3c107complexINSE_4HalfEEEEEPKSH_lEEPiiNS8_6detail34convert_binary_result_type_wrapperINS8_3SumESL_iEEEE10hipError_tPvRmT1_T2_T3_mT4_P12ihipStream_tbEUlT_E0_NS1_11comp_targetILNS1_3genE5ELNS1_11target_archE942ELNS1_3gpuE9ELNS1_3repE0EEENS1_30default_config_static_selectorELNS0_4arch9wavefront6targetE0EEEvSU_.kd
    .uniform_work_group_size: 1
    .uses_dynamic_stack: false
    .vgpr_count:     0
    .vgpr_spill_count: 0
    .wavefront_size: 32
    .workgroup_processor_mode: 1
  - .args:
      - .offset:         0
        .size:           64
        .value_kind:     by_value
    .group_segment_fixed_size: 0
    .kernarg_segment_align: 8
    .kernarg_segment_size: 64
    .language:       OpenCL C
    .language_version:
      - 2
      - 0
    .max_flat_workgroup_size: 128
    .name:           _ZN7rocprim17ROCPRIM_400000_NS6detail17trampoline_kernelINS0_14default_configENS1_22reduce_config_selectorIbEEZNS1_11reduce_implILb1ES3_N6hipcub16HIPCUB_304000_NS22TransformInputIteratorIbN2at6native12_GLOBAL__N_19NonZeroOpIN3c107complexINSE_4HalfEEEEEPKSH_lEEPiiNS8_6detail34convert_binary_result_type_wrapperINS8_3SumESL_iEEEE10hipError_tPvRmT1_T2_T3_mT4_P12ihipStream_tbEUlT_E0_NS1_11comp_targetILNS1_3genE4ELNS1_11target_archE910ELNS1_3gpuE8ELNS1_3repE0EEENS1_30default_config_static_selectorELNS0_4arch9wavefront6targetE0EEEvSU_
    .private_segment_fixed_size: 0
    .sgpr_count:     0
    .sgpr_spill_count: 0
    .symbol:         _ZN7rocprim17ROCPRIM_400000_NS6detail17trampoline_kernelINS0_14default_configENS1_22reduce_config_selectorIbEEZNS1_11reduce_implILb1ES3_N6hipcub16HIPCUB_304000_NS22TransformInputIteratorIbN2at6native12_GLOBAL__N_19NonZeroOpIN3c107complexINSE_4HalfEEEEEPKSH_lEEPiiNS8_6detail34convert_binary_result_type_wrapperINS8_3SumESL_iEEEE10hipError_tPvRmT1_T2_T3_mT4_P12ihipStream_tbEUlT_E0_NS1_11comp_targetILNS1_3genE4ELNS1_11target_archE910ELNS1_3gpuE8ELNS1_3repE0EEENS1_30default_config_static_selectorELNS0_4arch9wavefront6targetE0EEEvSU_.kd
    .uniform_work_group_size: 1
    .uses_dynamic_stack: false
    .vgpr_count:     0
    .vgpr_spill_count: 0
    .wavefront_size: 32
    .workgroup_processor_mode: 1
  - .args:
      - .offset:         0
        .size:           64
        .value_kind:     by_value
    .group_segment_fixed_size: 0
    .kernarg_segment_align: 8
    .kernarg_segment_size: 64
    .language:       OpenCL C
    .language_version:
      - 2
      - 0
    .max_flat_workgroup_size: 256
    .name:           _ZN7rocprim17ROCPRIM_400000_NS6detail17trampoline_kernelINS0_14default_configENS1_22reduce_config_selectorIbEEZNS1_11reduce_implILb1ES3_N6hipcub16HIPCUB_304000_NS22TransformInputIteratorIbN2at6native12_GLOBAL__N_19NonZeroOpIN3c107complexINSE_4HalfEEEEEPKSH_lEEPiiNS8_6detail34convert_binary_result_type_wrapperINS8_3SumESL_iEEEE10hipError_tPvRmT1_T2_T3_mT4_P12ihipStream_tbEUlT_E0_NS1_11comp_targetILNS1_3genE3ELNS1_11target_archE908ELNS1_3gpuE7ELNS1_3repE0EEENS1_30default_config_static_selectorELNS0_4arch9wavefront6targetE0EEEvSU_
    .private_segment_fixed_size: 0
    .sgpr_count:     0
    .sgpr_spill_count: 0
    .symbol:         _ZN7rocprim17ROCPRIM_400000_NS6detail17trampoline_kernelINS0_14default_configENS1_22reduce_config_selectorIbEEZNS1_11reduce_implILb1ES3_N6hipcub16HIPCUB_304000_NS22TransformInputIteratorIbN2at6native12_GLOBAL__N_19NonZeroOpIN3c107complexINSE_4HalfEEEEEPKSH_lEEPiiNS8_6detail34convert_binary_result_type_wrapperINS8_3SumESL_iEEEE10hipError_tPvRmT1_T2_T3_mT4_P12ihipStream_tbEUlT_E0_NS1_11comp_targetILNS1_3genE3ELNS1_11target_archE908ELNS1_3gpuE7ELNS1_3repE0EEENS1_30default_config_static_selectorELNS0_4arch9wavefront6targetE0EEEvSU_.kd
    .uniform_work_group_size: 1
    .uses_dynamic_stack: false
    .vgpr_count:     0
    .vgpr_spill_count: 0
    .wavefront_size: 32
    .workgroup_processor_mode: 1
  - .args:
      - .offset:         0
        .size:           64
        .value_kind:     by_value
    .group_segment_fixed_size: 0
    .kernarg_segment_align: 8
    .kernarg_segment_size: 64
    .language:       OpenCL C
    .language_version:
      - 2
      - 0
    .max_flat_workgroup_size: 128
    .name:           _ZN7rocprim17ROCPRIM_400000_NS6detail17trampoline_kernelINS0_14default_configENS1_22reduce_config_selectorIbEEZNS1_11reduce_implILb1ES3_N6hipcub16HIPCUB_304000_NS22TransformInputIteratorIbN2at6native12_GLOBAL__N_19NonZeroOpIN3c107complexINSE_4HalfEEEEEPKSH_lEEPiiNS8_6detail34convert_binary_result_type_wrapperINS8_3SumESL_iEEEE10hipError_tPvRmT1_T2_T3_mT4_P12ihipStream_tbEUlT_E0_NS1_11comp_targetILNS1_3genE2ELNS1_11target_archE906ELNS1_3gpuE6ELNS1_3repE0EEENS1_30default_config_static_selectorELNS0_4arch9wavefront6targetE0EEEvSU_
    .private_segment_fixed_size: 0
    .sgpr_count:     0
    .sgpr_spill_count: 0
    .symbol:         _ZN7rocprim17ROCPRIM_400000_NS6detail17trampoline_kernelINS0_14default_configENS1_22reduce_config_selectorIbEEZNS1_11reduce_implILb1ES3_N6hipcub16HIPCUB_304000_NS22TransformInputIteratorIbN2at6native12_GLOBAL__N_19NonZeroOpIN3c107complexINSE_4HalfEEEEEPKSH_lEEPiiNS8_6detail34convert_binary_result_type_wrapperINS8_3SumESL_iEEEE10hipError_tPvRmT1_T2_T3_mT4_P12ihipStream_tbEUlT_E0_NS1_11comp_targetILNS1_3genE2ELNS1_11target_archE906ELNS1_3gpuE6ELNS1_3repE0EEENS1_30default_config_static_selectorELNS0_4arch9wavefront6targetE0EEEvSU_.kd
    .uniform_work_group_size: 1
    .uses_dynamic_stack: false
    .vgpr_count:     0
    .vgpr_spill_count: 0
    .wavefront_size: 32
    .workgroup_processor_mode: 1
  - .args:
      - .offset:         0
        .size:           64
        .value_kind:     by_value
    .group_segment_fixed_size: 64
    .kernarg_segment_align: 8
    .kernarg_segment_size: 64
    .language:       OpenCL C
    .language_version:
      - 2
      - 0
    .max_flat_workgroup_size: 256
    .name:           _ZN7rocprim17ROCPRIM_400000_NS6detail17trampoline_kernelINS0_14default_configENS1_22reduce_config_selectorIbEEZNS1_11reduce_implILb1ES3_N6hipcub16HIPCUB_304000_NS22TransformInputIteratorIbN2at6native12_GLOBAL__N_19NonZeroOpIN3c107complexINSE_4HalfEEEEEPKSH_lEEPiiNS8_6detail34convert_binary_result_type_wrapperINS8_3SumESL_iEEEE10hipError_tPvRmT1_T2_T3_mT4_P12ihipStream_tbEUlT_E0_NS1_11comp_targetILNS1_3genE10ELNS1_11target_archE1201ELNS1_3gpuE5ELNS1_3repE0EEENS1_30default_config_static_selectorELNS0_4arch9wavefront6targetE0EEEvSU_
    .private_segment_fixed_size: 0
    .sgpr_count:     32
    .sgpr_spill_count: 0
    .symbol:         _ZN7rocprim17ROCPRIM_400000_NS6detail17trampoline_kernelINS0_14default_configENS1_22reduce_config_selectorIbEEZNS1_11reduce_implILb1ES3_N6hipcub16HIPCUB_304000_NS22TransformInputIteratorIbN2at6native12_GLOBAL__N_19NonZeroOpIN3c107complexINSE_4HalfEEEEEPKSH_lEEPiiNS8_6detail34convert_binary_result_type_wrapperINS8_3SumESL_iEEEE10hipError_tPvRmT1_T2_T3_mT4_P12ihipStream_tbEUlT_E0_NS1_11comp_targetILNS1_3genE10ELNS1_11target_archE1201ELNS1_3gpuE5ELNS1_3repE0EEENS1_30default_config_static_selectorELNS0_4arch9wavefront6targetE0EEEvSU_.kd
    .uniform_work_group_size: 1
    .uses_dynamic_stack: false
    .vgpr_count:     35
    .vgpr_spill_count: 0
    .wavefront_size: 32
    .workgroup_processor_mode: 1
  - .args:
      - .offset:         0
        .size:           64
        .value_kind:     by_value
    .group_segment_fixed_size: 0
    .kernarg_segment_align: 8
    .kernarg_segment_size: 64
    .language:       OpenCL C
    .language_version:
      - 2
      - 0
    .max_flat_workgroup_size: 256
    .name:           _ZN7rocprim17ROCPRIM_400000_NS6detail17trampoline_kernelINS0_14default_configENS1_22reduce_config_selectorIbEEZNS1_11reduce_implILb1ES3_N6hipcub16HIPCUB_304000_NS22TransformInputIteratorIbN2at6native12_GLOBAL__N_19NonZeroOpIN3c107complexINSE_4HalfEEEEEPKSH_lEEPiiNS8_6detail34convert_binary_result_type_wrapperINS8_3SumESL_iEEEE10hipError_tPvRmT1_T2_T3_mT4_P12ihipStream_tbEUlT_E0_NS1_11comp_targetILNS1_3genE10ELNS1_11target_archE1200ELNS1_3gpuE4ELNS1_3repE0EEENS1_30default_config_static_selectorELNS0_4arch9wavefront6targetE0EEEvSU_
    .private_segment_fixed_size: 0
    .sgpr_count:     0
    .sgpr_spill_count: 0
    .symbol:         _ZN7rocprim17ROCPRIM_400000_NS6detail17trampoline_kernelINS0_14default_configENS1_22reduce_config_selectorIbEEZNS1_11reduce_implILb1ES3_N6hipcub16HIPCUB_304000_NS22TransformInputIteratorIbN2at6native12_GLOBAL__N_19NonZeroOpIN3c107complexINSE_4HalfEEEEEPKSH_lEEPiiNS8_6detail34convert_binary_result_type_wrapperINS8_3SumESL_iEEEE10hipError_tPvRmT1_T2_T3_mT4_P12ihipStream_tbEUlT_E0_NS1_11comp_targetILNS1_3genE10ELNS1_11target_archE1200ELNS1_3gpuE4ELNS1_3repE0EEENS1_30default_config_static_selectorELNS0_4arch9wavefront6targetE0EEEvSU_.kd
    .uniform_work_group_size: 1
    .uses_dynamic_stack: false
    .vgpr_count:     0
    .vgpr_spill_count: 0
    .wavefront_size: 32
    .workgroup_processor_mode: 1
  - .args:
      - .offset:         0
        .size:           64
        .value_kind:     by_value
    .group_segment_fixed_size: 0
    .kernarg_segment_align: 8
    .kernarg_segment_size: 64
    .language:       OpenCL C
    .language_version:
      - 2
      - 0
    .max_flat_workgroup_size: 128
    .name:           _ZN7rocprim17ROCPRIM_400000_NS6detail17trampoline_kernelINS0_14default_configENS1_22reduce_config_selectorIbEEZNS1_11reduce_implILb1ES3_N6hipcub16HIPCUB_304000_NS22TransformInputIteratorIbN2at6native12_GLOBAL__N_19NonZeroOpIN3c107complexINSE_4HalfEEEEEPKSH_lEEPiiNS8_6detail34convert_binary_result_type_wrapperINS8_3SumESL_iEEEE10hipError_tPvRmT1_T2_T3_mT4_P12ihipStream_tbEUlT_E0_NS1_11comp_targetILNS1_3genE9ELNS1_11target_archE1100ELNS1_3gpuE3ELNS1_3repE0EEENS1_30default_config_static_selectorELNS0_4arch9wavefront6targetE0EEEvSU_
    .private_segment_fixed_size: 0
    .sgpr_count:     0
    .sgpr_spill_count: 0
    .symbol:         _ZN7rocprim17ROCPRIM_400000_NS6detail17trampoline_kernelINS0_14default_configENS1_22reduce_config_selectorIbEEZNS1_11reduce_implILb1ES3_N6hipcub16HIPCUB_304000_NS22TransformInputIteratorIbN2at6native12_GLOBAL__N_19NonZeroOpIN3c107complexINSE_4HalfEEEEEPKSH_lEEPiiNS8_6detail34convert_binary_result_type_wrapperINS8_3SumESL_iEEEE10hipError_tPvRmT1_T2_T3_mT4_P12ihipStream_tbEUlT_E0_NS1_11comp_targetILNS1_3genE9ELNS1_11target_archE1100ELNS1_3gpuE3ELNS1_3repE0EEENS1_30default_config_static_selectorELNS0_4arch9wavefront6targetE0EEEvSU_.kd
    .uniform_work_group_size: 1
    .uses_dynamic_stack: false
    .vgpr_count:     0
    .vgpr_spill_count: 0
    .wavefront_size: 32
    .workgroup_processor_mode: 1
  - .args:
      - .offset:         0
        .size:           64
        .value_kind:     by_value
    .group_segment_fixed_size: 0
    .kernarg_segment_align: 8
    .kernarg_segment_size: 64
    .language:       OpenCL C
    .language_version:
      - 2
      - 0
    .max_flat_workgroup_size: 256
    .name:           _ZN7rocprim17ROCPRIM_400000_NS6detail17trampoline_kernelINS0_14default_configENS1_22reduce_config_selectorIbEEZNS1_11reduce_implILb1ES3_N6hipcub16HIPCUB_304000_NS22TransformInputIteratorIbN2at6native12_GLOBAL__N_19NonZeroOpIN3c107complexINSE_4HalfEEEEEPKSH_lEEPiiNS8_6detail34convert_binary_result_type_wrapperINS8_3SumESL_iEEEE10hipError_tPvRmT1_T2_T3_mT4_P12ihipStream_tbEUlT_E0_NS1_11comp_targetILNS1_3genE8ELNS1_11target_archE1030ELNS1_3gpuE2ELNS1_3repE0EEENS1_30default_config_static_selectorELNS0_4arch9wavefront6targetE0EEEvSU_
    .private_segment_fixed_size: 0
    .sgpr_count:     0
    .sgpr_spill_count: 0
    .symbol:         _ZN7rocprim17ROCPRIM_400000_NS6detail17trampoline_kernelINS0_14default_configENS1_22reduce_config_selectorIbEEZNS1_11reduce_implILb1ES3_N6hipcub16HIPCUB_304000_NS22TransformInputIteratorIbN2at6native12_GLOBAL__N_19NonZeroOpIN3c107complexINSE_4HalfEEEEEPKSH_lEEPiiNS8_6detail34convert_binary_result_type_wrapperINS8_3SumESL_iEEEE10hipError_tPvRmT1_T2_T3_mT4_P12ihipStream_tbEUlT_E0_NS1_11comp_targetILNS1_3genE8ELNS1_11target_archE1030ELNS1_3gpuE2ELNS1_3repE0EEENS1_30default_config_static_selectorELNS0_4arch9wavefront6targetE0EEEvSU_.kd
    .uniform_work_group_size: 1
    .uses_dynamic_stack: false
    .vgpr_count:     0
    .vgpr_spill_count: 0
    .wavefront_size: 32
    .workgroup_processor_mode: 1
  - .args:
      - .offset:         0
        .size:           48
        .value_kind:     by_value
    .group_segment_fixed_size: 0
    .kernarg_segment_align: 8
    .kernarg_segment_size: 48
    .language:       OpenCL C
    .language_version:
      - 2
      - 0
    .max_flat_workgroup_size: 256
    .name:           _ZN7rocprim17ROCPRIM_400000_NS6detail17trampoline_kernelINS0_14default_configENS1_22reduce_config_selectorIbEEZNS1_11reduce_implILb1ES3_N6hipcub16HIPCUB_304000_NS22TransformInputIteratorIbN2at6native12_GLOBAL__N_19NonZeroOpIN3c107complexINSE_4HalfEEEEEPKSH_lEEPiiNS8_6detail34convert_binary_result_type_wrapperINS8_3SumESL_iEEEE10hipError_tPvRmT1_T2_T3_mT4_P12ihipStream_tbEUlT_E1_NS1_11comp_targetILNS1_3genE0ELNS1_11target_archE4294967295ELNS1_3gpuE0ELNS1_3repE0EEENS1_30default_config_static_selectorELNS0_4arch9wavefront6targetE0EEEvSU_
    .private_segment_fixed_size: 0
    .sgpr_count:     0
    .sgpr_spill_count: 0
    .symbol:         _ZN7rocprim17ROCPRIM_400000_NS6detail17trampoline_kernelINS0_14default_configENS1_22reduce_config_selectorIbEEZNS1_11reduce_implILb1ES3_N6hipcub16HIPCUB_304000_NS22TransformInputIteratorIbN2at6native12_GLOBAL__N_19NonZeroOpIN3c107complexINSE_4HalfEEEEEPKSH_lEEPiiNS8_6detail34convert_binary_result_type_wrapperINS8_3SumESL_iEEEE10hipError_tPvRmT1_T2_T3_mT4_P12ihipStream_tbEUlT_E1_NS1_11comp_targetILNS1_3genE0ELNS1_11target_archE4294967295ELNS1_3gpuE0ELNS1_3repE0EEENS1_30default_config_static_selectorELNS0_4arch9wavefront6targetE0EEEvSU_.kd
    .uniform_work_group_size: 1
    .uses_dynamic_stack: false
    .vgpr_count:     0
    .vgpr_spill_count: 0
    .wavefront_size: 32
    .workgroup_processor_mode: 1
  - .args:
      - .offset:         0
        .size:           48
        .value_kind:     by_value
    .group_segment_fixed_size: 0
    .kernarg_segment_align: 8
    .kernarg_segment_size: 48
    .language:       OpenCL C
    .language_version:
      - 2
      - 0
    .max_flat_workgroup_size: 256
    .name:           _ZN7rocprim17ROCPRIM_400000_NS6detail17trampoline_kernelINS0_14default_configENS1_22reduce_config_selectorIbEEZNS1_11reduce_implILb1ES3_N6hipcub16HIPCUB_304000_NS22TransformInputIteratorIbN2at6native12_GLOBAL__N_19NonZeroOpIN3c107complexINSE_4HalfEEEEEPKSH_lEEPiiNS8_6detail34convert_binary_result_type_wrapperINS8_3SumESL_iEEEE10hipError_tPvRmT1_T2_T3_mT4_P12ihipStream_tbEUlT_E1_NS1_11comp_targetILNS1_3genE5ELNS1_11target_archE942ELNS1_3gpuE9ELNS1_3repE0EEENS1_30default_config_static_selectorELNS0_4arch9wavefront6targetE0EEEvSU_
    .private_segment_fixed_size: 0
    .sgpr_count:     0
    .sgpr_spill_count: 0
    .symbol:         _ZN7rocprim17ROCPRIM_400000_NS6detail17trampoline_kernelINS0_14default_configENS1_22reduce_config_selectorIbEEZNS1_11reduce_implILb1ES3_N6hipcub16HIPCUB_304000_NS22TransformInputIteratorIbN2at6native12_GLOBAL__N_19NonZeroOpIN3c107complexINSE_4HalfEEEEEPKSH_lEEPiiNS8_6detail34convert_binary_result_type_wrapperINS8_3SumESL_iEEEE10hipError_tPvRmT1_T2_T3_mT4_P12ihipStream_tbEUlT_E1_NS1_11comp_targetILNS1_3genE5ELNS1_11target_archE942ELNS1_3gpuE9ELNS1_3repE0EEENS1_30default_config_static_selectorELNS0_4arch9wavefront6targetE0EEEvSU_.kd
    .uniform_work_group_size: 1
    .uses_dynamic_stack: false
    .vgpr_count:     0
    .vgpr_spill_count: 0
    .wavefront_size: 32
    .workgroup_processor_mode: 1
  - .args:
      - .offset:         0
        .size:           48
        .value_kind:     by_value
    .group_segment_fixed_size: 0
    .kernarg_segment_align: 8
    .kernarg_segment_size: 48
    .language:       OpenCL C
    .language_version:
      - 2
      - 0
    .max_flat_workgroup_size: 128
    .name:           _ZN7rocprim17ROCPRIM_400000_NS6detail17trampoline_kernelINS0_14default_configENS1_22reduce_config_selectorIbEEZNS1_11reduce_implILb1ES3_N6hipcub16HIPCUB_304000_NS22TransformInputIteratorIbN2at6native12_GLOBAL__N_19NonZeroOpIN3c107complexINSE_4HalfEEEEEPKSH_lEEPiiNS8_6detail34convert_binary_result_type_wrapperINS8_3SumESL_iEEEE10hipError_tPvRmT1_T2_T3_mT4_P12ihipStream_tbEUlT_E1_NS1_11comp_targetILNS1_3genE4ELNS1_11target_archE910ELNS1_3gpuE8ELNS1_3repE0EEENS1_30default_config_static_selectorELNS0_4arch9wavefront6targetE0EEEvSU_
    .private_segment_fixed_size: 0
    .sgpr_count:     0
    .sgpr_spill_count: 0
    .symbol:         _ZN7rocprim17ROCPRIM_400000_NS6detail17trampoline_kernelINS0_14default_configENS1_22reduce_config_selectorIbEEZNS1_11reduce_implILb1ES3_N6hipcub16HIPCUB_304000_NS22TransformInputIteratorIbN2at6native12_GLOBAL__N_19NonZeroOpIN3c107complexINSE_4HalfEEEEEPKSH_lEEPiiNS8_6detail34convert_binary_result_type_wrapperINS8_3SumESL_iEEEE10hipError_tPvRmT1_T2_T3_mT4_P12ihipStream_tbEUlT_E1_NS1_11comp_targetILNS1_3genE4ELNS1_11target_archE910ELNS1_3gpuE8ELNS1_3repE0EEENS1_30default_config_static_selectorELNS0_4arch9wavefront6targetE0EEEvSU_.kd
    .uniform_work_group_size: 1
    .uses_dynamic_stack: false
    .vgpr_count:     0
    .vgpr_spill_count: 0
    .wavefront_size: 32
    .workgroup_processor_mode: 1
  - .args:
      - .offset:         0
        .size:           48
        .value_kind:     by_value
    .group_segment_fixed_size: 0
    .kernarg_segment_align: 8
    .kernarg_segment_size: 48
    .language:       OpenCL C
    .language_version:
      - 2
      - 0
    .max_flat_workgroup_size: 256
    .name:           _ZN7rocprim17ROCPRIM_400000_NS6detail17trampoline_kernelINS0_14default_configENS1_22reduce_config_selectorIbEEZNS1_11reduce_implILb1ES3_N6hipcub16HIPCUB_304000_NS22TransformInputIteratorIbN2at6native12_GLOBAL__N_19NonZeroOpIN3c107complexINSE_4HalfEEEEEPKSH_lEEPiiNS8_6detail34convert_binary_result_type_wrapperINS8_3SumESL_iEEEE10hipError_tPvRmT1_T2_T3_mT4_P12ihipStream_tbEUlT_E1_NS1_11comp_targetILNS1_3genE3ELNS1_11target_archE908ELNS1_3gpuE7ELNS1_3repE0EEENS1_30default_config_static_selectorELNS0_4arch9wavefront6targetE0EEEvSU_
    .private_segment_fixed_size: 0
    .sgpr_count:     0
    .sgpr_spill_count: 0
    .symbol:         _ZN7rocprim17ROCPRIM_400000_NS6detail17trampoline_kernelINS0_14default_configENS1_22reduce_config_selectorIbEEZNS1_11reduce_implILb1ES3_N6hipcub16HIPCUB_304000_NS22TransformInputIteratorIbN2at6native12_GLOBAL__N_19NonZeroOpIN3c107complexINSE_4HalfEEEEEPKSH_lEEPiiNS8_6detail34convert_binary_result_type_wrapperINS8_3SumESL_iEEEE10hipError_tPvRmT1_T2_T3_mT4_P12ihipStream_tbEUlT_E1_NS1_11comp_targetILNS1_3genE3ELNS1_11target_archE908ELNS1_3gpuE7ELNS1_3repE0EEENS1_30default_config_static_selectorELNS0_4arch9wavefront6targetE0EEEvSU_.kd
    .uniform_work_group_size: 1
    .uses_dynamic_stack: false
    .vgpr_count:     0
    .vgpr_spill_count: 0
    .wavefront_size: 32
    .workgroup_processor_mode: 1
  - .args:
      - .offset:         0
        .size:           48
        .value_kind:     by_value
    .group_segment_fixed_size: 0
    .kernarg_segment_align: 8
    .kernarg_segment_size: 48
    .language:       OpenCL C
    .language_version:
      - 2
      - 0
    .max_flat_workgroup_size: 128
    .name:           _ZN7rocprim17ROCPRIM_400000_NS6detail17trampoline_kernelINS0_14default_configENS1_22reduce_config_selectorIbEEZNS1_11reduce_implILb1ES3_N6hipcub16HIPCUB_304000_NS22TransformInputIteratorIbN2at6native12_GLOBAL__N_19NonZeroOpIN3c107complexINSE_4HalfEEEEEPKSH_lEEPiiNS8_6detail34convert_binary_result_type_wrapperINS8_3SumESL_iEEEE10hipError_tPvRmT1_T2_T3_mT4_P12ihipStream_tbEUlT_E1_NS1_11comp_targetILNS1_3genE2ELNS1_11target_archE906ELNS1_3gpuE6ELNS1_3repE0EEENS1_30default_config_static_selectorELNS0_4arch9wavefront6targetE0EEEvSU_
    .private_segment_fixed_size: 0
    .sgpr_count:     0
    .sgpr_spill_count: 0
    .symbol:         _ZN7rocprim17ROCPRIM_400000_NS6detail17trampoline_kernelINS0_14default_configENS1_22reduce_config_selectorIbEEZNS1_11reduce_implILb1ES3_N6hipcub16HIPCUB_304000_NS22TransformInputIteratorIbN2at6native12_GLOBAL__N_19NonZeroOpIN3c107complexINSE_4HalfEEEEEPKSH_lEEPiiNS8_6detail34convert_binary_result_type_wrapperINS8_3SumESL_iEEEE10hipError_tPvRmT1_T2_T3_mT4_P12ihipStream_tbEUlT_E1_NS1_11comp_targetILNS1_3genE2ELNS1_11target_archE906ELNS1_3gpuE6ELNS1_3repE0EEENS1_30default_config_static_selectorELNS0_4arch9wavefront6targetE0EEEvSU_.kd
    .uniform_work_group_size: 1
    .uses_dynamic_stack: false
    .vgpr_count:     0
    .vgpr_spill_count: 0
    .wavefront_size: 32
    .workgroup_processor_mode: 1
  - .args:
      - .offset:         0
        .size:           48
        .value_kind:     by_value
    .group_segment_fixed_size: 288
    .kernarg_segment_align: 8
    .kernarg_segment_size: 48
    .language:       OpenCL C
    .language_version:
      - 2
      - 0
    .max_flat_workgroup_size: 256
    .name:           _ZN7rocprim17ROCPRIM_400000_NS6detail17trampoline_kernelINS0_14default_configENS1_22reduce_config_selectorIbEEZNS1_11reduce_implILb1ES3_N6hipcub16HIPCUB_304000_NS22TransformInputIteratorIbN2at6native12_GLOBAL__N_19NonZeroOpIN3c107complexINSE_4HalfEEEEEPKSH_lEEPiiNS8_6detail34convert_binary_result_type_wrapperINS8_3SumESL_iEEEE10hipError_tPvRmT1_T2_T3_mT4_P12ihipStream_tbEUlT_E1_NS1_11comp_targetILNS1_3genE10ELNS1_11target_archE1201ELNS1_3gpuE5ELNS1_3repE0EEENS1_30default_config_static_selectorELNS0_4arch9wavefront6targetE0EEEvSU_
    .private_segment_fixed_size: 0
    .sgpr_count:     49
    .sgpr_spill_count: 0
    .symbol:         _ZN7rocprim17ROCPRIM_400000_NS6detail17trampoline_kernelINS0_14default_configENS1_22reduce_config_selectorIbEEZNS1_11reduce_implILb1ES3_N6hipcub16HIPCUB_304000_NS22TransformInputIteratorIbN2at6native12_GLOBAL__N_19NonZeroOpIN3c107complexINSE_4HalfEEEEEPKSH_lEEPiiNS8_6detail34convert_binary_result_type_wrapperINS8_3SumESL_iEEEE10hipError_tPvRmT1_T2_T3_mT4_P12ihipStream_tbEUlT_E1_NS1_11comp_targetILNS1_3genE10ELNS1_11target_archE1201ELNS1_3gpuE5ELNS1_3repE0EEENS1_30default_config_static_selectorELNS0_4arch9wavefront6targetE0EEEvSU_.kd
    .uniform_work_group_size: 1
    .uses_dynamic_stack: false
    .vgpr_count:     140
    .vgpr_spill_count: 0
    .wavefront_size: 32
    .workgroup_processor_mode: 1
  - .args:
      - .offset:         0
        .size:           48
        .value_kind:     by_value
    .group_segment_fixed_size: 0
    .kernarg_segment_align: 8
    .kernarg_segment_size: 48
    .language:       OpenCL C
    .language_version:
      - 2
      - 0
    .max_flat_workgroup_size: 256
    .name:           _ZN7rocprim17ROCPRIM_400000_NS6detail17trampoline_kernelINS0_14default_configENS1_22reduce_config_selectorIbEEZNS1_11reduce_implILb1ES3_N6hipcub16HIPCUB_304000_NS22TransformInputIteratorIbN2at6native12_GLOBAL__N_19NonZeroOpIN3c107complexINSE_4HalfEEEEEPKSH_lEEPiiNS8_6detail34convert_binary_result_type_wrapperINS8_3SumESL_iEEEE10hipError_tPvRmT1_T2_T3_mT4_P12ihipStream_tbEUlT_E1_NS1_11comp_targetILNS1_3genE10ELNS1_11target_archE1200ELNS1_3gpuE4ELNS1_3repE0EEENS1_30default_config_static_selectorELNS0_4arch9wavefront6targetE0EEEvSU_
    .private_segment_fixed_size: 0
    .sgpr_count:     0
    .sgpr_spill_count: 0
    .symbol:         _ZN7rocprim17ROCPRIM_400000_NS6detail17trampoline_kernelINS0_14default_configENS1_22reduce_config_selectorIbEEZNS1_11reduce_implILb1ES3_N6hipcub16HIPCUB_304000_NS22TransformInputIteratorIbN2at6native12_GLOBAL__N_19NonZeroOpIN3c107complexINSE_4HalfEEEEEPKSH_lEEPiiNS8_6detail34convert_binary_result_type_wrapperINS8_3SumESL_iEEEE10hipError_tPvRmT1_T2_T3_mT4_P12ihipStream_tbEUlT_E1_NS1_11comp_targetILNS1_3genE10ELNS1_11target_archE1200ELNS1_3gpuE4ELNS1_3repE0EEENS1_30default_config_static_selectorELNS0_4arch9wavefront6targetE0EEEvSU_.kd
    .uniform_work_group_size: 1
    .uses_dynamic_stack: false
    .vgpr_count:     0
    .vgpr_spill_count: 0
    .wavefront_size: 32
    .workgroup_processor_mode: 1
  - .args:
      - .offset:         0
        .size:           48
        .value_kind:     by_value
    .group_segment_fixed_size: 0
    .kernarg_segment_align: 8
    .kernarg_segment_size: 48
    .language:       OpenCL C
    .language_version:
      - 2
      - 0
    .max_flat_workgroup_size: 128
    .name:           _ZN7rocprim17ROCPRIM_400000_NS6detail17trampoline_kernelINS0_14default_configENS1_22reduce_config_selectorIbEEZNS1_11reduce_implILb1ES3_N6hipcub16HIPCUB_304000_NS22TransformInputIteratorIbN2at6native12_GLOBAL__N_19NonZeroOpIN3c107complexINSE_4HalfEEEEEPKSH_lEEPiiNS8_6detail34convert_binary_result_type_wrapperINS8_3SumESL_iEEEE10hipError_tPvRmT1_T2_T3_mT4_P12ihipStream_tbEUlT_E1_NS1_11comp_targetILNS1_3genE9ELNS1_11target_archE1100ELNS1_3gpuE3ELNS1_3repE0EEENS1_30default_config_static_selectorELNS0_4arch9wavefront6targetE0EEEvSU_
    .private_segment_fixed_size: 0
    .sgpr_count:     0
    .sgpr_spill_count: 0
    .symbol:         _ZN7rocprim17ROCPRIM_400000_NS6detail17trampoline_kernelINS0_14default_configENS1_22reduce_config_selectorIbEEZNS1_11reduce_implILb1ES3_N6hipcub16HIPCUB_304000_NS22TransformInputIteratorIbN2at6native12_GLOBAL__N_19NonZeroOpIN3c107complexINSE_4HalfEEEEEPKSH_lEEPiiNS8_6detail34convert_binary_result_type_wrapperINS8_3SumESL_iEEEE10hipError_tPvRmT1_T2_T3_mT4_P12ihipStream_tbEUlT_E1_NS1_11comp_targetILNS1_3genE9ELNS1_11target_archE1100ELNS1_3gpuE3ELNS1_3repE0EEENS1_30default_config_static_selectorELNS0_4arch9wavefront6targetE0EEEvSU_.kd
    .uniform_work_group_size: 1
    .uses_dynamic_stack: false
    .vgpr_count:     0
    .vgpr_spill_count: 0
    .wavefront_size: 32
    .workgroup_processor_mode: 1
  - .args:
      - .offset:         0
        .size:           48
        .value_kind:     by_value
    .group_segment_fixed_size: 0
    .kernarg_segment_align: 8
    .kernarg_segment_size: 48
    .language:       OpenCL C
    .language_version:
      - 2
      - 0
    .max_flat_workgroup_size: 256
    .name:           _ZN7rocprim17ROCPRIM_400000_NS6detail17trampoline_kernelINS0_14default_configENS1_22reduce_config_selectorIbEEZNS1_11reduce_implILb1ES3_N6hipcub16HIPCUB_304000_NS22TransformInputIteratorIbN2at6native12_GLOBAL__N_19NonZeroOpIN3c107complexINSE_4HalfEEEEEPKSH_lEEPiiNS8_6detail34convert_binary_result_type_wrapperINS8_3SumESL_iEEEE10hipError_tPvRmT1_T2_T3_mT4_P12ihipStream_tbEUlT_E1_NS1_11comp_targetILNS1_3genE8ELNS1_11target_archE1030ELNS1_3gpuE2ELNS1_3repE0EEENS1_30default_config_static_selectorELNS0_4arch9wavefront6targetE0EEEvSU_
    .private_segment_fixed_size: 0
    .sgpr_count:     0
    .sgpr_spill_count: 0
    .symbol:         _ZN7rocprim17ROCPRIM_400000_NS6detail17trampoline_kernelINS0_14default_configENS1_22reduce_config_selectorIbEEZNS1_11reduce_implILb1ES3_N6hipcub16HIPCUB_304000_NS22TransformInputIteratorIbN2at6native12_GLOBAL__N_19NonZeroOpIN3c107complexINSE_4HalfEEEEEPKSH_lEEPiiNS8_6detail34convert_binary_result_type_wrapperINS8_3SumESL_iEEEE10hipError_tPvRmT1_T2_T3_mT4_P12ihipStream_tbEUlT_E1_NS1_11comp_targetILNS1_3genE8ELNS1_11target_archE1030ELNS1_3gpuE2ELNS1_3repE0EEENS1_30default_config_static_selectorELNS0_4arch9wavefront6targetE0EEEvSU_.kd
    .uniform_work_group_size: 1
    .uses_dynamic_stack: false
    .vgpr_count:     0
    .vgpr_spill_count: 0
    .wavefront_size: 32
    .workgroup_processor_mode: 1
  - .args:
      - .offset:         0
        .size:           120
        .value_kind:     by_value
    .group_segment_fixed_size: 0
    .kernarg_segment_align: 8
    .kernarg_segment_size: 120
    .language:       OpenCL C
    .language_version:
      - 2
      - 0
    .max_flat_workgroup_size: 128
    .name:           _ZN7rocprim17ROCPRIM_400000_NS6detail17trampoline_kernelINS0_14default_configENS1_25partition_config_selectorILNS1_17partition_subalgoE5ElNS0_10empty_typeEbEEZZNS1_14partition_implILS5_5ELb0ES3_mN6hipcub16HIPCUB_304000_NS21CountingInputIteratorIllEEPS6_NSA_22TransformInputIteratorIbN2at6native12_GLOBAL__N_19NonZeroOpIN3c107complexINSJ_4HalfEEEEEPKSM_lEENS0_5tupleIJPlS6_EEENSR_IJSD_SD_EEES6_PiJS6_EEE10hipError_tPvRmT3_T4_T5_T6_T7_T9_mT8_P12ihipStream_tbDpT10_ENKUlT_T0_E_clISt17integral_constantIbLb0EES1F_EEDaS1A_S1B_EUlS1A_E_NS1_11comp_targetILNS1_3genE0ELNS1_11target_archE4294967295ELNS1_3gpuE0ELNS1_3repE0EEENS1_30default_config_static_selectorELNS0_4arch9wavefront6targetE0EEEvT1_
    .private_segment_fixed_size: 0
    .sgpr_count:     0
    .sgpr_spill_count: 0
    .symbol:         _ZN7rocprim17ROCPRIM_400000_NS6detail17trampoline_kernelINS0_14default_configENS1_25partition_config_selectorILNS1_17partition_subalgoE5ElNS0_10empty_typeEbEEZZNS1_14partition_implILS5_5ELb0ES3_mN6hipcub16HIPCUB_304000_NS21CountingInputIteratorIllEEPS6_NSA_22TransformInputIteratorIbN2at6native12_GLOBAL__N_19NonZeroOpIN3c107complexINSJ_4HalfEEEEEPKSM_lEENS0_5tupleIJPlS6_EEENSR_IJSD_SD_EEES6_PiJS6_EEE10hipError_tPvRmT3_T4_T5_T6_T7_T9_mT8_P12ihipStream_tbDpT10_ENKUlT_T0_E_clISt17integral_constantIbLb0EES1F_EEDaS1A_S1B_EUlS1A_E_NS1_11comp_targetILNS1_3genE0ELNS1_11target_archE4294967295ELNS1_3gpuE0ELNS1_3repE0EEENS1_30default_config_static_selectorELNS0_4arch9wavefront6targetE0EEEvT1_.kd
    .uniform_work_group_size: 1
    .uses_dynamic_stack: false
    .vgpr_count:     0
    .vgpr_spill_count: 0
    .wavefront_size: 32
    .workgroup_processor_mode: 1
  - .args:
      - .offset:         0
        .size:           120
        .value_kind:     by_value
    .group_segment_fixed_size: 0
    .kernarg_segment_align: 8
    .kernarg_segment_size: 120
    .language:       OpenCL C
    .language_version:
      - 2
      - 0
    .max_flat_workgroup_size: 512
    .name:           _ZN7rocprim17ROCPRIM_400000_NS6detail17trampoline_kernelINS0_14default_configENS1_25partition_config_selectorILNS1_17partition_subalgoE5ElNS0_10empty_typeEbEEZZNS1_14partition_implILS5_5ELb0ES3_mN6hipcub16HIPCUB_304000_NS21CountingInputIteratorIllEEPS6_NSA_22TransformInputIteratorIbN2at6native12_GLOBAL__N_19NonZeroOpIN3c107complexINSJ_4HalfEEEEEPKSM_lEENS0_5tupleIJPlS6_EEENSR_IJSD_SD_EEES6_PiJS6_EEE10hipError_tPvRmT3_T4_T5_T6_T7_T9_mT8_P12ihipStream_tbDpT10_ENKUlT_T0_E_clISt17integral_constantIbLb0EES1F_EEDaS1A_S1B_EUlS1A_E_NS1_11comp_targetILNS1_3genE5ELNS1_11target_archE942ELNS1_3gpuE9ELNS1_3repE0EEENS1_30default_config_static_selectorELNS0_4arch9wavefront6targetE0EEEvT1_
    .private_segment_fixed_size: 0
    .sgpr_count:     0
    .sgpr_spill_count: 0
    .symbol:         _ZN7rocprim17ROCPRIM_400000_NS6detail17trampoline_kernelINS0_14default_configENS1_25partition_config_selectorILNS1_17partition_subalgoE5ElNS0_10empty_typeEbEEZZNS1_14partition_implILS5_5ELb0ES3_mN6hipcub16HIPCUB_304000_NS21CountingInputIteratorIllEEPS6_NSA_22TransformInputIteratorIbN2at6native12_GLOBAL__N_19NonZeroOpIN3c107complexINSJ_4HalfEEEEEPKSM_lEENS0_5tupleIJPlS6_EEENSR_IJSD_SD_EEES6_PiJS6_EEE10hipError_tPvRmT3_T4_T5_T6_T7_T9_mT8_P12ihipStream_tbDpT10_ENKUlT_T0_E_clISt17integral_constantIbLb0EES1F_EEDaS1A_S1B_EUlS1A_E_NS1_11comp_targetILNS1_3genE5ELNS1_11target_archE942ELNS1_3gpuE9ELNS1_3repE0EEENS1_30default_config_static_selectorELNS0_4arch9wavefront6targetE0EEEvT1_.kd
    .uniform_work_group_size: 1
    .uses_dynamic_stack: false
    .vgpr_count:     0
    .vgpr_spill_count: 0
    .wavefront_size: 32
    .workgroup_processor_mode: 1
  - .args:
      - .offset:         0
        .size:           120
        .value_kind:     by_value
    .group_segment_fixed_size: 0
    .kernarg_segment_align: 8
    .kernarg_segment_size: 120
    .language:       OpenCL C
    .language_version:
      - 2
      - 0
    .max_flat_workgroup_size: 192
    .name:           _ZN7rocprim17ROCPRIM_400000_NS6detail17trampoline_kernelINS0_14default_configENS1_25partition_config_selectorILNS1_17partition_subalgoE5ElNS0_10empty_typeEbEEZZNS1_14partition_implILS5_5ELb0ES3_mN6hipcub16HIPCUB_304000_NS21CountingInputIteratorIllEEPS6_NSA_22TransformInputIteratorIbN2at6native12_GLOBAL__N_19NonZeroOpIN3c107complexINSJ_4HalfEEEEEPKSM_lEENS0_5tupleIJPlS6_EEENSR_IJSD_SD_EEES6_PiJS6_EEE10hipError_tPvRmT3_T4_T5_T6_T7_T9_mT8_P12ihipStream_tbDpT10_ENKUlT_T0_E_clISt17integral_constantIbLb0EES1F_EEDaS1A_S1B_EUlS1A_E_NS1_11comp_targetILNS1_3genE4ELNS1_11target_archE910ELNS1_3gpuE8ELNS1_3repE0EEENS1_30default_config_static_selectorELNS0_4arch9wavefront6targetE0EEEvT1_
    .private_segment_fixed_size: 0
    .sgpr_count:     0
    .sgpr_spill_count: 0
    .symbol:         _ZN7rocprim17ROCPRIM_400000_NS6detail17trampoline_kernelINS0_14default_configENS1_25partition_config_selectorILNS1_17partition_subalgoE5ElNS0_10empty_typeEbEEZZNS1_14partition_implILS5_5ELb0ES3_mN6hipcub16HIPCUB_304000_NS21CountingInputIteratorIllEEPS6_NSA_22TransformInputIteratorIbN2at6native12_GLOBAL__N_19NonZeroOpIN3c107complexINSJ_4HalfEEEEEPKSM_lEENS0_5tupleIJPlS6_EEENSR_IJSD_SD_EEES6_PiJS6_EEE10hipError_tPvRmT3_T4_T5_T6_T7_T9_mT8_P12ihipStream_tbDpT10_ENKUlT_T0_E_clISt17integral_constantIbLb0EES1F_EEDaS1A_S1B_EUlS1A_E_NS1_11comp_targetILNS1_3genE4ELNS1_11target_archE910ELNS1_3gpuE8ELNS1_3repE0EEENS1_30default_config_static_selectorELNS0_4arch9wavefront6targetE0EEEvT1_.kd
    .uniform_work_group_size: 1
    .uses_dynamic_stack: false
    .vgpr_count:     0
    .vgpr_spill_count: 0
    .wavefront_size: 32
    .workgroup_processor_mode: 1
  - .args:
      - .offset:         0
        .size:           120
        .value_kind:     by_value
    .group_segment_fixed_size: 0
    .kernarg_segment_align: 8
    .kernarg_segment_size: 120
    .language:       OpenCL C
    .language_version:
      - 2
      - 0
    .max_flat_workgroup_size: 128
    .name:           _ZN7rocprim17ROCPRIM_400000_NS6detail17trampoline_kernelINS0_14default_configENS1_25partition_config_selectorILNS1_17partition_subalgoE5ElNS0_10empty_typeEbEEZZNS1_14partition_implILS5_5ELb0ES3_mN6hipcub16HIPCUB_304000_NS21CountingInputIteratorIllEEPS6_NSA_22TransformInputIteratorIbN2at6native12_GLOBAL__N_19NonZeroOpIN3c107complexINSJ_4HalfEEEEEPKSM_lEENS0_5tupleIJPlS6_EEENSR_IJSD_SD_EEES6_PiJS6_EEE10hipError_tPvRmT3_T4_T5_T6_T7_T9_mT8_P12ihipStream_tbDpT10_ENKUlT_T0_E_clISt17integral_constantIbLb0EES1F_EEDaS1A_S1B_EUlS1A_E_NS1_11comp_targetILNS1_3genE3ELNS1_11target_archE908ELNS1_3gpuE7ELNS1_3repE0EEENS1_30default_config_static_selectorELNS0_4arch9wavefront6targetE0EEEvT1_
    .private_segment_fixed_size: 0
    .sgpr_count:     0
    .sgpr_spill_count: 0
    .symbol:         _ZN7rocprim17ROCPRIM_400000_NS6detail17trampoline_kernelINS0_14default_configENS1_25partition_config_selectorILNS1_17partition_subalgoE5ElNS0_10empty_typeEbEEZZNS1_14partition_implILS5_5ELb0ES3_mN6hipcub16HIPCUB_304000_NS21CountingInputIteratorIllEEPS6_NSA_22TransformInputIteratorIbN2at6native12_GLOBAL__N_19NonZeroOpIN3c107complexINSJ_4HalfEEEEEPKSM_lEENS0_5tupleIJPlS6_EEENSR_IJSD_SD_EEES6_PiJS6_EEE10hipError_tPvRmT3_T4_T5_T6_T7_T9_mT8_P12ihipStream_tbDpT10_ENKUlT_T0_E_clISt17integral_constantIbLb0EES1F_EEDaS1A_S1B_EUlS1A_E_NS1_11comp_targetILNS1_3genE3ELNS1_11target_archE908ELNS1_3gpuE7ELNS1_3repE0EEENS1_30default_config_static_selectorELNS0_4arch9wavefront6targetE0EEEvT1_.kd
    .uniform_work_group_size: 1
    .uses_dynamic_stack: false
    .vgpr_count:     0
    .vgpr_spill_count: 0
    .wavefront_size: 32
    .workgroup_processor_mode: 1
  - .args:
      - .offset:         0
        .size:           120
        .value_kind:     by_value
    .group_segment_fixed_size: 0
    .kernarg_segment_align: 8
    .kernarg_segment_size: 120
    .language:       OpenCL C
    .language_version:
      - 2
      - 0
    .max_flat_workgroup_size: 256
    .name:           _ZN7rocprim17ROCPRIM_400000_NS6detail17trampoline_kernelINS0_14default_configENS1_25partition_config_selectorILNS1_17partition_subalgoE5ElNS0_10empty_typeEbEEZZNS1_14partition_implILS5_5ELb0ES3_mN6hipcub16HIPCUB_304000_NS21CountingInputIteratorIllEEPS6_NSA_22TransformInputIteratorIbN2at6native12_GLOBAL__N_19NonZeroOpIN3c107complexINSJ_4HalfEEEEEPKSM_lEENS0_5tupleIJPlS6_EEENSR_IJSD_SD_EEES6_PiJS6_EEE10hipError_tPvRmT3_T4_T5_T6_T7_T9_mT8_P12ihipStream_tbDpT10_ENKUlT_T0_E_clISt17integral_constantIbLb0EES1F_EEDaS1A_S1B_EUlS1A_E_NS1_11comp_targetILNS1_3genE2ELNS1_11target_archE906ELNS1_3gpuE6ELNS1_3repE0EEENS1_30default_config_static_selectorELNS0_4arch9wavefront6targetE0EEEvT1_
    .private_segment_fixed_size: 0
    .sgpr_count:     0
    .sgpr_spill_count: 0
    .symbol:         _ZN7rocprim17ROCPRIM_400000_NS6detail17trampoline_kernelINS0_14default_configENS1_25partition_config_selectorILNS1_17partition_subalgoE5ElNS0_10empty_typeEbEEZZNS1_14partition_implILS5_5ELb0ES3_mN6hipcub16HIPCUB_304000_NS21CountingInputIteratorIllEEPS6_NSA_22TransformInputIteratorIbN2at6native12_GLOBAL__N_19NonZeroOpIN3c107complexINSJ_4HalfEEEEEPKSM_lEENS0_5tupleIJPlS6_EEENSR_IJSD_SD_EEES6_PiJS6_EEE10hipError_tPvRmT3_T4_T5_T6_T7_T9_mT8_P12ihipStream_tbDpT10_ENKUlT_T0_E_clISt17integral_constantIbLb0EES1F_EEDaS1A_S1B_EUlS1A_E_NS1_11comp_targetILNS1_3genE2ELNS1_11target_archE906ELNS1_3gpuE6ELNS1_3repE0EEENS1_30default_config_static_selectorELNS0_4arch9wavefront6targetE0EEEvT1_.kd
    .uniform_work_group_size: 1
    .uses_dynamic_stack: false
    .vgpr_count:     0
    .vgpr_spill_count: 0
    .wavefront_size: 32
    .workgroup_processor_mode: 1
  - .args:
      - .offset:         0
        .size:           120
        .value_kind:     by_value
    .group_segment_fixed_size: 8464
    .kernarg_segment_align: 8
    .kernarg_segment_size: 120
    .language:       OpenCL C
    .language_version:
      - 2
      - 0
    .max_flat_workgroup_size: 256
    .name:           _ZN7rocprim17ROCPRIM_400000_NS6detail17trampoline_kernelINS0_14default_configENS1_25partition_config_selectorILNS1_17partition_subalgoE5ElNS0_10empty_typeEbEEZZNS1_14partition_implILS5_5ELb0ES3_mN6hipcub16HIPCUB_304000_NS21CountingInputIteratorIllEEPS6_NSA_22TransformInputIteratorIbN2at6native12_GLOBAL__N_19NonZeroOpIN3c107complexINSJ_4HalfEEEEEPKSM_lEENS0_5tupleIJPlS6_EEENSR_IJSD_SD_EEES6_PiJS6_EEE10hipError_tPvRmT3_T4_T5_T6_T7_T9_mT8_P12ihipStream_tbDpT10_ENKUlT_T0_E_clISt17integral_constantIbLb0EES1F_EEDaS1A_S1B_EUlS1A_E_NS1_11comp_targetILNS1_3genE10ELNS1_11target_archE1200ELNS1_3gpuE4ELNS1_3repE0EEENS1_30default_config_static_selectorELNS0_4arch9wavefront6targetE0EEEvT1_
    .private_segment_fixed_size: 0
    .sgpr_count:     22
    .sgpr_spill_count: 0
    .symbol:         _ZN7rocprim17ROCPRIM_400000_NS6detail17trampoline_kernelINS0_14default_configENS1_25partition_config_selectorILNS1_17partition_subalgoE5ElNS0_10empty_typeEbEEZZNS1_14partition_implILS5_5ELb0ES3_mN6hipcub16HIPCUB_304000_NS21CountingInputIteratorIllEEPS6_NSA_22TransformInputIteratorIbN2at6native12_GLOBAL__N_19NonZeroOpIN3c107complexINSJ_4HalfEEEEEPKSM_lEENS0_5tupleIJPlS6_EEENSR_IJSD_SD_EEES6_PiJS6_EEE10hipError_tPvRmT3_T4_T5_T6_T7_T9_mT8_P12ihipStream_tbDpT10_ENKUlT_T0_E_clISt17integral_constantIbLb0EES1F_EEDaS1A_S1B_EUlS1A_E_NS1_11comp_targetILNS1_3genE10ELNS1_11target_archE1200ELNS1_3gpuE4ELNS1_3repE0EEENS1_30default_config_static_selectorELNS0_4arch9wavefront6targetE0EEEvT1_.kd
    .uniform_work_group_size: 1
    .uses_dynamic_stack: false
    .vgpr_count:     46
    .vgpr_spill_count: 0
    .wavefront_size: 32
    .workgroup_processor_mode: 1
  - .args:
      - .offset:         0
        .size:           120
        .value_kind:     by_value
    .group_segment_fixed_size: 0
    .kernarg_segment_align: 8
    .kernarg_segment_size: 120
    .language:       OpenCL C
    .language_version:
      - 2
      - 0
    .max_flat_workgroup_size: 128
    .name:           _ZN7rocprim17ROCPRIM_400000_NS6detail17trampoline_kernelINS0_14default_configENS1_25partition_config_selectorILNS1_17partition_subalgoE5ElNS0_10empty_typeEbEEZZNS1_14partition_implILS5_5ELb0ES3_mN6hipcub16HIPCUB_304000_NS21CountingInputIteratorIllEEPS6_NSA_22TransformInputIteratorIbN2at6native12_GLOBAL__N_19NonZeroOpIN3c107complexINSJ_4HalfEEEEEPKSM_lEENS0_5tupleIJPlS6_EEENSR_IJSD_SD_EEES6_PiJS6_EEE10hipError_tPvRmT3_T4_T5_T6_T7_T9_mT8_P12ihipStream_tbDpT10_ENKUlT_T0_E_clISt17integral_constantIbLb0EES1F_EEDaS1A_S1B_EUlS1A_E_NS1_11comp_targetILNS1_3genE9ELNS1_11target_archE1100ELNS1_3gpuE3ELNS1_3repE0EEENS1_30default_config_static_selectorELNS0_4arch9wavefront6targetE0EEEvT1_
    .private_segment_fixed_size: 0
    .sgpr_count:     0
    .sgpr_spill_count: 0
    .symbol:         _ZN7rocprim17ROCPRIM_400000_NS6detail17trampoline_kernelINS0_14default_configENS1_25partition_config_selectorILNS1_17partition_subalgoE5ElNS0_10empty_typeEbEEZZNS1_14partition_implILS5_5ELb0ES3_mN6hipcub16HIPCUB_304000_NS21CountingInputIteratorIllEEPS6_NSA_22TransformInputIteratorIbN2at6native12_GLOBAL__N_19NonZeroOpIN3c107complexINSJ_4HalfEEEEEPKSM_lEENS0_5tupleIJPlS6_EEENSR_IJSD_SD_EEES6_PiJS6_EEE10hipError_tPvRmT3_T4_T5_T6_T7_T9_mT8_P12ihipStream_tbDpT10_ENKUlT_T0_E_clISt17integral_constantIbLb0EES1F_EEDaS1A_S1B_EUlS1A_E_NS1_11comp_targetILNS1_3genE9ELNS1_11target_archE1100ELNS1_3gpuE3ELNS1_3repE0EEENS1_30default_config_static_selectorELNS0_4arch9wavefront6targetE0EEEvT1_.kd
    .uniform_work_group_size: 1
    .uses_dynamic_stack: false
    .vgpr_count:     0
    .vgpr_spill_count: 0
    .wavefront_size: 32
    .workgroup_processor_mode: 1
  - .args:
      - .offset:         0
        .size:           120
        .value_kind:     by_value
    .group_segment_fixed_size: 0
    .kernarg_segment_align: 8
    .kernarg_segment_size: 120
    .language:       OpenCL C
    .language_version:
      - 2
      - 0
    .max_flat_workgroup_size: 512
    .name:           _ZN7rocprim17ROCPRIM_400000_NS6detail17trampoline_kernelINS0_14default_configENS1_25partition_config_selectorILNS1_17partition_subalgoE5ElNS0_10empty_typeEbEEZZNS1_14partition_implILS5_5ELb0ES3_mN6hipcub16HIPCUB_304000_NS21CountingInputIteratorIllEEPS6_NSA_22TransformInputIteratorIbN2at6native12_GLOBAL__N_19NonZeroOpIN3c107complexINSJ_4HalfEEEEEPKSM_lEENS0_5tupleIJPlS6_EEENSR_IJSD_SD_EEES6_PiJS6_EEE10hipError_tPvRmT3_T4_T5_T6_T7_T9_mT8_P12ihipStream_tbDpT10_ENKUlT_T0_E_clISt17integral_constantIbLb0EES1F_EEDaS1A_S1B_EUlS1A_E_NS1_11comp_targetILNS1_3genE8ELNS1_11target_archE1030ELNS1_3gpuE2ELNS1_3repE0EEENS1_30default_config_static_selectorELNS0_4arch9wavefront6targetE0EEEvT1_
    .private_segment_fixed_size: 0
    .sgpr_count:     0
    .sgpr_spill_count: 0
    .symbol:         _ZN7rocprim17ROCPRIM_400000_NS6detail17trampoline_kernelINS0_14default_configENS1_25partition_config_selectorILNS1_17partition_subalgoE5ElNS0_10empty_typeEbEEZZNS1_14partition_implILS5_5ELb0ES3_mN6hipcub16HIPCUB_304000_NS21CountingInputIteratorIllEEPS6_NSA_22TransformInputIteratorIbN2at6native12_GLOBAL__N_19NonZeroOpIN3c107complexINSJ_4HalfEEEEEPKSM_lEENS0_5tupleIJPlS6_EEENSR_IJSD_SD_EEES6_PiJS6_EEE10hipError_tPvRmT3_T4_T5_T6_T7_T9_mT8_P12ihipStream_tbDpT10_ENKUlT_T0_E_clISt17integral_constantIbLb0EES1F_EEDaS1A_S1B_EUlS1A_E_NS1_11comp_targetILNS1_3genE8ELNS1_11target_archE1030ELNS1_3gpuE2ELNS1_3repE0EEENS1_30default_config_static_selectorELNS0_4arch9wavefront6targetE0EEEvT1_.kd
    .uniform_work_group_size: 1
    .uses_dynamic_stack: false
    .vgpr_count:     0
    .vgpr_spill_count: 0
    .wavefront_size: 32
    .workgroup_processor_mode: 1
  - .args:
      - .offset:         0
        .size:           136
        .value_kind:     by_value
    .group_segment_fixed_size: 0
    .kernarg_segment_align: 8
    .kernarg_segment_size: 136
    .language:       OpenCL C
    .language_version:
      - 2
      - 0
    .max_flat_workgroup_size: 128
    .name:           _ZN7rocprim17ROCPRIM_400000_NS6detail17trampoline_kernelINS0_14default_configENS1_25partition_config_selectorILNS1_17partition_subalgoE5ElNS0_10empty_typeEbEEZZNS1_14partition_implILS5_5ELb0ES3_mN6hipcub16HIPCUB_304000_NS21CountingInputIteratorIllEEPS6_NSA_22TransformInputIteratorIbN2at6native12_GLOBAL__N_19NonZeroOpIN3c107complexINSJ_4HalfEEEEEPKSM_lEENS0_5tupleIJPlS6_EEENSR_IJSD_SD_EEES6_PiJS6_EEE10hipError_tPvRmT3_T4_T5_T6_T7_T9_mT8_P12ihipStream_tbDpT10_ENKUlT_T0_E_clISt17integral_constantIbLb1EES1F_EEDaS1A_S1B_EUlS1A_E_NS1_11comp_targetILNS1_3genE0ELNS1_11target_archE4294967295ELNS1_3gpuE0ELNS1_3repE0EEENS1_30default_config_static_selectorELNS0_4arch9wavefront6targetE0EEEvT1_
    .private_segment_fixed_size: 0
    .sgpr_count:     0
    .sgpr_spill_count: 0
    .symbol:         _ZN7rocprim17ROCPRIM_400000_NS6detail17trampoline_kernelINS0_14default_configENS1_25partition_config_selectorILNS1_17partition_subalgoE5ElNS0_10empty_typeEbEEZZNS1_14partition_implILS5_5ELb0ES3_mN6hipcub16HIPCUB_304000_NS21CountingInputIteratorIllEEPS6_NSA_22TransformInputIteratorIbN2at6native12_GLOBAL__N_19NonZeroOpIN3c107complexINSJ_4HalfEEEEEPKSM_lEENS0_5tupleIJPlS6_EEENSR_IJSD_SD_EEES6_PiJS6_EEE10hipError_tPvRmT3_T4_T5_T6_T7_T9_mT8_P12ihipStream_tbDpT10_ENKUlT_T0_E_clISt17integral_constantIbLb1EES1F_EEDaS1A_S1B_EUlS1A_E_NS1_11comp_targetILNS1_3genE0ELNS1_11target_archE4294967295ELNS1_3gpuE0ELNS1_3repE0EEENS1_30default_config_static_selectorELNS0_4arch9wavefront6targetE0EEEvT1_.kd
    .uniform_work_group_size: 1
    .uses_dynamic_stack: false
    .vgpr_count:     0
    .vgpr_spill_count: 0
    .wavefront_size: 32
    .workgroup_processor_mode: 1
  - .args:
      - .offset:         0
        .size:           136
        .value_kind:     by_value
    .group_segment_fixed_size: 0
    .kernarg_segment_align: 8
    .kernarg_segment_size: 136
    .language:       OpenCL C
    .language_version:
      - 2
      - 0
    .max_flat_workgroup_size: 512
    .name:           _ZN7rocprim17ROCPRIM_400000_NS6detail17trampoline_kernelINS0_14default_configENS1_25partition_config_selectorILNS1_17partition_subalgoE5ElNS0_10empty_typeEbEEZZNS1_14partition_implILS5_5ELb0ES3_mN6hipcub16HIPCUB_304000_NS21CountingInputIteratorIllEEPS6_NSA_22TransformInputIteratorIbN2at6native12_GLOBAL__N_19NonZeroOpIN3c107complexINSJ_4HalfEEEEEPKSM_lEENS0_5tupleIJPlS6_EEENSR_IJSD_SD_EEES6_PiJS6_EEE10hipError_tPvRmT3_T4_T5_T6_T7_T9_mT8_P12ihipStream_tbDpT10_ENKUlT_T0_E_clISt17integral_constantIbLb1EES1F_EEDaS1A_S1B_EUlS1A_E_NS1_11comp_targetILNS1_3genE5ELNS1_11target_archE942ELNS1_3gpuE9ELNS1_3repE0EEENS1_30default_config_static_selectorELNS0_4arch9wavefront6targetE0EEEvT1_
    .private_segment_fixed_size: 0
    .sgpr_count:     0
    .sgpr_spill_count: 0
    .symbol:         _ZN7rocprim17ROCPRIM_400000_NS6detail17trampoline_kernelINS0_14default_configENS1_25partition_config_selectorILNS1_17partition_subalgoE5ElNS0_10empty_typeEbEEZZNS1_14partition_implILS5_5ELb0ES3_mN6hipcub16HIPCUB_304000_NS21CountingInputIteratorIllEEPS6_NSA_22TransformInputIteratorIbN2at6native12_GLOBAL__N_19NonZeroOpIN3c107complexINSJ_4HalfEEEEEPKSM_lEENS0_5tupleIJPlS6_EEENSR_IJSD_SD_EEES6_PiJS6_EEE10hipError_tPvRmT3_T4_T5_T6_T7_T9_mT8_P12ihipStream_tbDpT10_ENKUlT_T0_E_clISt17integral_constantIbLb1EES1F_EEDaS1A_S1B_EUlS1A_E_NS1_11comp_targetILNS1_3genE5ELNS1_11target_archE942ELNS1_3gpuE9ELNS1_3repE0EEENS1_30default_config_static_selectorELNS0_4arch9wavefront6targetE0EEEvT1_.kd
    .uniform_work_group_size: 1
    .uses_dynamic_stack: false
    .vgpr_count:     0
    .vgpr_spill_count: 0
    .wavefront_size: 32
    .workgroup_processor_mode: 1
  - .args:
      - .offset:         0
        .size:           136
        .value_kind:     by_value
    .group_segment_fixed_size: 0
    .kernarg_segment_align: 8
    .kernarg_segment_size: 136
    .language:       OpenCL C
    .language_version:
      - 2
      - 0
    .max_flat_workgroup_size: 192
    .name:           _ZN7rocprim17ROCPRIM_400000_NS6detail17trampoline_kernelINS0_14default_configENS1_25partition_config_selectorILNS1_17partition_subalgoE5ElNS0_10empty_typeEbEEZZNS1_14partition_implILS5_5ELb0ES3_mN6hipcub16HIPCUB_304000_NS21CountingInputIteratorIllEEPS6_NSA_22TransformInputIteratorIbN2at6native12_GLOBAL__N_19NonZeroOpIN3c107complexINSJ_4HalfEEEEEPKSM_lEENS0_5tupleIJPlS6_EEENSR_IJSD_SD_EEES6_PiJS6_EEE10hipError_tPvRmT3_T4_T5_T6_T7_T9_mT8_P12ihipStream_tbDpT10_ENKUlT_T0_E_clISt17integral_constantIbLb1EES1F_EEDaS1A_S1B_EUlS1A_E_NS1_11comp_targetILNS1_3genE4ELNS1_11target_archE910ELNS1_3gpuE8ELNS1_3repE0EEENS1_30default_config_static_selectorELNS0_4arch9wavefront6targetE0EEEvT1_
    .private_segment_fixed_size: 0
    .sgpr_count:     0
    .sgpr_spill_count: 0
    .symbol:         _ZN7rocprim17ROCPRIM_400000_NS6detail17trampoline_kernelINS0_14default_configENS1_25partition_config_selectorILNS1_17partition_subalgoE5ElNS0_10empty_typeEbEEZZNS1_14partition_implILS5_5ELb0ES3_mN6hipcub16HIPCUB_304000_NS21CountingInputIteratorIllEEPS6_NSA_22TransformInputIteratorIbN2at6native12_GLOBAL__N_19NonZeroOpIN3c107complexINSJ_4HalfEEEEEPKSM_lEENS0_5tupleIJPlS6_EEENSR_IJSD_SD_EEES6_PiJS6_EEE10hipError_tPvRmT3_T4_T5_T6_T7_T9_mT8_P12ihipStream_tbDpT10_ENKUlT_T0_E_clISt17integral_constantIbLb1EES1F_EEDaS1A_S1B_EUlS1A_E_NS1_11comp_targetILNS1_3genE4ELNS1_11target_archE910ELNS1_3gpuE8ELNS1_3repE0EEENS1_30default_config_static_selectorELNS0_4arch9wavefront6targetE0EEEvT1_.kd
    .uniform_work_group_size: 1
    .uses_dynamic_stack: false
    .vgpr_count:     0
    .vgpr_spill_count: 0
    .wavefront_size: 32
    .workgroup_processor_mode: 1
  - .args:
      - .offset:         0
        .size:           136
        .value_kind:     by_value
    .group_segment_fixed_size: 0
    .kernarg_segment_align: 8
    .kernarg_segment_size: 136
    .language:       OpenCL C
    .language_version:
      - 2
      - 0
    .max_flat_workgroup_size: 128
    .name:           _ZN7rocprim17ROCPRIM_400000_NS6detail17trampoline_kernelINS0_14default_configENS1_25partition_config_selectorILNS1_17partition_subalgoE5ElNS0_10empty_typeEbEEZZNS1_14partition_implILS5_5ELb0ES3_mN6hipcub16HIPCUB_304000_NS21CountingInputIteratorIllEEPS6_NSA_22TransformInputIteratorIbN2at6native12_GLOBAL__N_19NonZeroOpIN3c107complexINSJ_4HalfEEEEEPKSM_lEENS0_5tupleIJPlS6_EEENSR_IJSD_SD_EEES6_PiJS6_EEE10hipError_tPvRmT3_T4_T5_T6_T7_T9_mT8_P12ihipStream_tbDpT10_ENKUlT_T0_E_clISt17integral_constantIbLb1EES1F_EEDaS1A_S1B_EUlS1A_E_NS1_11comp_targetILNS1_3genE3ELNS1_11target_archE908ELNS1_3gpuE7ELNS1_3repE0EEENS1_30default_config_static_selectorELNS0_4arch9wavefront6targetE0EEEvT1_
    .private_segment_fixed_size: 0
    .sgpr_count:     0
    .sgpr_spill_count: 0
    .symbol:         _ZN7rocprim17ROCPRIM_400000_NS6detail17trampoline_kernelINS0_14default_configENS1_25partition_config_selectorILNS1_17partition_subalgoE5ElNS0_10empty_typeEbEEZZNS1_14partition_implILS5_5ELb0ES3_mN6hipcub16HIPCUB_304000_NS21CountingInputIteratorIllEEPS6_NSA_22TransformInputIteratorIbN2at6native12_GLOBAL__N_19NonZeroOpIN3c107complexINSJ_4HalfEEEEEPKSM_lEENS0_5tupleIJPlS6_EEENSR_IJSD_SD_EEES6_PiJS6_EEE10hipError_tPvRmT3_T4_T5_T6_T7_T9_mT8_P12ihipStream_tbDpT10_ENKUlT_T0_E_clISt17integral_constantIbLb1EES1F_EEDaS1A_S1B_EUlS1A_E_NS1_11comp_targetILNS1_3genE3ELNS1_11target_archE908ELNS1_3gpuE7ELNS1_3repE0EEENS1_30default_config_static_selectorELNS0_4arch9wavefront6targetE0EEEvT1_.kd
    .uniform_work_group_size: 1
    .uses_dynamic_stack: false
    .vgpr_count:     0
    .vgpr_spill_count: 0
    .wavefront_size: 32
    .workgroup_processor_mode: 1
  - .args:
      - .offset:         0
        .size:           136
        .value_kind:     by_value
    .group_segment_fixed_size: 0
    .kernarg_segment_align: 8
    .kernarg_segment_size: 136
    .language:       OpenCL C
    .language_version:
      - 2
      - 0
    .max_flat_workgroup_size: 256
    .name:           _ZN7rocprim17ROCPRIM_400000_NS6detail17trampoline_kernelINS0_14default_configENS1_25partition_config_selectorILNS1_17partition_subalgoE5ElNS0_10empty_typeEbEEZZNS1_14partition_implILS5_5ELb0ES3_mN6hipcub16HIPCUB_304000_NS21CountingInputIteratorIllEEPS6_NSA_22TransformInputIteratorIbN2at6native12_GLOBAL__N_19NonZeroOpIN3c107complexINSJ_4HalfEEEEEPKSM_lEENS0_5tupleIJPlS6_EEENSR_IJSD_SD_EEES6_PiJS6_EEE10hipError_tPvRmT3_T4_T5_T6_T7_T9_mT8_P12ihipStream_tbDpT10_ENKUlT_T0_E_clISt17integral_constantIbLb1EES1F_EEDaS1A_S1B_EUlS1A_E_NS1_11comp_targetILNS1_3genE2ELNS1_11target_archE906ELNS1_3gpuE6ELNS1_3repE0EEENS1_30default_config_static_selectorELNS0_4arch9wavefront6targetE0EEEvT1_
    .private_segment_fixed_size: 0
    .sgpr_count:     0
    .sgpr_spill_count: 0
    .symbol:         _ZN7rocprim17ROCPRIM_400000_NS6detail17trampoline_kernelINS0_14default_configENS1_25partition_config_selectorILNS1_17partition_subalgoE5ElNS0_10empty_typeEbEEZZNS1_14partition_implILS5_5ELb0ES3_mN6hipcub16HIPCUB_304000_NS21CountingInputIteratorIllEEPS6_NSA_22TransformInputIteratorIbN2at6native12_GLOBAL__N_19NonZeroOpIN3c107complexINSJ_4HalfEEEEEPKSM_lEENS0_5tupleIJPlS6_EEENSR_IJSD_SD_EEES6_PiJS6_EEE10hipError_tPvRmT3_T4_T5_T6_T7_T9_mT8_P12ihipStream_tbDpT10_ENKUlT_T0_E_clISt17integral_constantIbLb1EES1F_EEDaS1A_S1B_EUlS1A_E_NS1_11comp_targetILNS1_3genE2ELNS1_11target_archE906ELNS1_3gpuE6ELNS1_3repE0EEENS1_30default_config_static_selectorELNS0_4arch9wavefront6targetE0EEEvT1_.kd
    .uniform_work_group_size: 1
    .uses_dynamic_stack: false
    .vgpr_count:     0
    .vgpr_spill_count: 0
    .wavefront_size: 32
    .workgroup_processor_mode: 1
  - .args:
      - .offset:         0
        .size:           136
        .value_kind:     by_value
    .group_segment_fixed_size: 0
    .kernarg_segment_align: 8
    .kernarg_segment_size: 136
    .language:       OpenCL C
    .language_version:
      - 2
      - 0
    .max_flat_workgroup_size: 256
    .name:           _ZN7rocprim17ROCPRIM_400000_NS6detail17trampoline_kernelINS0_14default_configENS1_25partition_config_selectorILNS1_17partition_subalgoE5ElNS0_10empty_typeEbEEZZNS1_14partition_implILS5_5ELb0ES3_mN6hipcub16HIPCUB_304000_NS21CountingInputIteratorIllEEPS6_NSA_22TransformInputIteratorIbN2at6native12_GLOBAL__N_19NonZeroOpIN3c107complexINSJ_4HalfEEEEEPKSM_lEENS0_5tupleIJPlS6_EEENSR_IJSD_SD_EEES6_PiJS6_EEE10hipError_tPvRmT3_T4_T5_T6_T7_T9_mT8_P12ihipStream_tbDpT10_ENKUlT_T0_E_clISt17integral_constantIbLb1EES1F_EEDaS1A_S1B_EUlS1A_E_NS1_11comp_targetILNS1_3genE10ELNS1_11target_archE1200ELNS1_3gpuE4ELNS1_3repE0EEENS1_30default_config_static_selectorELNS0_4arch9wavefront6targetE0EEEvT1_
    .private_segment_fixed_size: 0
    .sgpr_count:     0
    .sgpr_spill_count: 0
    .symbol:         _ZN7rocprim17ROCPRIM_400000_NS6detail17trampoline_kernelINS0_14default_configENS1_25partition_config_selectorILNS1_17partition_subalgoE5ElNS0_10empty_typeEbEEZZNS1_14partition_implILS5_5ELb0ES3_mN6hipcub16HIPCUB_304000_NS21CountingInputIteratorIllEEPS6_NSA_22TransformInputIteratorIbN2at6native12_GLOBAL__N_19NonZeroOpIN3c107complexINSJ_4HalfEEEEEPKSM_lEENS0_5tupleIJPlS6_EEENSR_IJSD_SD_EEES6_PiJS6_EEE10hipError_tPvRmT3_T4_T5_T6_T7_T9_mT8_P12ihipStream_tbDpT10_ENKUlT_T0_E_clISt17integral_constantIbLb1EES1F_EEDaS1A_S1B_EUlS1A_E_NS1_11comp_targetILNS1_3genE10ELNS1_11target_archE1200ELNS1_3gpuE4ELNS1_3repE0EEENS1_30default_config_static_selectorELNS0_4arch9wavefront6targetE0EEEvT1_.kd
    .uniform_work_group_size: 1
    .uses_dynamic_stack: false
    .vgpr_count:     0
    .vgpr_spill_count: 0
    .wavefront_size: 32
    .workgroup_processor_mode: 1
  - .args:
      - .offset:         0
        .size:           136
        .value_kind:     by_value
    .group_segment_fixed_size: 0
    .kernarg_segment_align: 8
    .kernarg_segment_size: 136
    .language:       OpenCL C
    .language_version:
      - 2
      - 0
    .max_flat_workgroup_size: 128
    .name:           _ZN7rocprim17ROCPRIM_400000_NS6detail17trampoline_kernelINS0_14default_configENS1_25partition_config_selectorILNS1_17partition_subalgoE5ElNS0_10empty_typeEbEEZZNS1_14partition_implILS5_5ELb0ES3_mN6hipcub16HIPCUB_304000_NS21CountingInputIteratorIllEEPS6_NSA_22TransformInputIteratorIbN2at6native12_GLOBAL__N_19NonZeroOpIN3c107complexINSJ_4HalfEEEEEPKSM_lEENS0_5tupleIJPlS6_EEENSR_IJSD_SD_EEES6_PiJS6_EEE10hipError_tPvRmT3_T4_T5_T6_T7_T9_mT8_P12ihipStream_tbDpT10_ENKUlT_T0_E_clISt17integral_constantIbLb1EES1F_EEDaS1A_S1B_EUlS1A_E_NS1_11comp_targetILNS1_3genE9ELNS1_11target_archE1100ELNS1_3gpuE3ELNS1_3repE0EEENS1_30default_config_static_selectorELNS0_4arch9wavefront6targetE0EEEvT1_
    .private_segment_fixed_size: 0
    .sgpr_count:     0
    .sgpr_spill_count: 0
    .symbol:         _ZN7rocprim17ROCPRIM_400000_NS6detail17trampoline_kernelINS0_14default_configENS1_25partition_config_selectorILNS1_17partition_subalgoE5ElNS0_10empty_typeEbEEZZNS1_14partition_implILS5_5ELb0ES3_mN6hipcub16HIPCUB_304000_NS21CountingInputIteratorIllEEPS6_NSA_22TransformInputIteratorIbN2at6native12_GLOBAL__N_19NonZeroOpIN3c107complexINSJ_4HalfEEEEEPKSM_lEENS0_5tupleIJPlS6_EEENSR_IJSD_SD_EEES6_PiJS6_EEE10hipError_tPvRmT3_T4_T5_T6_T7_T9_mT8_P12ihipStream_tbDpT10_ENKUlT_T0_E_clISt17integral_constantIbLb1EES1F_EEDaS1A_S1B_EUlS1A_E_NS1_11comp_targetILNS1_3genE9ELNS1_11target_archE1100ELNS1_3gpuE3ELNS1_3repE0EEENS1_30default_config_static_selectorELNS0_4arch9wavefront6targetE0EEEvT1_.kd
    .uniform_work_group_size: 1
    .uses_dynamic_stack: false
    .vgpr_count:     0
    .vgpr_spill_count: 0
    .wavefront_size: 32
    .workgroup_processor_mode: 1
  - .args:
      - .offset:         0
        .size:           136
        .value_kind:     by_value
    .group_segment_fixed_size: 0
    .kernarg_segment_align: 8
    .kernarg_segment_size: 136
    .language:       OpenCL C
    .language_version:
      - 2
      - 0
    .max_flat_workgroup_size: 512
    .name:           _ZN7rocprim17ROCPRIM_400000_NS6detail17trampoline_kernelINS0_14default_configENS1_25partition_config_selectorILNS1_17partition_subalgoE5ElNS0_10empty_typeEbEEZZNS1_14partition_implILS5_5ELb0ES3_mN6hipcub16HIPCUB_304000_NS21CountingInputIteratorIllEEPS6_NSA_22TransformInputIteratorIbN2at6native12_GLOBAL__N_19NonZeroOpIN3c107complexINSJ_4HalfEEEEEPKSM_lEENS0_5tupleIJPlS6_EEENSR_IJSD_SD_EEES6_PiJS6_EEE10hipError_tPvRmT3_T4_T5_T6_T7_T9_mT8_P12ihipStream_tbDpT10_ENKUlT_T0_E_clISt17integral_constantIbLb1EES1F_EEDaS1A_S1B_EUlS1A_E_NS1_11comp_targetILNS1_3genE8ELNS1_11target_archE1030ELNS1_3gpuE2ELNS1_3repE0EEENS1_30default_config_static_selectorELNS0_4arch9wavefront6targetE0EEEvT1_
    .private_segment_fixed_size: 0
    .sgpr_count:     0
    .sgpr_spill_count: 0
    .symbol:         _ZN7rocprim17ROCPRIM_400000_NS6detail17trampoline_kernelINS0_14default_configENS1_25partition_config_selectorILNS1_17partition_subalgoE5ElNS0_10empty_typeEbEEZZNS1_14partition_implILS5_5ELb0ES3_mN6hipcub16HIPCUB_304000_NS21CountingInputIteratorIllEEPS6_NSA_22TransformInputIteratorIbN2at6native12_GLOBAL__N_19NonZeroOpIN3c107complexINSJ_4HalfEEEEEPKSM_lEENS0_5tupleIJPlS6_EEENSR_IJSD_SD_EEES6_PiJS6_EEE10hipError_tPvRmT3_T4_T5_T6_T7_T9_mT8_P12ihipStream_tbDpT10_ENKUlT_T0_E_clISt17integral_constantIbLb1EES1F_EEDaS1A_S1B_EUlS1A_E_NS1_11comp_targetILNS1_3genE8ELNS1_11target_archE1030ELNS1_3gpuE2ELNS1_3repE0EEENS1_30default_config_static_selectorELNS0_4arch9wavefront6targetE0EEEvT1_.kd
    .uniform_work_group_size: 1
    .uses_dynamic_stack: false
    .vgpr_count:     0
    .vgpr_spill_count: 0
    .wavefront_size: 32
    .workgroup_processor_mode: 1
  - .args:
      - .offset:         0
        .size:           120
        .value_kind:     by_value
    .group_segment_fixed_size: 0
    .kernarg_segment_align: 8
    .kernarg_segment_size: 120
    .language:       OpenCL C
    .language_version:
      - 2
      - 0
    .max_flat_workgroup_size: 128
    .name:           _ZN7rocprim17ROCPRIM_400000_NS6detail17trampoline_kernelINS0_14default_configENS1_25partition_config_selectorILNS1_17partition_subalgoE5ElNS0_10empty_typeEbEEZZNS1_14partition_implILS5_5ELb0ES3_mN6hipcub16HIPCUB_304000_NS21CountingInputIteratorIllEEPS6_NSA_22TransformInputIteratorIbN2at6native12_GLOBAL__N_19NonZeroOpIN3c107complexINSJ_4HalfEEEEEPKSM_lEENS0_5tupleIJPlS6_EEENSR_IJSD_SD_EEES6_PiJS6_EEE10hipError_tPvRmT3_T4_T5_T6_T7_T9_mT8_P12ihipStream_tbDpT10_ENKUlT_T0_E_clISt17integral_constantIbLb1EES1E_IbLb0EEEEDaS1A_S1B_EUlS1A_E_NS1_11comp_targetILNS1_3genE0ELNS1_11target_archE4294967295ELNS1_3gpuE0ELNS1_3repE0EEENS1_30default_config_static_selectorELNS0_4arch9wavefront6targetE0EEEvT1_
    .private_segment_fixed_size: 0
    .sgpr_count:     0
    .sgpr_spill_count: 0
    .symbol:         _ZN7rocprim17ROCPRIM_400000_NS6detail17trampoline_kernelINS0_14default_configENS1_25partition_config_selectorILNS1_17partition_subalgoE5ElNS0_10empty_typeEbEEZZNS1_14partition_implILS5_5ELb0ES3_mN6hipcub16HIPCUB_304000_NS21CountingInputIteratorIllEEPS6_NSA_22TransformInputIteratorIbN2at6native12_GLOBAL__N_19NonZeroOpIN3c107complexINSJ_4HalfEEEEEPKSM_lEENS0_5tupleIJPlS6_EEENSR_IJSD_SD_EEES6_PiJS6_EEE10hipError_tPvRmT3_T4_T5_T6_T7_T9_mT8_P12ihipStream_tbDpT10_ENKUlT_T0_E_clISt17integral_constantIbLb1EES1E_IbLb0EEEEDaS1A_S1B_EUlS1A_E_NS1_11comp_targetILNS1_3genE0ELNS1_11target_archE4294967295ELNS1_3gpuE0ELNS1_3repE0EEENS1_30default_config_static_selectorELNS0_4arch9wavefront6targetE0EEEvT1_.kd
    .uniform_work_group_size: 1
    .uses_dynamic_stack: false
    .vgpr_count:     0
    .vgpr_spill_count: 0
    .wavefront_size: 32
    .workgroup_processor_mode: 1
  - .args:
      - .offset:         0
        .size:           120
        .value_kind:     by_value
    .group_segment_fixed_size: 0
    .kernarg_segment_align: 8
    .kernarg_segment_size: 120
    .language:       OpenCL C
    .language_version:
      - 2
      - 0
    .max_flat_workgroup_size: 512
    .name:           _ZN7rocprim17ROCPRIM_400000_NS6detail17trampoline_kernelINS0_14default_configENS1_25partition_config_selectorILNS1_17partition_subalgoE5ElNS0_10empty_typeEbEEZZNS1_14partition_implILS5_5ELb0ES3_mN6hipcub16HIPCUB_304000_NS21CountingInputIteratorIllEEPS6_NSA_22TransformInputIteratorIbN2at6native12_GLOBAL__N_19NonZeroOpIN3c107complexINSJ_4HalfEEEEEPKSM_lEENS0_5tupleIJPlS6_EEENSR_IJSD_SD_EEES6_PiJS6_EEE10hipError_tPvRmT3_T4_T5_T6_T7_T9_mT8_P12ihipStream_tbDpT10_ENKUlT_T0_E_clISt17integral_constantIbLb1EES1E_IbLb0EEEEDaS1A_S1B_EUlS1A_E_NS1_11comp_targetILNS1_3genE5ELNS1_11target_archE942ELNS1_3gpuE9ELNS1_3repE0EEENS1_30default_config_static_selectorELNS0_4arch9wavefront6targetE0EEEvT1_
    .private_segment_fixed_size: 0
    .sgpr_count:     0
    .sgpr_spill_count: 0
    .symbol:         _ZN7rocprim17ROCPRIM_400000_NS6detail17trampoline_kernelINS0_14default_configENS1_25partition_config_selectorILNS1_17partition_subalgoE5ElNS0_10empty_typeEbEEZZNS1_14partition_implILS5_5ELb0ES3_mN6hipcub16HIPCUB_304000_NS21CountingInputIteratorIllEEPS6_NSA_22TransformInputIteratorIbN2at6native12_GLOBAL__N_19NonZeroOpIN3c107complexINSJ_4HalfEEEEEPKSM_lEENS0_5tupleIJPlS6_EEENSR_IJSD_SD_EEES6_PiJS6_EEE10hipError_tPvRmT3_T4_T5_T6_T7_T9_mT8_P12ihipStream_tbDpT10_ENKUlT_T0_E_clISt17integral_constantIbLb1EES1E_IbLb0EEEEDaS1A_S1B_EUlS1A_E_NS1_11comp_targetILNS1_3genE5ELNS1_11target_archE942ELNS1_3gpuE9ELNS1_3repE0EEENS1_30default_config_static_selectorELNS0_4arch9wavefront6targetE0EEEvT1_.kd
    .uniform_work_group_size: 1
    .uses_dynamic_stack: false
    .vgpr_count:     0
    .vgpr_spill_count: 0
    .wavefront_size: 32
    .workgroup_processor_mode: 1
  - .args:
      - .offset:         0
        .size:           120
        .value_kind:     by_value
    .group_segment_fixed_size: 0
    .kernarg_segment_align: 8
    .kernarg_segment_size: 120
    .language:       OpenCL C
    .language_version:
      - 2
      - 0
    .max_flat_workgroup_size: 192
    .name:           _ZN7rocprim17ROCPRIM_400000_NS6detail17trampoline_kernelINS0_14default_configENS1_25partition_config_selectorILNS1_17partition_subalgoE5ElNS0_10empty_typeEbEEZZNS1_14partition_implILS5_5ELb0ES3_mN6hipcub16HIPCUB_304000_NS21CountingInputIteratorIllEEPS6_NSA_22TransformInputIteratorIbN2at6native12_GLOBAL__N_19NonZeroOpIN3c107complexINSJ_4HalfEEEEEPKSM_lEENS0_5tupleIJPlS6_EEENSR_IJSD_SD_EEES6_PiJS6_EEE10hipError_tPvRmT3_T4_T5_T6_T7_T9_mT8_P12ihipStream_tbDpT10_ENKUlT_T0_E_clISt17integral_constantIbLb1EES1E_IbLb0EEEEDaS1A_S1B_EUlS1A_E_NS1_11comp_targetILNS1_3genE4ELNS1_11target_archE910ELNS1_3gpuE8ELNS1_3repE0EEENS1_30default_config_static_selectorELNS0_4arch9wavefront6targetE0EEEvT1_
    .private_segment_fixed_size: 0
    .sgpr_count:     0
    .sgpr_spill_count: 0
    .symbol:         _ZN7rocprim17ROCPRIM_400000_NS6detail17trampoline_kernelINS0_14default_configENS1_25partition_config_selectorILNS1_17partition_subalgoE5ElNS0_10empty_typeEbEEZZNS1_14partition_implILS5_5ELb0ES3_mN6hipcub16HIPCUB_304000_NS21CountingInputIteratorIllEEPS6_NSA_22TransformInputIteratorIbN2at6native12_GLOBAL__N_19NonZeroOpIN3c107complexINSJ_4HalfEEEEEPKSM_lEENS0_5tupleIJPlS6_EEENSR_IJSD_SD_EEES6_PiJS6_EEE10hipError_tPvRmT3_T4_T5_T6_T7_T9_mT8_P12ihipStream_tbDpT10_ENKUlT_T0_E_clISt17integral_constantIbLb1EES1E_IbLb0EEEEDaS1A_S1B_EUlS1A_E_NS1_11comp_targetILNS1_3genE4ELNS1_11target_archE910ELNS1_3gpuE8ELNS1_3repE0EEENS1_30default_config_static_selectorELNS0_4arch9wavefront6targetE0EEEvT1_.kd
    .uniform_work_group_size: 1
    .uses_dynamic_stack: false
    .vgpr_count:     0
    .vgpr_spill_count: 0
    .wavefront_size: 32
    .workgroup_processor_mode: 1
  - .args:
      - .offset:         0
        .size:           120
        .value_kind:     by_value
    .group_segment_fixed_size: 0
    .kernarg_segment_align: 8
    .kernarg_segment_size: 120
    .language:       OpenCL C
    .language_version:
      - 2
      - 0
    .max_flat_workgroup_size: 128
    .name:           _ZN7rocprim17ROCPRIM_400000_NS6detail17trampoline_kernelINS0_14default_configENS1_25partition_config_selectorILNS1_17partition_subalgoE5ElNS0_10empty_typeEbEEZZNS1_14partition_implILS5_5ELb0ES3_mN6hipcub16HIPCUB_304000_NS21CountingInputIteratorIllEEPS6_NSA_22TransformInputIteratorIbN2at6native12_GLOBAL__N_19NonZeroOpIN3c107complexINSJ_4HalfEEEEEPKSM_lEENS0_5tupleIJPlS6_EEENSR_IJSD_SD_EEES6_PiJS6_EEE10hipError_tPvRmT3_T4_T5_T6_T7_T9_mT8_P12ihipStream_tbDpT10_ENKUlT_T0_E_clISt17integral_constantIbLb1EES1E_IbLb0EEEEDaS1A_S1B_EUlS1A_E_NS1_11comp_targetILNS1_3genE3ELNS1_11target_archE908ELNS1_3gpuE7ELNS1_3repE0EEENS1_30default_config_static_selectorELNS0_4arch9wavefront6targetE0EEEvT1_
    .private_segment_fixed_size: 0
    .sgpr_count:     0
    .sgpr_spill_count: 0
    .symbol:         _ZN7rocprim17ROCPRIM_400000_NS6detail17trampoline_kernelINS0_14default_configENS1_25partition_config_selectorILNS1_17partition_subalgoE5ElNS0_10empty_typeEbEEZZNS1_14partition_implILS5_5ELb0ES3_mN6hipcub16HIPCUB_304000_NS21CountingInputIteratorIllEEPS6_NSA_22TransformInputIteratorIbN2at6native12_GLOBAL__N_19NonZeroOpIN3c107complexINSJ_4HalfEEEEEPKSM_lEENS0_5tupleIJPlS6_EEENSR_IJSD_SD_EEES6_PiJS6_EEE10hipError_tPvRmT3_T4_T5_T6_T7_T9_mT8_P12ihipStream_tbDpT10_ENKUlT_T0_E_clISt17integral_constantIbLb1EES1E_IbLb0EEEEDaS1A_S1B_EUlS1A_E_NS1_11comp_targetILNS1_3genE3ELNS1_11target_archE908ELNS1_3gpuE7ELNS1_3repE0EEENS1_30default_config_static_selectorELNS0_4arch9wavefront6targetE0EEEvT1_.kd
    .uniform_work_group_size: 1
    .uses_dynamic_stack: false
    .vgpr_count:     0
    .vgpr_spill_count: 0
    .wavefront_size: 32
    .workgroup_processor_mode: 1
  - .args:
      - .offset:         0
        .size:           120
        .value_kind:     by_value
    .group_segment_fixed_size: 0
    .kernarg_segment_align: 8
    .kernarg_segment_size: 120
    .language:       OpenCL C
    .language_version:
      - 2
      - 0
    .max_flat_workgroup_size: 256
    .name:           _ZN7rocprim17ROCPRIM_400000_NS6detail17trampoline_kernelINS0_14default_configENS1_25partition_config_selectorILNS1_17partition_subalgoE5ElNS0_10empty_typeEbEEZZNS1_14partition_implILS5_5ELb0ES3_mN6hipcub16HIPCUB_304000_NS21CountingInputIteratorIllEEPS6_NSA_22TransformInputIteratorIbN2at6native12_GLOBAL__N_19NonZeroOpIN3c107complexINSJ_4HalfEEEEEPKSM_lEENS0_5tupleIJPlS6_EEENSR_IJSD_SD_EEES6_PiJS6_EEE10hipError_tPvRmT3_T4_T5_T6_T7_T9_mT8_P12ihipStream_tbDpT10_ENKUlT_T0_E_clISt17integral_constantIbLb1EES1E_IbLb0EEEEDaS1A_S1B_EUlS1A_E_NS1_11comp_targetILNS1_3genE2ELNS1_11target_archE906ELNS1_3gpuE6ELNS1_3repE0EEENS1_30default_config_static_selectorELNS0_4arch9wavefront6targetE0EEEvT1_
    .private_segment_fixed_size: 0
    .sgpr_count:     0
    .sgpr_spill_count: 0
    .symbol:         _ZN7rocprim17ROCPRIM_400000_NS6detail17trampoline_kernelINS0_14default_configENS1_25partition_config_selectorILNS1_17partition_subalgoE5ElNS0_10empty_typeEbEEZZNS1_14partition_implILS5_5ELb0ES3_mN6hipcub16HIPCUB_304000_NS21CountingInputIteratorIllEEPS6_NSA_22TransformInputIteratorIbN2at6native12_GLOBAL__N_19NonZeroOpIN3c107complexINSJ_4HalfEEEEEPKSM_lEENS0_5tupleIJPlS6_EEENSR_IJSD_SD_EEES6_PiJS6_EEE10hipError_tPvRmT3_T4_T5_T6_T7_T9_mT8_P12ihipStream_tbDpT10_ENKUlT_T0_E_clISt17integral_constantIbLb1EES1E_IbLb0EEEEDaS1A_S1B_EUlS1A_E_NS1_11comp_targetILNS1_3genE2ELNS1_11target_archE906ELNS1_3gpuE6ELNS1_3repE0EEENS1_30default_config_static_selectorELNS0_4arch9wavefront6targetE0EEEvT1_.kd
    .uniform_work_group_size: 1
    .uses_dynamic_stack: false
    .vgpr_count:     0
    .vgpr_spill_count: 0
    .wavefront_size: 32
    .workgroup_processor_mode: 1
  - .args:
      - .offset:         0
        .size:           120
        .value_kind:     by_value
    .group_segment_fixed_size: 0
    .kernarg_segment_align: 8
    .kernarg_segment_size: 120
    .language:       OpenCL C
    .language_version:
      - 2
      - 0
    .max_flat_workgroup_size: 256
    .name:           _ZN7rocprim17ROCPRIM_400000_NS6detail17trampoline_kernelINS0_14default_configENS1_25partition_config_selectorILNS1_17partition_subalgoE5ElNS0_10empty_typeEbEEZZNS1_14partition_implILS5_5ELb0ES3_mN6hipcub16HIPCUB_304000_NS21CountingInputIteratorIllEEPS6_NSA_22TransformInputIteratorIbN2at6native12_GLOBAL__N_19NonZeroOpIN3c107complexINSJ_4HalfEEEEEPKSM_lEENS0_5tupleIJPlS6_EEENSR_IJSD_SD_EEES6_PiJS6_EEE10hipError_tPvRmT3_T4_T5_T6_T7_T9_mT8_P12ihipStream_tbDpT10_ENKUlT_T0_E_clISt17integral_constantIbLb1EES1E_IbLb0EEEEDaS1A_S1B_EUlS1A_E_NS1_11comp_targetILNS1_3genE10ELNS1_11target_archE1200ELNS1_3gpuE4ELNS1_3repE0EEENS1_30default_config_static_selectorELNS0_4arch9wavefront6targetE0EEEvT1_
    .private_segment_fixed_size: 0
    .sgpr_count:     0
    .sgpr_spill_count: 0
    .symbol:         _ZN7rocprim17ROCPRIM_400000_NS6detail17trampoline_kernelINS0_14default_configENS1_25partition_config_selectorILNS1_17partition_subalgoE5ElNS0_10empty_typeEbEEZZNS1_14partition_implILS5_5ELb0ES3_mN6hipcub16HIPCUB_304000_NS21CountingInputIteratorIllEEPS6_NSA_22TransformInputIteratorIbN2at6native12_GLOBAL__N_19NonZeroOpIN3c107complexINSJ_4HalfEEEEEPKSM_lEENS0_5tupleIJPlS6_EEENSR_IJSD_SD_EEES6_PiJS6_EEE10hipError_tPvRmT3_T4_T5_T6_T7_T9_mT8_P12ihipStream_tbDpT10_ENKUlT_T0_E_clISt17integral_constantIbLb1EES1E_IbLb0EEEEDaS1A_S1B_EUlS1A_E_NS1_11comp_targetILNS1_3genE10ELNS1_11target_archE1200ELNS1_3gpuE4ELNS1_3repE0EEENS1_30default_config_static_selectorELNS0_4arch9wavefront6targetE0EEEvT1_.kd
    .uniform_work_group_size: 1
    .uses_dynamic_stack: false
    .vgpr_count:     0
    .vgpr_spill_count: 0
    .wavefront_size: 32
    .workgroup_processor_mode: 1
  - .args:
      - .offset:         0
        .size:           120
        .value_kind:     by_value
    .group_segment_fixed_size: 0
    .kernarg_segment_align: 8
    .kernarg_segment_size: 120
    .language:       OpenCL C
    .language_version:
      - 2
      - 0
    .max_flat_workgroup_size: 128
    .name:           _ZN7rocprim17ROCPRIM_400000_NS6detail17trampoline_kernelINS0_14default_configENS1_25partition_config_selectorILNS1_17partition_subalgoE5ElNS0_10empty_typeEbEEZZNS1_14partition_implILS5_5ELb0ES3_mN6hipcub16HIPCUB_304000_NS21CountingInputIteratorIllEEPS6_NSA_22TransformInputIteratorIbN2at6native12_GLOBAL__N_19NonZeroOpIN3c107complexINSJ_4HalfEEEEEPKSM_lEENS0_5tupleIJPlS6_EEENSR_IJSD_SD_EEES6_PiJS6_EEE10hipError_tPvRmT3_T4_T5_T6_T7_T9_mT8_P12ihipStream_tbDpT10_ENKUlT_T0_E_clISt17integral_constantIbLb1EES1E_IbLb0EEEEDaS1A_S1B_EUlS1A_E_NS1_11comp_targetILNS1_3genE9ELNS1_11target_archE1100ELNS1_3gpuE3ELNS1_3repE0EEENS1_30default_config_static_selectorELNS0_4arch9wavefront6targetE0EEEvT1_
    .private_segment_fixed_size: 0
    .sgpr_count:     0
    .sgpr_spill_count: 0
    .symbol:         _ZN7rocprim17ROCPRIM_400000_NS6detail17trampoline_kernelINS0_14default_configENS1_25partition_config_selectorILNS1_17partition_subalgoE5ElNS0_10empty_typeEbEEZZNS1_14partition_implILS5_5ELb0ES3_mN6hipcub16HIPCUB_304000_NS21CountingInputIteratorIllEEPS6_NSA_22TransformInputIteratorIbN2at6native12_GLOBAL__N_19NonZeroOpIN3c107complexINSJ_4HalfEEEEEPKSM_lEENS0_5tupleIJPlS6_EEENSR_IJSD_SD_EEES6_PiJS6_EEE10hipError_tPvRmT3_T4_T5_T6_T7_T9_mT8_P12ihipStream_tbDpT10_ENKUlT_T0_E_clISt17integral_constantIbLb1EES1E_IbLb0EEEEDaS1A_S1B_EUlS1A_E_NS1_11comp_targetILNS1_3genE9ELNS1_11target_archE1100ELNS1_3gpuE3ELNS1_3repE0EEENS1_30default_config_static_selectorELNS0_4arch9wavefront6targetE0EEEvT1_.kd
    .uniform_work_group_size: 1
    .uses_dynamic_stack: false
    .vgpr_count:     0
    .vgpr_spill_count: 0
    .wavefront_size: 32
    .workgroup_processor_mode: 1
  - .args:
      - .offset:         0
        .size:           120
        .value_kind:     by_value
    .group_segment_fixed_size: 0
    .kernarg_segment_align: 8
    .kernarg_segment_size: 120
    .language:       OpenCL C
    .language_version:
      - 2
      - 0
    .max_flat_workgroup_size: 512
    .name:           _ZN7rocprim17ROCPRIM_400000_NS6detail17trampoline_kernelINS0_14default_configENS1_25partition_config_selectorILNS1_17partition_subalgoE5ElNS0_10empty_typeEbEEZZNS1_14partition_implILS5_5ELb0ES3_mN6hipcub16HIPCUB_304000_NS21CountingInputIteratorIllEEPS6_NSA_22TransformInputIteratorIbN2at6native12_GLOBAL__N_19NonZeroOpIN3c107complexINSJ_4HalfEEEEEPKSM_lEENS0_5tupleIJPlS6_EEENSR_IJSD_SD_EEES6_PiJS6_EEE10hipError_tPvRmT3_T4_T5_T6_T7_T9_mT8_P12ihipStream_tbDpT10_ENKUlT_T0_E_clISt17integral_constantIbLb1EES1E_IbLb0EEEEDaS1A_S1B_EUlS1A_E_NS1_11comp_targetILNS1_3genE8ELNS1_11target_archE1030ELNS1_3gpuE2ELNS1_3repE0EEENS1_30default_config_static_selectorELNS0_4arch9wavefront6targetE0EEEvT1_
    .private_segment_fixed_size: 0
    .sgpr_count:     0
    .sgpr_spill_count: 0
    .symbol:         _ZN7rocprim17ROCPRIM_400000_NS6detail17trampoline_kernelINS0_14default_configENS1_25partition_config_selectorILNS1_17partition_subalgoE5ElNS0_10empty_typeEbEEZZNS1_14partition_implILS5_5ELb0ES3_mN6hipcub16HIPCUB_304000_NS21CountingInputIteratorIllEEPS6_NSA_22TransformInputIteratorIbN2at6native12_GLOBAL__N_19NonZeroOpIN3c107complexINSJ_4HalfEEEEEPKSM_lEENS0_5tupleIJPlS6_EEENSR_IJSD_SD_EEES6_PiJS6_EEE10hipError_tPvRmT3_T4_T5_T6_T7_T9_mT8_P12ihipStream_tbDpT10_ENKUlT_T0_E_clISt17integral_constantIbLb1EES1E_IbLb0EEEEDaS1A_S1B_EUlS1A_E_NS1_11comp_targetILNS1_3genE8ELNS1_11target_archE1030ELNS1_3gpuE2ELNS1_3repE0EEENS1_30default_config_static_selectorELNS0_4arch9wavefront6targetE0EEEvT1_.kd
    .uniform_work_group_size: 1
    .uses_dynamic_stack: false
    .vgpr_count:     0
    .vgpr_spill_count: 0
    .wavefront_size: 32
    .workgroup_processor_mode: 1
  - .args:
      - .offset:         0
        .size:           136
        .value_kind:     by_value
    .group_segment_fixed_size: 0
    .kernarg_segment_align: 8
    .kernarg_segment_size: 136
    .language:       OpenCL C
    .language_version:
      - 2
      - 0
    .max_flat_workgroup_size: 128
    .name:           _ZN7rocprim17ROCPRIM_400000_NS6detail17trampoline_kernelINS0_14default_configENS1_25partition_config_selectorILNS1_17partition_subalgoE5ElNS0_10empty_typeEbEEZZNS1_14partition_implILS5_5ELb0ES3_mN6hipcub16HIPCUB_304000_NS21CountingInputIteratorIllEEPS6_NSA_22TransformInputIteratorIbN2at6native12_GLOBAL__N_19NonZeroOpIN3c107complexINSJ_4HalfEEEEEPKSM_lEENS0_5tupleIJPlS6_EEENSR_IJSD_SD_EEES6_PiJS6_EEE10hipError_tPvRmT3_T4_T5_T6_T7_T9_mT8_P12ihipStream_tbDpT10_ENKUlT_T0_E_clISt17integral_constantIbLb0EES1E_IbLb1EEEEDaS1A_S1B_EUlS1A_E_NS1_11comp_targetILNS1_3genE0ELNS1_11target_archE4294967295ELNS1_3gpuE0ELNS1_3repE0EEENS1_30default_config_static_selectorELNS0_4arch9wavefront6targetE0EEEvT1_
    .private_segment_fixed_size: 0
    .sgpr_count:     0
    .sgpr_spill_count: 0
    .symbol:         _ZN7rocprim17ROCPRIM_400000_NS6detail17trampoline_kernelINS0_14default_configENS1_25partition_config_selectorILNS1_17partition_subalgoE5ElNS0_10empty_typeEbEEZZNS1_14partition_implILS5_5ELb0ES3_mN6hipcub16HIPCUB_304000_NS21CountingInputIteratorIllEEPS6_NSA_22TransformInputIteratorIbN2at6native12_GLOBAL__N_19NonZeroOpIN3c107complexINSJ_4HalfEEEEEPKSM_lEENS0_5tupleIJPlS6_EEENSR_IJSD_SD_EEES6_PiJS6_EEE10hipError_tPvRmT3_T4_T5_T6_T7_T9_mT8_P12ihipStream_tbDpT10_ENKUlT_T0_E_clISt17integral_constantIbLb0EES1E_IbLb1EEEEDaS1A_S1B_EUlS1A_E_NS1_11comp_targetILNS1_3genE0ELNS1_11target_archE4294967295ELNS1_3gpuE0ELNS1_3repE0EEENS1_30default_config_static_selectorELNS0_4arch9wavefront6targetE0EEEvT1_.kd
    .uniform_work_group_size: 1
    .uses_dynamic_stack: false
    .vgpr_count:     0
    .vgpr_spill_count: 0
    .wavefront_size: 32
    .workgroup_processor_mode: 1
  - .args:
      - .offset:         0
        .size:           136
        .value_kind:     by_value
    .group_segment_fixed_size: 0
    .kernarg_segment_align: 8
    .kernarg_segment_size: 136
    .language:       OpenCL C
    .language_version:
      - 2
      - 0
    .max_flat_workgroup_size: 512
    .name:           _ZN7rocprim17ROCPRIM_400000_NS6detail17trampoline_kernelINS0_14default_configENS1_25partition_config_selectorILNS1_17partition_subalgoE5ElNS0_10empty_typeEbEEZZNS1_14partition_implILS5_5ELb0ES3_mN6hipcub16HIPCUB_304000_NS21CountingInputIteratorIllEEPS6_NSA_22TransformInputIteratorIbN2at6native12_GLOBAL__N_19NonZeroOpIN3c107complexINSJ_4HalfEEEEEPKSM_lEENS0_5tupleIJPlS6_EEENSR_IJSD_SD_EEES6_PiJS6_EEE10hipError_tPvRmT3_T4_T5_T6_T7_T9_mT8_P12ihipStream_tbDpT10_ENKUlT_T0_E_clISt17integral_constantIbLb0EES1E_IbLb1EEEEDaS1A_S1B_EUlS1A_E_NS1_11comp_targetILNS1_3genE5ELNS1_11target_archE942ELNS1_3gpuE9ELNS1_3repE0EEENS1_30default_config_static_selectorELNS0_4arch9wavefront6targetE0EEEvT1_
    .private_segment_fixed_size: 0
    .sgpr_count:     0
    .sgpr_spill_count: 0
    .symbol:         _ZN7rocprim17ROCPRIM_400000_NS6detail17trampoline_kernelINS0_14default_configENS1_25partition_config_selectorILNS1_17partition_subalgoE5ElNS0_10empty_typeEbEEZZNS1_14partition_implILS5_5ELb0ES3_mN6hipcub16HIPCUB_304000_NS21CountingInputIteratorIllEEPS6_NSA_22TransformInputIteratorIbN2at6native12_GLOBAL__N_19NonZeroOpIN3c107complexINSJ_4HalfEEEEEPKSM_lEENS0_5tupleIJPlS6_EEENSR_IJSD_SD_EEES6_PiJS6_EEE10hipError_tPvRmT3_T4_T5_T6_T7_T9_mT8_P12ihipStream_tbDpT10_ENKUlT_T0_E_clISt17integral_constantIbLb0EES1E_IbLb1EEEEDaS1A_S1B_EUlS1A_E_NS1_11comp_targetILNS1_3genE5ELNS1_11target_archE942ELNS1_3gpuE9ELNS1_3repE0EEENS1_30default_config_static_selectorELNS0_4arch9wavefront6targetE0EEEvT1_.kd
    .uniform_work_group_size: 1
    .uses_dynamic_stack: false
    .vgpr_count:     0
    .vgpr_spill_count: 0
    .wavefront_size: 32
    .workgroup_processor_mode: 1
  - .args:
      - .offset:         0
        .size:           136
        .value_kind:     by_value
    .group_segment_fixed_size: 0
    .kernarg_segment_align: 8
    .kernarg_segment_size: 136
    .language:       OpenCL C
    .language_version:
      - 2
      - 0
    .max_flat_workgroup_size: 192
    .name:           _ZN7rocprim17ROCPRIM_400000_NS6detail17trampoline_kernelINS0_14default_configENS1_25partition_config_selectorILNS1_17partition_subalgoE5ElNS0_10empty_typeEbEEZZNS1_14partition_implILS5_5ELb0ES3_mN6hipcub16HIPCUB_304000_NS21CountingInputIteratorIllEEPS6_NSA_22TransformInputIteratorIbN2at6native12_GLOBAL__N_19NonZeroOpIN3c107complexINSJ_4HalfEEEEEPKSM_lEENS0_5tupleIJPlS6_EEENSR_IJSD_SD_EEES6_PiJS6_EEE10hipError_tPvRmT3_T4_T5_T6_T7_T9_mT8_P12ihipStream_tbDpT10_ENKUlT_T0_E_clISt17integral_constantIbLb0EES1E_IbLb1EEEEDaS1A_S1B_EUlS1A_E_NS1_11comp_targetILNS1_3genE4ELNS1_11target_archE910ELNS1_3gpuE8ELNS1_3repE0EEENS1_30default_config_static_selectorELNS0_4arch9wavefront6targetE0EEEvT1_
    .private_segment_fixed_size: 0
    .sgpr_count:     0
    .sgpr_spill_count: 0
    .symbol:         _ZN7rocprim17ROCPRIM_400000_NS6detail17trampoline_kernelINS0_14default_configENS1_25partition_config_selectorILNS1_17partition_subalgoE5ElNS0_10empty_typeEbEEZZNS1_14partition_implILS5_5ELb0ES3_mN6hipcub16HIPCUB_304000_NS21CountingInputIteratorIllEEPS6_NSA_22TransformInputIteratorIbN2at6native12_GLOBAL__N_19NonZeroOpIN3c107complexINSJ_4HalfEEEEEPKSM_lEENS0_5tupleIJPlS6_EEENSR_IJSD_SD_EEES6_PiJS6_EEE10hipError_tPvRmT3_T4_T5_T6_T7_T9_mT8_P12ihipStream_tbDpT10_ENKUlT_T0_E_clISt17integral_constantIbLb0EES1E_IbLb1EEEEDaS1A_S1B_EUlS1A_E_NS1_11comp_targetILNS1_3genE4ELNS1_11target_archE910ELNS1_3gpuE8ELNS1_3repE0EEENS1_30default_config_static_selectorELNS0_4arch9wavefront6targetE0EEEvT1_.kd
    .uniform_work_group_size: 1
    .uses_dynamic_stack: false
    .vgpr_count:     0
    .vgpr_spill_count: 0
    .wavefront_size: 32
    .workgroup_processor_mode: 1
  - .args:
      - .offset:         0
        .size:           136
        .value_kind:     by_value
    .group_segment_fixed_size: 0
    .kernarg_segment_align: 8
    .kernarg_segment_size: 136
    .language:       OpenCL C
    .language_version:
      - 2
      - 0
    .max_flat_workgroup_size: 128
    .name:           _ZN7rocprim17ROCPRIM_400000_NS6detail17trampoline_kernelINS0_14default_configENS1_25partition_config_selectorILNS1_17partition_subalgoE5ElNS0_10empty_typeEbEEZZNS1_14partition_implILS5_5ELb0ES3_mN6hipcub16HIPCUB_304000_NS21CountingInputIteratorIllEEPS6_NSA_22TransformInputIteratorIbN2at6native12_GLOBAL__N_19NonZeroOpIN3c107complexINSJ_4HalfEEEEEPKSM_lEENS0_5tupleIJPlS6_EEENSR_IJSD_SD_EEES6_PiJS6_EEE10hipError_tPvRmT3_T4_T5_T6_T7_T9_mT8_P12ihipStream_tbDpT10_ENKUlT_T0_E_clISt17integral_constantIbLb0EES1E_IbLb1EEEEDaS1A_S1B_EUlS1A_E_NS1_11comp_targetILNS1_3genE3ELNS1_11target_archE908ELNS1_3gpuE7ELNS1_3repE0EEENS1_30default_config_static_selectorELNS0_4arch9wavefront6targetE0EEEvT1_
    .private_segment_fixed_size: 0
    .sgpr_count:     0
    .sgpr_spill_count: 0
    .symbol:         _ZN7rocprim17ROCPRIM_400000_NS6detail17trampoline_kernelINS0_14default_configENS1_25partition_config_selectorILNS1_17partition_subalgoE5ElNS0_10empty_typeEbEEZZNS1_14partition_implILS5_5ELb0ES3_mN6hipcub16HIPCUB_304000_NS21CountingInputIteratorIllEEPS6_NSA_22TransformInputIteratorIbN2at6native12_GLOBAL__N_19NonZeroOpIN3c107complexINSJ_4HalfEEEEEPKSM_lEENS0_5tupleIJPlS6_EEENSR_IJSD_SD_EEES6_PiJS6_EEE10hipError_tPvRmT3_T4_T5_T6_T7_T9_mT8_P12ihipStream_tbDpT10_ENKUlT_T0_E_clISt17integral_constantIbLb0EES1E_IbLb1EEEEDaS1A_S1B_EUlS1A_E_NS1_11comp_targetILNS1_3genE3ELNS1_11target_archE908ELNS1_3gpuE7ELNS1_3repE0EEENS1_30default_config_static_selectorELNS0_4arch9wavefront6targetE0EEEvT1_.kd
    .uniform_work_group_size: 1
    .uses_dynamic_stack: false
    .vgpr_count:     0
    .vgpr_spill_count: 0
    .wavefront_size: 32
    .workgroup_processor_mode: 1
  - .args:
      - .offset:         0
        .size:           136
        .value_kind:     by_value
    .group_segment_fixed_size: 0
    .kernarg_segment_align: 8
    .kernarg_segment_size: 136
    .language:       OpenCL C
    .language_version:
      - 2
      - 0
    .max_flat_workgroup_size: 256
    .name:           _ZN7rocprim17ROCPRIM_400000_NS6detail17trampoline_kernelINS0_14default_configENS1_25partition_config_selectorILNS1_17partition_subalgoE5ElNS0_10empty_typeEbEEZZNS1_14partition_implILS5_5ELb0ES3_mN6hipcub16HIPCUB_304000_NS21CountingInputIteratorIllEEPS6_NSA_22TransformInputIteratorIbN2at6native12_GLOBAL__N_19NonZeroOpIN3c107complexINSJ_4HalfEEEEEPKSM_lEENS0_5tupleIJPlS6_EEENSR_IJSD_SD_EEES6_PiJS6_EEE10hipError_tPvRmT3_T4_T5_T6_T7_T9_mT8_P12ihipStream_tbDpT10_ENKUlT_T0_E_clISt17integral_constantIbLb0EES1E_IbLb1EEEEDaS1A_S1B_EUlS1A_E_NS1_11comp_targetILNS1_3genE2ELNS1_11target_archE906ELNS1_3gpuE6ELNS1_3repE0EEENS1_30default_config_static_selectorELNS0_4arch9wavefront6targetE0EEEvT1_
    .private_segment_fixed_size: 0
    .sgpr_count:     0
    .sgpr_spill_count: 0
    .symbol:         _ZN7rocprim17ROCPRIM_400000_NS6detail17trampoline_kernelINS0_14default_configENS1_25partition_config_selectorILNS1_17partition_subalgoE5ElNS0_10empty_typeEbEEZZNS1_14partition_implILS5_5ELb0ES3_mN6hipcub16HIPCUB_304000_NS21CountingInputIteratorIllEEPS6_NSA_22TransformInputIteratorIbN2at6native12_GLOBAL__N_19NonZeroOpIN3c107complexINSJ_4HalfEEEEEPKSM_lEENS0_5tupleIJPlS6_EEENSR_IJSD_SD_EEES6_PiJS6_EEE10hipError_tPvRmT3_T4_T5_T6_T7_T9_mT8_P12ihipStream_tbDpT10_ENKUlT_T0_E_clISt17integral_constantIbLb0EES1E_IbLb1EEEEDaS1A_S1B_EUlS1A_E_NS1_11comp_targetILNS1_3genE2ELNS1_11target_archE906ELNS1_3gpuE6ELNS1_3repE0EEENS1_30default_config_static_selectorELNS0_4arch9wavefront6targetE0EEEvT1_.kd
    .uniform_work_group_size: 1
    .uses_dynamic_stack: false
    .vgpr_count:     0
    .vgpr_spill_count: 0
    .wavefront_size: 32
    .workgroup_processor_mode: 1
  - .args:
      - .offset:         0
        .size:           136
        .value_kind:     by_value
    .group_segment_fixed_size: 8464
    .kernarg_segment_align: 8
    .kernarg_segment_size: 136
    .language:       OpenCL C
    .language_version:
      - 2
      - 0
    .max_flat_workgroup_size: 256
    .name:           _ZN7rocprim17ROCPRIM_400000_NS6detail17trampoline_kernelINS0_14default_configENS1_25partition_config_selectorILNS1_17partition_subalgoE5ElNS0_10empty_typeEbEEZZNS1_14partition_implILS5_5ELb0ES3_mN6hipcub16HIPCUB_304000_NS21CountingInputIteratorIllEEPS6_NSA_22TransformInputIteratorIbN2at6native12_GLOBAL__N_19NonZeroOpIN3c107complexINSJ_4HalfEEEEEPKSM_lEENS0_5tupleIJPlS6_EEENSR_IJSD_SD_EEES6_PiJS6_EEE10hipError_tPvRmT3_T4_T5_T6_T7_T9_mT8_P12ihipStream_tbDpT10_ENKUlT_T0_E_clISt17integral_constantIbLb0EES1E_IbLb1EEEEDaS1A_S1B_EUlS1A_E_NS1_11comp_targetILNS1_3genE10ELNS1_11target_archE1200ELNS1_3gpuE4ELNS1_3repE0EEENS1_30default_config_static_selectorELNS0_4arch9wavefront6targetE0EEEvT1_
    .private_segment_fixed_size: 0
    .sgpr_count:     26
    .sgpr_spill_count: 0
    .symbol:         _ZN7rocprim17ROCPRIM_400000_NS6detail17trampoline_kernelINS0_14default_configENS1_25partition_config_selectorILNS1_17partition_subalgoE5ElNS0_10empty_typeEbEEZZNS1_14partition_implILS5_5ELb0ES3_mN6hipcub16HIPCUB_304000_NS21CountingInputIteratorIllEEPS6_NSA_22TransformInputIteratorIbN2at6native12_GLOBAL__N_19NonZeroOpIN3c107complexINSJ_4HalfEEEEEPKSM_lEENS0_5tupleIJPlS6_EEENSR_IJSD_SD_EEES6_PiJS6_EEE10hipError_tPvRmT3_T4_T5_T6_T7_T9_mT8_P12ihipStream_tbDpT10_ENKUlT_T0_E_clISt17integral_constantIbLb0EES1E_IbLb1EEEEDaS1A_S1B_EUlS1A_E_NS1_11comp_targetILNS1_3genE10ELNS1_11target_archE1200ELNS1_3gpuE4ELNS1_3repE0EEENS1_30default_config_static_selectorELNS0_4arch9wavefront6targetE0EEEvT1_.kd
    .uniform_work_group_size: 1
    .uses_dynamic_stack: false
    .vgpr_count:     48
    .vgpr_spill_count: 0
    .wavefront_size: 32
    .workgroup_processor_mode: 1
  - .args:
      - .offset:         0
        .size:           136
        .value_kind:     by_value
    .group_segment_fixed_size: 0
    .kernarg_segment_align: 8
    .kernarg_segment_size: 136
    .language:       OpenCL C
    .language_version:
      - 2
      - 0
    .max_flat_workgroup_size: 128
    .name:           _ZN7rocprim17ROCPRIM_400000_NS6detail17trampoline_kernelINS0_14default_configENS1_25partition_config_selectorILNS1_17partition_subalgoE5ElNS0_10empty_typeEbEEZZNS1_14partition_implILS5_5ELb0ES3_mN6hipcub16HIPCUB_304000_NS21CountingInputIteratorIllEEPS6_NSA_22TransformInputIteratorIbN2at6native12_GLOBAL__N_19NonZeroOpIN3c107complexINSJ_4HalfEEEEEPKSM_lEENS0_5tupleIJPlS6_EEENSR_IJSD_SD_EEES6_PiJS6_EEE10hipError_tPvRmT3_T4_T5_T6_T7_T9_mT8_P12ihipStream_tbDpT10_ENKUlT_T0_E_clISt17integral_constantIbLb0EES1E_IbLb1EEEEDaS1A_S1B_EUlS1A_E_NS1_11comp_targetILNS1_3genE9ELNS1_11target_archE1100ELNS1_3gpuE3ELNS1_3repE0EEENS1_30default_config_static_selectorELNS0_4arch9wavefront6targetE0EEEvT1_
    .private_segment_fixed_size: 0
    .sgpr_count:     0
    .sgpr_spill_count: 0
    .symbol:         _ZN7rocprim17ROCPRIM_400000_NS6detail17trampoline_kernelINS0_14default_configENS1_25partition_config_selectorILNS1_17partition_subalgoE5ElNS0_10empty_typeEbEEZZNS1_14partition_implILS5_5ELb0ES3_mN6hipcub16HIPCUB_304000_NS21CountingInputIteratorIllEEPS6_NSA_22TransformInputIteratorIbN2at6native12_GLOBAL__N_19NonZeroOpIN3c107complexINSJ_4HalfEEEEEPKSM_lEENS0_5tupleIJPlS6_EEENSR_IJSD_SD_EEES6_PiJS6_EEE10hipError_tPvRmT3_T4_T5_T6_T7_T9_mT8_P12ihipStream_tbDpT10_ENKUlT_T0_E_clISt17integral_constantIbLb0EES1E_IbLb1EEEEDaS1A_S1B_EUlS1A_E_NS1_11comp_targetILNS1_3genE9ELNS1_11target_archE1100ELNS1_3gpuE3ELNS1_3repE0EEENS1_30default_config_static_selectorELNS0_4arch9wavefront6targetE0EEEvT1_.kd
    .uniform_work_group_size: 1
    .uses_dynamic_stack: false
    .vgpr_count:     0
    .vgpr_spill_count: 0
    .wavefront_size: 32
    .workgroup_processor_mode: 1
  - .args:
      - .offset:         0
        .size:           136
        .value_kind:     by_value
    .group_segment_fixed_size: 0
    .kernarg_segment_align: 8
    .kernarg_segment_size: 136
    .language:       OpenCL C
    .language_version:
      - 2
      - 0
    .max_flat_workgroup_size: 512
    .name:           _ZN7rocprim17ROCPRIM_400000_NS6detail17trampoline_kernelINS0_14default_configENS1_25partition_config_selectorILNS1_17partition_subalgoE5ElNS0_10empty_typeEbEEZZNS1_14partition_implILS5_5ELb0ES3_mN6hipcub16HIPCUB_304000_NS21CountingInputIteratorIllEEPS6_NSA_22TransformInputIteratorIbN2at6native12_GLOBAL__N_19NonZeroOpIN3c107complexINSJ_4HalfEEEEEPKSM_lEENS0_5tupleIJPlS6_EEENSR_IJSD_SD_EEES6_PiJS6_EEE10hipError_tPvRmT3_T4_T5_T6_T7_T9_mT8_P12ihipStream_tbDpT10_ENKUlT_T0_E_clISt17integral_constantIbLb0EES1E_IbLb1EEEEDaS1A_S1B_EUlS1A_E_NS1_11comp_targetILNS1_3genE8ELNS1_11target_archE1030ELNS1_3gpuE2ELNS1_3repE0EEENS1_30default_config_static_selectorELNS0_4arch9wavefront6targetE0EEEvT1_
    .private_segment_fixed_size: 0
    .sgpr_count:     0
    .sgpr_spill_count: 0
    .symbol:         _ZN7rocprim17ROCPRIM_400000_NS6detail17trampoline_kernelINS0_14default_configENS1_25partition_config_selectorILNS1_17partition_subalgoE5ElNS0_10empty_typeEbEEZZNS1_14partition_implILS5_5ELb0ES3_mN6hipcub16HIPCUB_304000_NS21CountingInputIteratorIllEEPS6_NSA_22TransformInputIteratorIbN2at6native12_GLOBAL__N_19NonZeroOpIN3c107complexINSJ_4HalfEEEEEPKSM_lEENS0_5tupleIJPlS6_EEENSR_IJSD_SD_EEES6_PiJS6_EEE10hipError_tPvRmT3_T4_T5_T6_T7_T9_mT8_P12ihipStream_tbDpT10_ENKUlT_T0_E_clISt17integral_constantIbLb0EES1E_IbLb1EEEEDaS1A_S1B_EUlS1A_E_NS1_11comp_targetILNS1_3genE8ELNS1_11target_archE1030ELNS1_3gpuE2ELNS1_3repE0EEENS1_30default_config_static_selectorELNS0_4arch9wavefront6targetE0EEEvT1_.kd
    .uniform_work_group_size: 1
    .uses_dynamic_stack: false
    .vgpr_count:     0
    .vgpr_spill_count: 0
    .wavefront_size: 32
    .workgroup_processor_mode: 1
  - .args:
      - .offset:         0
        .size:           56
        .value_kind:     by_value
    .group_segment_fixed_size: 0
    .kernarg_segment_align: 8
    .kernarg_segment_size: 56
    .language:       OpenCL C
    .language_version:
      - 2
      - 0
    .max_flat_workgroup_size: 256
    .name:           _ZN7rocprim17ROCPRIM_400000_NS6detail17trampoline_kernelINS0_14default_configENS1_22reduce_config_selectorIiEEZNS1_11reduce_implILb1ES3_PiS7_iN6hipcub16HIPCUB_304000_NS6detail34convert_binary_result_type_wrapperINS9_3SumENS9_22TransformInputIteratorIbN2at6native12_GLOBAL__N_19NonZeroOpIbEEPKblEEiEEEE10hipError_tPvRmT1_T2_T3_mT4_P12ihipStream_tbEUlT_E0_NS1_11comp_targetILNS1_3genE0ELNS1_11target_archE4294967295ELNS1_3gpuE0ELNS1_3repE0EEENS1_30default_config_static_selectorELNS0_4arch9wavefront6targetE0EEEvSQ_
    .private_segment_fixed_size: 0
    .sgpr_count:     0
    .sgpr_spill_count: 0
    .symbol:         _ZN7rocprim17ROCPRIM_400000_NS6detail17trampoline_kernelINS0_14default_configENS1_22reduce_config_selectorIiEEZNS1_11reduce_implILb1ES3_PiS7_iN6hipcub16HIPCUB_304000_NS6detail34convert_binary_result_type_wrapperINS9_3SumENS9_22TransformInputIteratorIbN2at6native12_GLOBAL__N_19NonZeroOpIbEEPKblEEiEEEE10hipError_tPvRmT1_T2_T3_mT4_P12ihipStream_tbEUlT_E0_NS1_11comp_targetILNS1_3genE0ELNS1_11target_archE4294967295ELNS1_3gpuE0ELNS1_3repE0EEENS1_30default_config_static_selectorELNS0_4arch9wavefront6targetE0EEEvSQ_.kd
    .uniform_work_group_size: 1
    .uses_dynamic_stack: false
    .vgpr_count:     0
    .vgpr_spill_count: 0
    .wavefront_size: 32
    .workgroup_processor_mode: 1
  - .args:
      - .offset:         0
        .size:           56
        .value_kind:     by_value
    .group_segment_fixed_size: 0
    .kernarg_segment_align: 8
    .kernarg_segment_size: 56
    .language:       OpenCL C
    .language_version:
      - 2
      - 0
    .max_flat_workgroup_size: 256
    .name:           _ZN7rocprim17ROCPRIM_400000_NS6detail17trampoline_kernelINS0_14default_configENS1_22reduce_config_selectorIiEEZNS1_11reduce_implILb1ES3_PiS7_iN6hipcub16HIPCUB_304000_NS6detail34convert_binary_result_type_wrapperINS9_3SumENS9_22TransformInputIteratorIbN2at6native12_GLOBAL__N_19NonZeroOpIbEEPKblEEiEEEE10hipError_tPvRmT1_T2_T3_mT4_P12ihipStream_tbEUlT_E0_NS1_11comp_targetILNS1_3genE5ELNS1_11target_archE942ELNS1_3gpuE9ELNS1_3repE0EEENS1_30default_config_static_selectorELNS0_4arch9wavefront6targetE0EEEvSQ_
    .private_segment_fixed_size: 0
    .sgpr_count:     0
    .sgpr_spill_count: 0
    .symbol:         _ZN7rocprim17ROCPRIM_400000_NS6detail17trampoline_kernelINS0_14default_configENS1_22reduce_config_selectorIiEEZNS1_11reduce_implILb1ES3_PiS7_iN6hipcub16HIPCUB_304000_NS6detail34convert_binary_result_type_wrapperINS9_3SumENS9_22TransformInputIteratorIbN2at6native12_GLOBAL__N_19NonZeroOpIbEEPKblEEiEEEE10hipError_tPvRmT1_T2_T3_mT4_P12ihipStream_tbEUlT_E0_NS1_11comp_targetILNS1_3genE5ELNS1_11target_archE942ELNS1_3gpuE9ELNS1_3repE0EEENS1_30default_config_static_selectorELNS0_4arch9wavefront6targetE0EEEvSQ_.kd
    .uniform_work_group_size: 1
    .uses_dynamic_stack: false
    .vgpr_count:     0
    .vgpr_spill_count: 0
    .wavefront_size: 32
    .workgroup_processor_mode: 1
  - .args:
      - .offset:         0
        .size:           56
        .value_kind:     by_value
    .group_segment_fixed_size: 0
    .kernarg_segment_align: 8
    .kernarg_segment_size: 56
    .language:       OpenCL C
    .language_version:
      - 2
      - 0
    .max_flat_workgroup_size: 128
    .name:           _ZN7rocprim17ROCPRIM_400000_NS6detail17trampoline_kernelINS0_14default_configENS1_22reduce_config_selectorIiEEZNS1_11reduce_implILb1ES3_PiS7_iN6hipcub16HIPCUB_304000_NS6detail34convert_binary_result_type_wrapperINS9_3SumENS9_22TransformInputIteratorIbN2at6native12_GLOBAL__N_19NonZeroOpIbEEPKblEEiEEEE10hipError_tPvRmT1_T2_T3_mT4_P12ihipStream_tbEUlT_E0_NS1_11comp_targetILNS1_3genE4ELNS1_11target_archE910ELNS1_3gpuE8ELNS1_3repE0EEENS1_30default_config_static_selectorELNS0_4arch9wavefront6targetE0EEEvSQ_
    .private_segment_fixed_size: 0
    .sgpr_count:     0
    .sgpr_spill_count: 0
    .symbol:         _ZN7rocprim17ROCPRIM_400000_NS6detail17trampoline_kernelINS0_14default_configENS1_22reduce_config_selectorIiEEZNS1_11reduce_implILb1ES3_PiS7_iN6hipcub16HIPCUB_304000_NS6detail34convert_binary_result_type_wrapperINS9_3SumENS9_22TransformInputIteratorIbN2at6native12_GLOBAL__N_19NonZeroOpIbEEPKblEEiEEEE10hipError_tPvRmT1_T2_T3_mT4_P12ihipStream_tbEUlT_E0_NS1_11comp_targetILNS1_3genE4ELNS1_11target_archE910ELNS1_3gpuE8ELNS1_3repE0EEENS1_30default_config_static_selectorELNS0_4arch9wavefront6targetE0EEEvSQ_.kd
    .uniform_work_group_size: 1
    .uses_dynamic_stack: false
    .vgpr_count:     0
    .vgpr_spill_count: 0
    .wavefront_size: 32
    .workgroup_processor_mode: 1
  - .args:
      - .offset:         0
        .size:           56
        .value_kind:     by_value
    .group_segment_fixed_size: 0
    .kernarg_segment_align: 8
    .kernarg_segment_size: 56
    .language:       OpenCL C
    .language_version:
      - 2
      - 0
    .max_flat_workgroup_size: 256
    .name:           _ZN7rocprim17ROCPRIM_400000_NS6detail17trampoline_kernelINS0_14default_configENS1_22reduce_config_selectorIiEEZNS1_11reduce_implILb1ES3_PiS7_iN6hipcub16HIPCUB_304000_NS6detail34convert_binary_result_type_wrapperINS9_3SumENS9_22TransformInputIteratorIbN2at6native12_GLOBAL__N_19NonZeroOpIbEEPKblEEiEEEE10hipError_tPvRmT1_T2_T3_mT4_P12ihipStream_tbEUlT_E0_NS1_11comp_targetILNS1_3genE3ELNS1_11target_archE908ELNS1_3gpuE7ELNS1_3repE0EEENS1_30default_config_static_selectorELNS0_4arch9wavefront6targetE0EEEvSQ_
    .private_segment_fixed_size: 0
    .sgpr_count:     0
    .sgpr_spill_count: 0
    .symbol:         _ZN7rocprim17ROCPRIM_400000_NS6detail17trampoline_kernelINS0_14default_configENS1_22reduce_config_selectorIiEEZNS1_11reduce_implILb1ES3_PiS7_iN6hipcub16HIPCUB_304000_NS6detail34convert_binary_result_type_wrapperINS9_3SumENS9_22TransformInputIteratorIbN2at6native12_GLOBAL__N_19NonZeroOpIbEEPKblEEiEEEE10hipError_tPvRmT1_T2_T3_mT4_P12ihipStream_tbEUlT_E0_NS1_11comp_targetILNS1_3genE3ELNS1_11target_archE908ELNS1_3gpuE7ELNS1_3repE0EEENS1_30default_config_static_selectorELNS0_4arch9wavefront6targetE0EEEvSQ_.kd
    .uniform_work_group_size: 1
    .uses_dynamic_stack: false
    .vgpr_count:     0
    .vgpr_spill_count: 0
    .wavefront_size: 32
    .workgroup_processor_mode: 1
  - .args:
      - .offset:         0
        .size:           56
        .value_kind:     by_value
    .group_segment_fixed_size: 0
    .kernarg_segment_align: 8
    .kernarg_segment_size: 56
    .language:       OpenCL C
    .language_version:
      - 2
      - 0
    .max_flat_workgroup_size: 256
    .name:           _ZN7rocprim17ROCPRIM_400000_NS6detail17trampoline_kernelINS0_14default_configENS1_22reduce_config_selectorIiEEZNS1_11reduce_implILb1ES3_PiS7_iN6hipcub16HIPCUB_304000_NS6detail34convert_binary_result_type_wrapperINS9_3SumENS9_22TransformInputIteratorIbN2at6native12_GLOBAL__N_19NonZeroOpIbEEPKblEEiEEEE10hipError_tPvRmT1_T2_T3_mT4_P12ihipStream_tbEUlT_E0_NS1_11comp_targetILNS1_3genE2ELNS1_11target_archE906ELNS1_3gpuE6ELNS1_3repE0EEENS1_30default_config_static_selectorELNS0_4arch9wavefront6targetE0EEEvSQ_
    .private_segment_fixed_size: 0
    .sgpr_count:     0
    .sgpr_spill_count: 0
    .symbol:         _ZN7rocprim17ROCPRIM_400000_NS6detail17trampoline_kernelINS0_14default_configENS1_22reduce_config_selectorIiEEZNS1_11reduce_implILb1ES3_PiS7_iN6hipcub16HIPCUB_304000_NS6detail34convert_binary_result_type_wrapperINS9_3SumENS9_22TransformInputIteratorIbN2at6native12_GLOBAL__N_19NonZeroOpIbEEPKblEEiEEEE10hipError_tPvRmT1_T2_T3_mT4_P12ihipStream_tbEUlT_E0_NS1_11comp_targetILNS1_3genE2ELNS1_11target_archE906ELNS1_3gpuE6ELNS1_3repE0EEENS1_30default_config_static_selectorELNS0_4arch9wavefront6targetE0EEEvSQ_.kd
    .uniform_work_group_size: 1
    .uses_dynamic_stack: false
    .vgpr_count:     0
    .vgpr_spill_count: 0
    .wavefront_size: 32
    .workgroup_processor_mode: 1
  - .args:
      - .offset:         0
        .size:           56
        .value_kind:     by_value
    .group_segment_fixed_size: 64
    .kernarg_segment_align: 8
    .kernarg_segment_size: 56
    .language:       OpenCL C
    .language_version:
      - 2
      - 0
    .max_flat_workgroup_size: 256
    .name:           _ZN7rocprim17ROCPRIM_400000_NS6detail17trampoline_kernelINS0_14default_configENS1_22reduce_config_selectorIiEEZNS1_11reduce_implILb1ES3_PiS7_iN6hipcub16HIPCUB_304000_NS6detail34convert_binary_result_type_wrapperINS9_3SumENS9_22TransformInputIteratorIbN2at6native12_GLOBAL__N_19NonZeroOpIbEEPKblEEiEEEE10hipError_tPvRmT1_T2_T3_mT4_P12ihipStream_tbEUlT_E0_NS1_11comp_targetILNS1_3genE10ELNS1_11target_archE1201ELNS1_3gpuE5ELNS1_3repE0EEENS1_30default_config_static_selectorELNS0_4arch9wavefront6targetE0EEEvSQ_
    .private_segment_fixed_size: 0
    .sgpr_count:     32
    .sgpr_spill_count: 0
    .symbol:         _ZN7rocprim17ROCPRIM_400000_NS6detail17trampoline_kernelINS0_14default_configENS1_22reduce_config_selectorIiEEZNS1_11reduce_implILb1ES3_PiS7_iN6hipcub16HIPCUB_304000_NS6detail34convert_binary_result_type_wrapperINS9_3SumENS9_22TransformInputIteratorIbN2at6native12_GLOBAL__N_19NonZeroOpIbEEPKblEEiEEEE10hipError_tPvRmT1_T2_T3_mT4_P12ihipStream_tbEUlT_E0_NS1_11comp_targetILNS1_3genE10ELNS1_11target_archE1201ELNS1_3gpuE5ELNS1_3repE0EEENS1_30default_config_static_selectorELNS0_4arch9wavefront6targetE0EEEvSQ_.kd
    .uniform_work_group_size: 1
    .uses_dynamic_stack: false
    .vgpr_count:     20
    .vgpr_spill_count: 0
    .wavefront_size: 32
    .workgroup_processor_mode: 1
  - .args:
      - .offset:         0
        .size:           56
        .value_kind:     by_value
    .group_segment_fixed_size: 0
    .kernarg_segment_align: 8
    .kernarg_segment_size: 56
    .language:       OpenCL C
    .language_version:
      - 2
      - 0
    .max_flat_workgroup_size: 256
    .name:           _ZN7rocprim17ROCPRIM_400000_NS6detail17trampoline_kernelINS0_14default_configENS1_22reduce_config_selectorIiEEZNS1_11reduce_implILb1ES3_PiS7_iN6hipcub16HIPCUB_304000_NS6detail34convert_binary_result_type_wrapperINS9_3SumENS9_22TransformInputIteratorIbN2at6native12_GLOBAL__N_19NonZeroOpIbEEPKblEEiEEEE10hipError_tPvRmT1_T2_T3_mT4_P12ihipStream_tbEUlT_E0_NS1_11comp_targetILNS1_3genE10ELNS1_11target_archE1200ELNS1_3gpuE4ELNS1_3repE0EEENS1_30default_config_static_selectorELNS0_4arch9wavefront6targetE0EEEvSQ_
    .private_segment_fixed_size: 0
    .sgpr_count:     0
    .sgpr_spill_count: 0
    .symbol:         _ZN7rocprim17ROCPRIM_400000_NS6detail17trampoline_kernelINS0_14default_configENS1_22reduce_config_selectorIiEEZNS1_11reduce_implILb1ES3_PiS7_iN6hipcub16HIPCUB_304000_NS6detail34convert_binary_result_type_wrapperINS9_3SumENS9_22TransformInputIteratorIbN2at6native12_GLOBAL__N_19NonZeroOpIbEEPKblEEiEEEE10hipError_tPvRmT1_T2_T3_mT4_P12ihipStream_tbEUlT_E0_NS1_11comp_targetILNS1_3genE10ELNS1_11target_archE1200ELNS1_3gpuE4ELNS1_3repE0EEENS1_30default_config_static_selectorELNS0_4arch9wavefront6targetE0EEEvSQ_.kd
    .uniform_work_group_size: 1
    .uses_dynamic_stack: false
    .vgpr_count:     0
    .vgpr_spill_count: 0
    .wavefront_size: 32
    .workgroup_processor_mode: 1
  - .args:
      - .offset:         0
        .size:           56
        .value_kind:     by_value
    .group_segment_fixed_size: 0
    .kernarg_segment_align: 8
    .kernarg_segment_size: 56
    .language:       OpenCL C
    .language_version:
      - 2
      - 0
    .max_flat_workgroup_size: 256
    .name:           _ZN7rocprim17ROCPRIM_400000_NS6detail17trampoline_kernelINS0_14default_configENS1_22reduce_config_selectorIiEEZNS1_11reduce_implILb1ES3_PiS7_iN6hipcub16HIPCUB_304000_NS6detail34convert_binary_result_type_wrapperINS9_3SumENS9_22TransformInputIteratorIbN2at6native12_GLOBAL__N_19NonZeroOpIbEEPKblEEiEEEE10hipError_tPvRmT1_T2_T3_mT4_P12ihipStream_tbEUlT_E0_NS1_11comp_targetILNS1_3genE9ELNS1_11target_archE1100ELNS1_3gpuE3ELNS1_3repE0EEENS1_30default_config_static_selectorELNS0_4arch9wavefront6targetE0EEEvSQ_
    .private_segment_fixed_size: 0
    .sgpr_count:     0
    .sgpr_spill_count: 0
    .symbol:         _ZN7rocprim17ROCPRIM_400000_NS6detail17trampoline_kernelINS0_14default_configENS1_22reduce_config_selectorIiEEZNS1_11reduce_implILb1ES3_PiS7_iN6hipcub16HIPCUB_304000_NS6detail34convert_binary_result_type_wrapperINS9_3SumENS9_22TransformInputIteratorIbN2at6native12_GLOBAL__N_19NonZeroOpIbEEPKblEEiEEEE10hipError_tPvRmT1_T2_T3_mT4_P12ihipStream_tbEUlT_E0_NS1_11comp_targetILNS1_3genE9ELNS1_11target_archE1100ELNS1_3gpuE3ELNS1_3repE0EEENS1_30default_config_static_selectorELNS0_4arch9wavefront6targetE0EEEvSQ_.kd
    .uniform_work_group_size: 1
    .uses_dynamic_stack: false
    .vgpr_count:     0
    .vgpr_spill_count: 0
    .wavefront_size: 32
    .workgroup_processor_mode: 1
  - .args:
      - .offset:         0
        .size:           56
        .value_kind:     by_value
    .group_segment_fixed_size: 0
    .kernarg_segment_align: 8
    .kernarg_segment_size: 56
    .language:       OpenCL C
    .language_version:
      - 2
      - 0
    .max_flat_workgroup_size: 256
    .name:           _ZN7rocprim17ROCPRIM_400000_NS6detail17trampoline_kernelINS0_14default_configENS1_22reduce_config_selectorIiEEZNS1_11reduce_implILb1ES3_PiS7_iN6hipcub16HIPCUB_304000_NS6detail34convert_binary_result_type_wrapperINS9_3SumENS9_22TransformInputIteratorIbN2at6native12_GLOBAL__N_19NonZeroOpIbEEPKblEEiEEEE10hipError_tPvRmT1_T2_T3_mT4_P12ihipStream_tbEUlT_E0_NS1_11comp_targetILNS1_3genE8ELNS1_11target_archE1030ELNS1_3gpuE2ELNS1_3repE0EEENS1_30default_config_static_selectorELNS0_4arch9wavefront6targetE0EEEvSQ_
    .private_segment_fixed_size: 0
    .sgpr_count:     0
    .sgpr_spill_count: 0
    .symbol:         _ZN7rocprim17ROCPRIM_400000_NS6detail17trampoline_kernelINS0_14default_configENS1_22reduce_config_selectorIiEEZNS1_11reduce_implILb1ES3_PiS7_iN6hipcub16HIPCUB_304000_NS6detail34convert_binary_result_type_wrapperINS9_3SumENS9_22TransformInputIteratorIbN2at6native12_GLOBAL__N_19NonZeroOpIbEEPKblEEiEEEE10hipError_tPvRmT1_T2_T3_mT4_P12ihipStream_tbEUlT_E0_NS1_11comp_targetILNS1_3genE8ELNS1_11target_archE1030ELNS1_3gpuE2ELNS1_3repE0EEENS1_30default_config_static_selectorELNS0_4arch9wavefront6targetE0EEEvSQ_.kd
    .uniform_work_group_size: 1
    .uses_dynamic_stack: false
    .vgpr_count:     0
    .vgpr_spill_count: 0
    .wavefront_size: 32
    .workgroup_processor_mode: 1
  - .args:
      - .offset:         0
        .size:           40
        .value_kind:     by_value
    .group_segment_fixed_size: 0
    .kernarg_segment_align: 8
    .kernarg_segment_size: 40
    .language:       OpenCL C
    .language_version:
      - 2
      - 0
    .max_flat_workgroup_size: 256
    .name:           _ZN7rocprim17ROCPRIM_400000_NS6detail17trampoline_kernelINS0_14default_configENS1_22reduce_config_selectorIiEEZNS1_11reduce_implILb1ES3_PiS7_iN6hipcub16HIPCUB_304000_NS6detail34convert_binary_result_type_wrapperINS9_3SumENS9_22TransformInputIteratorIbN2at6native12_GLOBAL__N_19NonZeroOpIbEEPKblEEiEEEE10hipError_tPvRmT1_T2_T3_mT4_P12ihipStream_tbEUlT_E1_NS1_11comp_targetILNS1_3genE0ELNS1_11target_archE4294967295ELNS1_3gpuE0ELNS1_3repE0EEENS1_30default_config_static_selectorELNS0_4arch9wavefront6targetE0EEEvSQ_
    .private_segment_fixed_size: 0
    .sgpr_count:     0
    .sgpr_spill_count: 0
    .symbol:         _ZN7rocprim17ROCPRIM_400000_NS6detail17trampoline_kernelINS0_14default_configENS1_22reduce_config_selectorIiEEZNS1_11reduce_implILb1ES3_PiS7_iN6hipcub16HIPCUB_304000_NS6detail34convert_binary_result_type_wrapperINS9_3SumENS9_22TransformInputIteratorIbN2at6native12_GLOBAL__N_19NonZeroOpIbEEPKblEEiEEEE10hipError_tPvRmT1_T2_T3_mT4_P12ihipStream_tbEUlT_E1_NS1_11comp_targetILNS1_3genE0ELNS1_11target_archE4294967295ELNS1_3gpuE0ELNS1_3repE0EEENS1_30default_config_static_selectorELNS0_4arch9wavefront6targetE0EEEvSQ_.kd
    .uniform_work_group_size: 1
    .uses_dynamic_stack: false
    .vgpr_count:     0
    .vgpr_spill_count: 0
    .wavefront_size: 32
    .workgroup_processor_mode: 1
  - .args:
      - .offset:         0
        .size:           40
        .value_kind:     by_value
    .group_segment_fixed_size: 0
    .kernarg_segment_align: 8
    .kernarg_segment_size: 40
    .language:       OpenCL C
    .language_version:
      - 2
      - 0
    .max_flat_workgroup_size: 256
    .name:           _ZN7rocprim17ROCPRIM_400000_NS6detail17trampoline_kernelINS0_14default_configENS1_22reduce_config_selectorIiEEZNS1_11reduce_implILb1ES3_PiS7_iN6hipcub16HIPCUB_304000_NS6detail34convert_binary_result_type_wrapperINS9_3SumENS9_22TransformInputIteratorIbN2at6native12_GLOBAL__N_19NonZeroOpIbEEPKblEEiEEEE10hipError_tPvRmT1_T2_T3_mT4_P12ihipStream_tbEUlT_E1_NS1_11comp_targetILNS1_3genE5ELNS1_11target_archE942ELNS1_3gpuE9ELNS1_3repE0EEENS1_30default_config_static_selectorELNS0_4arch9wavefront6targetE0EEEvSQ_
    .private_segment_fixed_size: 0
    .sgpr_count:     0
    .sgpr_spill_count: 0
    .symbol:         _ZN7rocprim17ROCPRIM_400000_NS6detail17trampoline_kernelINS0_14default_configENS1_22reduce_config_selectorIiEEZNS1_11reduce_implILb1ES3_PiS7_iN6hipcub16HIPCUB_304000_NS6detail34convert_binary_result_type_wrapperINS9_3SumENS9_22TransformInputIteratorIbN2at6native12_GLOBAL__N_19NonZeroOpIbEEPKblEEiEEEE10hipError_tPvRmT1_T2_T3_mT4_P12ihipStream_tbEUlT_E1_NS1_11comp_targetILNS1_3genE5ELNS1_11target_archE942ELNS1_3gpuE9ELNS1_3repE0EEENS1_30default_config_static_selectorELNS0_4arch9wavefront6targetE0EEEvSQ_.kd
    .uniform_work_group_size: 1
    .uses_dynamic_stack: false
    .vgpr_count:     0
    .vgpr_spill_count: 0
    .wavefront_size: 32
    .workgroup_processor_mode: 1
  - .args:
      - .offset:         0
        .size:           40
        .value_kind:     by_value
    .group_segment_fixed_size: 0
    .kernarg_segment_align: 8
    .kernarg_segment_size: 40
    .language:       OpenCL C
    .language_version:
      - 2
      - 0
    .max_flat_workgroup_size: 128
    .name:           _ZN7rocprim17ROCPRIM_400000_NS6detail17trampoline_kernelINS0_14default_configENS1_22reduce_config_selectorIiEEZNS1_11reduce_implILb1ES3_PiS7_iN6hipcub16HIPCUB_304000_NS6detail34convert_binary_result_type_wrapperINS9_3SumENS9_22TransformInputIteratorIbN2at6native12_GLOBAL__N_19NonZeroOpIbEEPKblEEiEEEE10hipError_tPvRmT1_T2_T3_mT4_P12ihipStream_tbEUlT_E1_NS1_11comp_targetILNS1_3genE4ELNS1_11target_archE910ELNS1_3gpuE8ELNS1_3repE0EEENS1_30default_config_static_selectorELNS0_4arch9wavefront6targetE0EEEvSQ_
    .private_segment_fixed_size: 0
    .sgpr_count:     0
    .sgpr_spill_count: 0
    .symbol:         _ZN7rocprim17ROCPRIM_400000_NS6detail17trampoline_kernelINS0_14default_configENS1_22reduce_config_selectorIiEEZNS1_11reduce_implILb1ES3_PiS7_iN6hipcub16HIPCUB_304000_NS6detail34convert_binary_result_type_wrapperINS9_3SumENS9_22TransformInputIteratorIbN2at6native12_GLOBAL__N_19NonZeroOpIbEEPKblEEiEEEE10hipError_tPvRmT1_T2_T3_mT4_P12ihipStream_tbEUlT_E1_NS1_11comp_targetILNS1_3genE4ELNS1_11target_archE910ELNS1_3gpuE8ELNS1_3repE0EEENS1_30default_config_static_selectorELNS0_4arch9wavefront6targetE0EEEvSQ_.kd
    .uniform_work_group_size: 1
    .uses_dynamic_stack: false
    .vgpr_count:     0
    .vgpr_spill_count: 0
    .wavefront_size: 32
    .workgroup_processor_mode: 1
  - .args:
      - .offset:         0
        .size:           40
        .value_kind:     by_value
    .group_segment_fixed_size: 0
    .kernarg_segment_align: 8
    .kernarg_segment_size: 40
    .language:       OpenCL C
    .language_version:
      - 2
      - 0
    .max_flat_workgroup_size: 256
    .name:           _ZN7rocprim17ROCPRIM_400000_NS6detail17trampoline_kernelINS0_14default_configENS1_22reduce_config_selectorIiEEZNS1_11reduce_implILb1ES3_PiS7_iN6hipcub16HIPCUB_304000_NS6detail34convert_binary_result_type_wrapperINS9_3SumENS9_22TransformInputIteratorIbN2at6native12_GLOBAL__N_19NonZeroOpIbEEPKblEEiEEEE10hipError_tPvRmT1_T2_T3_mT4_P12ihipStream_tbEUlT_E1_NS1_11comp_targetILNS1_3genE3ELNS1_11target_archE908ELNS1_3gpuE7ELNS1_3repE0EEENS1_30default_config_static_selectorELNS0_4arch9wavefront6targetE0EEEvSQ_
    .private_segment_fixed_size: 0
    .sgpr_count:     0
    .sgpr_spill_count: 0
    .symbol:         _ZN7rocprim17ROCPRIM_400000_NS6detail17trampoline_kernelINS0_14default_configENS1_22reduce_config_selectorIiEEZNS1_11reduce_implILb1ES3_PiS7_iN6hipcub16HIPCUB_304000_NS6detail34convert_binary_result_type_wrapperINS9_3SumENS9_22TransformInputIteratorIbN2at6native12_GLOBAL__N_19NonZeroOpIbEEPKblEEiEEEE10hipError_tPvRmT1_T2_T3_mT4_P12ihipStream_tbEUlT_E1_NS1_11comp_targetILNS1_3genE3ELNS1_11target_archE908ELNS1_3gpuE7ELNS1_3repE0EEENS1_30default_config_static_selectorELNS0_4arch9wavefront6targetE0EEEvSQ_.kd
    .uniform_work_group_size: 1
    .uses_dynamic_stack: false
    .vgpr_count:     0
    .vgpr_spill_count: 0
    .wavefront_size: 32
    .workgroup_processor_mode: 1
  - .args:
      - .offset:         0
        .size:           40
        .value_kind:     by_value
    .group_segment_fixed_size: 0
    .kernarg_segment_align: 8
    .kernarg_segment_size: 40
    .language:       OpenCL C
    .language_version:
      - 2
      - 0
    .max_flat_workgroup_size: 256
    .name:           _ZN7rocprim17ROCPRIM_400000_NS6detail17trampoline_kernelINS0_14default_configENS1_22reduce_config_selectorIiEEZNS1_11reduce_implILb1ES3_PiS7_iN6hipcub16HIPCUB_304000_NS6detail34convert_binary_result_type_wrapperINS9_3SumENS9_22TransformInputIteratorIbN2at6native12_GLOBAL__N_19NonZeroOpIbEEPKblEEiEEEE10hipError_tPvRmT1_T2_T3_mT4_P12ihipStream_tbEUlT_E1_NS1_11comp_targetILNS1_3genE2ELNS1_11target_archE906ELNS1_3gpuE6ELNS1_3repE0EEENS1_30default_config_static_selectorELNS0_4arch9wavefront6targetE0EEEvSQ_
    .private_segment_fixed_size: 0
    .sgpr_count:     0
    .sgpr_spill_count: 0
    .symbol:         _ZN7rocprim17ROCPRIM_400000_NS6detail17trampoline_kernelINS0_14default_configENS1_22reduce_config_selectorIiEEZNS1_11reduce_implILb1ES3_PiS7_iN6hipcub16HIPCUB_304000_NS6detail34convert_binary_result_type_wrapperINS9_3SumENS9_22TransformInputIteratorIbN2at6native12_GLOBAL__N_19NonZeroOpIbEEPKblEEiEEEE10hipError_tPvRmT1_T2_T3_mT4_P12ihipStream_tbEUlT_E1_NS1_11comp_targetILNS1_3genE2ELNS1_11target_archE906ELNS1_3gpuE6ELNS1_3repE0EEENS1_30default_config_static_selectorELNS0_4arch9wavefront6targetE0EEEvSQ_.kd
    .uniform_work_group_size: 1
    .uses_dynamic_stack: false
    .vgpr_count:     0
    .vgpr_spill_count: 0
    .wavefront_size: 32
    .workgroup_processor_mode: 1
  - .args:
      - .offset:         0
        .size:           40
        .value_kind:     by_value
    .group_segment_fixed_size: 224
    .kernarg_segment_align: 8
    .kernarg_segment_size: 40
    .language:       OpenCL C
    .language_version:
      - 2
      - 0
    .max_flat_workgroup_size: 256
    .name:           _ZN7rocprim17ROCPRIM_400000_NS6detail17trampoline_kernelINS0_14default_configENS1_22reduce_config_selectorIiEEZNS1_11reduce_implILb1ES3_PiS7_iN6hipcub16HIPCUB_304000_NS6detail34convert_binary_result_type_wrapperINS9_3SumENS9_22TransformInputIteratorIbN2at6native12_GLOBAL__N_19NonZeroOpIbEEPKblEEiEEEE10hipError_tPvRmT1_T2_T3_mT4_P12ihipStream_tbEUlT_E1_NS1_11comp_targetILNS1_3genE10ELNS1_11target_archE1201ELNS1_3gpuE5ELNS1_3repE0EEENS1_30default_config_static_selectorELNS0_4arch9wavefront6targetE0EEEvSQ_
    .private_segment_fixed_size: 0
    .sgpr_count:     47
    .sgpr_spill_count: 0
    .symbol:         _ZN7rocprim17ROCPRIM_400000_NS6detail17trampoline_kernelINS0_14default_configENS1_22reduce_config_selectorIiEEZNS1_11reduce_implILb1ES3_PiS7_iN6hipcub16HIPCUB_304000_NS6detail34convert_binary_result_type_wrapperINS9_3SumENS9_22TransformInputIteratorIbN2at6native12_GLOBAL__N_19NonZeroOpIbEEPKblEEiEEEE10hipError_tPvRmT1_T2_T3_mT4_P12ihipStream_tbEUlT_E1_NS1_11comp_targetILNS1_3genE10ELNS1_11target_archE1201ELNS1_3gpuE5ELNS1_3repE0EEENS1_30default_config_static_selectorELNS0_4arch9wavefront6targetE0EEEvSQ_.kd
    .uniform_work_group_size: 1
    .uses_dynamic_stack: false
    .vgpr_count:     34
    .vgpr_spill_count: 0
    .wavefront_size: 32
    .workgroup_processor_mode: 1
  - .args:
      - .offset:         0
        .size:           40
        .value_kind:     by_value
    .group_segment_fixed_size: 0
    .kernarg_segment_align: 8
    .kernarg_segment_size: 40
    .language:       OpenCL C
    .language_version:
      - 2
      - 0
    .max_flat_workgroup_size: 256
    .name:           _ZN7rocprim17ROCPRIM_400000_NS6detail17trampoline_kernelINS0_14default_configENS1_22reduce_config_selectorIiEEZNS1_11reduce_implILb1ES3_PiS7_iN6hipcub16HIPCUB_304000_NS6detail34convert_binary_result_type_wrapperINS9_3SumENS9_22TransformInputIteratorIbN2at6native12_GLOBAL__N_19NonZeroOpIbEEPKblEEiEEEE10hipError_tPvRmT1_T2_T3_mT4_P12ihipStream_tbEUlT_E1_NS1_11comp_targetILNS1_3genE10ELNS1_11target_archE1200ELNS1_3gpuE4ELNS1_3repE0EEENS1_30default_config_static_selectorELNS0_4arch9wavefront6targetE0EEEvSQ_
    .private_segment_fixed_size: 0
    .sgpr_count:     0
    .sgpr_spill_count: 0
    .symbol:         _ZN7rocprim17ROCPRIM_400000_NS6detail17trampoline_kernelINS0_14default_configENS1_22reduce_config_selectorIiEEZNS1_11reduce_implILb1ES3_PiS7_iN6hipcub16HIPCUB_304000_NS6detail34convert_binary_result_type_wrapperINS9_3SumENS9_22TransformInputIteratorIbN2at6native12_GLOBAL__N_19NonZeroOpIbEEPKblEEiEEEE10hipError_tPvRmT1_T2_T3_mT4_P12ihipStream_tbEUlT_E1_NS1_11comp_targetILNS1_3genE10ELNS1_11target_archE1200ELNS1_3gpuE4ELNS1_3repE0EEENS1_30default_config_static_selectorELNS0_4arch9wavefront6targetE0EEEvSQ_.kd
    .uniform_work_group_size: 1
    .uses_dynamic_stack: false
    .vgpr_count:     0
    .vgpr_spill_count: 0
    .wavefront_size: 32
    .workgroup_processor_mode: 1
  - .args:
      - .offset:         0
        .size:           40
        .value_kind:     by_value
    .group_segment_fixed_size: 0
    .kernarg_segment_align: 8
    .kernarg_segment_size: 40
    .language:       OpenCL C
    .language_version:
      - 2
      - 0
    .max_flat_workgroup_size: 256
    .name:           _ZN7rocprim17ROCPRIM_400000_NS6detail17trampoline_kernelINS0_14default_configENS1_22reduce_config_selectorIiEEZNS1_11reduce_implILb1ES3_PiS7_iN6hipcub16HIPCUB_304000_NS6detail34convert_binary_result_type_wrapperINS9_3SumENS9_22TransformInputIteratorIbN2at6native12_GLOBAL__N_19NonZeroOpIbEEPKblEEiEEEE10hipError_tPvRmT1_T2_T3_mT4_P12ihipStream_tbEUlT_E1_NS1_11comp_targetILNS1_3genE9ELNS1_11target_archE1100ELNS1_3gpuE3ELNS1_3repE0EEENS1_30default_config_static_selectorELNS0_4arch9wavefront6targetE0EEEvSQ_
    .private_segment_fixed_size: 0
    .sgpr_count:     0
    .sgpr_spill_count: 0
    .symbol:         _ZN7rocprim17ROCPRIM_400000_NS6detail17trampoline_kernelINS0_14default_configENS1_22reduce_config_selectorIiEEZNS1_11reduce_implILb1ES3_PiS7_iN6hipcub16HIPCUB_304000_NS6detail34convert_binary_result_type_wrapperINS9_3SumENS9_22TransformInputIteratorIbN2at6native12_GLOBAL__N_19NonZeroOpIbEEPKblEEiEEEE10hipError_tPvRmT1_T2_T3_mT4_P12ihipStream_tbEUlT_E1_NS1_11comp_targetILNS1_3genE9ELNS1_11target_archE1100ELNS1_3gpuE3ELNS1_3repE0EEENS1_30default_config_static_selectorELNS0_4arch9wavefront6targetE0EEEvSQ_.kd
    .uniform_work_group_size: 1
    .uses_dynamic_stack: false
    .vgpr_count:     0
    .vgpr_spill_count: 0
    .wavefront_size: 32
    .workgroup_processor_mode: 1
  - .args:
      - .offset:         0
        .size:           40
        .value_kind:     by_value
    .group_segment_fixed_size: 0
    .kernarg_segment_align: 8
    .kernarg_segment_size: 40
    .language:       OpenCL C
    .language_version:
      - 2
      - 0
    .max_flat_workgroup_size: 256
    .name:           _ZN7rocprim17ROCPRIM_400000_NS6detail17trampoline_kernelINS0_14default_configENS1_22reduce_config_selectorIiEEZNS1_11reduce_implILb1ES3_PiS7_iN6hipcub16HIPCUB_304000_NS6detail34convert_binary_result_type_wrapperINS9_3SumENS9_22TransformInputIteratorIbN2at6native12_GLOBAL__N_19NonZeroOpIbEEPKblEEiEEEE10hipError_tPvRmT1_T2_T3_mT4_P12ihipStream_tbEUlT_E1_NS1_11comp_targetILNS1_3genE8ELNS1_11target_archE1030ELNS1_3gpuE2ELNS1_3repE0EEENS1_30default_config_static_selectorELNS0_4arch9wavefront6targetE0EEEvSQ_
    .private_segment_fixed_size: 0
    .sgpr_count:     0
    .sgpr_spill_count: 0
    .symbol:         _ZN7rocprim17ROCPRIM_400000_NS6detail17trampoline_kernelINS0_14default_configENS1_22reduce_config_selectorIiEEZNS1_11reduce_implILb1ES3_PiS7_iN6hipcub16HIPCUB_304000_NS6detail34convert_binary_result_type_wrapperINS9_3SumENS9_22TransformInputIteratorIbN2at6native12_GLOBAL__N_19NonZeroOpIbEEPKblEEiEEEE10hipError_tPvRmT1_T2_T3_mT4_P12ihipStream_tbEUlT_E1_NS1_11comp_targetILNS1_3genE8ELNS1_11target_archE1030ELNS1_3gpuE2ELNS1_3repE0EEENS1_30default_config_static_selectorELNS0_4arch9wavefront6targetE0EEEvSQ_.kd
    .uniform_work_group_size: 1
    .uses_dynamic_stack: false
    .vgpr_count:     0
    .vgpr_spill_count: 0
    .wavefront_size: 32
    .workgroup_processor_mode: 1
  - .args:
      - .offset:         0
        .size:           64
        .value_kind:     by_value
    .group_segment_fixed_size: 0
    .kernarg_segment_align: 8
    .kernarg_segment_size: 64
    .language:       OpenCL C
    .language_version:
      - 2
      - 0
    .max_flat_workgroup_size: 256
    .name:           _ZN7rocprim17ROCPRIM_400000_NS6detail17trampoline_kernelINS0_14default_configENS1_22reduce_config_selectorIbEEZNS1_11reduce_implILb1ES3_N6hipcub16HIPCUB_304000_NS22TransformInputIteratorIbN2at6native12_GLOBAL__N_19NonZeroOpIbEEPKblEEPiiNS8_6detail34convert_binary_result_type_wrapperINS8_3SumESH_iEEEE10hipError_tPvRmT1_T2_T3_mT4_P12ihipStream_tbEUlT_E0_NS1_11comp_targetILNS1_3genE0ELNS1_11target_archE4294967295ELNS1_3gpuE0ELNS1_3repE0EEENS1_30default_config_static_selectorELNS0_4arch9wavefront6targetE0EEEvSQ_
    .private_segment_fixed_size: 0
    .sgpr_count:     0
    .sgpr_spill_count: 0
    .symbol:         _ZN7rocprim17ROCPRIM_400000_NS6detail17trampoline_kernelINS0_14default_configENS1_22reduce_config_selectorIbEEZNS1_11reduce_implILb1ES3_N6hipcub16HIPCUB_304000_NS22TransformInputIteratorIbN2at6native12_GLOBAL__N_19NonZeroOpIbEEPKblEEPiiNS8_6detail34convert_binary_result_type_wrapperINS8_3SumESH_iEEEE10hipError_tPvRmT1_T2_T3_mT4_P12ihipStream_tbEUlT_E0_NS1_11comp_targetILNS1_3genE0ELNS1_11target_archE4294967295ELNS1_3gpuE0ELNS1_3repE0EEENS1_30default_config_static_selectorELNS0_4arch9wavefront6targetE0EEEvSQ_.kd
    .uniform_work_group_size: 1
    .uses_dynamic_stack: false
    .vgpr_count:     0
    .vgpr_spill_count: 0
    .wavefront_size: 32
    .workgroup_processor_mode: 1
  - .args:
      - .offset:         0
        .size:           64
        .value_kind:     by_value
    .group_segment_fixed_size: 0
    .kernarg_segment_align: 8
    .kernarg_segment_size: 64
    .language:       OpenCL C
    .language_version:
      - 2
      - 0
    .max_flat_workgroup_size: 256
    .name:           _ZN7rocprim17ROCPRIM_400000_NS6detail17trampoline_kernelINS0_14default_configENS1_22reduce_config_selectorIbEEZNS1_11reduce_implILb1ES3_N6hipcub16HIPCUB_304000_NS22TransformInputIteratorIbN2at6native12_GLOBAL__N_19NonZeroOpIbEEPKblEEPiiNS8_6detail34convert_binary_result_type_wrapperINS8_3SumESH_iEEEE10hipError_tPvRmT1_T2_T3_mT4_P12ihipStream_tbEUlT_E0_NS1_11comp_targetILNS1_3genE5ELNS1_11target_archE942ELNS1_3gpuE9ELNS1_3repE0EEENS1_30default_config_static_selectorELNS0_4arch9wavefront6targetE0EEEvSQ_
    .private_segment_fixed_size: 0
    .sgpr_count:     0
    .sgpr_spill_count: 0
    .symbol:         _ZN7rocprim17ROCPRIM_400000_NS6detail17trampoline_kernelINS0_14default_configENS1_22reduce_config_selectorIbEEZNS1_11reduce_implILb1ES3_N6hipcub16HIPCUB_304000_NS22TransformInputIteratorIbN2at6native12_GLOBAL__N_19NonZeroOpIbEEPKblEEPiiNS8_6detail34convert_binary_result_type_wrapperINS8_3SumESH_iEEEE10hipError_tPvRmT1_T2_T3_mT4_P12ihipStream_tbEUlT_E0_NS1_11comp_targetILNS1_3genE5ELNS1_11target_archE942ELNS1_3gpuE9ELNS1_3repE0EEENS1_30default_config_static_selectorELNS0_4arch9wavefront6targetE0EEEvSQ_.kd
    .uniform_work_group_size: 1
    .uses_dynamic_stack: false
    .vgpr_count:     0
    .vgpr_spill_count: 0
    .wavefront_size: 32
    .workgroup_processor_mode: 1
  - .args:
      - .offset:         0
        .size:           64
        .value_kind:     by_value
    .group_segment_fixed_size: 0
    .kernarg_segment_align: 8
    .kernarg_segment_size: 64
    .language:       OpenCL C
    .language_version:
      - 2
      - 0
    .max_flat_workgroup_size: 128
    .name:           _ZN7rocprim17ROCPRIM_400000_NS6detail17trampoline_kernelINS0_14default_configENS1_22reduce_config_selectorIbEEZNS1_11reduce_implILb1ES3_N6hipcub16HIPCUB_304000_NS22TransformInputIteratorIbN2at6native12_GLOBAL__N_19NonZeroOpIbEEPKblEEPiiNS8_6detail34convert_binary_result_type_wrapperINS8_3SumESH_iEEEE10hipError_tPvRmT1_T2_T3_mT4_P12ihipStream_tbEUlT_E0_NS1_11comp_targetILNS1_3genE4ELNS1_11target_archE910ELNS1_3gpuE8ELNS1_3repE0EEENS1_30default_config_static_selectorELNS0_4arch9wavefront6targetE0EEEvSQ_
    .private_segment_fixed_size: 0
    .sgpr_count:     0
    .sgpr_spill_count: 0
    .symbol:         _ZN7rocprim17ROCPRIM_400000_NS6detail17trampoline_kernelINS0_14default_configENS1_22reduce_config_selectorIbEEZNS1_11reduce_implILb1ES3_N6hipcub16HIPCUB_304000_NS22TransformInputIteratorIbN2at6native12_GLOBAL__N_19NonZeroOpIbEEPKblEEPiiNS8_6detail34convert_binary_result_type_wrapperINS8_3SumESH_iEEEE10hipError_tPvRmT1_T2_T3_mT4_P12ihipStream_tbEUlT_E0_NS1_11comp_targetILNS1_3genE4ELNS1_11target_archE910ELNS1_3gpuE8ELNS1_3repE0EEENS1_30default_config_static_selectorELNS0_4arch9wavefront6targetE0EEEvSQ_.kd
    .uniform_work_group_size: 1
    .uses_dynamic_stack: false
    .vgpr_count:     0
    .vgpr_spill_count: 0
    .wavefront_size: 32
    .workgroup_processor_mode: 1
  - .args:
      - .offset:         0
        .size:           64
        .value_kind:     by_value
    .group_segment_fixed_size: 0
    .kernarg_segment_align: 8
    .kernarg_segment_size: 64
    .language:       OpenCL C
    .language_version:
      - 2
      - 0
    .max_flat_workgroup_size: 256
    .name:           _ZN7rocprim17ROCPRIM_400000_NS6detail17trampoline_kernelINS0_14default_configENS1_22reduce_config_selectorIbEEZNS1_11reduce_implILb1ES3_N6hipcub16HIPCUB_304000_NS22TransformInputIteratorIbN2at6native12_GLOBAL__N_19NonZeroOpIbEEPKblEEPiiNS8_6detail34convert_binary_result_type_wrapperINS8_3SumESH_iEEEE10hipError_tPvRmT1_T2_T3_mT4_P12ihipStream_tbEUlT_E0_NS1_11comp_targetILNS1_3genE3ELNS1_11target_archE908ELNS1_3gpuE7ELNS1_3repE0EEENS1_30default_config_static_selectorELNS0_4arch9wavefront6targetE0EEEvSQ_
    .private_segment_fixed_size: 0
    .sgpr_count:     0
    .sgpr_spill_count: 0
    .symbol:         _ZN7rocprim17ROCPRIM_400000_NS6detail17trampoline_kernelINS0_14default_configENS1_22reduce_config_selectorIbEEZNS1_11reduce_implILb1ES3_N6hipcub16HIPCUB_304000_NS22TransformInputIteratorIbN2at6native12_GLOBAL__N_19NonZeroOpIbEEPKblEEPiiNS8_6detail34convert_binary_result_type_wrapperINS8_3SumESH_iEEEE10hipError_tPvRmT1_T2_T3_mT4_P12ihipStream_tbEUlT_E0_NS1_11comp_targetILNS1_3genE3ELNS1_11target_archE908ELNS1_3gpuE7ELNS1_3repE0EEENS1_30default_config_static_selectorELNS0_4arch9wavefront6targetE0EEEvSQ_.kd
    .uniform_work_group_size: 1
    .uses_dynamic_stack: false
    .vgpr_count:     0
    .vgpr_spill_count: 0
    .wavefront_size: 32
    .workgroup_processor_mode: 1
  - .args:
      - .offset:         0
        .size:           64
        .value_kind:     by_value
    .group_segment_fixed_size: 0
    .kernarg_segment_align: 8
    .kernarg_segment_size: 64
    .language:       OpenCL C
    .language_version:
      - 2
      - 0
    .max_flat_workgroup_size: 128
    .name:           _ZN7rocprim17ROCPRIM_400000_NS6detail17trampoline_kernelINS0_14default_configENS1_22reduce_config_selectorIbEEZNS1_11reduce_implILb1ES3_N6hipcub16HIPCUB_304000_NS22TransformInputIteratorIbN2at6native12_GLOBAL__N_19NonZeroOpIbEEPKblEEPiiNS8_6detail34convert_binary_result_type_wrapperINS8_3SumESH_iEEEE10hipError_tPvRmT1_T2_T3_mT4_P12ihipStream_tbEUlT_E0_NS1_11comp_targetILNS1_3genE2ELNS1_11target_archE906ELNS1_3gpuE6ELNS1_3repE0EEENS1_30default_config_static_selectorELNS0_4arch9wavefront6targetE0EEEvSQ_
    .private_segment_fixed_size: 0
    .sgpr_count:     0
    .sgpr_spill_count: 0
    .symbol:         _ZN7rocprim17ROCPRIM_400000_NS6detail17trampoline_kernelINS0_14default_configENS1_22reduce_config_selectorIbEEZNS1_11reduce_implILb1ES3_N6hipcub16HIPCUB_304000_NS22TransformInputIteratorIbN2at6native12_GLOBAL__N_19NonZeroOpIbEEPKblEEPiiNS8_6detail34convert_binary_result_type_wrapperINS8_3SumESH_iEEEE10hipError_tPvRmT1_T2_T3_mT4_P12ihipStream_tbEUlT_E0_NS1_11comp_targetILNS1_3genE2ELNS1_11target_archE906ELNS1_3gpuE6ELNS1_3repE0EEENS1_30default_config_static_selectorELNS0_4arch9wavefront6targetE0EEEvSQ_.kd
    .uniform_work_group_size: 1
    .uses_dynamic_stack: false
    .vgpr_count:     0
    .vgpr_spill_count: 0
    .wavefront_size: 32
    .workgroup_processor_mode: 1
  - .args:
      - .offset:         0
        .size:           64
        .value_kind:     by_value
    .group_segment_fixed_size: 64
    .kernarg_segment_align: 8
    .kernarg_segment_size: 64
    .language:       OpenCL C
    .language_version:
      - 2
      - 0
    .max_flat_workgroup_size: 256
    .name:           _ZN7rocprim17ROCPRIM_400000_NS6detail17trampoline_kernelINS0_14default_configENS1_22reduce_config_selectorIbEEZNS1_11reduce_implILb1ES3_N6hipcub16HIPCUB_304000_NS22TransformInputIteratorIbN2at6native12_GLOBAL__N_19NonZeroOpIbEEPKblEEPiiNS8_6detail34convert_binary_result_type_wrapperINS8_3SumESH_iEEEE10hipError_tPvRmT1_T2_T3_mT4_P12ihipStream_tbEUlT_E0_NS1_11comp_targetILNS1_3genE10ELNS1_11target_archE1201ELNS1_3gpuE5ELNS1_3repE0EEENS1_30default_config_static_selectorELNS0_4arch9wavefront6targetE0EEEvSQ_
    .private_segment_fixed_size: 0
    .sgpr_count:     32
    .sgpr_spill_count: 0
    .symbol:         _ZN7rocprim17ROCPRIM_400000_NS6detail17trampoline_kernelINS0_14default_configENS1_22reduce_config_selectorIbEEZNS1_11reduce_implILb1ES3_N6hipcub16HIPCUB_304000_NS22TransformInputIteratorIbN2at6native12_GLOBAL__N_19NonZeroOpIbEEPKblEEPiiNS8_6detail34convert_binary_result_type_wrapperINS8_3SumESH_iEEEE10hipError_tPvRmT1_T2_T3_mT4_P12ihipStream_tbEUlT_E0_NS1_11comp_targetILNS1_3genE10ELNS1_11target_archE1201ELNS1_3gpuE5ELNS1_3repE0EEENS1_30default_config_static_selectorELNS0_4arch9wavefront6targetE0EEEvSQ_.kd
    .uniform_work_group_size: 1
    .uses_dynamic_stack: false
    .vgpr_count:     19
    .vgpr_spill_count: 0
    .wavefront_size: 32
    .workgroup_processor_mode: 1
  - .args:
      - .offset:         0
        .size:           64
        .value_kind:     by_value
    .group_segment_fixed_size: 0
    .kernarg_segment_align: 8
    .kernarg_segment_size: 64
    .language:       OpenCL C
    .language_version:
      - 2
      - 0
    .max_flat_workgroup_size: 256
    .name:           _ZN7rocprim17ROCPRIM_400000_NS6detail17trampoline_kernelINS0_14default_configENS1_22reduce_config_selectorIbEEZNS1_11reduce_implILb1ES3_N6hipcub16HIPCUB_304000_NS22TransformInputIteratorIbN2at6native12_GLOBAL__N_19NonZeroOpIbEEPKblEEPiiNS8_6detail34convert_binary_result_type_wrapperINS8_3SumESH_iEEEE10hipError_tPvRmT1_T2_T3_mT4_P12ihipStream_tbEUlT_E0_NS1_11comp_targetILNS1_3genE10ELNS1_11target_archE1200ELNS1_3gpuE4ELNS1_3repE0EEENS1_30default_config_static_selectorELNS0_4arch9wavefront6targetE0EEEvSQ_
    .private_segment_fixed_size: 0
    .sgpr_count:     0
    .sgpr_spill_count: 0
    .symbol:         _ZN7rocprim17ROCPRIM_400000_NS6detail17trampoline_kernelINS0_14default_configENS1_22reduce_config_selectorIbEEZNS1_11reduce_implILb1ES3_N6hipcub16HIPCUB_304000_NS22TransformInputIteratorIbN2at6native12_GLOBAL__N_19NonZeroOpIbEEPKblEEPiiNS8_6detail34convert_binary_result_type_wrapperINS8_3SumESH_iEEEE10hipError_tPvRmT1_T2_T3_mT4_P12ihipStream_tbEUlT_E0_NS1_11comp_targetILNS1_3genE10ELNS1_11target_archE1200ELNS1_3gpuE4ELNS1_3repE0EEENS1_30default_config_static_selectorELNS0_4arch9wavefront6targetE0EEEvSQ_.kd
    .uniform_work_group_size: 1
    .uses_dynamic_stack: false
    .vgpr_count:     0
    .vgpr_spill_count: 0
    .wavefront_size: 32
    .workgroup_processor_mode: 1
  - .args:
      - .offset:         0
        .size:           64
        .value_kind:     by_value
    .group_segment_fixed_size: 0
    .kernarg_segment_align: 8
    .kernarg_segment_size: 64
    .language:       OpenCL C
    .language_version:
      - 2
      - 0
    .max_flat_workgroup_size: 128
    .name:           _ZN7rocprim17ROCPRIM_400000_NS6detail17trampoline_kernelINS0_14default_configENS1_22reduce_config_selectorIbEEZNS1_11reduce_implILb1ES3_N6hipcub16HIPCUB_304000_NS22TransformInputIteratorIbN2at6native12_GLOBAL__N_19NonZeroOpIbEEPKblEEPiiNS8_6detail34convert_binary_result_type_wrapperINS8_3SumESH_iEEEE10hipError_tPvRmT1_T2_T3_mT4_P12ihipStream_tbEUlT_E0_NS1_11comp_targetILNS1_3genE9ELNS1_11target_archE1100ELNS1_3gpuE3ELNS1_3repE0EEENS1_30default_config_static_selectorELNS0_4arch9wavefront6targetE0EEEvSQ_
    .private_segment_fixed_size: 0
    .sgpr_count:     0
    .sgpr_spill_count: 0
    .symbol:         _ZN7rocprim17ROCPRIM_400000_NS6detail17trampoline_kernelINS0_14default_configENS1_22reduce_config_selectorIbEEZNS1_11reduce_implILb1ES3_N6hipcub16HIPCUB_304000_NS22TransformInputIteratorIbN2at6native12_GLOBAL__N_19NonZeroOpIbEEPKblEEPiiNS8_6detail34convert_binary_result_type_wrapperINS8_3SumESH_iEEEE10hipError_tPvRmT1_T2_T3_mT4_P12ihipStream_tbEUlT_E0_NS1_11comp_targetILNS1_3genE9ELNS1_11target_archE1100ELNS1_3gpuE3ELNS1_3repE0EEENS1_30default_config_static_selectorELNS0_4arch9wavefront6targetE0EEEvSQ_.kd
    .uniform_work_group_size: 1
    .uses_dynamic_stack: false
    .vgpr_count:     0
    .vgpr_spill_count: 0
    .wavefront_size: 32
    .workgroup_processor_mode: 1
  - .args:
      - .offset:         0
        .size:           64
        .value_kind:     by_value
    .group_segment_fixed_size: 0
    .kernarg_segment_align: 8
    .kernarg_segment_size: 64
    .language:       OpenCL C
    .language_version:
      - 2
      - 0
    .max_flat_workgroup_size: 256
    .name:           _ZN7rocprim17ROCPRIM_400000_NS6detail17trampoline_kernelINS0_14default_configENS1_22reduce_config_selectorIbEEZNS1_11reduce_implILb1ES3_N6hipcub16HIPCUB_304000_NS22TransformInputIteratorIbN2at6native12_GLOBAL__N_19NonZeroOpIbEEPKblEEPiiNS8_6detail34convert_binary_result_type_wrapperINS8_3SumESH_iEEEE10hipError_tPvRmT1_T2_T3_mT4_P12ihipStream_tbEUlT_E0_NS1_11comp_targetILNS1_3genE8ELNS1_11target_archE1030ELNS1_3gpuE2ELNS1_3repE0EEENS1_30default_config_static_selectorELNS0_4arch9wavefront6targetE0EEEvSQ_
    .private_segment_fixed_size: 0
    .sgpr_count:     0
    .sgpr_spill_count: 0
    .symbol:         _ZN7rocprim17ROCPRIM_400000_NS6detail17trampoline_kernelINS0_14default_configENS1_22reduce_config_selectorIbEEZNS1_11reduce_implILb1ES3_N6hipcub16HIPCUB_304000_NS22TransformInputIteratorIbN2at6native12_GLOBAL__N_19NonZeroOpIbEEPKblEEPiiNS8_6detail34convert_binary_result_type_wrapperINS8_3SumESH_iEEEE10hipError_tPvRmT1_T2_T3_mT4_P12ihipStream_tbEUlT_E0_NS1_11comp_targetILNS1_3genE8ELNS1_11target_archE1030ELNS1_3gpuE2ELNS1_3repE0EEENS1_30default_config_static_selectorELNS0_4arch9wavefront6targetE0EEEvSQ_.kd
    .uniform_work_group_size: 1
    .uses_dynamic_stack: false
    .vgpr_count:     0
    .vgpr_spill_count: 0
    .wavefront_size: 32
    .workgroup_processor_mode: 1
  - .args:
      - .offset:         0
        .size:           48
        .value_kind:     by_value
    .group_segment_fixed_size: 0
    .kernarg_segment_align: 8
    .kernarg_segment_size: 48
    .language:       OpenCL C
    .language_version:
      - 2
      - 0
    .max_flat_workgroup_size: 256
    .name:           _ZN7rocprim17ROCPRIM_400000_NS6detail17trampoline_kernelINS0_14default_configENS1_22reduce_config_selectorIbEEZNS1_11reduce_implILb1ES3_N6hipcub16HIPCUB_304000_NS22TransformInputIteratorIbN2at6native12_GLOBAL__N_19NonZeroOpIbEEPKblEEPiiNS8_6detail34convert_binary_result_type_wrapperINS8_3SumESH_iEEEE10hipError_tPvRmT1_T2_T3_mT4_P12ihipStream_tbEUlT_E1_NS1_11comp_targetILNS1_3genE0ELNS1_11target_archE4294967295ELNS1_3gpuE0ELNS1_3repE0EEENS1_30default_config_static_selectorELNS0_4arch9wavefront6targetE0EEEvSQ_
    .private_segment_fixed_size: 0
    .sgpr_count:     0
    .sgpr_spill_count: 0
    .symbol:         _ZN7rocprim17ROCPRIM_400000_NS6detail17trampoline_kernelINS0_14default_configENS1_22reduce_config_selectorIbEEZNS1_11reduce_implILb1ES3_N6hipcub16HIPCUB_304000_NS22TransformInputIteratorIbN2at6native12_GLOBAL__N_19NonZeroOpIbEEPKblEEPiiNS8_6detail34convert_binary_result_type_wrapperINS8_3SumESH_iEEEE10hipError_tPvRmT1_T2_T3_mT4_P12ihipStream_tbEUlT_E1_NS1_11comp_targetILNS1_3genE0ELNS1_11target_archE4294967295ELNS1_3gpuE0ELNS1_3repE0EEENS1_30default_config_static_selectorELNS0_4arch9wavefront6targetE0EEEvSQ_.kd
    .uniform_work_group_size: 1
    .uses_dynamic_stack: false
    .vgpr_count:     0
    .vgpr_spill_count: 0
    .wavefront_size: 32
    .workgroup_processor_mode: 1
  - .args:
      - .offset:         0
        .size:           48
        .value_kind:     by_value
    .group_segment_fixed_size: 0
    .kernarg_segment_align: 8
    .kernarg_segment_size: 48
    .language:       OpenCL C
    .language_version:
      - 2
      - 0
    .max_flat_workgroup_size: 256
    .name:           _ZN7rocprim17ROCPRIM_400000_NS6detail17trampoline_kernelINS0_14default_configENS1_22reduce_config_selectorIbEEZNS1_11reduce_implILb1ES3_N6hipcub16HIPCUB_304000_NS22TransformInputIteratorIbN2at6native12_GLOBAL__N_19NonZeroOpIbEEPKblEEPiiNS8_6detail34convert_binary_result_type_wrapperINS8_3SumESH_iEEEE10hipError_tPvRmT1_T2_T3_mT4_P12ihipStream_tbEUlT_E1_NS1_11comp_targetILNS1_3genE5ELNS1_11target_archE942ELNS1_3gpuE9ELNS1_3repE0EEENS1_30default_config_static_selectorELNS0_4arch9wavefront6targetE0EEEvSQ_
    .private_segment_fixed_size: 0
    .sgpr_count:     0
    .sgpr_spill_count: 0
    .symbol:         _ZN7rocprim17ROCPRIM_400000_NS6detail17trampoline_kernelINS0_14default_configENS1_22reduce_config_selectorIbEEZNS1_11reduce_implILb1ES3_N6hipcub16HIPCUB_304000_NS22TransformInputIteratorIbN2at6native12_GLOBAL__N_19NonZeroOpIbEEPKblEEPiiNS8_6detail34convert_binary_result_type_wrapperINS8_3SumESH_iEEEE10hipError_tPvRmT1_T2_T3_mT4_P12ihipStream_tbEUlT_E1_NS1_11comp_targetILNS1_3genE5ELNS1_11target_archE942ELNS1_3gpuE9ELNS1_3repE0EEENS1_30default_config_static_selectorELNS0_4arch9wavefront6targetE0EEEvSQ_.kd
    .uniform_work_group_size: 1
    .uses_dynamic_stack: false
    .vgpr_count:     0
    .vgpr_spill_count: 0
    .wavefront_size: 32
    .workgroup_processor_mode: 1
  - .args:
      - .offset:         0
        .size:           48
        .value_kind:     by_value
    .group_segment_fixed_size: 0
    .kernarg_segment_align: 8
    .kernarg_segment_size: 48
    .language:       OpenCL C
    .language_version:
      - 2
      - 0
    .max_flat_workgroup_size: 128
    .name:           _ZN7rocprim17ROCPRIM_400000_NS6detail17trampoline_kernelINS0_14default_configENS1_22reduce_config_selectorIbEEZNS1_11reduce_implILb1ES3_N6hipcub16HIPCUB_304000_NS22TransformInputIteratorIbN2at6native12_GLOBAL__N_19NonZeroOpIbEEPKblEEPiiNS8_6detail34convert_binary_result_type_wrapperINS8_3SumESH_iEEEE10hipError_tPvRmT1_T2_T3_mT4_P12ihipStream_tbEUlT_E1_NS1_11comp_targetILNS1_3genE4ELNS1_11target_archE910ELNS1_3gpuE8ELNS1_3repE0EEENS1_30default_config_static_selectorELNS0_4arch9wavefront6targetE0EEEvSQ_
    .private_segment_fixed_size: 0
    .sgpr_count:     0
    .sgpr_spill_count: 0
    .symbol:         _ZN7rocprim17ROCPRIM_400000_NS6detail17trampoline_kernelINS0_14default_configENS1_22reduce_config_selectorIbEEZNS1_11reduce_implILb1ES3_N6hipcub16HIPCUB_304000_NS22TransformInputIteratorIbN2at6native12_GLOBAL__N_19NonZeroOpIbEEPKblEEPiiNS8_6detail34convert_binary_result_type_wrapperINS8_3SumESH_iEEEE10hipError_tPvRmT1_T2_T3_mT4_P12ihipStream_tbEUlT_E1_NS1_11comp_targetILNS1_3genE4ELNS1_11target_archE910ELNS1_3gpuE8ELNS1_3repE0EEENS1_30default_config_static_selectorELNS0_4arch9wavefront6targetE0EEEvSQ_.kd
    .uniform_work_group_size: 1
    .uses_dynamic_stack: false
    .vgpr_count:     0
    .vgpr_spill_count: 0
    .wavefront_size: 32
    .workgroup_processor_mode: 1
  - .args:
      - .offset:         0
        .size:           48
        .value_kind:     by_value
    .group_segment_fixed_size: 0
    .kernarg_segment_align: 8
    .kernarg_segment_size: 48
    .language:       OpenCL C
    .language_version:
      - 2
      - 0
    .max_flat_workgroup_size: 256
    .name:           _ZN7rocprim17ROCPRIM_400000_NS6detail17trampoline_kernelINS0_14default_configENS1_22reduce_config_selectorIbEEZNS1_11reduce_implILb1ES3_N6hipcub16HIPCUB_304000_NS22TransformInputIteratorIbN2at6native12_GLOBAL__N_19NonZeroOpIbEEPKblEEPiiNS8_6detail34convert_binary_result_type_wrapperINS8_3SumESH_iEEEE10hipError_tPvRmT1_T2_T3_mT4_P12ihipStream_tbEUlT_E1_NS1_11comp_targetILNS1_3genE3ELNS1_11target_archE908ELNS1_3gpuE7ELNS1_3repE0EEENS1_30default_config_static_selectorELNS0_4arch9wavefront6targetE0EEEvSQ_
    .private_segment_fixed_size: 0
    .sgpr_count:     0
    .sgpr_spill_count: 0
    .symbol:         _ZN7rocprim17ROCPRIM_400000_NS6detail17trampoline_kernelINS0_14default_configENS1_22reduce_config_selectorIbEEZNS1_11reduce_implILb1ES3_N6hipcub16HIPCUB_304000_NS22TransformInputIteratorIbN2at6native12_GLOBAL__N_19NonZeroOpIbEEPKblEEPiiNS8_6detail34convert_binary_result_type_wrapperINS8_3SumESH_iEEEE10hipError_tPvRmT1_T2_T3_mT4_P12ihipStream_tbEUlT_E1_NS1_11comp_targetILNS1_3genE3ELNS1_11target_archE908ELNS1_3gpuE7ELNS1_3repE0EEENS1_30default_config_static_selectorELNS0_4arch9wavefront6targetE0EEEvSQ_.kd
    .uniform_work_group_size: 1
    .uses_dynamic_stack: false
    .vgpr_count:     0
    .vgpr_spill_count: 0
    .wavefront_size: 32
    .workgroup_processor_mode: 1
  - .args:
      - .offset:         0
        .size:           48
        .value_kind:     by_value
    .group_segment_fixed_size: 0
    .kernarg_segment_align: 8
    .kernarg_segment_size: 48
    .language:       OpenCL C
    .language_version:
      - 2
      - 0
    .max_flat_workgroup_size: 128
    .name:           _ZN7rocprim17ROCPRIM_400000_NS6detail17trampoline_kernelINS0_14default_configENS1_22reduce_config_selectorIbEEZNS1_11reduce_implILb1ES3_N6hipcub16HIPCUB_304000_NS22TransformInputIteratorIbN2at6native12_GLOBAL__N_19NonZeroOpIbEEPKblEEPiiNS8_6detail34convert_binary_result_type_wrapperINS8_3SumESH_iEEEE10hipError_tPvRmT1_T2_T3_mT4_P12ihipStream_tbEUlT_E1_NS1_11comp_targetILNS1_3genE2ELNS1_11target_archE906ELNS1_3gpuE6ELNS1_3repE0EEENS1_30default_config_static_selectorELNS0_4arch9wavefront6targetE0EEEvSQ_
    .private_segment_fixed_size: 0
    .sgpr_count:     0
    .sgpr_spill_count: 0
    .symbol:         _ZN7rocprim17ROCPRIM_400000_NS6detail17trampoline_kernelINS0_14default_configENS1_22reduce_config_selectorIbEEZNS1_11reduce_implILb1ES3_N6hipcub16HIPCUB_304000_NS22TransformInputIteratorIbN2at6native12_GLOBAL__N_19NonZeroOpIbEEPKblEEPiiNS8_6detail34convert_binary_result_type_wrapperINS8_3SumESH_iEEEE10hipError_tPvRmT1_T2_T3_mT4_P12ihipStream_tbEUlT_E1_NS1_11comp_targetILNS1_3genE2ELNS1_11target_archE906ELNS1_3gpuE6ELNS1_3repE0EEENS1_30default_config_static_selectorELNS0_4arch9wavefront6targetE0EEEvSQ_.kd
    .uniform_work_group_size: 1
    .uses_dynamic_stack: false
    .vgpr_count:     0
    .vgpr_spill_count: 0
    .wavefront_size: 32
    .workgroup_processor_mode: 1
  - .args:
      - .offset:         0
        .size:           48
        .value_kind:     by_value
    .group_segment_fixed_size: 288
    .kernarg_segment_align: 8
    .kernarg_segment_size: 48
    .language:       OpenCL C
    .language_version:
      - 2
      - 0
    .max_flat_workgroup_size: 256
    .name:           _ZN7rocprim17ROCPRIM_400000_NS6detail17trampoline_kernelINS0_14default_configENS1_22reduce_config_selectorIbEEZNS1_11reduce_implILb1ES3_N6hipcub16HIPCUB_304000_NS22TransformInputIteratorIbN2at6native12_GLOBAL__N_19NonZeroOpIbEEPKblEEPiiNS8_6detail34convert_binary_result_type_wrapperINS8_3SumESH_iEEEE10hipError_tPvRmT1_T2_T3_mT4_P12ihipStream_tbEUlT_E1_NS1_11comp_targetILNS1_3genE10ELNS1_11target_archE1201ELNS1_3gpuE5ELNS1_3repE0EEENS1_30default_config_static_selectorELNS0_4arch9wavefront6targetE0EEEvSQ_
    .private_segment_fixed_size: 0
    .sgpr_count:     48
    .sgpr_spill_count: 0
    .symbol:         _ZN7rocprim17ROCPRIM_400000_NS6detail17trampoline_kernelINS0_14default_configENS1_22reduce_config_selectorIbEEZNS1_11reduce_implILb1ES3_N6hipcub16HIPCUB_304000_NS22TransformInputIteratorIbN2at6native12_GLOBAL__N_19NonZeroOpIbEEPKblEEPiiNS8_6detail34convert_binary_result_type_wrapperINS8_3SumESH_iEEEE10hipError_tPvRmT1_T2_T3_mT4_P12ihipStream_tbEUlT_E1_NS1_11comp_targetILNS1_3genE10ELNS1_11target_archE1201ELNS1_3gpuE5ELNS1_3repE0EEENS1_30default_config_static_selectorELNS0_4arch9wavefront6targetE0EEEvSQ_.kd
    .uniform_work_group_size: 1
    .uses_dynamic_stack: false
    .vgpr_count:     129
    .vgpr_spill_count: 0
    .wavefront_size: 32
    .workgroup_processor_mode: 1
  - .args:
      - .offset:         0
        .size:           48
        .value_kind:     by_value
    .group_segment_fixed_size: 0
    .kernarg_segment_align: 8
    .kernarg_segment_size: 48
    .language:       OpenCL C
    .language_version:
      - 2
      - 0
    .max_flat_workgroup_size: 256
    .name:           _ZN7rocprim17ROCPRIM_400000_NS6detail17trampoline_kernelINS0_14default_configENS1_22reduce_config_selectorIbEEZNS1_11reduce_implILb1ES3_N6hipcub16HIPCUB_304000_NS22TransformInputIteratorIbN2at6native12_GLOBAL__N_19NonZeroOpIbEEPKblEEPiiNS8_6detail34convert_binary_result_type_wrapperINS8_3SumESH_iEEEE10hipError_tPvRmT1_T2_T3_mT4_P12ihipStream_tbEUlT_E1_NS1_11comp_targetILNS1_3genE10ELNS1_11target_archE1200ELNS1_3gpuE4ELNS1_3repE0EEENS1_30default_config_static_selectorELNS0_4arch9wavefront6targetE0EEEvSQ_
    .private_segment_fixed_size: 0
    .sgpr_count:     0
    .sgpr_spill_count: 0
    .symbol:         _ZN7rocprim17ROCPRIM_400000_NS6detail17trampoline_kernelINS0_14default_configENS1_22reduce_config_selectorIbEEZNS1_11reduce_implILb1ES3_N6hipcub16HIPCUB_304000_NS22TransformInputIteratorIbN2at6native12_GLOBAL__N_19NonZeroOpIbEEPKblEEPiiNS8_6detail34convert_binary_result_type_wrapperINS8_3SumESH_iEEEE10hipError_tPvRmT1_T2_T3_mT4_P12ihipStream_tbEUlT_E1_NS1_11comp_targetILNS1_3genE10ELNS1_11target_archE1200ELNS1_3gpuE4ELNS1_3repE0EEENS1_30default_config_static_selectorELNS0_4arch9wavefront6targetE0EEEvSQ_.kd
    .uniform_work_group_size: 1
    .uses_dynamic_stack: false
    .vgpr_count:     0
    .vgpr_spill_count: 0
    .wavefront_size: 32
    .workgroup_processor_mode: 1
  - .args:
      - .offset:         0
        .size:           48
        .value_kind:     by_value
    .group_segment_fixed_size: 0
    .kernarg_segment_align: 8
    .kernarg_segment_size: 48
    .language:       OpenCL C
    .language_version:
      - 2
      - 0
    .max_flat_workgroup_size: 128
    .name:           _ZN7rocprim17ROCPRIM_400000_NS6detail17trampoline_kernelINS0_14default_configENS1_22reduce_config_selectorIbEEZNS1_11reduce_implILb1ES3_N6hipcub16HIPCUB_304000_NS22TransformInputIteratorIbN2at6native12_GLOBAL__N_19NonZeroOpIbEEPKblEEPiiNS8_6detail34convert_binary_result_type_wrapperINS8_3SumESH_iEEEE10hipError_tPvRmT1_T2_T3_mT4_P12ihipStream_tbEUlT_E1_NS1_11comp_targetILNS1_3genE9ELNS1_11target_archE1100ELNS1_3gpuE3ELNS1_3repE0EEENS1_30default_config_static_selectorELNS0_4arch9wavefront6targetE0EEEvSQ_
    .private_segment_fixed_size: 0
    .sgpr_count:     0
    .sgpr_spill_count: 0
    .symbol:         _ZN7rocprim17ROCPRIM_400000_NS6detail17trampoline_kernelINS0_14default_configENS1_22reduce_config_selectorIbEEZNS1_11reduce_implILb1ES3_N6hipcub16HIPCUB_304000_NS22TransformInputIteratorIbN2at6native12_GLOBAL__N_19NonZeroOpIbEEPKblEEPiiNS8_6detail34convert_binary_result_type_wrapperINS8_3SumESH_iEEEE10hipError_tPvRmT1_T2_T3_mT4_P12ihipStream_tbEUlT_E1_NS1_11comp_targetILNS1_3genE9ELNS1_11target_archE1100ELNS1_3gpuE3ELNS1_3repE0EEENS1_30default_config_static_selectorELNS0_4arch9wavefront6targetE0EEEvSQ_.kd
    .uniform_work_group_size: 1
    .uses_dynamic_stack: false
    .vgpr_count:     0
    .vgpr_spill_count: 0
    .wavefront_size: 32
    .workgroup_processor_mode: 1
  - .args:
      - .offset:         0
        .size:           48
        .value_kind:     by_value
    .group_segment_fixed_size: 0
    .kernarg_segment_align: 8
    .kernarg_segment_size: 48
    .language:       OpenCL C
    .language_version:
      - 2
      - 0
    .max_flat_workgroup_size: 256
    .name:           _ZN7rocprim17ROCPRIM_400000_NS6detail17trampoline_kernelINS0_14default_configENS1_22reduce_config_selectorIbEEZNS1_11reduce_implILb1ES3_N6hipcub16HIPCUB_304000_NS22TransformInputIteratorIbN2at6native12_GLOBAL__N_19NonZeroOpIbEEPKblEEPiiNS8_6detail34convert_binary_result_type_wrapperINS8_3SumESH_iEEEE10hipError_tPvRmT1_T2_T3_mT4_P12ihipStream_tbEUlT_E1_NS1_11comp_targetILNS1_3genE8ELNS1_11target_archE1030ELNS1_3gpuE2ELNS1_3repE0EEENS1_30default_config_static_selectorELNS0_4arch9wavefront6targetE0EEEvSQ_
    .private_segment_fixed_size: 0
    .sgpr_count:     0
    .sgpr_spill_count: 0
    .symbol:         _ZN7rocprim17ROCPRIM_400000_NS6detail17trampoline_kernelINS0_14default_configENS1_22reduce_config_selectorIbEEZNS1_11reduce_implILb1ES3_N6hipcub16HIPCUB_304000_NS22TransformInputIteratorIbN2at6native12_GLOBAL__N_19NonZeroOpIbEEPKblEEPiiNS8_6detail34convert_binary_result_type_wrapperINS8_3SumESH_iEEEE10hipError_tPvRmT1_T2_T3_mT4_P12ihipStream_tbEUlT_E1_NS1_11comp_targetILNS1_3genE8ELNS1_11target_archE1030ELNS1_3gpuE2ELNS1_3repE0EEENS1_30default_config_static_selectorELNS0_4arch9wavefront6targetE0EEEvSQ_.kd
    .uniform_work_group_size: 1
    .uses_dynamic_stack: false
    .vgpr_count:     0
    .vgpr_spill_count: 0
    .wavefront_size: 32
    .workgroup_processor_mode: 1
  - .args:
      - .offset:         0
        .size:           120
        .value_kind:     by_value
    .group_segment_fixed_size: 0
    .kernarg_segment_align: 8
    .kernarg_segment_size: 120
    .language:       OpenCL C
    .language_version:
      - 2
      - 0
    .max_flat_workgroup_size: 128
    .name:           _ZN7rocprim17ROCPRIM_400000_NS6detail17trampoline_kernelINS0_14default_configENS1_25partition_config_selectorILNS1_17partition_subalgoE5ElNS0_10empty_typeEbEEZZNS1_14partition_implILS5_5ELb0ES3_mN6hipcub16HIPCUB_304000_NS21CountingInputIteratorIllEEPS6_NSA_22TransformInputIteratorIbN2at6native12_GLOBAL__N_19NonZeroOpIbEEPKblEENS0_5tupleIJPlS6_EEENSN_IJSD_SD_EEES6_PiJS6_EEE10hipError_tPvRmT3_T4_T5_T6_T7_T9_mT8_P12ihipStream_tbDpT10_ENKUlT_T0_E_clISt17integral_constantIbLb0EES1B_EEDaS16_S17_EUlS16_E_NS1_11comp_targetILNS1_3genE0ELNS1_11target_archE4294967295ELNS1_3gpuE0ELNS1_3repE0EEENS1_30default_config_static_selectorELNS0_4arch9wavefront6targetE0EEEvT1_
    .private_segment_fixed_size: 0
    .sgpr_count:     0
    .sgpr_spill_count: 0
    .symbol:         _ZN7rocprim17ROCPRIM_400000_NS6detail17trampoline_kernelINS0_14default_configENS1_25partition_config_selectorILNS1_17partition_subalgoE5ElNS0_10empty_typeEbEEZZNS1_14partition_implILS5_5ELb0ES3_mN6hipcub16HIPCUB_304000_NS21CountingInputIteratorIllEEPS6_NSA_22TransformInputIteratorIbN2at6native12_GLOBAL__N_19NonZeroOpIbEEPKblEENS0_5tupleIJPlS6_EEENSN_IJSD_SD_EEES6_PiJS6_EEE10hipError_tPvRmT3_T4_T5_T6_T7_T9_mT8_P12ihipStream_tbDpT10_ENKUlT_T0_E_clISt17integral_constantIbLb0EES1B_EEDaS16_S17_EUlS16_E_NS1_11comp_targetILNS1_3genE0ELNS1_11target_archE4294967295ELNS1_3gpuE0ELNS1_3repE0EEENS1_30default_config_static_selectorELNS0_4arch9wavefront6targetE0EEEvT1_.kd
    .uniform_work_group_size: 1
    .uses_dynamic_stack: false
    .vgpr_count:     0
    .vgpr_spill_count: 0
    .wavefront_size: 32
    .workgroup_processor_mode: 1
  - .args:
      - .offset:         0
        .size:           120
        .value_kind:     by_value
    .group_segment_fixed_size: 0
    .kernarg_segment_align: 8
    .kernarg_segment_size: 120
    .language:       OpenCL C
    .language_version:
      - 2
      - 0
    .max_flat_workgroup_size: 512
    .name:           _ZN7rocprim17ROCPRIM_400000_NS6detail17trampoline_kernelINS0_14default_configENS1_25partition_config_selectorILNS1_17partition_subalgoE5ElNS0_10empty_typeEbEEZZNS1_14partition_implILS5_5ELb0ES3_mN6hipcub16HIPCUB_304000_NS21CountingInputIteratorIllEEPS6_NSA_22TransformInputIteratorIbN2at6native12_GLOBAL__N_19NonZeroOpIbEEPKblEENS0_5tupleIJPlS6_EEENSN_IJSD_SD_EEES6_PiJS6_EEE10hipError_tPvRmT3_T4_T5_T6_T7_T9_mT8_P12ihipStream_tbDpT10_ENKUlT_T0_E_clISt17integral_constantIbLb0EES1B_EEDaS16_S17_EUlS16_E_NS1_11comp_targetILNS1_3genE5ELNS1_11target_archE942ELNS1_3gpuE9ELNS1_3repE0EEENS1_30default_config_static_selectorELNS0_4arch9wavefront6targetE0EEEvT1_
    .private_segment_fixed_size: 0
    .sgpr_count:     0
    .sgpr_spill_count: 0
    .symbol:         _ZN7rocprim17ROCPRIM_400000_NS6detail17trampoline_kernelINS0_14default_configENS1_25partition_config_selectorILNS1_17partition_subalgoE5ElNS0_10empty_typeEbEEZZNS1_14partition_implILS5_5ELb0ES3_mN6hipcub16HIPCUB_304000_NS21CountingInputIteratorIllEEPS6_NSA_22TransformInputIteratorIbN2at6native12_GLOBAL__N_19NonZeroOpIbEEPKblEENS0_5tupleIJPlS6_EEENSN_IJSD_SD_EEES6_PiJS6_EEE10hipError_tPvRmT3_T4_T5_T6_T7_T9_mT8_P12ihipStream_tbDpT10_ENKUlT_T0_E_clISt17integral_constantIbLb0EES1B_EEDaS16_S17_EUlS16_E_NS1_11comp_targetILNS1_3genE5ELNS1_11target_archE942ELNS1_3gpuE9ELNS1_3repE0EEENS1_30default_config_static_selectorELNS0_4arch9wavefront6targetE0EEEvT1_.kd
    .uniform_work_group_size: 1
    .uses_dynamic_stack: false
    .vgpr_count:     0
    .vgpr_spill_count: 0
    .wavefront_size: 32
    .workgroup_processor_mode: 1
  - .args:
      - .offset:         0
        .size:           120
        .value_kind:     by_value
    .group_segment_fixed_size: 0
    .kernarg_segment_align: 8
    .kernarg_segment_size: 120
    .language:       OpenCL C
    .language_version:
      - 2
      - 0
    .max_flat_workgroup_size: 192
    .name:           _ZN7rocprim17ROCPRIM_400000_NS6detail17trampoline_kernelINS0_14default_configENS1_25partition_config_selectorILNS1_17partition_subalgoE5ElNS0_10empty_typeEbEEZZNS1_14partition_implILS5_5ELb0ES3_mN6hipcub16HIPCUB_304000_NS21CountingInputIteratorIllEEPS6_NSA_22TransformInputIteratorIbN2at6native12_GLOBAL__N_19NonZeroOpIbEEPKblEENS0_5tupleIJPlS6_EEENSN_IJSD_SD_EEES6_PiJS6_EEE10hipError_tPvRmT3_T4_T5_T6_T7_T9_mT8_P12ihipStream_tbDpT10_ENKUlT_T0_E_clISt17integral_constantIbLb0EES1B_EEDaS16_S17_EUlS16_E_NS1_11comp_targetILNS1_3genE4ELNS1_11target_archE910ELNS1_3gpuE8ELNS1_3repE0EEENS1_30default_config_static_selectorELNS0_4arch9wavefront6targetE0EEEvT1_
    .private_segment_fixed_size: 0
    .sgpr_count:     0
    .sgpr_spill_count: 0
    .symbol:         _ZN7rocprim17ROCPRIM_400000_NS6detail17trampoline_kernelINS0_14default_configENS1_25partition_config_selectorILNS1_17partition_subalgoE5ElNS0_10empty_typeEbEEZZNS1_14partition_implILS5_5ELb0ES3_mN6hipcub16HIPCUB_304000_NS21CountingInputIteratorIllEEPS6_NSA_22TransformInputIteratorIbN2at6native12_GLOBAL__N_19NonZeroOpIbEEPKblEENS0_5tupleIJPlS6_EEENSN_IJSD_SD_EEES6_PiJS6_EEE10hipError_tPvRmT3_T4_T5_T6_T7_T9_mT8_P12ihipStream_tbDpT10_ENKUlT_T0_E_clISt17integral_constantIbLb0EES1B_EEDaS16_S17_EUlS16_E_NS1_11comp_targetILNS1_3genE4ELNS1_11target_archE910ELNS1_3gpuE8ELNS1_3repE0EEENS1_30default_config_static_selectorELNS0_4arch9wavefront6targetE0EEEvT1_.kd
    .uniform_work_group_size: 1
    .uses_dynamic_stack: false
    .vgpr_count:     0
    .vgpr_spill_count: 0
    .wavefront_size: 32
    .workgroup_processor_mode: 1
  - .args:
      - .offset:         0
        .size:           120
        .value_kind:     by_value
    .group_segment_fixed_size: 0
    .kernarg_segment_align: 8
    .kernarg_segment_size: 120
    .language:       OpenCL C
    .language_version:
      - 2
      - 0
    .max_flat_workgroup_size: 128
    .name:           _ZN7rocprim17ROCPRIM_400000_NS6detail17trampoline_kernelINS0_14default_configENS1_25partition_config_selectorILNS1_17partition_subalgoE5ElNS0_10empty_typeEbEEZZNS1_14partition_implILS5_5ELb0ES3_mN6hipcub16HIPCUB_304000_NS21CountingInputIteratorIllEEPS6_NSA_22TransformInputIteratorIbN2at6native12_GLOBAL__N_19NonZeroOpIbEEPKblEENS0_5tupleIJPlS6_EEENSN_IJSD_SD_EEES6_PiJS6_EEE10hipError_tPvRmT3_T4_T5_T6_T7_T9_mT8_P12ihipStream_tbDpT10_ENKUlT_T0_E_clISt17integral_constantIbLb0EES1B_EEDaS16_S17_EUlS16_E_NS1_11comp_targetILNS1_3genE3ELNS1_11target_archE908ELNS1_3gpuE7ELNS1_3repE0EEENS1_30default_config_static_selectorELNS0_4arch9wavefront6targetE0EEEvT1_
    .private_segment_fixed_size: 0
    .sgpr_count:     0
    .sgpr_spill_count: 0
    .symbol:         _ZN7rocprim17ROCPRIM_400000_NS6detail17trampoline_kernelINS0_14default_configENS1_25partition_config_selectorILNS1_17partition_subalgoE5ElNS0_10empty_typeEbEEZZNS1_14partition_implILS5_5ELb0ES3_mN6hipcub16HIPCUB_304000_NS21CountingInputIteratorIllEEPS6_NSA_22TransformInputIteratorIbN2at6native12_GLOBAL__N_19NonZeroOpIbEEPKblEENS0_5tupleIJPlS6_EEENSN_IJSD_SD_EEES6_PiJS6_EEE10hipError_tPvRmT3_T4_T5_T6_T7_T9_mT8_P12ihipStream_tbDpT10_ENKUlT_T0_E_clISt17integral_constantIbLb0EES1B_EEDaS16_S17_EUlS16_E_NS1_11comp_targetILNS1_3genE3ELNS1_11target_archE908ELNS1_3gpuE7ELNS1_3repE0EEENS1_30default_config_static_selectorELNS0_4arch9wavefront6targetE0EEEvT1_.kd
    .uniform_work_group_size: 1
    .uses_dynamic_stack: false
    .vgpr_count:     0
    .vgpr_spill_count: 0
    .wavefront_size: 32
    .workgroup_processor_mode: 1
  - .args:
      - .offset:         0
        .size:           120
        .value_kind:     by_value
    .group_segment_fixed_size: 0
    .kernarg_segment_align: 8
    .kernarg_segment_size: 120
    .language:       OpenCL C
    .language_version:
      - 2
      - 0
    .max_flat_workgroup_size: 256
    .name:           _ZN7rocprim17ROCPRIM_400000_NS6detail17trampoline_kernelINS0_14default_configENS1_25partition_config_selectorILNS1_17partition_subalgoE5ElNS0_10empty_typeEbEEZZNS1_14partition_implILS5_5ELb0ES3_mN6hipcub16HIPCUB_304000_NS21CountingInputIteratorIllEEPS6_NSA_22TransformInputIteratorIbN2at6native12_GLOBAL__N_19NonZeroOpIbEEPKblEENS0_5tupleIJPlS6_EEENSN_IJSD_SD_EEES6_PiJS6_EEE10hipError_tPvRmT3_T4_T5_T6_T7_T9_mT8_P12ihipStream_tbDpT10_ENKUlT_T0_E_clISt17integral_constantIbLb0EES1B_EEDaS16_S17_EUlS16_E_NS1_11comp_targetILNS1_3genE2ELNS1_11target_archE906ELNS1_3gpuE6ELNS1_3repE0EEENS1_30default_config_static_selectorELNS0_4arch9wavefront6targetE0EEEvT1_
    .private_segment_fixed_size: 0
    .sgpr_count:     0
    .sgpr_spill_count: 0
    .symbol:         _ZN7rocprim17ROCPRIM_400000_NS6detail17trampoline_kernelINS0_14default_configENS1_25partition_config_selectorILNS1_17partition_subalgoE5ElNS0_10empty_typeEbEEZZNS1_14partition_implILS5_5ELb0ES3_mN6hipcub16HIPCUB_304000_NS21CountingInputIteratorIllEEPS6_NSA_22TransformInputIteratorIbN2at6native12_GLOBAL__N_19NonZeroOpIbEEPKblEENS0_5tupleIJPlS6_EEENSN_IJSD_SD_EEES6_PiJS6_EEE10hipError_tPvRmT3_T4_T5_T6_T7_T9_mT8_P12ihipStream_tbDpT10_ENKUlT_T0_E_clISt17integral_constantIbLb0EES1B_EEDaS16_S17_EUlS16_E_NS1_11comp_targetILNS1_3genE2ELNS1_11target_archE906ELNS1_3gpuE6ELNS1_3repE0EEENS1_30default_config_static_selectorELNS0_4arch9wavefront6targetE0EEEvT1_.kd
    .uniform_work_group_size: 1
    .uses_dynamic_stack: false
    .vgpr_count:     0
    .vgpr_spill_count: 0
    .wavefront_size: 32
    .workgroup_processor_mode: 1
  - .args:
      - .offset:         0
        .size:           120
        .value_kind:     by_value
    .group_segment_fixed_size: 8464
    .kernarg_segment_align: 8
    .kernarg_segment_size: 120
    .language:       OpenCL C
    .language_version:
      - 2
      - 0
    .max_flat_workgroup_size: 256
    .name:           _ZN7rocprim17ROCPRIM_400000_NS6detail17trampoline_kernelINS0_14default_configENS1_25partition_config_selectorILNS1_17partition_subalgoE5ElNS0_10empty_typeEbEEZZNS1_14partition_implILS5_5ELb0ES3_mN6hipcub16HIPCUB_304000_NS21CountingInputIteratorIllEEPS6_NSA_22TransformInputIteratorIbN2at6native12_GLOBAL__N_19NonZeroOpIbEEPKblEENS0_5tupleIJPlS6_EEENSN_IJSD_SD_EEES6_PiJS6_EEE10hipError_tPvRmT3_T4_T5_T6_T7_T9_mT8_P12ihipStream_tbDpT10_ENKUlT_T0_E_clISt17integral_constantIbLb0EES1B_EEDaS16_S17_EUlS16_E_NS1_11comp_targetILNS1_3genE10ELNS1_11target_archE1200ELNS1_3gpuE4ELNS1_3repE0EEENS1_30default_config_static_selectorELNS0_4arch9wavefront6targetE0EEEvT1_
    .private_segment_fixed_size: 0
    .sgpr_count:     22
    .sgpr_spill_count: 0
    .symbol:         _ZN7rocprim17ROCPRIM_400000_NS6detail17trampoline_kernelINS0_14default_configENS1_25partition_config_selectorILNS1_17partition_subalgoE5ElNS0_10empty_typeEbEEZZNS1_14partition_implILS5_5ELb0ES3_mN6hipcub16HIPCUB_304000_NS21CountingInputIteratorIllEEPS6_NSA_22TransformInputIteratorIbN2at6native12_GLOBAL__N_19NonZeroOpIbEEPKblEENS0_5tupleIJPlS6_EEENSN_IJSD_SD_EEES6_PiJS6_EEE10hipError_tPvRmT3_T4_T5_T6_T7_T9_mT8_P12ihipStream_tbDpT10_ENKUlT_T0_E_clISt17integral_constantIbLb0EES1B_EEDaS16_S17_EUlS16_E_NS1_11comp_targetILNS1_3genE10ELNS1_11target_archE1200ELNS1_3gpuE4ELNS1_3repE0EEENS1_30default_config_static_selectorELNS0_4arch9wavefront6targetE0EEEvT1_.kd
    .uniform_work_group_size: 1
    .uses_dynamic_stack: false
    .vgpr_count:     46
    .vgpr_spill_count: 0
    .wavefront_size: 32
    .workgroup_processor_mode: 1
  - .args:
      - .offset:         0
        .size:           120
        .value_kind:     by_value
    .group_segment_fixed_size: 0
    .kernarg_segment_align: 8
    .kernarg_segment_size: 120
    .language:       OpenCL C
    .language_version:
      - 2
      - 0
    .max_flat_workgroup_size: 128
    .name:           _ZN7rocprim17ROCPRIM_400000_NS6detail17trampoline_kernelINS0_14default_configENS1_25partition_config_selectorILNS1_17partition_subalgoE5ElNS0_10empty_typeEbEEZZNS1_14partition_implILS5_5ELb0ES3_mN6hipcub16HIPCUB_304000_NS21CountingInputIteratorIllEEPS6_NSA_22TransformInputIteratorIbN2at6native12_GLOBAL__N_19NonZeroOpIbEEPKblEENS0_5tupleIJPlS6_EEENSN_IJSD_SD_EEES6_PiJS6_EEE10hipError_tPvRmT3_T4_T5_T6_T7_T9_mT8_P12ihipStream_tbDpT10_ENKUlT_T0_E_clISt17integral_constantIbLb0EES1B_EEDaS16_S17_EUlS16_E_NS1_11comp_targetILNS1_3genE9ELNS1_11target_archE1100ELNS1_3gpuE3ELNS1_3repE0EEENS1_30default_config_static_selectorELNS0_4arch9wavefront6targetE0EEEvT1_
    .private_segment_fixed_size: 0
    .sgpr_count:     0
    .sgpr_spill_count: 0
    .symbol:         _ZN7rocprim17ROCPRIM_400000_NS6detail17trampoline_kernelINS0_14default_configENS1_25partition_config_selectorILNS1_17partition_subalgoE5ElNS0_10empty_typeEbEEZZNS1_14partition_implILS5_5ELb0ES3_mN6hipcub16HIPCUB_304000_NS21CountingInputIteratorIllEEPS6_NSA_22TransformInputIteratorIbN2at6native12_GLOBAL__N_19NonZeroOpIbEEPKblEENS0_5tupleIJPlS6_EEENSN_IJSD_SD_EEES6_PiJS6_EEE10hipError_tPvRmT3_T4_T5_T6_T7_T9_mT8_P12ihipStream_tbDpT10_ENKUlT_T0_E_clISt17integral_constantIbLb0EES1B_EEDaS16_S17_EUlS16_E_NS1_11comp_targetILNS1_3genE9ELNS1_11target_archE1100ELNS1_3gpuE3ELNS1_3repE0EEENS1_30default_config_static_selectorELNS0_4arch9wavefront6targetE0EEEvT1_.kd
    .uniform_work_group_size: 1
    .uses_dynamic_stack: false
    .vgpr_count:     0
    .vgpr_spill_count: 0
    .wavefront_size: 32
    .workgroup_processor_mode: 1
  - .args:
      - .offset:         0
        .size:           120
        .value_kind:     by_value
    .group_segment_fixed_size: 0
    .kernarg_segment_align: 8
    .kernarg_segment_size: 120
    .language:       OpenCL C
    .language_version:
      - 2
      - 0
    .max_flat_workgroup_size: 512
    .name:           _ZN7rocprim17ROCPRIM_400000_NS6detail17trampoline_kernelINS0_14default_configENS1_25partition_config_selectorILNS1_17partition_subalgoE5ElNS0_10empty_typeEbEEZZNS1_14partition_implILS5_5ELb0ES3_mN6hipcub16HIPCUB_304000_NS21CountingInputIteratorIllEEPS6_NSA_22TransformInputIteratorIbN2at6native12_GLOBAL__N_19NonZeroOpIbEEPKblEENS0_5tupleIJPlS6_EEENSN_IJSD_SD_EEES6_PiJS6_EEE10hipError_tPvRmT3_T4_T5_T6_T7_T9_mT8_P12ihipStream_tbDpT10_ENKUlT_T0_E_clISt17integral_constantIbLb0EES1B_EEDaS16_S17_EUlS16_E_NS1_11comp_targetILNS1_3genE8ELNS1_11target_archE1030ELNS1_3gpuE2ELNS1_3repE0EEENS1_30default_config_static_selectorELNS0_4arch9wavefront6targetE0EEEvT1_
    .private_segment_fixed_size: 0
    .sgpr_count:     0
    .sgpr_spill_count: 0
    .symbol:         _ZN7rocprim17ROCPRIM_400000_NS6detail17trampoline_kernelINS0_14default_configENS1_25partition_config_selectorILNS1_17partition_subalgoE5ElNS0_10empty_typeEbEEZZNS1_14partition_implILS5_5ELb0ES3_mN6hipcub16HIPCUB_304000_NS21CountingInputIteratorIllEEPS6_NSA_22TransformInputIteratorIbN2at6native12_GLOBAL__N_19NonZeroOpIbEEPKblEENS0_5tupleIJPlS6_EEENSN_IJSD_SD_EEES6_PiJS6_EEE10hipError_tPvRmT3_T4_T5_T6_T7_T9_mT8_P12ihipStream_tbDpT10_ENKUlT_T0_E_clISt17integral_constantIbLb0EES1B_EEDaS16_S17_EUlS16_E_NS1_11comp_targetILNS1_3genE8ELNS1_11target_archE1030ELNS1_3gpuE2ELNS1_3repE0EEENS1_30default_config_static_selectorELNS0_4arch9wavefront6targetE0EEEvT1_.kd
    .uniform_work_group_size: 1
    .uses_dynamic_stack: false
    .vgpr_count:     0
    .vgpr_spill_count: 0
    .wavefront_size: 32
    .workgroup_processor_mode: 1
  - .args:
      - .offset:         0
        .size:           136
        .value_kind:     by_value
    .group_segment_fixed_size: 0
    .kernarg_segment_align: 8
    .kernarg_segment_size: 136
    .language:       OpenCL C
    .language_version:
      - 2
      - 0
    .max_flat_workgroup_size: 128
    .name:           _ZN7rocprim17ROCPRIM_400000_NS6detail17trampoline_kernelINS0_14default_configENS1_25partition_config_selectorILNS1_17partition_subalgoE5ElNS0_10empty_typeEbEEZZNS1_14partition_implILS5_5ELb0ES3_mN6hipcub16HIPCUB_304000_NS21CountingInputIteratorIllEEPS6_NSA_22TransformInputIteratorIbN2at6native12_GLOBAL__N_19NonZeroOpIbEEPKblEENS0_5tupleIJPlS6_EEENSN_IJSD_SD_EEES6_PiJS6_EEE10hipError_tPvRmT3_T4_T5_T6_T7_T9_mT8_P12ihipStream_tbDpT10_ENKUlT_T0_E_clISt17integral_constantIbLb1EES1B_EEDaS16_S17_EUlS16_E_NS1_11comp_targetILNS1_3genE0ELNS1_11target_archE4294967295ELNS1_3gpuE0ELNS1_3repE0EEENS1_30default_config_static_selectorELNS0_4arch9wavefront6targetE0EEEvT1_
    .private_segment_fixed_size: 0
    .sgpr_count:     0
    .sgpr_spill_count: 0
    .symbol:         _ZN7rocprim17ROCPRIM_400000_NS6detail17trampoline_kernelINS0_14default_configENS1_25partition_config_selectorILNS1_17partition_subalgoE5ElNS0_10empty_typeEbEEZZNS1_14partition_implILS5_5ELb0ES3_mN6hipcub16HIPCUB_304000_NS21CountingInputIteratorIllEEPS6_NSA_22TransformInputIteratorIbN2at6native12_GLOBAL__N_19NonZeroOpIbEEPKblEENS0_5tupleIJPlS6_EEENSN_IJSD_SD_EEES6_PiJS6_EEE10hipError_tPvRmT3_T4_T5_T6_T7_T9_mT8_P12ihipStream_tbDpT10_ENKUlT_T0_E_clISt17integral_constantIbLb1EES1B_EEDaS16_S17_EUlS16_E_NS1_11comp_targetILNS1_3genE0ELNS1_11target_archE4294967295ELNS1_3gpuE0ELNS1_3repE0EEENS1_30default_config_static_selectorELNS0_4arch9wavefront6targetE0EEEvT1_.kd
    .uniform_work_group_size: 1
    .uses_dynamic_stack: false
    .vgpr_count:     0
    .vgpr_spill_count: 0
    .wavefront_size: 32
    .workgroup_processor_mode: 1
  - .args:
      - .offset:         0
        .size:           136
        .value_kind:     by_value
    .group_segment_fixed_size: 0
    .kernarg_segment_align: 8
    .kernarg_segment_size: 136
    .language:       OpenCL C
    .language_version:
      - 2
      - 0
    .max_flat_workgroup_size: 512
    .name:           _ZN7rocprim17ROCPRIM_400000_NS6detail17trampoline_kernelINS0_14default_configENS1_25partition_config_selectorILNS1_17partition_subalgoE5ElNS0_10empty_typeEbEEZZNS1_14partition_implILS5_5ELb0ES3_mN6hipcub16HIPCUB_304000_NS21CountingInputIteratorIllEEPS6_NSA_22TransformInputIteratorIbN2at6native12_GLOBAL__N_19NonZeroOpIbEEPKblEENS0_5tupleIJPlS6_EEENSN_IJSD_SD_EEES6_PiJS6_EEE10hipError_tPvRmT3_T4_T5_T6_T7_T9_mT8_P12ihipStream_tbDpT10_ENKUlT_T0_E_clISt17integral_constantIbLb1EES1B_EEDaS16_S17_EUlS16_E_NS1_11comp_targetILNS1_3genE5ELNS1_11target_archE942ELNS1_3gpuE9ELNS1_3repE0EEENS1_30default_config_static_selectorELNS0_4arch9wavefront6targetE0EEEvT1_
    .private_segment_fixed_size: 0
    .sgpr_count:     0
    .sgpr_spill_count: 0
    .symbol:         _ZN7rocprim17ROCPRIM_400000_NS6detail17trampoline_kernelINS0_14default_configENS1_25partition_config_selectorILNS1_17partition_subalgoE5ElNS0_10empty_typeEbEEZZNS1_14partition_implILS5_5ELb0ES3_mN6hipcub16HIPCUB_304000_NS21CountingInputIteratorIllEEPS6_NSA_22TransformInputIteratorIbN2at6native12_GLOBAL__N_19NonZeroOpIbEEPKblEENS0_5tupleIJPlS6_EEENSN_IJSD_SD_EEES6_PiJS6_EEE10hipError_tPvRmT3_T4_T5_T6_T7_T9_mT8_P12ihipStream_tbDpT10_ENKUlT_T0_E_clISt17integral_constantIbLb1EES1B_EEDaS16_S17_EUlS16_E_NS1_11comp_targetILNS1_3genE5ELNS1_11target_archE942ELNS1_3gpuE9ELNS1_3repE0EEENS1_30default_config_static_selectorELNS0_4arch9wavefront6targetE0EEEvT1_.kd
    .uniform_work_group_size: 1
    .uses_dynamic_stack: false
    .vgpr_count:     0
    .vgpr_spill_count: 0
    .wavefront_size: 32
    .workgroup_processor_mode: 1
  - .args:
      - .offset:         0
        .size:           136
        .value_kind:     by_value
    .group_segment_fixed_size: 0
    .kernarg_segment_align: 8
    .kernarg_segment_size: 136
    .language:       OpenCL C
    .language_version:
      - 2
      - 0
    .max_flat_workgroup_size: 192
    .name:           _ZN7rocprim17ROCPRIM_400000_NS6detail17trampoline_kernelINS0_14default_configENS1_25partition_config_selectorILNS1_17partition_subalgoE5ElNS0_10empty_typeEbEEZZNS1_14partition_implILS5_5ELb0ES3_mN6hipcub16HIPCUB_304000_NS21CountingInputIteratorIllEEPS6_NSA_22TransformInputIteratorIbN2at6native12_GLOBAL__N_19NonZeroOpIbEEPKblEENS0_5tupleIJPlS6_EEENSN_IJSD_SD_EEES6_PiJS6_EEE10hipError_tPvRmT3_T4_T5_T6_T7_T9_mT8_P12ihipStream_tbDpT10_ENKUlT_T0_E_clISt17integral_constantIbLb1EES1B_EEDaS16_S17_EUlS16_E_NS1_11comp_targetILNS1_3genE4ELNS1_11target_archE910ELNS1_3gpuE8ELNS1_3repE0EEENS1_30default_config_static_selectorELNS0_4arch9wavefront6targetE0EEEvT1_
    .private_segment_fixed_size: 0
    .sgpr_count:     0
    .sgpr_spill_count: 0
    .symbol:         _ZN7rocprim17ROCPRIM_400000_NS6detail17trampoline_kernelINS0_14default_configENS1_25partition_config_selectorILNS1_17partition_subalgoE5ElNS0_10empty_typeEbEEZZNS1_14partition_implILS5_5ELb0ES3_mN6hipcub16HIPCUB_304000_NS21CountingInputIteratorIllEEPS6_NSA_22TransformInputIteratorIbN2at6native12_GLOBAL__N_19NonZeroOpIbEEPKblEENS0_5tupleIJPlS6_EEENSN_IJSD_SD_EEES6_PiJS6_EEE10hipError_tPvRmT3_T4_T5_T6_T7_T9_mT8_P12ihipStream_tbDpT10_ENKUlT_T0_E_clISt17integral_constantIbLb1EES1B_EEDaS16_S17_EUlS16_E_NS1_11comp_targetILNS1_3genE4ELNS1_11target_archE910ELNS1_3gpuE8ELNS1_3repE0EEENS1_30default_config_static_selectorELNS0_4arch9wavefront6targetE0EEEvT1_.kd
    .uniform_work_group_size: 1
    .uses_dynamic_stack: false
    .vgpr_count:     0
    .vgpr_spill_count: 0
    .wavefront_size: 32
    .workgroup_processor_mode: 1
  - .args:
      - .offset:         0
        .size:           136
        .value_kind:     by_value
    .group_segment_fixed_size: 0
    .kernarg_segment_align: 8
    .kernarg_segment_size: 136
    .language:       OpenCL C
    .language_version:
      - 2
      - 0
    .max_flat_workgroup_size: 128
    .name:           _ZN7rocprim17ROCPRIM_400000_NS6detail17trampoline_kernelINS0_14default_configENS1_25partition_config_selectorILNS1_17partition_subalgoE5ElNS0_10empty_typeEbEEZZNS1_14partition_implILS5_5ELb0ES3_mN6hipcub16HIPCUB_304000_NS21CountingInputIteratorIllEEPS6_NSA_22TransformInputIteratorIbN2at6native12_GLOBAL__N_19NonZeroOpIbEEPKblEENS0_5tupleIJPlS6_EEENSN_IJSD_SD_EEES6_PiJS6_EEE10hipError_tPvRmT3_T4_T5_T6_T7_T9_mT8_P12ihipStream_tbDpT10_ENKUlT_T0_E_clISt17integral_constantIbLb1EES1B_EEDaS16_S17_EUlS16_E_NS1_11comp_targetILNS1_3genE3ELNS1_11target_archE908ELNS1_3gpuE7ELNS1_3repE0EEENS1_30default_config_static_selectorELNS0_4arch9wavefront6targetE0EEEvT1_
    .private_segment_fixed_size: 0
    .sgpr_count:     0
    .sgpr_spill_count: 0
    .symbol:         _ZN7rocprim17ROCPRIM_400000_NS6detail17trampoline_kernelINS0_14default_configENS1_25partition_config_selectorILNS1_17partition_subalgoE5ElNS0_10empty_typeEbEEZZNS1_14partition_implILS5_5ELb0ES3_mN6hipcub16HIPCUB_304000_NS21CountingInputIteratorIllEEPS6_NSA_22TransformInputIteratorIbN2at6native12_GLOBAL__N_19NonZeroOpIbEEPKblEENS0_5tupleIJPlS6_EEENSN_IJSD_SD_EEES6_PiJS6_EEE10hipError_tPvRmT3_T4_T5_T6_T7_T9_mT8_P12ihipStream_tbDpT10_ENKUlT_T0_E_clISt17integral_constantIbLb1EES1B_EEDaS16_S17_EUlS16_E_NS1_11comp_targetILNS1_3genE3ELNS1_11target_archE908ELNS1_3gpuE7ELNS1_3repE0EEENS1_30default_config_static_selectorELNS0_4arch9wavefront6targetE0EEEvT1_.kd
    .uniform_work_group_size: 1
    .uses_dynamic_stack: false
    .vgpr_count:     0
    .vgpr_spill_count: 0
    .wavefront_size: 32
    .workgroup_processor_mode: 1
  - .args:
      - .offset:         0
        .size:           136
        .value_kind:     by_value
    .group_segment_fixed_size: 0
    .kernarg_segment_align: 8
    .kernarg_segment_size: 136
    .language:       OpenCL C
    .language_version:
      - 2
      - 0
    .max_flat_workgroup_size: 256
    .name:           _ZN7rocprim17ROCPRIM_400000_NS6detail17trampoline_kernelINS0_14default_configENS1_25partition_config_selectorILNS1_17partition_subalgoE5ElNS0_10empty_typeEbEEZZNS1_14partition_implILS5_5ELb0ES3_mN6hipcub16HIPCUB_304000_NS21CountingInputIteratorIllEEPS6_NSA_22TransformInputIteratorIbN2at6native12_GLOBAL__N_19NonZeroOpIbEEPKblEENS0_5tupleIJPlS6_EEENSN_IJSD_SD_EEES6_PiJS6_EEE10hipError_tPvRmT3_T4_T5_T6_T7_T9_mT8_P12ihipStream_tbDpT10_ENKUlT_T0_E_clISt17integral_constantIbLb1EES1B_EEDaS16_S17_EUlS16_E_NS1_11comp_targetILNS1_3genE2ELNS1_11target_archE906ELNS1_3gpuE6ELNS1_3repE0EEENS1_30default_config_static_selectorELNS0_4arch9wavefront6targetE0EEEvT1_
    .private_segment_fixed_size: 0
    .sgpr_count:     0
    .sgpr_spill_count: 0
    .symbol:         _ZN7rocprim17ROCPRIM_400000_NS6detail17trampoline_kernelINS0_14default_configENS1_25partition_config_selectorILNS1_17partition_subalgoE5ElNS0_10empty_typeEbEEZZNS1_14partition_implILS5_5ELb0ES3_mN6hipcub16HIPCUB_304000_NS21CountingInputIteratorIllEEPS6_NSA_22TransformInputIteratorIbN2at6native12_GLOBAL__N_19NonZeroOpIbEEPKblEENS0_5tupleIJPlS6_EEENSN_IJSD_SD_EEES6_PiJS6_EEE10hipError_tPvRmT3_T4_T5_T6_T7_T9_mT8_P12ihipStream_tbDpT10_ENKUlT_T0_E_clISt17integral_constantIbLb1EES1B_EEDaS16_S17_EUlS16_E_NS1_11comp_targetILNS1_3genE2ELNS1_11target_archE906ELNS1_3gpuE6ELNS1_3repE0EEENS1_30default_config_static_selectorELNS0_4arch9wavefront6targetE0EEEvT1_.kd
    .uniform_work_group_size: 1
    .uses_dynamic_stack: false
    .vgpr_count:     0
    .vgpr_spill_count: 0
    .wavefront_size: 32
    .workgroup_processor_mode: 1
  - .args:
      - .offset:         0
        .size:           136
        .value_kind:     by_value
    .group_segment_fixed_size: 0
    .kernarg_segment_align: 8
    .kernarg_segment_size: 136
    .language:       OpenCL C
    .language_version:
      - 2
      - 0
    .max_flat_workgroup_size: 256
    .name:           _ZN7rocprim17ROCPRIM_400000_NS6detail17trampoline_kernelINS0_14default_configENS1_25partition_config_selectorILNS1_17partition_subalgoE5ElNS0_10empty_typeEbEEZZNS1_14partition_implILS5_5ELb0ES3_mN6hipcub16HIPCUB_304000_NS21CountingInputIteratorIllEEPS6_NSA_22TransformInputIteratorIbN2at6native12_GLOBAL__N_19NonZeroOpIbEEPKblEENS0_5tupleIJPlS6_EEENSN_IJSD_SD_EEES6_PiJS6_EEE10hipError_tPvRmT3_T4_T5_T6_T7_T9_mT8_P12ihipStream_tbDpT10_ENKUlT_T0_E_clISt17integral_constantIbLb1EES1B_EEDaS16_S17_EUlS16_E_NS1_11comp_targetILNS1_3genE10ELNS1_11target_archE1200ELNS1_3gpuE4ELNS1_3repE0EEENS1_30default_config_static_selectorELNS0_4arch9wavefront6targetE0EEEvT1_
    .private_segment_fixed_size: 0
    .sgpr_count:     0
    .sgpr_spill_count: 0
    .symbol:         _ZN7rocprim17ROCPRIM_400000_NS6detail17trampoline_kernelINS0_14default_configENS1_25partition_config_selectorILNS1_17partition_subalgoE5ElNS0_10empty_typeEbEEZZNS1_14partition_implILS5_5ELb0ES3_mN6hipcub16HIPCUB_304000_NS21CountingInputIteratorIllEEPS6_NSA_22TransformInputIteratorIbN2at6native12_GLOBAL__N_19NonZeroOpIbEEPKblEENS0_5tupleIJPlS6_EEENSN_IJSD_SD_EEES6_PiJS6_EEE10hipError_tPvRmT3_T4_T5_T6_T7_T9_mT8_P12ihipStream_tbDpT10_ENKUlT_T0_E_clISt17integral_constantIbLb1EES1B_EEDaS16_S17_EUlS16_E_NS1_11comp_targetILNS1_3genE10ELNS1_11target_archE1200ELNS1_3gpuE4ELNS1_3repE0EEENS1_30default_config_static_selectorELNS0_4arch9wavefront6targetE0EEEvT1_.kd
    .uniform_work_group_size: 1
    .uses_dynamic_stack: false
    .vgpr_count:     0
    .vgpr_spill_count: 0
    .wavefront_size: 32
    .workgroup_processor_mode: 1
  - .args:
      - .offset:         0
        .size:           136
        .value_kind:     by_value
    .group_segment_fixed_size: 0
    .kernarg_segment_align: 8
    .kernarg_segment_size: 136
    .language:       OpenCL C
    .language_version:
      - 2
      - 0
    .max_flat_workgroup_size: 128
    .name:           _ZN7rocprim17ROCPRIM_400000_NS6detail17trampoline_kernelINS0_14default_configENS1_25partition_config_selectorILNS1_17partition_subalgoE5ElNS0_10empty_typeEbEEZZNS1_14partition_implILS5_5ELb0ES3_mN6hipcub16HIPCUB_304000_NS21CountingInputIteratorIllEEPS6_NSA_22TransformInputIteratorIbN2at6native12_GLOBAL__N_19NonZeroOpIbEEPKblEENS0_5tupleIJPlS6_EEENSN_IJSD_SD_EEES6_PiJS6_EEE10hipError_tPvRmT3_T4_T5_T6_T7_T9_mT8_P12ihipStream_tbDpT10_ENKUlT_T0_E_clISt17integral_constantIbLb1EES1B_EEDaS16_S17_EUlS16_E_NS1_11comp_targetILNS1_3genE9ELNS1_11target_archE1100ELNS1_3gpuE3ELNS1_3repE0EEENS1_30default_config_static_selectorELNS0_4arch9wavefront6targetE0EEEvT1_
    .private_segment_fixed_size: 0
    .sgpr_count:     0
    .sgpr_spill_count: 0
    .symbol:         _ZN7rocprim17ROCPRIM_400000_NS6detail17trampoline_kernelINS0_14default_configENS1_25partition_config_selectorILNS1_17partition_subalgoE5ElNS0_10empty_typeEbEEZZNS1_14partition_implILS5_5ELb0ES3_mN6hipcub16HIPCUB_304000_NS21CountingInputIteratorIllEEPS6_NSA_22TransformInputIteratorIbN2at6native12_GLOBAL__N_19NonZeroOpIbEEPKblEENS0_5tupleIJPlS6_EEENSN_IJSD_SD_EEES6_PiJS6_EEE10hipError_tPvRmT3_T4_T5_T6_T7_T9_mT8_P12ihipStream_tbDpT10_ENKUlT_T0_E_clISt17integral_constantIbLb1EES1B_EEDaS16_S17_EUlS16_E_NS1_11comp_targetILNS1_3genE9ELNS1_11target_archE1100ELNS1_3gpuE3ELNS1_3repE0EEENS1_30default_config_static_selectorELNS0_4arch9wavefront6targetE0EEEvT1_.kd
    .uniform_work_group_size: 1
    .uses_dynamic_stack: false
    .vgpr_count:     0
    .vgpr_spill_count: 0
    .wavefront_size: 32
    .workgroup_processor_mode: 1
  - .args:
      - .offset:         0
        .size:           136
        .value_kind:     by_value
    .group_segment_fixed_size: 0
    .kernarg_segment_align: 8
    .kernarg_segment_size: 136
    .language:       OpenCL C
    .language_version:
      - 2
      - 0
    .max_flat_workgroup_size: 512
    .name:           _ZN7rocprim17ROCPRIM_400000_NS6detail17trampoline_kernelINS0_14default_configENS1_25partition_config_selectorILNS1_17partition_subalgoE5ElNS0_10empty_typeEbEEZZNS1_14partition_implILS5_5ELb0ES3_mN6hipcub16HIPCUB_304000_NS21CountingInputIteratorIllEEPS6_NSA_22TransformInputIteratorIbN2at6native12_GLOBAL__N_19NonZeroOpIbEEPKblEENS0_5tupleIJPlS6_EEENSN_IJSD_SD_EEES6_PiJS6_EEE10hipError_tPvRmT3_T4_T5_T6_T7_T9_mT8_P12ihipStream_tbDpT10_ENKUlT_T0_E_clISt17integral_constantIbLb1EES1B_EEDaS16_S17_EUlS16_E_NS1_11comp_targetILNS1_3genE8ELNS1_11target_archE1030ELNS1_3gpuE2ELNS1_3repE0EEENS1_30default_config_static_selectorELNS0_4arch9wavefront6targetE0EEEvT1_
    .private_segment_fixed_size: 0
    .sgpr_count:     0
    .sgpr_spill_count: 0
    .symbol:         _ZN7rocprim17ROCPRIM_400000_NS6detail17trampoline_kernelINS0_14default_configENS1_25partition_config_selectorILNS1_17partition_subalgoE5ElNS0_10empty_typeEbEEZZNS1_14partition_implILS5_5ELb0ES3_mN6hipcub16HIPCUB_304000_NS21CountingInputIteratorIllEEPS6_NSA_22TransformInputIteratorIbN2at6native12_GLOBAL__N_19NonZeroOpIbEEPKblEENS0_5tupleIJPlS6_EEENSN_IJSD_SD_EEES6_PiJS6_EEE10hipError_tPvRmT3_T4_T5_T6_T7_T9_mT8_P12ihipStream_tbDpT10_ENKUlT_T0_E_clISt17integral_constantIbLb1EES1B_EEDaS16_S17_EUlS16_E_NS1_11comp_targetILNS1_3genE8ELNS1_11target_archE1030ELNS1_3gpuE2ELNS1_3repE0EEENS1_30default_config_static_selectorELNS0_4arch9wavefront6targetE0EEEvT1_.kd
    .uniform_work_group_size: 1
    .uses_dynamic_stack: false
    .vgpr_count:     0
    .vgpr_spill_count: 0
    .wavefront_size: 32
    .workgroup_processor_mode: 1
  - .args:
      - .offset:         0
        .size:           120
        .value_kind:     by_value
    .group_segment_fixed_size: 0
    .kernarg_segment_align: 8
    .kernarg_segment_size: 120
    .language:       OpenCL C
    .language_version:
      - 2
      - 0
    .max_flat_workgroup_size: 128
    .name:           _ZN7rocprim17ROCPRIM_400000_NS6detail17trampoline_kernelINS0_14default_configENS1_25partition_config_selectorILNS1_17partition_subalgoE5ElNS0_10empty_typeEbEEZZNS1_14partition_implILS5_5ELb0ES3_mN6hipcub16HIPCUB_304000_NS21CountingInputIteratorIllEEPS6_NSA_22TransformInputIteratorIbN2at6native12_GLOBAL__N_19NonZeroOpIbEEPKblEENS0_5tupleIJPlS6_EEENSN_IJSD_SD_EEES6_PiJS6_EEE10hipError_tPvRmT3_T4_T5_T6_T7_T9_mT8_P12ihipStream_tbDpT10_ENKUlT_T0_E_clISt17integral_constantIbLb1EES1A_IbLb0EEEEDaS16_S17_EUlS16_E_NS1_11comp_targetILNS1_3genE0ELNS1_11target_archE4294967295ELNS1_3gpuE0ELNS1_3repE0EEENS1_30default_config_static_selectorELNS0_4arch9wavefront6targetE0EEEvT1_
    .private_segment_fixed_size: 0
    .sgpr_count:     0
    .sgpr_spill_count: 0
    .symbol:         _ZN7rocprim17ROCPRIM_400000_NS6detail17trampoline_kernelINS0_14default_configENS1_25partition_config_selectorILNS1_17partition_subalgoE5ElNS0_10empty_typeEbEEZZNS1_14partition_implILS5_5ELb0ES3_mN6hipcub16HIPCUB_304000_NS21CountingInputIteratorIllEEPS6_NSA_22TransformInputIteratorIbN2at6native12_GLOBAL__N_19NonZeroOpIbEEPKblEENS0_5tupleIJPlS6_EEENSN_IJSD_SD_EEES6_PiJS6_EEE10hipError_tPvRmT3_T4_T5_T6_T7_T9_mT8_P12ihipStream_tbDpT10_ENKUlT_T0_E_clISt17integral_constantIbLb1EES1A_IbLb0EEEEDaS16_S17_EUlS16_E_NS1_11comp_targetILNS1_3genE0ELNS1_11target_archE4294967295ELNS1_3gpuE0ELNS1_3repE0EEENS1_30default_config_static_selectorELNS0_4arch9wavefront6targetE0EEEvT1_.kd
    .uniform_work_group_size: 1
    .uses_dynamic_stack: false
    .vgpr_count:     0
    .vgpr_spill_count: 0
    .wavefront_size: 32
    .workgroup_processor_mode: 1
  - .args:
      - .offset:         0
        .size:           120
        .value_kind:     by_value
    .group_segment_fixed_size: 0
    .kernarg_segment_align: 8
    .kernarg_segment_size: 120
    .language:       OpenCL C
    .language_version:
      - 2
      - 0
    .max_flat_workgroup_size: 512
    .name:           _ZN7rocprim17ROCPRIM_400000_NS6detail17trampoline_kernelINS0_14default_configENS1_25partition_config_selectorILNS1_17partition_subalgoE5ElNS0_10empty_typeEbEEZZNS1_14partition_implILS5_5ELb0ES3_mN6hipcub16HIPCUB_304000_NS21CountingInputIteratorIllEEPS6_NSA_22TransformInputIteratorIbN2at6native12_GLOBAL__N_19NonZeroOpIbEEPKblEENS0_5tupleIJPlS6_EEENSN_IJSD_SD_EEES6_PiJS6_EEE10hipError_tPvRmT3_T4_T5_T6_T7_T9_mT8_P12ihipStream_tbDpT10_ENKUlT_T0_E_clISt17integral_constantIbLb1EES1A_IbLb0EEEEDaS16_S17_EUlS16_E_NS1_11comp_targetILNS1_3genE5ELNS1_11target_archE942ELNS1_3gpuE9ELNS1_3repE0EEENS1_30default_config_static_selectorELNS0_4arch9wavefront6targetE0EEEvT1_
    .private_segment_fixed_size: 0
    .sgpr_count:     0
    .sgpr_spill_count: 0
    .symbol:         _ZN7rocprim17ROCPRIM_400000_NS6detail17trampoline_kernelINS0_14default_configENS1_25partition_config_selectorILNS1_17partition_subalgoE5ElNS0_10empty_typeEbEEZZNS1_14partition_implILS5_5ELb0ES3_mN6hipcub16HIPCUB_304000_NS21CountingInputIteratorIllEEPS6_NSA_22TransformInputIteratorIbN2at6native12_GLOBAL__N_19NonZeroOpIbEEPKblEENS0_5tupleIJPlS6_EEENSN_IJSD_SD_EEES6_PiJS6_EEE10hipError_tPvRmT3_T4_T5_T6_T7_T9_mT8_P12ihipStream_tbDpT10_ENKUlT_T0_E_clISt17integral_constantIbLb1EES1A_IbLb0EEEEDaS16_S17_EUlS16_E_NS1_11comp_targetILNS1_3genE5ELNS1_11target_archE942ELNS1_3gpuE9ELNS1_3repE0EEENS1_30default_config_static_selectorELNS0_4arch9wavefront6targetE0EEEvT1_.kd
    .uniform_work_group_size: 1
    .uses_dynamic_stack: false
    .vgpr_count:     0
    .vgpr_spill_count: 0
    .wavefront_size: 32
    .workgroup_processor_mode: 1
  - .args:
      - .offset:         0
        .size:           120
        .value_kind:     by_value
    .group_segment_fixed_size: 0
    .kernarg_segment_align: 8
    .kernarg_segment_size: 120
    .language:       OpenCL C
    .language_version:
      - 2
      - 0
    .max_flat_workgroup_size: 192
    .name:           _ZN7rocprim17ROCPRIM_400000_NS6detail17trampoline_kernelINS0_14default_configENS1_25partition_config_selectorILNS1_17partition_subalgoE5ElNS0_10empty_typeEbEEZZNS1_14partition_implILS5_5ELb0ES3_mN6hipcub16HIPCUB_304000_NS21CountingInputIteratorIllEEPS6_NSA_22TransformInputIteratorIbN2at6native12_GLOBAL__N_19NonZeroOpIbEEPKblEENS0_5tupleIJPlS6_EEENSN_IJSD_SD_EEES6_PiJS6_EEE10hipError_tPvRmT3_T4_T5_T6_T7_T9_mT8_P12ihipStream_tbDpT10_ENKUlT_T0_E_clISt17integral_constantIbLb1EES1A_IbLb0EEEEDaS16_S17_EUlS16_E_NS1_11comp_targetILNS1_3genE4ELNS1_11target_archE910ELNS1_3gpuE8ELNS1_3repE0EEENS1_30default_config_static_selectorELNS0_4arch9wavefront6targetE0EEEvT1_
    .private_segment_fixed_size: 0
    .sgpr_count:     0
    .sgpr_spill_count: 0
    .symbol:         _ZN7rocprim17ROCPRIM_400000_NS6detail17trampoline_kernelINS0_14default_configENS1_25partition_config_selectorILNS1_17partition_subalgoE5ElNS0_10empty_typeEbEEZZNS1_14partition_implILS5_5ELb0ES3_mN6hipcub16HIPCUB_304000_NS21CountingInputIteratorIllEEPS6_NSA_22TransformInputIteratorIbN2at6native12_GLOBAL__N_19NonZeroOpIbEEPKblEENS0_5tupleIJPlS6_EEENSN_IJSD_SD_EEES6_PiJS6_EEE10hipError_tPvRmT3_T4_T5_T6_T7_T9_mT8_P12ihipStream_tbDpT10_ENKUlT_T0_E_clISt17integral_constantIbLb1EES1A_IbLb0EEEEDaS16_S17_EUlS16_E_NS1_11comp_targetILNS1_3genE4ELNS1_11target_archE910ELNS1_3gpuE8ELNS1_3repE0EEENS1_30default_config_static_selectorELNS0_4arch9wavefront6targetE0EEEvT1_.kd
    .uniform_work_group_size: 1
    .uses_dynamic_stack: false
    .vgpr_count:     0
    .vgpr_spill_count: 0
    .wavefront_size: 32
    .workgroup_processor_mode: 1
  - .args:
      - .offset:         0
        .size:           120
        .value_kind:     by_value
    .group_segment_fixed_size: 0
    .kernarg_segment_align: 8
    .kernarg_segment_size: 120
    .language:       OpenCL C
    .language_version:
      - 2
      - 0
    .max_flat_workgroup_size: 128
    .name:           _ZN7rocprim17ROCPRIM_400000_NS6detail17trampoline_kernelINS0_14default_configENS1_25partition_config_selectorILNS1_17partition_subalgoE5ElNS0_10empty_typeEbEEZZNS1_14partition_implILS5_5ELb0ES3_mN6hipcub16HIPCUB_304000_NS21CountingInputIteratorIllEEPS6_NSA_22TransformInputIteratorIbN2at6native12_GLOBAL__N_19NonZeroOpIbEEPKblEENS0_5tupleIJPlS6_EEENSN_IJSD_SD_EEES6_PiJS6_EEE10hipError_tPvRmT3_T4_T5_T6_T7_T9_mT8_P12ihipStream_tbDpT10_ENKUlT_T0_E_clISt17integral_constantIbLb1EES1A_IbLb0EEEEDaS16_S17_EUlS16_E_NS1_11comp_targetILNS1_3genE3ELNS1_11target_archE908ELNS1_3gpuE7ELNS1_3repE0EEENS1_30default_config_static_selectorELNS0_4arch9wavefront6targetE0EEEvT1_
    .private_segment_fixed_size: 0
    .sgpr_count:     0
    .sgpr_spill_count: 0
    .symbol:         _ZN7rocprim17ROCPRIM_400000_NS6detail17trampoline_kernelINS0_14default_configENS1_25partition_config_selectorILNS1_17partition_subalgoE5ElNS0_10empty_typeEbEEZZNS1_14partition_implILS5_5ELb0ES3_mN6hipcub16HIPCUB_304000_NS21CountingInputIteratorIllEEPS6_NSA_22TransformInputIteratorIbN2at6native12_GLOBAL__N_19NonZeroOpIbEEPKblEENS0_5tupleIJPlS6_EEENSN_IJSD_SD_EEES6_PiJS6_EEE10hipError_tPvRmT3_T4_T5_T6_T7_T9_mT8_P12ihipStream_tbDpT10_ENKUlT_T0_E_clISt17integral_constantIbLb1EES1A_IbLb0EEEEDaS16_S17_EUlS16_E_NS1_11comp_targetILNS1_3genE3ELNS1_11target_archE908ELNS1_3gpuE7ELNS1_3repE0EEENS1_30default_config_static_selectorELNS0_4arch9wavefront6targetE0EEEvT1_.kd
    .uniform_work_group_size: 1
    .uses_dynamic_stack: false
    .vgpr_count:     0
    .vgpr_spill_count: 0
    .wavefront_size: 32
    .workgroup_processor_mode: 1
  - .args:
      - .offset:         0
        .size:           120
        .value_kind:     by_value
    .group_segment_fixed_size: 0
    .kernarg_segment_align: 8
    .kernarg_segment_size: 120
    .language:       OpenCL C
    .language_version:
      - 2
      - 0
    .max_flat_workgroup_size: 256
    .name:           _ZN7rocprim17ROCPRIM_400000_NS6detail17trampoline_kernelINS0_14default_configENS1_25partition_config_selectorILNS1_17partition_subalgoE5ElNS0_10empty_typeEbEEZZNS1_14partition_implILS5_5ELb0ES3_mN6hipcub16HIPCUB_304000_NS21CountingInputIteratorIllEEPS6_NSA_22TransformInputIteratorIbN2at6native12_GLOBAL__N_19NonZeroOpIbEEPKblEENS0_5tupleIJPlS6_EEENSN_IJSD_SD_EEES6_PiJS6_EEE10hipError_tPvRmT3_T4_T5_T6_T7_T9_mT8_P12ihipStream_tbDpT10_ENKUlT_T0_E_clISt17integral_constantIbLb1EES1A_IbLb0EEEEDaS16_S17_EUlS16_E_NS1_11comp_targetILNS1_3genE2ELNS1_11target_archE906ELNS1_3gpuE6ELNS1_3repE0EEENS1_30default_config_static_selectorELNS0_4arch9wavefront6targetE0EEEvT1_
    .private_segment_fixed_size: 0
    .sgpr_count:     0
    .sgpr_spill_count: 0
    .symbol:         _ZN7rocprim17ROCPRIM_400000_NS6detail17trampoline_kernelINS0_14default_configENS1_25partition_config_selectorILNS1_17partition_subalgoE5ElNS0_10empty_typeEbEEZZNS1_14partition_implILS5_5ELb0ES3_mN6hipcub16HIPCUB_304000_NS21CountingInputIteratorIllEEPS6_NSA_22TransformInputIteratorIbN2at6native12_GLOBAL__N_19NonZeroOpIbEEPKblEENS0_5tupleIJPlS6_EEENSN_IJSD_SD_EEES6_PiJS6_EEE10hipError_tPvRmT3_T4_T5_T6_T7_T9_mT8_P12ihipStream_tbDpT10_ENKUlT_T0_E_clISt17integral_constantIbLb1EES1A_IbLb0EEEEDaS16_S17_EUlS16_E_NS1_11comp_targetILNS1_3genE2ELNS1_11target_archE906ELNS1_3gpuE6ELNS1_3repE0EEENS1_30default_config_static_selectorELNS0_4arch9wavefront6targetE0EEEvT1_.kd
    .uniform_work_group_size: 1
    .uses_dynamic_stack: false
    .vgpr_count:     0
    .vgpr_spill_count: 0
    .wavefront_size: 32
    .workgroup_processor_mode: 1
  - .args:
      - .offset:         0
        .size:           120
        .value_kind:     by_value
    .group_segment_fixed_size: 0
    .kernarg_segment_align: 8
    .kernarg_segment_size: 120
    .language:       OpenCL C
    .language_version:
      - 2
      - 0
    .max_flat_workgroup_size: 256
    .name:           _ZN7rocprim17ROCPRIM_400000_NS6detail17trampoline_kernelINS0_14default_configENS1_25partition_config_selectorILNS1_17partition_subalgoE5ElNS0_10empty_typeEbEEZZNS1_14partition_implILS5_5ELb0ES3_mN6hipcub16HIPCUB_304000_NS21CountingInputIteratorIllEEPS6_NSA_22TransformInputIteratorIbN2at6native12_GLOBAL__N_19NonZeroOpIbEEPKblEENS0_5tupleIJPlS6_EEENSN_IJSD_SD_EEES6_PiJS6_EEE10hipError_tPvRmT3_T4_T5_T6_T7_T9_mT8_P12ihipStream_tbDpT10_ENKUlT_T0_E_clISt17integral_constantIbLb1EES1A_IbLb0EEEEDaS16_S17_EUlS16_E_NS1_11comp_targetILNS1_3genE10ELNS1_11target_archE1200ELNS1_3gpuE4ELNS1_3repE0EEENS1_30default_config_static_selectorELNS0_4arch9wavefront6targetE0EEEvT1_
    .private_segment_fixed_size: 0
    .sgpr_count:     0
    .sgpr_spill_count: 0
    .symbol:         _ZN7rocprim17ROCPRIM_400000_NS6detail17trampoline_kernelINS0_14default_configENS1_25partition_config_selectorILNS1_17partition_subalgoE5ElNS0_10empty_typeEbEEZZNS1_14partition_implILS5_5ELb0ES3_mN6hipcub16HIPCUB_304000_NS21CountingInputIteratorIllEEPS6_NSA_22TransformInputIteratorIbN2at6native12_GLOBAL__N_19NonZeroOpIbEEPKblEENS0_5tupleIJPlS6_EEENSN_IJSD_SD_EEES6_PiJS6_EEE10hipError_tPvRmT3_T4_T5_T6_T7_T9_mT8_P12ihipStream_tbDpT10_ENKUlT_T0_E_clISt17integral_constantIbLb1EES1A_IbLb0EEEEDaS16_S17_EUlS16_E_NS1_11comp_targetILNS1_3genE10ELNS1_11target_archE1200ELNS1_3gpuE4ELNS1_3repE0EEENS1_30default_config_static_selectorELNS0_4arch9wavefront6targetE0EEEvT1_.kd
    .uniform_work_group_size: 1
    .uses_dynamic_stack: false
    .vgpr_count:     0
    .vgpr_spill_count: 0
    .wavefront_size: 32
    .workgroup_processor_mode: 1
  - .args:
      - .offset:         0
        .size:           120
        .value_kind:     by_value
    .group_segment_fixed_size: 0
    .kernarg_segment_align: 8
    .kernarg_segment_size: 120
    .language:       OpenCL C
    .language_version:
      - 2
      - 0
    .max_flat_workgroup_size: 128
    .name:           _ZN7rocprim17ROCPRIM_400000_NS6detail17trampoline_kernelINS0_14default_configENS1_25partition_config_selectorILNS1_17partition_subalgoE5ElNS0_10empty_typeEbEEZZNS1_14partition_implILS5_5ELb0ES3_mN6hipcub16HIPCUB_304000_NS21CountingInputIteratorIllEEPS6_NSA_22TransformInputIteratorIbN2at6native12_GLOBAL__N_19NonZeroOpIbEEPKblEENS0_5tupleIJPlS6_EEENSN_IJSD_SD_EEES6_PiJS6_EEE10hipError_tPvRmT3_T4_T5_T6_T7_T9_mT8_P12ihipStream_tbDpT10_ENKUlT_T0_E_clISt17integral_constantIbLb1EES1A_IbLb0EEEEDaS16_S17_EUlS16_E_NS1_11comp_targetILNS1_3genE9ELNS1_11target_archE1100ELNS1_3gpuE3ELNS1_3repE0EEENS1_30default_config_static_selectorELNS0_4arch9wavefront6targetE0EEEvT1_
    .private_segment_fixed_size: 0
    .sgpr_count:     0
    .sgpr_spill_count: 0
    .symbol:         _ZN7rocprim17ROCPRIM_400000_NS6detail17trampoline_kernelINS0_14default_configENS1_25partition_config_selectorILNS1_17partition_subalgoE5ElNS0_10empty_typeEbEEZZNS1_14partition_implILS5_5ELb0ES3_mN6hipcub16HIPCUB_304000_NS21CountingInputIteratorIllEEPS6_NSA_22TransformInputIteratorIbN2at6native12_GLOBAL__N_19NonZeroOpIbEEPKblEENS0_5tupleIJPlS6_EEENSN_IJSD_SD_EEES6_PiJS6_EEE10hipError_tPvRmT3_T4_T5_T6_T7_T9_mT8_P12ihipStream_tbDpT10_ENKUlT_T0_E_clISt17integral_constantIbLb1EES1A_IbLb0EEEEDaS16_S17_EUlS16_E_NS1_11comp_targetILNS1_3genE9ELNS1_11target_archE1100ELNS1_3gpuE3ELNS1_3repE0EEENS1_30default_config_static_selectorELNS0_4arch9wavefront6targetE0EEEvT1_.kd
    .uniform_work_group_size: 1
    .uses_dynamic_stack: false
    .vgpr_count:     0
    .vgpr_spill_count: 0
    .wavefront_size: 32
    .workgroup_processor_mode: 1
  - .args:
      - .offset:         0
        .size:           120
        .value_kind:     by_value
    .group_segment_fixed_size: 0
    .kernarg_segment_align: 8
    .kernarg_segment_size: 120
    .language:       OpenCL C
    .language_version:
      - 2
      - 0
    .max_flat_workgroup_size: 512
    .name:           _ZN7rocprim17ROCPRIM_400000_NS6detail17trampoline_kernelINS0_14default_configENS1_25partition_config_selectorILNS1_17partition_subalgoE5ElNS0_10empty_typeEbEEZZNS1_14partition_implILS5_5ELb0ES3_mN6hipcub16HIPCUB_304000_NS21CountingInputIteratorIllEEPS6_NSA_22TransformInputIteratorIbN2at6native12_GLOBAL__N_19NonZeroOpIbEEPKblEENS0_5tupleIJPlS6_EEENSN_IJSD_SD_EEES6_PiJS6_EEE10hipError_tPvRmT3_T4_T5_T6_T7_T9_mT8_P12ihipStream_tbDpT10_ENKUlT_T0_E_clISt17integral_constantIbLb1EES1A_IbLb0EEEEDaS16_S17_EUlS16_E_NS1_11comp_targetILNS1_3genE8ELNS1_11target_archE1030ELNS1_3gpuE2ELNS1_3repE0EEENS1_30default_config_static_selectorELNS0_4arch9wavefront6targetE0EEEvT1_
    .private_segment_fixed_size: 0
    .sgpr_count:     0
    .sgpr_spill_count: 0
    .symbol:         _ZN7rocprim17ROCPRIM_400000_NS6detail17trampoline_kernelINS0_14default_configENS1_25partition_config_selectorILNS1_17partition_subalgoE5ElNS0_10empty_typeEbEEZZNS1_14partition_implILS5_5ELb0ES3_mN6hipcub16HIPCUB_304000_NS21CountingInputIteratorIllEEPS6_NSA_22TransformInputIteratorIbN2at6native12_GLOBAL__N_19NonZeroOpIbEEPKblEENS0_5tupleIJPlS6_EEENSN_IJSD_SD_EEES6_PiJS6_EEE10hipError_tPvRmT3_T4_T5_T6_T7_T9_mT8_P12ihipStream_tbDpT10_ENKUlT_T0_E_clISt17integral_constantIbLb1EES1A_IbLb0EEEEDaS16_S17_EUlS16_E_NS1_11comp_targetILNS1_3genE8ELNS1_11target_archE1030ELNS1_3gpuE2ELNS1_3repE0EEENS1_30default_config_static_selectorELNS0_4arch9wavefront6targetE0EEEvT1_.kd
    .uniform_work_group_size: 1
    .uses_dynamic_stack: false
    .vgpr_count:     0
    .vgpr_spill_count: 0
    .wavefront_size: 32
    .workgroup_processor_mode: 1
  - .args:
      - .offset:         0
        .size:           136
        .value_kind:     by_value
    .group_segment_fixed_size: 0
    .kernarg_segment_align: 8
    .kernarg_segment_size: 136
    .language:       OpenCL C
    .language_version:
      - 2
      - 0
    .max_flat_workgroup_size: 128
    .name:           _ZN7rocprim17ROCPRIM_400000_NS6detail17trampoline_kernelINS0_14default_configENS1_25partition_config_selectorILNS1_17partition_subalgoE5ElNS0_10empty_typeEbEEZZNS1_14partition_implILS5_5ELb0ES3_mN6hipcub16HIPCUB_304000_NS21CountingInputIteratorIllEEPS6_NSA_22TransformInputIteratorIbN2at6native12_GLOBAL__N_19NonZeroOpIbEEPKblEENS0_5tupleIJPlS6_EEENSN_IJSD_SD_EEES6_PiJS6_EEE10hipError_tPvRmT3_T4_T5_T6_T7_T9_mT8_P12ihipStream_tbDpT10_ENKUlT_T0_E_clISt17integral_constantIbLb0EES1A_IbLb1EEEEDaS16_S17_EUlS16_E_NS1_11comp_targetILNS1_3genE0ELNS1_11target_archE4294967295ELNS1_3gpuE0ELNS1_3repE0EEENS1_30default_config_static_selectorELNS0_4arch9wavefront6targetE0EEEvT1_
    .private_segment_fixed_size: 0
    .sgpr_count:     0
    .sgpr_spill_count: 0
    .symbol:         _ZN7rocprim17ROCPRIM_400000_NS6detail17trampoline_kernelINS0_14default_configENS1_25partition_config_selectorILNS1_17partition_subalgoE5ElNS0_10empty_typeEbEEZZNS1_14partition_implILS5_5ELb0ES3_mN6hipcub16HIPCUB_304000_NS21CountingInputIteratorIllEEPS6_NSA_22TransformInputIteratorIbN2at6native12_GLOBAL__N_19NonZeroOpIbEEPKblEENS0_5tupleIJPlS6_EEENSN_IJSD_SD_EEES6_PiJS6_EEE10hipError_tPvRmT3_T4_T5_T6_T7_T9_mT8_P12ihipStream_tbDpT10_ENKUlT_T0_E_clISt17integral_constantIbLb0EES1A_IbLb1EEEEDaS16_S17_EUlS16_E_NS1_11comp_targetILNS1_3genE0ELNS1_11target_archE4294967295ELNS1_3gpuE0ELNS1_3repE0EEENS1_30default_config_static_selectorELNS0_4arch9wavefront6targetE0EEEvT1_.kd
    .uniform_work_group_size: 1
    .uses_dynamic_stack: false
    .vgpr_count:     0
    .vgpr_spill_count: 0
    .wavefront_size: 32
    .workgroup_processor_mode: 1
  - .args:
      - .offset:         0
        .size:           136
        .value_kind:     by_value
    .group_segment_fixed_size: 0
    .kernarg_segment_align: 8
    .kernarg_segment_size: 136
    .language:       OpenCL C
    .language_version:
      - 2
      - 0
    .max_flat_workgroup_size: 512
    .name:           _ZN7rocprim17ROCPRIM_400000_NS6detail17trampoline_kernelINS0_14default_configENS1_25partition_config_selectorILNS1_17partition_subalgoE5ElNS0_10empty_typeEbEEZZNS1_14partition_implILS5_5ELb0ES3_mN6hipcub16HIPCUB_304000_NS21CountingInputIteratorIllEEPS6_NSA_22TransformInputIteratorIbN2at6native12_GLOBAL__N_19NonZeroOpIbEEPKblEENS0_5tupleIJPlS6_EEENSN_IJSD_SD_EEES6_PiJS6_EEE10hipError_tPvRmT3_T4_T5_T6_T7_T9_mT8_P12ihipStream_tbDpT10_ENKUlT_T0_E_clISt17integral_constantIbLb0EES1A_IbLb1EEEEDaS16_S17_EUlS16_E_NS1_11comp_targetILNS1_3genE5ELNS1_11target_archE942ELNS1_3gpuE9ELNS1_3repE0EEENS1_30default_config_static_selectorELNS0_4arch9wavefront6targetE0EEEvT1_
    .private_segment_fixed_size: 0
    .sgpr_count:     0
    .sgpr_spill_count: 0
    .symbol:         _ZN7rocprim17ROCPRIM_400000_NS6detail17trampoline_kernelINS0_14default_configENS1_25partition_config_selectorILNS1_17partition_subalgoE5ElNS0_10empty_typeEbEEZZNS1_14partition_implILS5_5ELb0ES3_mN6hipcub16HIPCUB_304000_NS21CountingInputIteratorIllEEPS6_NSA_22TransformInputIteratorIbN2at6native12_GLOBAL__N_19NonZeroOpIbEEPKblEENS0_5tupleIJPlS6_EEENSN_IJSD_SD_EEES6_PiJS6_EEE10hipError_tPvRmT3_T4_T5_T6_T7_T9_mT8_P12ihipStream_tbDpT10_ENKUlT_T0_E_clISt17integral_constantIbLb0EES1A_IbLb1EEEEDaS16_S17_EUlS16_E_NS1_11comp_targetILNS1_3genE5ELNS1_11target_archE942ELNS1_3gpuE9ELNS1_3repE0EEENS1_30default_config_static_selectorELNS0_4arch9wavefront6targetE0EEEvT1_.kd
    .uniform_work_group_size: 1
    .uses_dynamic_stack: false
    .vgpr_count:     0
    .vgpr_spill_count: 0
    .wavefront_size: 32
    .workgroup_processor_mode: 1
  - .args:
      - .offset:         0
        .size:           136
        .value_kind:     by_value
    .group_segment_fixed_size: 0
    .kernarg_segment_align: 8
    .kernarg_segment_size: 136
    .language:       OpenCL C
    .language_version:
      - 2
      - 0
    .max_flat_workgroup_size: 192
    .name:           _ZN7rocprim17ROCPRIM_400000_NS6detail17trampoline_kernelINS0_14default_configENS1_25partition_config_selectorILNS1_17partition_subalgoE5ElNS0_10empty_typeEbEEZZNS1_14partition_implILS5_5ELb0ES3_mN6hipcub16HIPCUB_304000_NS21CountingInputIteratorIllEEPS6_NSA_22TransformInputIteratorIbN2at6native12_GLOBAL__N_19NonZeroOpIbEEPKblEENS0_5tupleIJPlS6_EEENSN_IJSD_SD_EEES6_PiJS6_EEE10hipError_tPvRmT3_T4_T5_T6_T7_T9_mT8_P12ihipStream_tbDpT10_ENKUlT_T0_E_clISt17integral_constantIbLb0EES1A_IbLb1EEEEDaS16_S17_EUlS16_E_NS1_11comp_targetILNS1_3genE4ELNS1_11target_archE910ELNS1_3gpuE8ELNS1_3repE0EEENS1_30default_config_static_selectorELNS0_4arch9wavefront6targetE0EEEvT1_
    .private_segment_fixed_size: 0
    .sgpr_count:     0
    .sgpr_spill_count: 0
    .symbol:         _ZN7rocprim17ROCPRIM_400000_NS6detail17trampoline_kernelINS0_14default_configENS1_25partition_config_selectorILNS1_17partition_subalgoE5ElNS0_10empty_typeEbEEZZNS1_14partition_implILS5_5ELb0ES3_mN6hipcub16HIPCUB_304000_NS21CountingInputIteratorIllEEPS6_NSA_22TransformInputIteratorIbN2at6native12_GLOBAL__N_19NonZeroOpIbEEPKblEENS0_5tupleIJPlS6_EEENSN_IJSD_SD_EEES6_PiJS6_EEE10hipError_tPvRmT3_T4_T5_T6_T7_T9_mT8_P12ihipStream_tbDpT10_ENKUlT_T0_E_clISt17integral_constantIbLb0EES1A_IbLb1EEEEDaS16_S17_EUlS16_E_NS1_11comp_targetILNS1_3genE4ELNS1_11target_archE910ELNS1_3gpuE8ELNS1_3repE0EEENS1_30default_config_static_selectorELNS0_4arch9wavefront6targetE0EEEvT1_.kd
    .uniform_work_group_size: 1
    .uses_dynamic_stack: false
    .vgpr_count:     0
    .vgpr_spill_count: 0
    .wavefront_size: 32
    .workgroup_processor_mode: 1
  - .args:
      - .offset:         0
        .size:           136
        .value_kind:     by_value
    .group_segment_fixed_size: 0
    .kernarg_segment_align: 8
    .kernarg_segment_size: 136
    .language:       OpenCL C
    .language_version:
      - 2
      - 0
    .max_flat_workgroup_size: 128
    .name:           _ZN7rocprim17ROCPRIM_400000_NS6detail17trampoline_kernelINS0_14default_configENS1_25partition_config_selectorILNS1_17partition_subalgoE5ElNS0_10empty_typeEbEEZZNS1_14partition_implILS5_5ELb0ES3_mN6hipcub16HIPCUB_304000_NS21CountingInputIteratorIllEEPS6_NSA_22TransformInputIteratorIbN2at6native12_GLOBAL__N_19NonZeroOpIbEEPKblEENS0_5tupleIJPlS6_EEENSN_IJSD_SD_EEES6_PiJS6_EEE10hipError_tPvRmT3_T4_T5_T6_T7_T9_mT8_P12ihipStream_tbDpT10_ENKUlT_T0_E_clISt17integral_constantIbLb0EES1A_IbLb1EEEEDaS16_S17_EUlS16_E_NS1_11comp_targetILNS1_3genE3ELNS1_11target_archE908ELNS1_3gpuE7ELNS1_3repE0EEENS1_30default_config_static_selectorELNS0_4arch9wavefront6targetE0EEEvT1_
    .private_segment_fixed_size: 0
    .sgpr_count:     0
    .sgpr_spill_count: 0
    .symbol:         _ZN7rocprim17ROCPRIM_400000_NS6detail17trampoline_kernelINS0_14default_configENS1_25partition_config_selectorILNS1_17partition_subalgoE5ElNS0_10empty_typeEbEEZZNS1_14partition_implILS5_5ELb0ES3_mN6hipcub16HIPCUB_304000_NS21CountingInputIteratorIllEEPS6_NSA_22TransformInputIteratorIbN2at6native12_GLOBAL__N_19NonZeroOpIbEEPKblEENS0_5tupleIJPlS6_EEENSN_IJSD_SD_EEES6_PiJS6_EEE10hipError_tPvRmT3_T4_T5_T6_T7_T9_mT8_P12ihipStream_tbDpT10_ENKUlT_T0_E_clISt17integral_constantIbLb0EES1A_IbLb1EEEEDaS16_S17_EUlS16_E_NS1_11comp_targetILNS1_3genE3ELNS1_11target_archE908ELNS1_3gpuE7ELNS1_3repE0EEENS1_30default_config_static_selectorELNS0_4arch9wavefront6targetE0EEEvT1_.kd
    .uniform_work_group_size: 1
    .uses_dynamic_stack: false
    .vgpr_count:     0
    .vgpr_spill_count: 0
    .wavefront_size: 32
    .workgroup_processor_mode: 1
  - .args:
      - .offset:         0
        .size:           136
        .value_kind:     by_value
    .group_segment_fixed_size: 0
    .kernarg_segment_align: 8
    .kernarg_segment_size: 136
    .language:       OpenCL C
    .language_version:
      - 2
      - 0
    .max_flat_workgroup_size: 256
    .name:           _ZN7rocprim17ROCPRIM_400000_NS6detail17trampoline_kernelINS0_14default_configENS1_25partition_config_selectorILNS1_17partition_subalgoE5ElNS0_10empty_typeEbEEZZNS1_14partition_implILS5_5ELb0ES3_mN6hipcub16HIPCUB_304000_NS21CountingInputIteratorIllEEPS6_NSA_22TransformInputIteratorIbN2at6native12_GLOBAL__N_19NonZeroOpIbEEPKblEENS0_5tupleIJPlS6_EEENSN_IJSD_SD_EEES6_PiJS6_EEE10hipError_tPvRmT3_T4_T5_T6_T7_T9_mT8_P12ihipStream_tbDpT10_ENKUlT_T0_E_clISt17integral_constantIbLb0EES1A_IbLb1EEEEDaS16_S17_EUlS16_E_NS1_11comp_targetILNS1_3genE2ELNS1_11target_archE906ELNS1_3gpuE6ELNS1_3repE0EEENS1_30default_config_static_selectorELNS0_4arch9wavefront6targetE0EEEvT1_
    .private_segment_fixed_size: 0
    .sgpr_count:     0
    .sgpr_spill_count: 0
    .symbol:         _ZN7rocprim17ROCPRIM_400000_NS6detail17trampoline_kernelINS0_14default_configENS1_25partition_config_selectorILNS1_17partition_subalgoE5ElNS0_10empty_typeEbEEZZNS1_14partition_implILS5_5ELb0ES3_mN6hipcub16HIPCUB_304000_NS21CountingInputIteratorIllEEPS6_NSA_22TransformInputIteratorIbN2at6native12_GLOBAL__N_19NonZeroOpIbEEPKblEENS0_5tupleIJPlS6_EEENSN_IJSD_SD_EEES6_PiJS6_EEE10hipError_tPvRmT3_T4_T5_T6_T7_T9_mT8_P12ihipStream_tbDpT10_ENKUlT_T0_E_clISt17integral_constantIbLb0EES1A_IbLb1EEEEDaS16_S17_EUlS16_E_NS1_11comp_targetILNS1_3genE2ELNS1_11target_archE906ELNS1_3gpuE6ELNS1_3repE0EEENS1_30default_config_static_selectorELNS0_4arch9wavefront6targetE0EEEvT1_.kd
    .uniform_work_group_size: 1
    .uses_dynamic_stack: false
    .vgpr_count:     0
    .vgpr_spill_count: 0
    .wavefront_size: 32
    .workgroup_processor_mode: 1
  - .args:
      - .offset:         0
        .size:           136
        .value_kind:     by_value
    .group_segment_fixed_size: 8464
    .kernarg_segment_align: 8
    .kernarg_segment_size: 136
    .language:       OpenCL C
    .language_version:
      - 2
      - 0
    .max_flat_workgroup_size: 256
    .name:           _ZN7rocprim17ROCPRIM_400000_NS6detail17trampoline_kernelINS0_14default_configENS1_25partition_config_selectorILNS1_17partition_subalgoE5ElNS0_10empty_typeEbEEZZNS1_14partition_implILS5_5ELb0ES3_mN6hipcub16HIPCUB_304000_NS21CountingInputIteratorIllEEPS6_NSA_22TransformInputIteratorIbN2at6native12_GLOBAL__N_19NonZeroOpIbEEPKblEENS0_5tupleIJPlS6_EEENSN_IJSD_SD_EEES6_PiJS6_EEE10hipError_tPvRmT3_T4_T5_T6_T7_T9_mT8_P12ihipStream_tbDpT10_ENKUlT_T0_E_clISt17integral_constantIbLb0EES1A_IbLb1EEEEDaS16_S17_EUlS16_E_NS1_11comp_targetILNS1_3genE10ELNS1_11target_archE1200ELNS1_3gpuE4ELNS1_3repE0EEENS1_30default_config_static_selectorELNS0_4arch9wavefront6targetE0EEEvT1_
    .private_segment_fixed_size: 0
    .sgpr_count:     26
    .sgpr_spill_count: 0
    .symbol:         _ZN7rocprim17ROCPRIM_400000_NS6detail17trampoline_kernelINS0_14default_configENS1_25partition_config_selectorILNS1_17partition_subalgoE5ElNS0_10empty_typeEbEEZZNS1_14partition_implILS5_5ELb0ES3_mN6hipcub16HIPCUB_304000_NS21CountingInputIteratorIllEEPS6_NSA_22TransformInputIteratorIbN2at6native12_GLOBAL__N_19NonZeroOpIbEEPKblEENS0_5tupleIJPlS6_EEENSN_IJSD_SD_EEES6_PiJS6_EEE10hipError_tPvRmT3_T4_T5_T6_T7_T9_mT8_P12ihipStream_tbDpT10_ENKUlT_T0_E_clISt17integral_constantIbLb0EES1A_IbLb1EEEEDaS16_S17_EUlS16_E_NS1_11comp_targetILNS1_3genE10ELNS1_11target_archE1200ELNS1_3gpuE4ELNS1_3repE0EEENS1_30default_config_static_selectorELNS0_4arch9wavefront6targetE0EEEvT1_.kd
    .uniform_work_group_size: 1
    .uses_dynamic_stack: false
    .vgpr_count:     48
    .vgpr_spill_count: 0
    .wavefront_size: 32
    .workgroup_processor_mode: 1
  - .args:
      - .offset:         0
        .size:           136
        .value_kind:     by_value
    .group_segment_fixed_size: 0
    .kernarg_segment_align: 8
    .kernarg_segment_size: 136
    .language:       OpenCL C
    .language_version:
      - 2
      - 0
    .max_flat_workgroup_size: 128
    .name:           _ZN7rocprim17ROCPRIM_400000_NS6detail17trampoline_kernelINS0_14default_configENS1_25partition_config_selectorILNS1_17partition_subalgoE5ElNS0_10empty_typeEbEEZZNS1_14partition_implILS5_5ELb0ES3_mN6hipcub16HIPCUB_304000_NS21CountingInputIteratorIllEEPS6_NSA_22TransformInputIteratorIbN2at6native12_GLOBAL__N_19NonZeroOpIbEEPKblEENS0_5tupleIJPlS6_EEENSN_IJSD_SD_EEES6_PiJS6_EEE10hipError_tPvRmT3_T4_T5_T6_T7_T9_mT8_P12ihipStream_tbDpT10_ENKUlT_T0_E_clISt17integral_constantIbLb0EES1A_IbLb1EEEEDaS16_S17_EUlS16_E_NS1_11comp_targetILNS1_3genE9ELNS1_11target_archE1100ELNS1_3gpuE3ELNS1_3repE0EEENS1_30default_config_static_selectorELNS0_4arch9wavefront6targetE0EEEvT1_
    .private_segment_fixed_size: 0
    .sgpr_count:     0
    .sgpr_spill_count: 0
    .symbol:         _ZN7rocprim17ROCPRIM_400000_NS6detail17trampoline_kernelINS0_14default_configENS1_25partition_config_selectorILNS1_17partition_subalgoE5ElNS0_10empty_typeEbEEZZNS1_14partition_implILS5_5ELb0ES3_mN6hipcub16HIPCUB_304000_NS21CountingInputIteratorIllEEPS6_NSA_22TransformInputIteratorIbN2at6native12_GLOBAL__N_19NonZeroOpIbEEPKblEENS0_5tupleIJPlS6_EEENSN_IJSD_SD_EEES6_PiJS6_EEE10hipError_tPvRmT3_T4_T5_T6_T7_T9_mT8_P12ihipStream_tbDpT10_ENKUlT_T0_E_clISt17integral_constantIbLb0EES1A_IbLb1EEEEDaS16_S17_EUlS16_E_NS1_11comp_targetILNS1_3genE9ELNS1_11target_archE1100ELNS1_3gpuE3ELNS1_3repE0EEENS1_30default_config_static_selectorELNS0_4arch9wavefront6targetE0EEEvT1_.kd
    .uniform_work_group_size: 1
    .uses_dynamic_stack: false
    .vgpr_count:     0
    .vgpr_spill_count: 0
    .wavefront_size: 32
    .workgroup_processor_mode: 1
  - .args:
      - .offset:         0
        .size:           136
        .value_kind:     by_value
    .group_segment_fixed_size: 0
    .kernarg_segment_align: 8
    .kernarg_segment_size: 136
    .language:       OpenCL C
    .language_version:
      - 2
      - 0
    .max_flat_workgroup_size: 512
    .name:           _ZN7rocprim17ROCPRIM_400000_NS6detail17trampoline_kernelINS0_14default_configENS1_25partition_config_selectorILNS1_17partition_subalgoE5ElNS0_10empty_typeEbEEZZNS1_14partition_implILS5_5ELb0ES3_mN6hipcub16HIPCUB_304000_NS21CountingInputIteratorIllEEPS6_NSA_22TransformInputIteratorIbN2at6native12_GLOBAL__N_19NonZeroOpIbEEPKblEENS0_5tupleIJPlS6_EEENSN_IJSD_SD_EEES6_PiJS6_EEE10hipError_tPvRmT3_T4_T5_T6_T7_T9_mT8_P12ihipStream_tbDpT10_ENKUlT_T0_E_clISt17integral_constantIbLb0EES1A_IbLb1EEEEDaS16_S17_EUlS16_E_NS1_11comp_targetILNS1_3genE8ELNS1_11target_archE1030ELNS1_3gpuE2ELNS1_3repE0EEENS1_30default_config_static_selectorELNS0_4arch9wavefront6targetE0EEEvT1_
    .private_segment_fixed_size: 0
    .sgpr_count:     0
    .sgpr_spill_count: 0
    .symbol:         _ZN7rocprim17ROCPRIM_400000_NS6detail17trampoline_kernelINS0_14default_configENS1_25partition_config_selectorILNS1_17partition_subalgoE5ElNS0_10empty_typeEbEEZZNS1_14partition_implILS5_5ELb0ES3_mN6hipcub16HIPCUB_304000_NS21CountingInputIteratorIllEEPS6_NSA_22TransformInputIteratorIbN2at6native12_GLOBAL__N_19NonZeroOpIbEEPKblEENS0_5tupleIJPlS6_EEENSN_IJSD_SD_EEES6_PiJS6_EEE10hipError_tPvRmT3_T4_T5_T6_T7_T9_mT8_P12ihipStream_tbDpT10_ENKUlT_T0_E_clISt17integral_constantIbLb0EES1A_IbLb1EEEEDaS16_S17_EUlS16_E_NS1_11comp_targetILNS1_3genE8ELNS1_11target_archE1030ELNS1_3gpuE2ELNS1_3repE0EEENS1_30default_config_static_selectorELNS0_4arch9wavefront6targetE0EEEvT1_.kd
    .uniform_work_group_size: 1
    .uses_dynamic_stack: false
    .vgpr_count:     0
    .vgpr_spill_count: 0
    .wavefront_size: 32
    .workgroup_processor_mode: 1
  - .args:
      - .offset:         0
        .size:           56
        .value_kind:     by_value
    .group_segment_fixed_size: 0
    .kernarg_segment_align: 8
    .kernarg_segment_size: 56
    .language:       OpenCL C
    .language_version:
      - 2
      - 0
    .max_flat_workgroup_size: 256
    .name:           _ZN7rocprim17ROCPRIM_400000_NS6detail17trampoline_kernelINS0_14default_configENS1_22reduce_config_selectorIiEEZNS1_11reduce_implILb1ES3_PiS7_iN6hipcub16HIPCUB_304000_NS6detail34convert_binary_result_type_wrapperINS9_3SumENS9_22TransformInputIteratorIbN2at6native12_GLOBAL__N_19NonZeroOpIN3c108BFloat16EEEPKSJ_lEEiEEEE10hipError_tPvRmT1_T2_T3_mT4_P12ihipStream_tbEUlT_E0_NS1_11comp_targetILNS1_3genE0ELNS1_11target_archE4294967295ELNS1_3gpuE0ELNS1_3repE0EEENS1_30default_config_static_selectorELNS0_4arch9wavefront6targetE0EEEvSS_
    .private_segment_fixed_size: 0
    .sgpr_count:     0
    .sgpr_spill_count: 0
    .symbol:         _ZN7rocprim17ROCPRIM_400000_NS6detail17trampoline_kernelINS0_14default_configENS1_22reduce_config_selectorIiEEZNS1_11reduce_implILb1ES3_PiS7_iN6hipcub16HIPCUB_304000_NS6detail34convert_binary_result_type_wrapperINS9_3SumENS9_22TransformInputIteratorIbN2at6native12_GLOBAL__N_19NonZeroOpIN3c108BFloat16EEEPKSJ_lEEiEEEE10hipError_tPvRmT1_T2_T3_mT4_P12ihipStream_tbEUlT_E0_NS1_11comp_targetILNS1_3genE0ELNS1_11target_archE4294967295ELNS1_3gpuE0ELNS1_3repE0EEENS1_30default_config_static_selectorELNS0_4arch9wavefront6targetE0EEEvSS_.kd
    .uniform_work_group_size: 1
    .uses_dynamic_stack: false
    .vgpr_count:     0
    .vgpr_spill_count: 0
    .wavefront_size: 32
    .workgroup_processor_mode: 1
  - .args:
      - .offset:         0
        .size:           56
        .value_kind:     by_value
    .group_segment_fixed_size: 0
    .kernarg_segment_align: 8
    .kernarg_segment_size: 56
    .language:       OpenCL C
    .language_version:
      - 2
      - 0
    .max_flat_workgroup_size: 256
    .name:           _ZN7rocprim17ROCPRIM_400000_NS6detail17trampoline_kernelINS0_14default_configENS1_22reduce_config_selectorIiEEZNS1_11reduce_implILb1ES3_PiS7_iN6hipcub16HIPCUB_304000_NS6detail34convert_binary_result_type_wrapperINS9_3SumENS9_22TransformInputIteratorIbN2at6native12_GLOBAL__N_19NonZeroOpIN3c108BFloat16EEEPKSJ_lEEiEEEE10hipError_tPvRmT1_T2_T3_mT4_P12ihipStream_tbEUlT_E0_NS1_11comp_targetILNS1_3genE5ELNS1_11target_archE942ELNS1_3gpuE9ELNS1_3repE0EEENS1_30default_config_static_selectorELNS0_4arch9wavefront6targetE0EEEvSS_
    .private_segment_fixed_size: 0
    .sgpr_count:     0
    .sgpr_spill_count: 0
    .symbol:         _ZN7rocprim17ROCPRIM_400000_NS6detail17trampoline_kernelINS0_14default_configENS1_22reduce_config_selectorIiEEZNS1_11reduce_implILb1ES3_PiS7_iN6hipcub16HIPCUB_304000_NS6detail34convert_binary_result_type_wrapperINS9_3SumENS9_22TransformInputIteratorIbN2at6native12_GLOBAL__N_19NonZeroOpIN3c108BFloat16EEEPKSJ_lEEiEEEE10hipError_tPvRmT1_T2_T3_mT4_P12ihipStream_tbEUlT_E0_NS1_11comp_targetILNS1_3genE5ELNS1_11target_archE942ELNS1_3gpuE9ELNS1_3repE0EEENS1_30default_config_static_selectorELNS0_4arch9wavefront6targetE0EEEvSS_.kd
    .uniform_work_group_size: 1
    .uses_dynamic_stack: false
    .vgpr_count:     0
    .vgpr_spill_count: 0
    .wavefront_size: 32
    .workgroup_processor_mode: 1
  - .args:
      - .offset:         0
        .size:           56
        .value_kind:     by_value
    .group_segment_fixed_size: 0
    .kernarg_segment_align: 8
    .kernarg_segment_size: 56
    .language:       OpenCL C
    .language_version:
      - 2
      - 0
    .max_flat_workgroup_size: 128
    .name:           _ZN7rocprim17ROCPRIM_400000_NS6detail17trampoline_kernelINS0_14default_configENS1_22reduce_config_selectorIiEEZNS1_11reduce_implILb1ES3_PiS7_iN6hipcub16HIPCUB_304000_NS6detail34convert_binary_result_type_wrapperINS9_3SumENS9_22TransformInputIteratorIbN2at6native12_GLOBAL__N_19NonZeroOpIN3c108BFloat16EEEPKSJ_lEEiEEEE10hipError_tPvRmT1_T2_T3_mT4_P12ihipStream_tbEUlT_E0_NS1_11comp_targetILNS1_3genE4ELNS1_11target_archE910ELNS1_3gpuE8ELNS1_3repE0EEENS1_30default_config_static_selectorELNS0_4arch9wavefront6targetE0EEEvSS_
    .private_segment_fixed_size: 0
    .sgpr_count:     0
    .sgpr_spill_count: 0
    .symbol:         _ZN7rocprim17ROCPRIM_400000_NS6detail17trampoline_kernelINS0_14default_configENS1_22reduce_config_selectorIiEEZNS1_11reduce_implILb1ES3_PiS7_iN6hipcub16HIPCUB_304000_NS6detail34convert_binary_result_type_wrapperINS9_3SumENS9_22TransformInputIteratorIbN2at6native12_GLOBAL__N_19NonZeroOpIN3c108BFloat16EEEPKSJ_lEEiEEEE10hipError_tPvRmT1_T2_T3_mT4_P12ihipStream_tbEUlT_E0_NS1_11comp_targetILNS1_3genE4ELNS1_11target_archE910ELNS1_3gpuE8ELNS1_3repE0EEENS1_30default_config_static_selectorELNS0_4arch9wavefront6targetE0EEEvSS_.kd
    .uniform_work_group_size: 1
    .uses_dynamic_stack: false
    .vgpr_count:     0
    .vgpr_spill_count: 0
    .wavefront_size: 32
    .workgroup_processor_mode: 1
  - .args:
      - .offset:         0
        .size:           56
        .value_kind:     by_value
    .group_segment_fixed_size: 0
    .kernarg_segment_align: 8
    .kernarg_segment_size: 56
    .language:       OpenCL C
    .language_version:
      - 2
      - 0
    .max_flat_workgroup_size: 256
    .name:           _ZN7rocprim17ROCPRIM_400000_NS6detail17trampoline_kernelINS0_14default_configENS1_22reduce_config_selectorIiEEZNS1_11reduce_implILb1ES3_PiS7_iN6hipcub16HIPCUB_304000_NS6detail34convert_binary_result_type_wrapperINS9_3SumENS9_22TransformInputIteratorIbN2at6native12_GLOBAL__N_19NonZeroOpIN3c108BFloat16EEEPKSJ_lEEiEEEE10hipError_tPvRmT1_T2_T3_mT4_P12ihipStream_tbEUlT_E0_NS1_11comp_targetILNS1_3genE3ELNS1_11target_archE908ELNS1_3gpuE7ELNS1_3repE0EEENS1_30default_config_static_selectorELNS0_4arch9wavefront6targetE0EEEvSS_
    .private_segment_fixed_size: 0
    .sgpr_count:     0
    .sgpr_spill_count: 0
    .symbol:         _ZN7rocprim17ROCPRIM_400000_NS6detail17trampoline_kernelINS0_14default_configENS1_22reduce_config_selectorIiEEZNS1_11reduce_implILb1ES3_PiS7_iN6hipcub16HIPCUB_304000_NS6detail34convert_binary_result_type_wrapperINS9_3SumENS9_22TransformInputIteratorIbN2at6native12_GLOBAL__N_19NonZeroOpIN3c108BFloat16EEEPKSJ_lEEiEEEE10hipError_tPvRmT1_T2_T3_mT4_P12ihipStream_tbEUlT_E0_NS1_11comp_targetILNS1_3genE3ELNS1_11target_archE908ELNS1_3gpuE7ELNS1_3repE0EEENS1_30default_config_static_selectorELNS0_4arch9wavefront6targetE0EEEvSS_.kd
    .uniform_work_group_size: 1
    .uses_dynamic_stack: false
    .vgpr_count:     0
    .vgpr_spill_count: 0
    .wavefront_size: 32
    .workgroup_processor_mode: 1
  - .args:
      - .offset:         0
        .size:           56
        .value_kind:     by_value
    .group_segment_fixed_size: 0
    .kernarg_segment_align: 8
    .kernarg_segment_size: 56
    .language:       OpenCL C
    .language_version:
      - 2
      - 0
    .max_flat_workgroup_size: 256
    .name:           _ZN7rocprim17ROCPRIM_400000_NS6detail17trampoline_kernelINS0_14default_configENS1_22reduce_config_selectorIiEEZNS1_11reduce_implILb1ES3_PiS7_iN6hipcub16HIPCUB_304000_NS6detail34convert_binary_result_type_wrapperINS9_3SumENS9_22TransformInputIteratorIbN2at6native12_GLOBAL__N_19NonZeroOpIN3c108BFloat16EEEPKSJ_lEEiEEEE10hipError_tPvRmT1_T2_T3_mT4_P12ihipStream_tbEUlT_E0_NS1_11comp_targetILNS1_3genE2ELNS1_11target_archE906ELNS1_3gpuE6ELNS1_3repE0EEENS1_30default_config_static_selectorELNS0_4arch9wavefront6targetE0EEEvSS_
    .private_segment_fixed_size: 0
    .sgpr_count:     0
    .sgpr_spill_count: 0
    .symbol:         _ZN7rocprim17ROCPRIM_400000_NS6detail17trampoline_kernelINS0_14default_configENS1_22reduce_config_selectorIiEEZNS1_11reduce_implILb1ES3_PiS7_iN6hipcub16HIPCUB_304000_NS6detail34convert_binary_result_type_wrapperINS9_3SumENS9_22TransformInputIteratorIbN2at6native12_GLOBAL__N_19NonZeroOpIN3c108BFloat16EEEPKSJ_lEEiEEEE10hipError_tPvRmT1_T2_T3_mT4_P12ihipStream_tbEUlT_E0_NS1_11comp_targetILNS1_3genE2ELNS1_11target_archE906ELNS1_3gpuE6ELNS1_3repE0EEENS1_30default_config_static_selectorELNS0_4arch9wavefront6targetE0EEEvSS_.kd
    .uniform_work_group_size: 1
    .uses_dynamic_stack: false
    .vgpr_count:     0
    .vgpr_spill_count: 0
    .wavefront_size: 32
    .workgroup_processor_mode: 1
  - .args:
      - .offset:         0
        .size:           56
        .value_kind:     by_value
    .group_segment_fixed_size: 64
    .kernarg_segment_align: 8
    .kernarg_segment_size: 56
    .language:       OpenCL C
    .language_version:
      - 2
      - 0
    .max_flat_workgroup_size: 256
    .name:           _ZN7rocprim17ROCPRIM_400000_NS6detail17trampoline_kernelINS0_14default_configENS1_22reduce_config_selectorIiEEZNS1_11reduce_implILb1ES3_PiS7_iN6hipcub16HIPCUB_304000_NS6detail34convert_binary_result_type_wrapperINS9_3SumENS9_22TransformInputIteratorIbN2at6native12_GLOBAL__N_19NonZeroOpIN3c108BFloat16EEEPKSJ_lEEiEEEE10hipError_tPvRmT1_T2_T3_mT4_P12ihipStream_tbEUlT_E0_NS1_11comp_targetILNS1_3genE10ELNS1_11target_archE1201ELNS1_3gpuE5ELNS1_3repE0EEENS1_30default_config_static_selectorELNS0_4arch9wavefront6targetE0EEEvSS_
    .private_segment_fixed_size: 0
    .sgpr_count:     32
    .sgpr_spill_count: 0
    .symbol:         _ZN7rocprim17ROCPRIM_400000_NS6detail17trampoline_kernelINS0_14default_configENS1_22reduce_config_selectorIiEEZNS1_11reduce_implILb1ES3_PiS7_iN6hipcub16HIPCUB_304000_NS6detail34convert_binary_result_type_wrapperINS9_3SumENS9_22TransformInputIteratorIbN2at6native12_GLOBAL__N_19NonZeroOpIN3c108BFloat16EEEPKSJ_lEEiEEEE10hipError_tPvRmT1_T2_T3_mT4_P12ihipStream_tbEUlT_E0_NS1_11comp_targetILNS1_3genE10ELNS1_11target_archE1201ELNS1_3gpuE5ELNS1_3repE0EEENS1_30default_config_static_selectorELNS0_4arch9wavefront6targetE0EEEvSS_.kd
    .uniform_work_group_size: 1
    .uses_dynamic_stack: false
    .vgpr_count:     20
    .vgpr_spill_count: 0
    .wavefront_size: 32
    .workgroup_processor_mode: 1
  - .args:
      - .offset:         0
        .size:           56
        .value_kind:     by_value
    .group_segment_fixed_size: 0
    .kernarg_segment_align: 8
    .kernarg_segment_size: 56
    .language:       OpenCL C
    .language_version:
      - 2
      - 0
    .max_flat_workgroup_size: 256
    .name:           _ZN7rocprim17ROCPRIM_400000_NS6detail17trampoline_kernelINS0_14default_configENS1_22reduce_config_selectorIiEEZNS1_11reduce_implILb1ES3_PiS7_iN6hipcub16HIPCUB_304000_NS6detail34convert_binary_result_type_wrapperINS9_3SumENS9_22TransformInputIteratorIbN2at6native12_GLOBAL__N_19NonZeroOpIN3c108BFloat16EEEPKSJ_lEEiEEEE10hipError_tPvRmT1_T2_T3_mT4_P12ihipStream_tbEUlT_E0_NS1_11comp_targetILNS1_3genE10ELNS1_11target_archE1200ELNS1_3gpuE4ELNS1_3repE0EEENS1_30default_config_static_selectorELNS0_4arch9wavefront6targetE0EEEvSS_
    .private_segment_fixed_size: 0
    .sgpr_count:     0
    .sgpr_spill_count: 0
    .symbol:         _ZN7rocprim17ROCPRIM_400000_NS6detail17trampoline_kernelINS0_14default_configENS1_22reduce_config_selectorIiEEZNS1_11reduce_implILb1ES3_PiS7_iN6hipcub16HIPCUB_304000_NS6detail34convert_binary_result_type_wrapperINS9_3SumENS9_22TransformInputIteratorIbN2at6native12_GLOBAL__N_19NonZeroOpIN3c108BFloat16EEEPKSJ_lEEiEEEE10hipError_tPvRmT1_T2_T3_mT4_P12ihipStream_tbEUlT_E0_NS1_11comp_targetILNS1_3genE10ELNS1_11target_archE1200ELNS1_3gpuE4ELNS1_3repE0EEENS1_30default_config_static_selectorELNS0_4arch9wavefront6targetE0EEEvSS_.kd
    .uniform_work_group_size: 1
    .uses_dynamic_stack: false
    .vgpr_count:     0
    .vgpr_spill_count: 0
    .wavefront_size: 32
    .workgroup_processor_mode: 1
  - .args:
      - .offset:         0
        .size:           56
        .value_kind:     by_value
    .group_segment_fixed_size: 0
    .kernarg_segment_align: 8
    .kernarg_segment_size: 56
    .language:       OpenCL C
    .language_version:
      - 2
      - 0
    .max_flat_workgroup_size: 256
    .name:           _ZN7rocprim17ROCPRIM_400000_NS6detail17trampoline_kernelINS0_14default_configENS1_22reduce_config_selectorIiEEZNS1_11reduce_implILb1ES3_PiS7_iN6hipcub16HIPCUB_304000_NS6detail34convert_binary_result_type_wrapperINS9_3SumENS9_22TransformInputIteratorIbN2at6native12_GLOBAL__N_19NonZeroOpIN3c108BFloat16EEEPKSJ_lEEiEEEE10hipError_tPvRmT1_T2_T3_mT4_P12ihipStream_tbEUlT_E0_NS1_11comp_targetILNS1_3genE9ELNS1_11target_archE1100ELNS1_3gpuE3ELNS1_3repE0EEENS1_30default_config_static_selectorELNS0_4arch9wavefront6targetE0EEEvSS_
    .private_segment_fixed_size: 0
    .sgpr_count:     0
    .sgpr_spill_count: 0
    .symbol:         _ZN7rocprim17ROCPRIM_400000_NS6detail17trampoline_kernelINS0_14default_configENS1_22reduce_config_selectorIiEEZNS1_11reduce_implILb1ES3_PiS7_iN6hipcub16HIPCUB_304000_NS6detail34convert_binary_result_type_wrapperINS9_3SumENS9_22TransformInputIteratorIbN2at6native12_GLOBAL__N_19NonZeroOpIN3c108BFloat16EEEPKSJ_lEEiEEEE10hipError_tPvRmT1_T2_T3_mT4_P12ihipStream_tbEUlT_E0_NS1_11comp_targetILNS1_3genE9ELNS1_11target_archE1100ELNS1_3gpuE3ELNS1_3repE0EEENS1_30default_config_static_selectorELNS0_4arch9wavefront6targetE0EEEvSS_.kd
    .uniform_work_group_size: 1
    .uses_dynamic_stack: false
    .vgpr_count:     0
    .vgpr_spill_count: 0
    .wavefront_size: 32
    .workgroup_processor_mode: 1
  - .args:
      - .offset:         0
        .size:           56
        .value_kind:     by_value
    .group_segment_fixed_size: 0
    .kernarg_segment_align: 8
    .kernarg_segment_size: 56
    .language:       OpenCL C
    .language_version:
      - 2
      - 0
    .max_flat_workgroup_size: 256
    .name:           _ZN7rocprim17ROCPRIM_400000_NS6detail17trampoline_kernelINS0_14default_configENS1_22reduce_config_selectorIiEEZNS1_11reduce_implILb1ES3_PiS7_iN6hipcub16HIPCUB_304000_NS6detail34convert_binary_result_type_wrapperINS9_3SumENS9_22TransformInputIteratorIbN2at6native12_GLOBAL__N_19NonZeroOpIN3c108BFloat16EEEPKSJ_lEEiEEEE10hipError_tPvRmT1_T2_T3_mT4_P12ihipStream_tbEUlT_E0_NS1_11comp_targetILNS1_3genE8ELNS1_11target_archE1030ELNS1_3gpuE2ELNS1_3repE0EEENS1_30default_config_static_selectorELNS0_4arch9wavefront6targetE0EEEvSS_
    .private_segment_fixed_size: 0
    .sgpr_count:     0
    .sgpr_spill_count: 0
    .symbol:         _ZN7rocprim17ROCPRIM_400000_NS6detail17trampoline_kernelINS0_14default_configENS1_22reduce_config_selectorIiEEZNS1_11reduce_implILb1ES3_PiS7_iN6hipcub16HIPCUB_304000_NS6detail34convert_binary_result_type_wrapperINS9_3SumENS9_22TransformInputIteratorIbN2at6native12_GLOBAL__N_19NonZeroOpIN3c108BFloat16EEEPKSJ_lEEiEEEE10hipError_tPvRmT1_T2_T3_mT4_P12ihipStream_tbEUlT_E0_NS1_11comp_targetILNS1_3genE8ELNS1_11target_archE1030ELNS1_3gpuE2ELNS1_3repE0EEENS1_30default_config_static_selectorELNS0_4arch9wavefront6targetE0EEEvSS_.kd
    .uniform_work_group_size: 1
    .uses_dynamic_stack: false
    .vgpr_count:     0
    .vgpr_spill_count: 0
    .wavefront_size: 32
    .workgroup_processor_mode: 1
  - .args:
      - .offset:         0
        .size:           40
        .value_kind:     by_value
    .group_segment_fixed_size: 0
    .kernarg_segment_align: 8
    .kernarg_segment_size: 40
    .language:       OpenCL C
    .language_version:
      - 2
      - 0
    .max_flat_workgroup_size: 256
    .name:           _ZN7rocprim17ROCPRIM_400000_NS6detail17trampoline_kernelINS0_14default_configENS1_22reduce_config_selectorIiEEZNS1_11reduce_implILb1ES3_PiS7_iN6hipcub16HIPCUB_304000_NS6detail34convert_binary_result_type_wrapperINS9_3SumENS9_22TransformInputIteratorIbN2at6native12_GLOBAL__N_19NonZeroOpIN3c108BFloat16EEEPKSJ_lEEiEEEE10hipError_tPvRmT1_T2_T3_mT4_P12ihipStream_tbEUlT_E1_NS1_11comp_targetILNS1_3genE0ELNS1_11target_archE4294967295ELNS1_3gpuE0ELNS1_3repE0EEENS1_30default_config_static_selectorELNS0_4arch9wavefront6targetE0EEEvSS_
    .private_segment_fixed_size: 0
    .sgpr_count:     0
    .sgpr_spill_count: 0
    .symbol:         _ZN7rocprim17ROCPRIM_400000_NS6detail17trampoline_kernelINS0_14default_configENS1_22reduce_config_selectorIiEEZNS1_11reduce_implILb1ES3_PiS7_iN6hipcub16HIPCUB_304000_NS6detail34convert_binary_result_type_wrapperINS9_3SumENS9_22TransformInputIteratorIbN2at6native12_GLOBAL__N_19NonZeroOpIN3c108BFloat16EEEPKSJ_lEEiEEEE10hipError_tPvRmT1_T2_T3_mT4_P12ihipStream_tbEUlT_E1_NS1_11comp_targetILNS1_3genE0ELNS1_11target_archE4294967295ELNS1_3gpuE0ELNS1_3repE0EEENS1_30default_config_static_selectorELNS0_4arch9wavefront6targetE0EEEvSS_.kd
    .uniform_work_group_size: 1
    .uses_dynamic_stack: false
    .vgpr_count:     0
    .vgpr_spill_count: 0
    .wavefront_size: 32
    .workgroup_processor_mode: 1
  - .args:
      - .offset:         0
        .size:           40
        .value_kind:     by_value
    .group_segment_fixed_size: 0
    .kernarg_segment_align: 8
    .kernarg_segment_size: 40
    .language:       OpenCL C
    .language_version:
      - 2
      - 0
    .max_flat_workgroup_size: 256
    .name:           _ZN7rocprim17ROCPRIM_400000_NS6detail17trampoline_kernelINS0_14default_configENS1_22reduce_config_selectorIiEEZNS1_11reduce_implILb1ES3_PiS7_iN6hipcub16HIPCUB_304000_NS6detail34convert_binary_result_type_wrapperINS9_3SumENS9_22TransformInputIteratorIbN2at6native12_GLOBAL__N_19NonZeroOpIN3c108BFloat16EEEPKSJ_lEEiEEEE10hipError_tPvRmT1_T2_T3_mT4_P12ihipStream_tbEUlT_E1_NS1_11comp_targetILNS1_3genE5ELNS1_11target_archE942ELNS1_3gpuE9ELNS1_3repE0EEENS1_30default_config_static_selectorELNS0_4arch9wavefront6targetE0EEEvSS_
    .private_segment_fixed_size: 0
    .sgpr_count:     0
    .sgpr_spill_count: 0
    .symbol:         _ZN7rocprim17ROCPRIM_400000_NS6detail17trampoline_kernelINS0_14default_configENS1_22reduce_config_selectorIiEEZNS1_11reduce_implILb1ES3_PiS7_iN6hipcub16HIPCUB_304000_NS6detail34convert_binary_result_type_wrapperINS9_3SumENS9_22TransformInputIteratorIbN2at6native12_GLOBAL__N_19NonZeroOpIN3c108BFloat16EEEPKSJ_lEEiEEEE10hipError_tPvRmT1_T2_T3_mT4_P12ihipStream_tbEUlT_E1_NS1_11comp_targetILNS1_3genE5ELNS1_11target_archE942ELNS1_3gpuE9ELNS1_3repE0EEENS1_30default_config_static_selectorELNS0_4arch9wavefront6targetE0EEEvSS_.kd
    .uniform_work_group_size: 1
    .uses_dynamic_stack: false
    .vgpr_count:     0
    .vgpr_spill_count: 0
    .wavefront_size: 32
    .workgroup_processor_mode: 1
  - .args:
      - .offset:         0
        .size:           40
        .value_kind:     by_value
    .group_segment_fixed_size: 0
    .kernarg_segment_align: 8
    .kernarg_segment_size: 40
    .language:       OpenCL C
    .language_version:
      - 2
      - 0
    .max_flat_workgroup_size: 128
    .name:           _ZN7rocprim17ROCPRIM_400000_NS6detail17trampoline_kernelINS0_14default_configENS1_22reduce_config_selectorIiEEZNS1_11reduce_implILb1ES3_PiS7_iN6hipcub16HIPCUB_304000_NS6detail34convert_binary_result_type_wrapperINS9_3SumENS9_22TransformInputIteratorIbN2at6native12_GLOBAL__N_19NonZeroOpIN3c108BFloat16EEEPKSJ_lEEiEEEE10hipError_tPvRmT1_T2_T3_mT4_P12ihipStream_tbEUlT_E1_NS1_11comp_targetILNS1_3genE4ELNS1_11target_archE910ELNS1_3gpuE8ELNS1_3repE0EEENS1_30default_config_static_selectorELNS0_4arch9wavefront6targetE0EEEvSS_
    .private_segment_fixed_size: 0
    .sgpr_count:     0
    .sgpr_spill_count: 0
    .symbol:         _ZN7rocprim17ROCPRIM_400000_NS6detail17trampoline_kernelINS0_14default_configENS1_22reduce_config_selectorIiEEZNS1_11reduce_implILb1ES3_PiS7_iN6hipcub16HIPCUB_304000_NS6detail34convert_binary_result_type_wrapperINS9_3SumENS9_22TransformInputIteratorIbN2at6native12_GLOBAL__N_19NonZeroOpIN3c108BFloat16EEEPKSJ_lEEiEEEE10hipError_tPvRmT1_T2_T3_mT4_P12ihipStream_tbEUlT_E1_NS1_11comp_targetILNS1_3genE4ELNS1_11target_archE910ELNS1_3gpuE8ELNS1_3repE0EEENS1_30default_config_static_selectorELNS0_4arch9wavefront6targetE0EEEvSS_.kd
    .uniform_work_group_size: 1
    .uses_dynamic_stack: false
    .vgpr_count:     0
    .vgpr_spill_count: 0
    .wavefront_size: 32
    .workgroup_processor_mode: 1
  - .args:
      - .offset:         0
        .size:           40
        .value_kind:     by_value
    .group_segment_fixed_size: 0
    .kernarg_segment_align: 8
    .kernarg_segment_size: 40
    .language:       OpenCL C
    .language_version:
      - 2
      - 0
    .max_flat_workgroup_size: 256
    .name:           _ZN7rocprim17ROCPRIM_400000_NS6detail17trampoline_kernelINS0_14default_configENS1_22reduce_config_selectorIiEEZNS1_11reduce_implILb1ES3_PiS7_iN6hipcub16HIPCUB_304000_NS6detail34convert_binary_result_type_wrapperINS9_3SumENS9_22TransformInputIteratorIbN2at6native12_GLOBAL__N_19NonZeroOpIN3c108BFloat16EEEPKSJ_lEEiEEEE10hipError_tPvRmT1_T2_T3_mT4_P12ihipStream_tbEUlT_E1_NS1_11comp_targetILNS1_3genE3ELNS1_11target_archE908ELNS1_3gpuE7ELNS1_3repE0EEENS1_30default_config_static_selectorELNS0_4arch9wavefront6targetE0EEEvSS_
    .private_segment_fixed_size: 0
    .sgpr_count:     0
    .sgpr_spill_count: 0
    .symbol:         _ZN7rocprim17ROCPRIM_400000_NS6detail17trampoline_kernelINS0_14default_configENS1_22reduce_config_selectorIiEEZNS1_11reduce_implILb1ES3_PiS7_iN6hipcub16HIPCUB_304000_NS6detail34convert_binary_result_type_wrapperINS9_3SumENS9_22TransformInputIteratorIbN2at6native12_GLOBAL__N_19NonZeroOpIN3c108BFloat16EEEPKSJ_lEEiEEEE10hipError_tPvRmT1_T2_T3_mT4_P12ihipStream_tbEUlT_E1_NS1_11comp_targetILNS1_3genE3ELNS1_11target_archE908ELNS1_3gpuE7ELNS1_3repE0EEENS1_30default_config_static_selectorELNS0_4arch9wavefront6targetE0EEEvSS_.kd
    .uniform_work_group_size: 1
    .uses_dynamic_stack: false
    .vgpr_count:     0
    .vgpr_spill_count: 0
    .wavefront_size: 32
    .workgroup_processor_mode: 1
  - .args:
      - .offset:         0
        .size:           40
        .value_kind:     by_value
    .group_segment_fixed_size: 0
    .kernarg_segment_align: 8
    .kernarg_segment_size: 40
    .language:       OpenCL C
    .language_version:
      - 2
      - 0
    .max_flat_workgroup_size: 256
    .name:           _ZN7rocprim17ROCPRIM_400000_NS6detail17trampoline_kernelINS0_14default_configENS1_22reduce_config_selectorIiEEZNS1_11reduce_implILb1ES3_PiS7_iN6hipcub16HIPCUB_304000_NS6detail34convert_binary_result_type_wrapperINS9_3SumENS9_22TransformInputIteratorIbN2at6native12_GLOBAL__N_19NonZeroOpIN3c108BFloat16EEEPKSJ_lEEiEEEE10hipError_tPvRmT1_T2_T3_mT4_P12ihipStream_tbEUlT_E1_NS1_11comp_targetILNS1_3genE2ELNS1_11target_archE906ELNS1_3gpuE6ELNS1_3repE0EEENS1_30default_config_static_selectorELNS0_4arch9wavefront6targetE0EEEvSS_
    .private_segment_fixed_size: 0
    .sgpr_count:     0
    .sgpr_spill_count: 0
    .symbol:         _ZN7rocprim17ROCPRIM_400000_NS6detail17trampoline_kernelINS0_14default_configENS1_22reduce_config_selectorIiEEZNS1_11reduce_implILb1ES3_PiS7_iN6hipcub16HIPCUB_304000_NS6detail34convert_binary_result_type_wrapperINS9_3SumENS9_22TransformInputIteratorIbN2at6native12_GLOBAL__N_19NonZeroOpIN3c108BFloat16EEEPKSJ_lEEiEEEE10hipError_tPvRmT1_T2_T3_mT4_P12ihipStream_tbEUlT_E1_NS1_11comp_targetILNS1_3genE2ELNS1_11target_archE906ELNS1_3gpuE6ELNS1_3repE0EEENS1_30default_config_static_selectorELNS0_4arch9wavefront6targetE0EEEvSS_.kd
    .uniform_work_group_size: 1
    .uses_dynamic_stack: false
    .vgpr_count:     0
    .vgpr_spill_count: 0
    .wavefront_size: 32
    .workgroup_processor_mode: 1
  - .args:
      - .offset:         0
        .size:           40
        .value_kind:     by_value
    .group_segment_fixed_size: 224
    .kernarg_segment_align: 8
    .kernarg_segment_size: 40
    .language:       OpenCL C
    .language_version:
      - 2
      - 0
    .max_flat_workgroup_size: 256
    .name:           _ZN7rocprim17ROCPRIM_400000_NS6detail17trampoline_kernelINS0_14default_configENS1_22reduce_config_selectorIiEEZNS1_11reduce_implILb1ES3_PiS7_iN6hipcub16HIPCUB_304000_NS6detail34convert_binary_result_type_wrapperINS9_3SumENS9_22TransformInputIteratorIbN2at6native12_GLOBAL__N_19NonZeroOpIN3c108BFloat16EEEPKSJ_lEEiEEEE10hipError_tPvRmT1_T2_T3_mT4_P12ihipStream_tbEUlT_E1_NS1_11comp_targetILNS1_3genE10ELNS1_11target_archE1201ELNS1_3gpuE5ELNS1_3repE0EEENS1_30default_config_static_selectorELNS0_4arch9wavefront6targetE0EEEvSS_
    .private_segment_fixed_size: 0
    .sgpr_count:     47
    .sgpr_spill_count: 0
    .symbol:         _ZN7rocprim17ROCPRIM_400000_NS6detail17trampoline_kernelINS0_14default_configENS1_22reduce_config_selectorIiEEZNS1_11reduce_implILb1ES3_PiS7_iN6hipcub16HIPCUB_304000_NS6detail34convert_binary_result_type_wrapperINS9_3SumENS9_22TransformInputIteratorIbN2at6native12_GLOBAL__N_19NonZeroOpIN3c108BFloat16EEEPKSJ_lEEiEEEE10hipError_tPvRmT1_T2_T3_mT4_P12ihipStream_tbEUlT_E1_NS1_11comp_targetILNS1_3genE10ELNS1_11target_archE1201ELNS1_3gpuE5ELNS1_3repE0EEENS1_30default_config_static_selectorELNS0_4arch9wavefront6targetE0EEEvSS_.kd
    .uniform_work_group_size: 1
    .uses_dynamic_stack: false
    .vgpr_count:     34
    .vgpr_spill_count: 0
    .wavefront_size: 32
    .workgroup_processor_mode: 1
  - .args:
      - .offset:         0
        .size:           40
        .value_kind:     by_value
    .group_segment_fixed_size: 0
    .kernarg_segment_align: 8
    .kernarg_segment_size: 40
    .language:       OpenCL C
    .language_version:
      - 2
      - 0
    .max_flat_workgroup_size: 256
    .name:           _ZN7rocprim17ROCPRIM_400000_NS6detail17trampoline_kernelINS0_14default_configENS1_22reduce_config_selectorIiEEZNS1_11reduce_implILb1ES3_PiS7_iN6hipcub16HIPCUB_304000_NS6detail34convert_binary_result_type_wrapperINS9_3SumENS9_22TransformInputIteratorIbN2at6native12_GLOBAL__N_19NonZeroOpIN3c108BFloat16EEEPKSJ_lEEiEEEE10hipError_tPvRmT1_T2_T3_mT4_P12ihipStream_tbEUlT_E1_NS1_11comp_targetILNS1_3genE10ELNS1_11target_archE1200ELNS1_3gpuE4ELNS1_3repE0EEENS1_30default_config_static_selectorELNS0_4arch9wavefront6targetE0EEEvSS_
    .private_segment_fixed_size: 0
    .sgpr_count:     0
    .sgpr_spill_count: 0
    .symbol:         _ZN7rocprim17ROCPRIM_400000_NS6detail17trampoline_kernelINS0_14default_configENS1_22reduce_config_selectorIiEEZNS1_11reduce_implILb1ES3_PiS7_iN6hipcub16HIPCUB_304000_NS6detail34convert_binary_result_type_wrapperINS9_3SumENS9_22TransformInputIteratorIbN2at6native12_GLOBAL__N_19NonZeroOpIN3c108BFloat16EEEPKSJ_lEEiEEEE10hipError_tPvRmT1_T2_T3_mT4_P12ihipStream_tbEUlT_E1_NS1_11comp_targetILNS1_3genE10ELNS1_11target_archE1200ELNS1_3gpuE4ELNS1_3repE0EEENS1_30default_config_static_selectorELNS0_4arch9wavefront6targetE0EEEvSS_.kd
    .uniform_work_group_size: 1
    .uses_dynamic_stack: false
    .vgpr_count:     0
    .vgpr_spill_count: 0
    .wavefront_size: 32
    .workgroup_processor_mode: 1
  - .args:
      - .offset:         0
        .size:           40
        .value_kind:     by_value
    .group_segment_fixed_size: 0
    .kernarg_segment_align: 8
    .kernarg_segment_size: 40
    .language:       OpenCL C
    .language_version:
      - 2
      - 0
    .max_flat_workgroup_size: 256
    .name:           _ZN7rocprim17ROCPRIM_400000_NS6detail17trampoline_kernelINS0_14default_configENS1_22reduce_config_selectorIiEEZNS1_11reduce_implILb1ES3_PiS7_iN6hipcub16HIPCUB_304000_NS6detail34convert_binary_result_type_wrapperINS9_3SumENS9_22TransformInputIteratorIbN2at6native12_GLOBAL__N_19NonZeroOpIN3c108BFloat16EEEPKSJ_lEEiEEEE10hipError_tPvRmT1_T2_T3_mT4_P12ihipStream_tbEUlT_E1_NS1_11comp_targetILNS1_3genE9ELNS1_11target_archE1100ELNS1_3gpuE3ELNS1_3repE0EEENS1_30default_config_static_selectorELNS0_4arch9wavefront6targetE0EEEvSS_
    .private_segment_fixed_size: 0
    .sgpr_count:     0
    .sgpr_spill_count: 0
    .symbol:         _ZN7rocprim17ROCPRIM_400000_NS6detail17trampoline_kernelINS0_14default_configENS1_22reduce_config_selectorIiEEZNS1_11reduce_implILb1ES3_PiS7_iN6hipcub16HIPCUB_304000_NS6detail34convert_binary_result_type_wrapperINS9_3SumENS9_22TransformInputIteratorIbN2at6native12_GLOBAL__N_19NonZeroOpIN3c108BFloat16EEEPKSJ_lEEiEEEE10hipError_tPvRmT1_T2_T3_mT4_P12ihipStream_tbEUlT_E1_NS1_11comp_targetILNS1_3genE9ELNS1_11target_archE1100ELNS1_3gpuE3ELNS1_3repE0EEENS1_30default_config_static_selectorELNS0_4arch9wavefront6targetE0EEEvSS_.kd
    .uniform_work_group_size: 1
    .uses_dynamic_stack: false
    .vgpr_count:     0
    .vgpr_spill_count: 0
    .wavefront_size: 32
    .workgroup_processor_mode: 1
  - .args:
      - .offset:         0
        .size:           40
        .value_kind:     by_value
    .group_segment_fixed_size: 0
    .kernarg_segment_align: 8
    .kernarg_segment_size: 40
    .language:       OpenCL C
    .language_version:
      - 2
      - 0
    .max_flat_workgroup_size: 256
    .name:           _ZN7rocprim17ROCPRIM_400000_NS6detail17trampoline_kernelINS0_14default_configENS1_22reduce_config_selectorIiEEZNS1_11reduce_implILb1ES3_PiS7_iN6hipcub16HIPCUB_304000_NS6detail34convert_binary_result_type_wrapperINS9_3SumENS9_22TransformInputIteratorIbN2at6native12_GLOBAL__N_19NonZeroOpIN3c108BFloat16EEEPKSJ_lEEiEEEE10hipError_tPvRmT1_T2_T3_mT4_P12ihipStream_tbEUlT_E1_NS1_11comp_targetILNS1_3genE8ELNS1_11target_archE1030ELNS1_3gpuE2ELNS1_3repE0EEENS1_30default_config_static_selectorELNS0_4arch9wavefront6targetE0EEEvSS_
    .private_segment_fixed_size: 0
    .sgpr_count:     0
    .sgpr_spill_count: 0
    .symbol:         _ZN7rocprim17ROCPRIM_400000_NS6detail17trampoline_kernelINS0_14default_configENS1_22reduce_config_selectorIiEEZNS1_11reduce_implILb1ES3_PiS7_iN6hipcub16HIPCUB_304000_NS6detail34convert_binary_result_type_wrapperINS9_3SumENS9_22TransformInputIteratorIbN2at6native12_GLOBAL__N_19NonZeroOpIN3c108BFloat16EEEPKSJ_lEEiEEEE10hipError_tPvRmT1_T2_T3_mT4_P12ihipStream_tbEUlT_E1_NS1_11comp_targetILNS1_3genE8ELNS1_11target_archE1030ELNS1_3gpuE2ELNS1_3repE0EEENS1_30default_config_static_selectorELNS0_4arch9wavefront6targetE0EEEvSS_.kd
    .uniform_work_group_size: 1
    .uses_dynamic_stack: false
    .vgpr_count:     0
    .vgpr_spill_count: 0
    .wavefront_size: 32
    .workgroup_processor_mode: 1
  - .args:
      - .offset:         0
        .size:           64
        .value_kind:     by_value
    .group_segment_fixed_size: 0
    .kernarg_segment_align: 8
    .kernarg_segment_size: 64
    .language:       OpenCL C
    .language_version:
      - 2
      - 0
    .max_flat_workgroup_size: 256
    .name:           _ZN7rocprim17ROCPRIM_400000_NS6detail17trampoline_kernelINS0_14default_configENS1_22reduce_config_selectorIbEEZNS1_11reduce_implILb1ES3_N6hipcub16HIPCUB_304000_NS22TransformInputIteratorIbN2at6native12_GLOBAL__N_19NonZeroOpIN3c108BFloat16EEEPKSF_lEEPiiNS8_6detail34convert_binary_result_type_wrapperINS8_3SumESJ_iEEEE10hipError_tPvRmT1_T2_T3_mT4_P12ihipStream_tbEUlT_E0_NS1_11comp_targetILNS1_3genE0ELNS1_11target_archE4294967295ELNS1_3gpuE0ELNS1_3repE0EEENS1_30default_config_static_selectorELNS0_4arch9wavefront6targetE0EEEvSS_
    .private_segment_fixed_size: 0
    .sgpr_count:     0
    .sgpr_spill_count: 0
    .symbol:         _ZN7rocprim17ROCPRIM_400000_NS6detail17trampoline_kernelINS0_14default_configENS1_22reduce_config_selectorIbEEZNS1_11reduce_implILb1ES3_N6hipcub16HIPCUB_304000_NS22TransformInputIteratorIbN2at6native12_GLOBAL__N_19NonZeroOpIN3c108BFloat16EEEPKSF_lEEPiiNS8_6detail34convert_binary_result_type_wrapperINS8_3SumESJ_iEEEE10hipError_tPvRmT1_T2_T3_mT4_P12ihipStream_tbEUlT_E0_NS1_11comp_targetILNS1_3genE0ELNS1_11target_archE4294967295ELNS1_3gpuE0ELNS1_3repE0EEENS1_30default_config_static_selectorELNS0_4arch9wavefront6targetE0EEEvSS_.kd
    .uniform_work_group_size: 1
    .uses_dynamic_stack: false
    .vgpr_count:     0
    .vgpr_spill_count: 0
    .wavefront_size: 32
    .workgroup_processor_mode: 1
  - .args:
      - .offset:         0
        .size:           64
        .value_kind:     by_value
    .group_segment_fixed_size: 0
    .kernarg_segment_align: 8
    .kernarg_segment_size: 64
    .language:       OpenCL C
    .language_version:
      - 2
      - 0
    .max_flat_workgroup_size: 256
    .name:           _ZN7rocprim17ROCPRIM_400000_NS6detail17trampoline_kernelINS0_14default_configENS1_22reduce_config_selectorIbEEZNS1_11reduce_implILb1ES3_N6hipcub16HIPCUB_304000_NS22TransformInputIteratorIbN2at6native12_GLOBAL__N_19NonZeroOpIN3c108BFloat16EEEPKSF_lEEPiiNS8_6detail34convert_binary_result_type_wrapperINS8_3SumESJ_iEEEE10hipError_tPvRmT1_T2_T3_mT4_P12ihipStream_tbEUlT_E0_NS1_11comp_targetILNS1_3genE5ELNS1_11target_archE942ELNS1_3gpuE9ELNS1_3repE0EEENS1_30default_config_static_selectorELNS0_4arch9wavefront6targetE0EEEvSS_
    .private_segment_fixed_size: 0
    .sgpr_count:     0
    .sgpr_spill_count: 0
    .symbol:         _ZN7rocprim17ROCPRIM_400000_NS6detail17trampoline_kernelINS0_14default_configENS1_22reduce_config_selectorIbEEZNS1_11reduce_implILb1ES3_N6hipcub16HIPCUB_304000_NS22TransformInputIteratorIbN2at6native12_GLOBAL__N_19NonZeroOpIN3c108BFloat16EEEPKSF_lEEPiiNS8_6detail34convert_binary_result_type_wrapperINS8_3SumESJ_iEEEE10hipError_tPvRmT1_T2_T3_mT4_P12ihipStream_tbEUlT_E0_NS1_11comp_targetILNS1_3genE5ELNS1_11target_archE942ELNS1_3gpuE9ELNS1_3repE0EEENS1_30default_config_static_selectorELNS0_4arch9wavefront6targetE0EEEvSS_.kd
    .uniform_work_group_size: 1
    .uses_dynamic_stack: false
    .vgpr_count:     0
    .vgpr_spill_count: 0
    .wavefront_size: 32
    .workgroup_processor_mode: 1
  - .args:
      - .offset:         0
        .size:           64
        .value_kind:     by_value
    .group_segment_fixed_size: 0
    .kernarg_segment_align: 8
    .kernarg_segment_size: 64
    .language:       OpenCL C
    .language_version:
      - 2
      - 0
    .max_flat_workgroup_size: 128
    .name:           _ZN7rocprim17ROCPRIM_400000_NS6detail17trampoline_kernelINS0_14default_configENS1_22reduce_config_selectorIbEEZNS1_11reduce_implILb1ES3_N6hipcub16HIPCUB_304000_NS22TransformInputIteratorIbN2at6native12_GLOBAL__N_19NonZeroOpIN3c108BFloat16EEEPKSF_lEEPiiNS8_6detail34convert_binary_result_type_wrapperINS8_3SumESJ_iEEEE10hipError_tPvRmT1_T2_T3_mT4_P12ihipStream_tbEUlT_E0_NS1_11comp_targetILNS1_3genE4ELNS1_11target_archE910ELNS1_3gpuE8ELNS1_3repE0EEENS1_30default_config_static_selectorELNS0_4arch9wavefront6targetE0EEEvSS_
    .private_segment_fixed_size: 0
    .sgpr_count:     0
    .sgpr_spill_count: 0
    .symbol:         _ZN7rocprim17ROCPRIM_400000_NS6detail17trampoline_kernelINS0_14default_configENS1_22reduce_config_selectorIbEEZNS1_11reduce_implILb1ES3_N6hipcub16HIPCUB_304000_NS22TransformInputIteratorIbN2at6native12_GLOBAL__N_19NonZeroOpIN3c108BFloat16EEEPKSF_lEEPiiNS8_6detail34convert_binary_result_type_wrapperINS8_3SumESJ_iEEEE10hipError_tPvRmT1_T2_T3_mT4_P12ihipStream_tbEUlT_E0_NS1_11comp_targetILNS1_3genE4ELNS1_11target_archE910ELNS1_3gpuE8ELNS1_3repE0EEENS1_30default_config_static_selectorELNS0_4arch9wavefront6targetE0EEEvSS_.kd
    .uniform_work_group_size: 1
    .uses_dynamic_stack: false
    .vgpr_count:     0
    .vgpr_spill_count: 0
    .wavefront_size: 32
    .workgroup_processor_mode: 1
  - .args:
      - .offset:         0
        .size:           64
        .value_kind:     by_value
    .group_segment_fixed_size: 0
    .kernarg_segment_align: 8
    .kernarg_segment_size: 64
    .language:       OpenCL C
    .language_version:
      - 2
      - 0
    .max_flat_workgroup_size: 256
    .name:           _ZN7rocprim17ROCPRIM_400000_NS6detail17trampoline_kernelINS0_14default_configENS1_22reduce_config_selectorIbEEZNS1_11reduce_implILb1ES3_N6hipcub16HIPCUB_304000_NS22TransformInputIteratorIbN2at6native12_GLOBAL__N_19NonZeroOpIN3c108BFloat16EEEPKSF_lEEPiiNS8_6detail34convert_binary_result_type_wrapperINS8_3SumESJ_iEEEE10hipError_tPvRmT1_T2_T3_mT4_P12ihipStream_tbEUlT_E0_NS1_11comp_targetILNS1_3genE3ELNS1_11target_archE908ELNS1_3gpuE7ELNS1_3repE0EEENS1_30default_config_static_selectorELNS0_4arch9wavefront6targetE0EEEvSS_
    .private_segment_fixed_size: 0
    .sgpr_count:     0
    .sgpr_spill_count: 0
    .symbol:         _ZN7rocprim17ROCPRIM_400000_NS6detail17trampoline_kernelINS0_14default_configENS1_22reduce_config_selectorIbEEZNS1_11reduce_implILb1ES3_N6hipcub16HIPCUB_304000_NS22TransformInputIteratorIbN2at6native12_GLOBAL__N_19NonZeroOpIN3c108BFloat16EEEPKSF_lEEPiiNS8_6detail34convert_binary_result_type_wrapperINS8_3SumESJ_iEEEE10hipError_tPvRmT1_T2_T3_mT4_P12ihipStream_tbEUlT_E0_NS1_11comp_targetILNS1_3genE3ELNS1_11target_archE908ELNS1_3gpuE7ELNS1_3repE0EEENS1_30default_config_static_selectorELNS0_4arch9wavefront6targetE0EEEvSS_.kd
    .uniform_work_group_size: 1
    .uses_dynamic_stack: false
    .vgpr_count:     0
    .vgpr_spill_count: 0
    .wavefront_size: 32
    .workgroup_processor_mode: 1
  - .args:
      - .offset:         0
        .size:           64
        .value_kind:     by_value
    .group_segment_fixed_size: 0
    .kernarg_segment_align: 8
    .kernarg_segment_size: 64
    .language:       OpenCL C
    .language_version:
      - 2
      - 0
    .max_flat_workgroup_size: 128
    .name:           _ZN7rocprim17ROCPRIM_400000_NS6detail17trampoline_kernelINS0_14default_configENS1_22reduce_config_selectorIbEEZNS1_11reduce_implILb1ES3_N6hipcub16HIPCUB_304000_NS22TransformInputIteratorIbN2at6native12_GLOBAL__N_19NonZeroOpIN3c108BFloat16EEEPKSF_lEEPiiNS8_6detail34convert_binary_result_type_wrapperINS8_3SumESJ_iEEEE10hipError_tPvRmT1_T2_T3_mT4_P12ihipStream_tbEUlT_E0_NS1_11comp_targetILNS1_3genE2ELNS1_11target_archE906ELNS1_3gpuE6ELNS1_3repE0EEENS1_30default_config_static_selectorELNS0_4arch9wavefront6targetE0EEEvSS_
    .private_segment_fixed_size: 0
    .sgpr_count:     0
    .sgpr_spill_count: 0
    .symbol:         _ZN7rocprim17ROCPRIM_400000_NS6detail17trampoline_kernelINS0_14default_configENS1_22reduce_config_selectorIbEEZNS1_11reduce_implILb1ES3_N6hipcub16HIPCUB_304000_NS22TransformInputIteratorIbN2at6native12_GLOBAL__N_19NonZeroOpIN3c108BFloat16EEEPKSF_lEEPiiNS8_6detail34convert_binary_result_type_wrapperINS8_3SumESJ_iEEEE10hipError_tPvRmT1_T2_T3_mT4_P12ihipStream_tbEUlT_E0_NS1_11comp_targetILNS1_3genE2ELNS1_11target_archE906ELNS1_3gpuE6ELNS1_3repE0EEENS1_30default_config_static_selectorELNS0_4arch9wavefront6targetE0EEEvSS_.kd
    .uniform_work_group_size: 1
    .uses_dynamic_stack: false
    .vgpr_count:     0
    .vgpr_spill_count: 0
    .wavefront_size: 32
    .workgroup_processor_mode: 1
  - .args:
      - .offset:         0
        .size:           64
        .value_kind:     by_value
    .group_segment_fixed_size: 64
    .kernarg_segment_align: 8
    .kernarg_segment_size: 64
    .language:       OpenCL C
    .language_version:
      - 2
      - 0
    .max_flat_workgroup_size: 256
    .name:           _ZN7rocprim17ROCPRIM_400000_NS6detail17trampoline_kernelINS0_14default_configENS1_22reduce_config_selectorIbEEZNS1_11reduce_implILb1ES3_N6hipcub16HIPCUB_304000_NS22TransformInputIteratorIbN2at6native12_GLOBAL__N_19NonZeroOpIN3c108BFloat16EEEPKSF_lEEPiiNS8_6detail34convert_binary_result_type_wrapperINS8_3SumESJ_iEEEE10hipError_tPvRmT1_T2_T3_mT4_P12ihipStream_tbEUlT_E0_NS1_11comp_targetILNS1_3genE10ELNS1_11target_archE1201ELNS1_3gpuE5ELNS1_3repE0EEENS1_30default_config_static_selectorELNS0_4arch9wavefront6targetE0EEEvSS_
    .private_segment_fixed_size: 0
    .sgpr_count:     32
    .sgpr_spill_count: 0
    .symbol:         _ZN7rocprim17ROCPRIM_400000_NS6detail17trampoline_kernelINS0_14default_configENS1_22reduce_config_selectorIbEEZNS1_11reduce_implILb1ES3_N6hipcub16HIPCUB_304000_NS22TransformInputIteratorIbN2at6native12_GLOBAL__N_19NonZeroOpIN3c108BFloat16EEEPKSF_lEEPiiNS8_6detail34convert_binary_result_type_wrapperINS8_3SumESJ_iEEEE10hipError_tPvRmT1_T2_T3_mT4_P12ihipStream_tbEUlT_E0_NS1_11comp_targetILNS1_3genE10ELNS1_11target_archE1201ELNS1_3gpuE5ELNS1_3repE0EEENS1_30default_config_static_selectorELNS0_4arch9wavefront6targetE0EEEvSS_.kd
    .uniform_work_group_size: 1
    .uses_dynamic_stack: false
    .vgpr_count:     20
    .vgpr_spill_count: 0
    .wavefront_size: 32
    .workgroup_processor_mode: 1
  - .args:
      - .offset:         0
        .size:           64
        .value_kind:     by_value
    .group_segment_fixed_size: 0
    .kernarg_segment_align: 8
    .kernarg_segment_size: 64
    .language:       OpenCL C
    .language_version:
      - 2
      - 0
    .max_flat_workgroup_size: 256
    .name:           _ZN7rocprim17ROCPRIM_400000_NS6detail17trampoline_kernelINS0_14default_configENS1_22reduce_config_selectorIbEEZNS1_11reduce_implILb1ES3_N6hipcub16HIPCUB_304000_NS22TransformInputIteratorIbN2at6native12_GLOBAL__N_19NonZeroOpIN3c108BFloat16EEEPKSF_lEEPiiNS8_6detail34convert_binary_result_type_wrapperINS8_3SumESJ_iEEEE10hipError_tPvRmT1_T2_T3_mT4_P12ihipStream_tbEUlT_E0_NS1_11comp_targetILNS1_3genE10ELNS1_11target_archE1200ELNS1_3gpuE4ELNS1_3repE0EEENS1_30default_config_static_selectorELNS0_4arch9wavefront6targetE0EEEvSS_
    .private_segment_fixed_size: 0
    .sgpr_count:     0
    .sgpr_spill_count: 0
    .symbol:         _ZN7rocprim17ROCPRIM_400000_NS6detail17trampoline_kernelINS0_14default_configENS1_22reduce_config_selectorIbEEZNS1_11reduce_implILb1ES3_N6hipcub16HIPCUB_304000_NS22TransformInputIteratorIbN2at6native12_GLOBAL__N_19NonZeroOpIN3c108BFloat16EEEPKSF_lEEPiiNS8_6detail34convert_binary_result_type_wrapperINS8_3SumESJ_iEEEE10hipError_tPvRmT1_T2_T3_mT4_P12ihipStream_tbEUlT_E0_NS1_11comp_targetILNS1_3genE10ELNS1_11target_archE1200ELNS1_3gpuE4ELNS1_3repE0EEENS1_30default_config_static_selectorELNS0_4arch9wavefront6targetE0EEEvSS_.kd
    .uniform_work_group_size: 1
    .uses_dynamic_stack: false
    .vgpr_count:     0
    .vgpr_spill_count: 0
    .wavefront_size: 32
    .workgroup_processor_mode: 1
  - .args:
      - .offset:         0
        .size:           64
        .value_kind:     by_value
    .group_segment_fixed_size: 0
    .kernarg_segment_align: 8
    .kernarg_segment_size: 64
    .language:       OpenCL C
    .language_version:
      - 2
      - 0
    .max_flat_workgroup_size: 128
    .name:           _ZN7rocprim17ROCPRIM_400000_NS6detail17trampoline_kernelINS0_14default_configENS1_22reduce_config_selectorIbEEZNS1_11reduce_implILb1ES3_N6hipcub16HIPCUB_304000_NS22TransformInputIteratorIbN2at6native12_GLOBAL__N_19NonZeroOpIN3c108BFloat16EEEPKSF_lEEPiiNS8_6detail34convert_binary_result_type_wrapperINS8_3SumESJ_iEEEE10hipError_tPvRmT1_T2_T3_mT4_P12ihipStream_tbEUlT_E0_NS1_11comp_targetILNS1_3genE9ELNS1_11target_archE1100ELNS1_3gpuE3ELNS1_3repE0EEENS1_30default_config_static_selectorELNS0_4arch9wavefront6targetE0EEEvSS_
    .private_segment_fixed_size: 0
    .sgpr_count:     0
    .sgpr_spill_count: 0
    .symbol:         _ZN7rocprim17ROCPRIM_400000_NS6detail17trampoline_kernelINS0_14default_configENS1_22reduce_config_selectorIbEEZNS1_11reduce_implILb1ES3_N6hipcub16HIPCUB_304000_NS22TransformInputIteratorIbN2at6native12_GLOBAL__N_19NonZeroOpIN3c108BFloat16EEEPKSF_lEEPiiNS8_6detail34convert_binary_result_type_wrapperINS8_3SumESJ_iEEEE10hipError_tPvRmT1_T2_T3_mT4_P12ihipStream_tbEUlT_E0_NS1_11comp_targetILNS1_3genE9ELNS1_11target_archE1100ELNS1_3gpuE3ELNS1_3repE0EEENS1_30default_config_static_selectorELNS0_4arch9wavefront6targetE0EEEvSS_.kd
    .uniform_work_group_size: 1
    .uses_dynamic_stack: false
    .vgpr_count:     0
    .vgpr_spill_count: 0
    .wavefront_size: 32
    .workgroup_processor_mode: 1
  - .args:
      - .offset:         0
        .size:           64
        .value_kind:     by_value
    .group_segment_fixed_size: 0
    .kernarg_segment_align: 8
    .kernarg_segment_size: 64
    .language:       OpenCL C
    .language_version:
      - 2
      - 0
    .max_flat_workgroup_size: 256
    .name:           _ZN7rocprim17ROCPRIM_400000_NS6detail17trampoline_kernelINS0_14default_configENS1_22reduce_config_selectorIbEEZNS1_11reduce_implILb1ES3_N6hipcub16HIPCUB_304000_NS22TransformInputIteratorIbN2at6native12_GLOBAL__N_19NonZeroOpIN3c108BFloat16EEEPKSF_lEEPiiNS8_6detail34convert_binary_result_type_wrapperINS8_3SumESJ_iEEEE10hipError_tPvRmT1_T2_T3_mT4_P12ihipStream_tbEUlT_E0_NS1_11comp_targetILNS1_3genE8ELNS1_11target_archE1030ELNS1_3gpuE2ELNS1_3repE0EEENS1_30default_config_static_selectorELNS0_4arch9wavefront6targetE0EEEvSS_
    .private_segment_fixed_size: 0
    .sgpr_count:     0
    .sgpr_spill_count: 0
    .symbol:         _ZN7rocprim17ROCPRIM_400000_NS6detail17trampoline_kernelINS0_14default_configENS1_22reduce_config_selectorIbEEZNS1_11reduce_implILb1ES3_N6hipcub16HIPCUB_304000_NS22TransformInputIteratorIbN2at6native12_GLOBAL__N_19NonZeroOpIN3c108BFloat16EEEPKSF_lEEPiiNS8_6detail34convert_binary_result_type_wrapperINS8_3SumESJ_iEEEE10hipError_tPvRmT1_T2_T3_mT4_P12ihipStream_tbEUlT_E0_NS1_11comp_targetILNS1_3genE8ELNS1_11target_archE1030ELNS1_3gpuE2ELNS1_3repE0EEENS1_30default_config_static_selectorELNS0_4arch9wavefront6targetE0EEEvSS_.kd
    .uniform_work_group_size: 1
    .uses_dynamic_stack: false
    .vgpr_count:     0
    .vgpr_spill_count: 0
    .wavefront_size: 32
    .workgroup_processor_mode: 1
  - .args:
      - .offset:         0
        .size:           48
        .value_kind:     by_value
    .group_segment_fixed_size: 0
    .kernarg_segment_align: 8
    .kernarg_segment_size: 48
    .language:       OpenCL C
    .language_version:
      - 2
      - 0
    .max_flat_workgroup_size: 256
    .name:           _ZN7rocprim17ROCPRIM_400000_NS6detail17trampoline_kernelINS0_14default_configENS1_22reduce_config_selectorIbEEZNS1_11reduce_implILb1ES3_N6hipcub16HIPCUB_304000_NS22TransformInputIteratorIbN2at6native12_GLOBAL__N_19NonZeroOpIN3c108BFloat16EEEPKSF_lEEPiiNS8_6detail34convert_binary_result_type_wrapperINS8_3SumESJ_iEEEE10hipError_tPvRmT1_T2_T3_mT4_P12ihipStream_tbEUlT_E1_NS1_11comp_targetILNS1_3genE0ELNS1_11target_archE4294967295ELNS1_3gpuE0ELNS1_3repE0EEENS1_30default_config_static_selectorELNS0_4arch9wavefront6targetE0EEEvSS_
    .private_segment_fixed_size: 0
    .sgpr_count:     0
    .sgpr_spill_count: 0
    .symbol:         _ZN7rocprim17ROCPRIM_400000_NS6detail17trampoline_kernelINS0_14default_configENS1_22reduce_config_selectorIbEEZNS1_11reduce_implILb1ES3_N6hipcub16HIPCUB_304000_NS22TransformInputIteratorIbN2at6native12_GLOBAL__N_19NonZeroOpIN3c108BFloat16EEEPKSF_lEEPiiNS8_6detail34convert_binary_result_type_wrapperINS8_3SumESJ_iEEEE10hipError_tPvRmT1_T2_T3_mT4_P12ihipStream_tbEUlT_E1_NS1_11comp_targetILNS1_3genE0ELNS1_11target_archE4294967295ELNS1_3gpuE0ELNS1_3repE0EEENS1_30default_config_static_selectorELNS0_4arch9wavefront6targetE0EEEvSS_.kd
    .uniform_work_group_size: 1
    .uses_dynamic_stack: false
    .vgpr_count:     0
    .vgpr_spill_count: 0
    .wavefront_size: 32
    .workgroup_processor_mode: 1
  - .args:
      - .offset:         0
        .size:           48
        .value_kind:     by_value
    .group_segment_fixed_size: 0
    .kernarg_segment_align: 8
    .kernarg_segment_size: 48
    .language:       OpenCL C
    .language_version:
      - 2
      - 0
    .max_flat_workgroup_size: 256
    .name:           _ZN7rocprim17ROCPRIM_400000_NS6detail17trampoline_kernelINS0_14default_configENS1_22reduce_config_selectorIbEEZNS1_11reduce_implILb1ES3_N6hipcub16HIPCUB_304000_NS22TransformInputIteratorIbN2at6native12_GLOBAL__N_19NonZeroOpIN3c108BFloat16EEEPKSF_lEEPiiNS8_6detail34convert_binary_result_type_wrapperINS8_3SumESJ_iEEEE10hipError_tPvRmT1_T2_T3_mT4_P12ihipStream_tbEUlT_E1_NS1_11comp_targetILNS1_3genE5ELNS1_11target_archE942ELNS1_3gpuE9ELNS1_3repE0EEENS1_30default_config_static_selectorELNS0_4arch9wavefront6targetE0EEEvSS_
    .private_segment_fixed_size: 0
    .sgpr_count:     0
    .sgpr_spill_count: 0
    .symbol:         _ZN7rocprim17ROCPRIM_400000_NS6detail17trampoline_kernelINS0_14default_configENS1_22reduce_config_selectorIbEEZNS1_11reduce_implILb1ES3_N6hipcub16HIPCUB_304000_NS22TransformInputIteratorIbN2at6native12_GLOBAL__N_19NonZeroOpIN3c108BFloat16EEEPKSF_lEEPiiNS8_6detail34convert_binary_result_type_wrapperINS8_3SumESJ_iEEEE10hipError_tPvRmT1_T2_T3_mT4_P12ihipStream_tbEUlT_E1_NS1_11comp_targetILNS1_3genE5ELNS1_11target_archE942ELNS1_3gpuE9ELNS1_3repE0EEENS1_30default_config_static_selectorELNS0_4arch9wavefront6targetE0EEEvSS_.kd
    .uniform_work_group_size: 1
    .uses_dynamic_stack: false
    .vgpr_count:     0
    .vgpr_spill_count: 0
    .wavefront_size: 32
    .workgroup_processor_mode: 1
  - .args:
      - .offset:         0
        .size:           48
        .value_kind:     by_value
    .group_segment_fixed_size: 0
    .kernarg_segment_align: 8
    .kernarg_segment_size: 48
    .language:       OpenCL C
    .language_version:
      - 2
      - 0
    .max_flat_workgroup_size: 128
    .name:           _ZN7rocprim17ROCPRIM_400000_NS6detail17trampoline_kernelINS0_14default_configENS1_22reduce_config_selectorIbEEZNS1_11reduce_implILb1ES3_N6hipcub16HIPCUB_304000_NS22TransformInputIteratorIbN2at6native12_GLOBAL__N_19NonZeroOpIN3c108BFloat16EEEPKSF_lEEPiiNS8_6detail34convert_binary_result_type_wrapperINS8_3SumESJ_iEEEE10hipError_tPvRmT1_T2_T3_mT4_P12ihipStream_tbEUlT_E1_NS1_11comp_targetILNS1_3genE4ELNS1_11target_archE910ELNS1_3gpuE8ELNS1_3repE0EEENS1_30default_config_static_selectorELNS0_4arch9wavefront6targetE0EEEvSS_
    .private_segment_fixed_size: 0
    .sgpr_count:     0
    .sgpr_spill_count: 0
    .symbol:         _ZN7rocprim17ROCPRIM_400000_NS6detail17trampoline_kernelINS0_14default_configENS1_22reduce_config_selectorIbEEZNS1_11reduce_implILb1ES3_N6hipcub16HIPCUB_304000_NS22TransformInputIteratorIbN2at6native12_GLOBAL__N_19NonZeroOpIN3c108BFloat16EEEPKSF_lEEPiiNS8_6detail34convert_binary_result_type_wrapperINS8_3SumESJ_iEEEE10hipError_tPvRmT1_T2_T3_mT4_P12ihipStream_tbEUlT_E1_NS1_11comp_targetILNS1_3genE4ELNS1_11target_archE910ELNS1_3gpuE8ELNS1_3repE0EEENS1_30default_config_static_selectorELNS0_4arch9wavefront6targetE0EEEvSS_.kd
    .uniform_work_group_size: 1
    .uses_dynamic_stack: false
    .vgpr_count:     0
    .vgpr_spill_count: 0
    .wavefront_size: 32
    .workgroup_processor_mode: 1
  - .args:
      - .offset:         0
        .size:           48
        .value_kind:     by_value
    .group_segment_fixed_size: 0
    .kernarg_segment_align: 8
    .kernarg_segment_size: 48
    .language:       OpenCL C
    .language_version:
      - 2
      - 0
    .max_flat_workgroup_size: 256
    .name:           _ZN7rocprim17ROCPRIM_400000_NS6detail17trampoline_kernelINS0_14default_configENS1_22reduce_config_selectorIbEEZNS1_11reduce_implILb1ES3_N6hipcub16HIPCUB_304000_NS22TransformInputIteratorIbN2at6native12_GLOBAL__N_19NonZeroOpIN3c108BFloat16EEEPKSF_lEEPiiNS8_6detail34convert_binary_result_type_wrapperINS8_3SumESJ_iEEEE10hipError_tPvRmT1_T2_T3_mT4_P12ihipStream_tbEUlT_E1_NS1_11comp_targetILNS1_3genE3ELNS1_11target_archE908ELNS1_3gpuE7ELNS1_3repE0EEENS1_30default_config_static_selectorELNS0_4arch9wavefront6targetE0EEEvSS_
    .private_segment_fixed_size: 0
    .sgpr_count:     0
    .sgpr_spill_count: 0
    .symbol:         _ZN7rocprim17ROCPRIM_400000_NS6detail17trampoline_kernelINS0_14default_configENS1_22reduce_config_selectorIbEEZNS1_11reduce_implILb1ES3_N6hipcub16HIPCUB_304000_NS22TransformInputIteratorIbN2at6native12_GLOBAL__N_19NonZeroOpIN3c108BFloat16EEEPKSF_lEEPiiNS8_6detail34convert_binary_result_type_wrapperINS8_3SumESJ_iEEEE10hipError_tPvRmT1_T2_T3_mT4_P12ihipStream_tbEUlT_E1_NS1_11comp_targetILNS1_3genE3ELNS1_11target_archE908ELNS1_3gpuE7ELNS1_3repE0EEENS1_30default_config_static_selectorELNS0_4arch9wavefront6targetE0EEEvSS_.kd
    .uniform_work_group_size: 1
    .uses_dynamic_stack: false
    .vgpr_count:     0
    .vgpr_spill_count: 0
    .wavefront_size: 32
    .workgroup_processor_mode: 1
  - .args:
      - .offset:         0
        .size:           48
        .value_kind:     by_value
    .group_segment_fixed_size: 0
    .kernarg_segment_align: 8
    .kernarg_segment_size: 48
    .language:       OpenCL C
    .language_version:
      - 2
      - 0
    .max_flat_workgroup_size: 128
    .name:           _ZN7rocprim17ROCPRIM_400000_NS6detail17trampoline_kernelINS0_14default_configENS1_22reduce_config_selectorIbEEZNS1_11reduce_implILb1ES3_N6hipcub16HIPCUB_304000_NS22TransformInputIteratorIbN2at6native12_GLOBAL__N_19NonZeroOpIN3c108BFloat16EEEPKSF_lEEPiiNS8_6detail34convert_binary_result_type_wrapperINS8_3SumESJ_iEEEE10hipError_tPvRmT1_T2_T3_mT4_P12ihipStream_tbEUlT_E1_NS1_11comp_targetILNS1_3genE2ELNS1_11target_archE906ELNS1_3gpuE6ELNS1_3repE0EEENS1_30default_config_static_selectorELNS0_4arch9wavefront6targetE0EEEvSS_
    .private_segment_fixed_size: 0
    .sgpr_count:     0
    .sgpr_spill_count: 0
    .symbol:         _ZN7rocprim17ROCPRIM_400000_NS6detail17trampoline_kernelINS0_14default_configENS1_22reduce_config_selectorIbEEZNS1_11reduce_implILb1ES3_N6hipcub16HIPCUB_304000_NS22TransformInputIteratorIbN2at6native12_GLOBAL__N_19NonZeroOpIN3c108BFloat16EEEPKSF_lEEPiiNS8_6detail34convert_binary_result_type_wrapperINS8_3SumESJ_iEEEE10hipError_tPvRmT1_T2_T3_mT4_P12ihipStream_tbEUlT_E1_NS1_11comp_targetILNS1_3genE2ELNS1_11target_archE906ELNS1_3gpuE6ELNS1_3repE0EEENS1_30default_config_static_selectorELNS0_4arch9wavefront6targetE0EEEvSS_.kd
    .uniform_work_group_size: 1
    .uses_dynamic_stack: false
    .vgpr_count:     0
    .vgpr_spill_count: 0
    .wavefront_size: 32
    .workgroup_processor_mode: 1
  - .args:
      - .offset:         0
        .size:           48
        .value_kind:     by_value
    .group_segment_fixed_size: 288
    .kernarg_segment_align: 8
    .kernarg_segment_size: 48
    .language:       OpenCL C
    .language_version:
      - 2
      - 0
    .max_flat_workgroup_size: 256
    .name:           _ZN7rocprim17ROCPRIM_400000_NS6detail17trampoline_kernelINS0_14default_configENS1_22reduce_config_selectorIbEEZNS1_11reduce_implILb1ES3_N6hipcub16HIPCUB_304000_NS22TransformInputIteratorIbN2at6native12_GLOBAL__N_19NonZeroOpIN3c108BFloat16EEEPKSF_lEEPiiNS8_6detail34convert_binary_result_type_wrapperINS8_3SumESJ_iEEEE10hipError_tPvRmT1_T2_T3_mT4_P12ihipStream_tbEUlT_E1_NS1_11comp_targetILNS1_3genE10ELNS1_11target_archE1201ELNS1_3gpuE5ELNS1_3repE0EEENS1_30default_config_static_selectorELNS0_4arch9wavefront6targetE0EEEvSS_
    .private_segment_fixed_size: 0
    .sgpr_count:     49
    .sgpr_spill_count: 0
    .symbol:         _ZN7rocprim17ROCPRIM_400000_NS6detail17trampoline_kernelINS0_14default_configENS1_22reduce_config_selectorIbEEZNS1_11reduce_implILb1ES3_N6hipcub16HIPCUB_304000_NS22TransformInputIteratorIbN2at6native12_GLOBAL__N_19NonZeroOpIN3c108BFloat16EEEPKSF_lEEPiiNS8_6detail34convert_binary_result_type_wrapperINS8_3SumESJ_iEEEE10hipError_tPvRmT1_T2_T3_mT4_P12ihipStream_tbEUlT_E1_NS1_11comp_targetILNS1_3genE10ELNS1_11target_archE1201ELNS1_3gpuE5ELNS1_3repE0EEENS1_30default_config_static_selectorELNS0_4arch9wavefront6targetE0EEEvSS_.kd
    .uniform_work_group_size: 1
    .uses_dynamic_stack: false
    .vgpr_count:     129
    .vgpr_spill_count: 0
    .wavefront_size: 32
    .workgroup_processor_mode: 1
  - .args:
      - .offset:         0
        .size:           48
        .value_kind:     by_value
    .group_segment_fixed_size: 0
    .kernarg_segment_align: 8
    .kernarg_segment_size: 48
    .language:       OpenCL C
    .language_version:
      - 2
      - 0
    .max_flat_workgroup_size: 256
    .name:           _ZN7rocprim17ROCPRIM_400000_NS6detail17trampoline_kernelINS0_14default_configENS1_22reduce_config_selectorIbEEZNS1_11reduce_implILb1ES3_N6hipcub16HIPCUB_304000_NS22TransformInputIteratorIbN2at6native12_GLOBAL__N_19NonZeroOpIN3c108BFloat16EEEPKSF_lEEPiiNS8_6detail34convert_binary_result_type_wrapperINS8_3SumESJ_iEEEE10hipError_tPvRmT1_T2_T3_mT4_P12ihipStream_tbEUlT_E1_NS1_11comp_targetILNS1_3genE10ELNS1_11target_archE1200ELNS1_3gpuE4ELNS1_3repE0EEENS1_30default_config_static_selectorELNS0_4arch9wavefront6targetE0EEEvSS_
    .private_segment_fixed_size: 0
    .sgpr_count:     0
    .sgpr_spill_count: 0
    .symbol:         _ZN7rocprim17ROCPRIM_400000_NS6detail17trampoline_kernelINS0_14default_configENS1_22reduce_config_selectorIbEEZNS1_11reduce_implILb1ES3_N6hipcub16HIPCUB_304000_NS22TransformInputIteratorIbN2at6native12_GLOBAL__N_19NonZeroOpIN3c108BFloat16EEEPKSF_lEEPiiNS8_6detail34convert_binary_result_type_wrapperINS8_3SumESJ_iEEEE10hipError_tPvRmT1_T2_T3_mT4_P12ihipStream_tbEUlT_E1_NS1_11comp_targetILNS1_3genE10ELNS1_11target_archE1200ELNS1_3gpuE4ELNS1_3repE0EEENS1_30default_config_static_selectorELNS0_4arch9wavefront6targetE0EEEvSS_.kd
    .uniform_work_group_size: 1
    .uses_dynamic_stack: false
    .vgpr_count:     0
    .vgpr_spill_count: 0
    .wavefront_size: 32
    .workgroup_processor_mode: 1
  - .args:
      - .offset:         0
        .size:           48
        .value_kind:     by_value
    .group_segment_fixed_size: 0
    .kernarg_segment_align: 8
    .kernarg_segment_size: 48
    .language:       OpenCL C
    .language_version:
      - 2
      - 0
    .max_flat_workgroup_size: 128
    .name:           _ZN7rocprim17ROCPRIM_400000_NS6detail17trampoline_kernelINS0_14default_configENS1_22reduce_config_selectorIbEEZNS1_11reduce_implILb1ES3_N6hipcub16HIPCUB_304000_NS22TransformInputIteratorIbN2at6native12_GLOBAL__N_19NonZeroOpIN3c108BFloat16EEEPKSF_lEEPiiNS8_6detail34convert_binary_result_type_wrapperINS8_3SumESJ_iEEEE10hipError_tPvRmT1_T2_T3_mT4_P12ihipStream_tbEUlT_E1_NS1_11comp_targetILNS1_3genE9ELNS1_11target_archE1100ELNS1_3gpuE3ELNS1_3repE0EEENS1_30default_config_static_selectorELNS0_4arch9wavefront6targetE0EEEvSS_
    .private_segment_fixed_size: 0
    .sgpr_count:     0
    .sgpr_spill_count: 0
    .symbol:         _ZN7rocprim17ROCPRIM_400000_NS6detail17trampoline_kernelINS0_14default_configENS1_22reduce_config_selectorIbEEZNS1_11reduce_implILb1ES3_N6hipcub16HIPCUB_304000_NS22TransformInputIteratorIbN2at6native12_GLOBAL__N_19NonZeroOpIN3c108BFloat16EEEPKSF_lEEPiiNS8_6detail34convert_binary_result_type_wrapperINS8_3SumESJ_iEEEE10hipError_tPvRmT1_T2_T3_mT4_P12ihipStream_tbEUlT_E1_NS1_11comp_targetILNS1_3genE9ELNS1_11target_archE1100ELNS1_3gpuE3ELNS1_3repE0EEENS1_30default_config_static_selectorELNS0_4arch9wavefront6targetE0EEEvSS_.kd
    .uniform_work_group_size: 1
    .uses_dynamic_stack: false
    .vgpr_count:     0
    .vgpr_spill_count: 0
    .wavefront_size: 32
    .workgroup_processor_mode: 1
  - .args:
      - .offset:         0
        .size:           48
        .value_kind:     by_value
    .group_segment_fixed_size: 0
    .kernarg_segment_align: 8
    .kernarg_segment_size: 48
    .language:       OpenCL C
    .language_version:
      - 2
      - 0
    .max_flat_workgroup_size: 256
    .name:           _ZN7rocprim17ROCPRIM_400000_NS6detail17trampoline_kernelINS0_14default_configENS1_22reduce_config_selectorIbEEZNS1_11reduce_implILb1ES3_N6hipcub16HIPCUB_304000_NS22TransformInputIteratorIbN2at6native12_GLOBAL__N_19NonZeroOpIN3c108BFloat16EEEPKSF_lEEPiiNS8_6detail34convert_binary_result_type_wrapperINS8_3SumESJ_iEEEE10hipError_tPvRmT1_T2_T3_mT4_P12ihipStream_tbEUlT_E1_NS1_11comp_targetILNS1_3genE8ELNS1_11target_archE1030ELNS1_3gpuE2ELNS1_3repE0EEENS1_30default_config_static_selectorELNS0_4arch9wavefront6targetE0EEEvSS_
    .private_segment_fixed_size: 0
    .sgpr_count:     0
    .sgpr_spill_count: 0
    .symbol:         _ZN7rocprim17ROCPRIM_400000_NS6detail17trampoline_kernelINS0_14default_configENS1_22reduce_config_selectorIbEEZNS1_11reduce_implILb1ES3_N6hipcub16HIPCUB_304000_NS22TransformInputIteratorIbN2at6native12_GLOBAL__N_19NonZeroOpIN3c108BFloat16EEEPKSF_lEEPiiNS8_6detail34convert_binary_result_type_wrapperINS8_3SumESJ_iEEEE10hipError_tPvRmT1_T2_T3_mT4_P12ihipStream_tbEUlT_E1_NS1_11comp_targetILNS1_3genE8ELNS1_11target_archE1030ELNS1_3gpuE2ELNS1_3repE0EEENS1_30default_config_static_selectorELNS0_4arch9wavefront6targetE0EEEvSS_.kd
    .uniform_work_group_size: 1
    .uses_dynamic_stack: false
    .vgpr_count:     0
    .vgpr_spill_count: 0
    .wavefront_size: 32
    .workgroup_processor_mode: 1
  - .args:
      - .offset:         0
        .size:           120
        .value_kind:     by_value
    .group_segment_fixed_size: 0
    .kernarg_segment_align: 8
    .kernarg_segment_size: 120
    .language:       OpenCL C
    .language_version:
      - 2
      - 0
    .max_flat_workgroup_size: 128
    .name:           _ZN7rocprim17ROCPRIM_400000_NS6detail17trampoline_kernelINS0_14default_configENS1_25partition_config_selectorILNS1_17partition_subalgoE5ElNS0_10empty_typeEbEEZZNS1_14partition_implILS5_5ELb0ES3_mN6hipcub16HIPCUB_304000_NS21CountingInputIteratorIllEEPS6_NSA_22TransformInputIteratorIbN2at6native12_GLOBAL__N_19NonZeroOpIN3c108BFloat16EEEPKSK_lEENS0_5tupleIJPlS6_EEENSP_IJSD_SD_EEES6_PiJS6_EEE10hipError_tPvRmT3_T4_T5_T6_T7_T9_mT8_P12ihipStream_tbDpT10_ENKUlT_T0_E_clISt17integral_constantIbLb0EES1D_EEDaS18_S19_EUlS18_E_NS1_11comp_targetILNS1_3genE0ELNS1_11target_archE4294967295ELNS1_3gpuE0ELNS1_3repE0EEENS1_30default_config_static_selectorELNS0_4arch9wavefront6targetE0EEEvT1_
    .private_segment_fixed_size: 0
    .sgpr_count:     0
    .sgpr_spill_count: 0
    .symbol:         _ZN7rocprim17ROCPRIM_400000_NS6detail17trampoline_kernelINS0_14default_configENS1_25partition_config_selectorILNS1_17partition_subalgoE5ElNS0_10empty_typeEbEEZZNS1_14partition_implILS5_5ELb0ES3_mN6hipcub16HIPCUB_304000_NS21CountingInputIteratorIllEEPS6_NSA_22TransformInputIteratorIbN2at6native12_GLOBAL__N_19NonZeroOpIN3c108BFloat16EEEPKSK_lEENS0_5tupleIJPlS6_EEENSP_IJSD_SD_EEES6_PiJS6_EEE10hipError_tPvRmT3_T4_T5_T6_T7_T9_mT8_P12ihipStream_tbDpT10_ENKUlT_T0_E_clISt17integral_constantIbLb0EES1D_EEDaS18_S19_EUlS18_E_NS1_11comp_targetILNS1_3genE0ELNS1_11target_archE4294967295ELNS1_3gpuE0ELNS1_3repE0EEENS1_30default_config_static_selectorELNS0_4arch9wavefront6targetE0EEEvT1_.kd
    .uniform_work_group_size: 1
    .uses_dynamic_stack: false
    .vgpr_count:     0
    .vgpr_spill_count: 0
    .wavefront_size: 32
    .workgroup_processor_mode: 1
  - .args:
      - .offset:         0
        .size:           120
        .value_kind:     by_value
    .group_segment_fixed_size: 0
    .kernarg_segment_align: 8
    .kernarg_segment_size: 120
    .language:       OpenCL C
    .language_version:
      - 2
      - 0
    .max_flat_workgroup_size: 512
    .name:           _ZN7rocprim17ROCPRIM_400000_NS6detail17trampoline_kernelINS0_14default_configENS1_25partition_config_selectorILNS1_17partition_subalgoE5ElNS0_10empty_typeEbEEZZNS1_14partition_implILS5_5ELb0ES3_mN6hipcub16HIPCUB_304000_NS21CountingInputIteratorIllEEPS6_NSA_22TransformInputIteratorIbN2at6native12_GLOBAL__N_19NonZeroOpIN3c108BFloat16EEEPKSK_lEENS0_5tupleIJPlS6_EEENSP_IJSD_SD_EEES6_PiJS6_EEE10hipError_tPvRmT3_T4_T5_T6_T7_T9_mT8_P12ihipStream_tbDpT10_ENKUlT_T0_E_clISt17integral_constantIbLb0EES1D_EEDaS18_S19_EUlS18_E_NS1_11comp_targetILNS1_3genE5ELNS1_11target_archE942ELNS1_3gpuE9ELNS1_3repE0EEENS1_30default_config_static_selectorELNS0_4arch9wavefront6targetE0EEEvT1_
    .private_segment_fixed_size: 0
    .sgpr_count:     0
    .sgpr_spill_count: 0
    .symbol:         _ZN7rocprim17ROCPRIM_400000_NS6detail17trampoline_kernelINS0_14default_configENS1_25partition_config_selectorILNS1_17partition_subalgoE5ElNS0_10empty_typeEbEEZZNS1_14partition_implILS5_5ELb0ES3_mN6hipcub16HIPCUB_304000_NS21CountingInputIteratorIllEEPS6_NSA_22TransformInputIteratorIbN2at6native12_GLOBAL__N_19NonZeroOpIN3c108BFloat16EEEPKSK_lEENS0_5tupleIJPlS6_EEENSP_IJSD_SD_EEES6_PiJS6_EEE10hipError_tPvRmT3_T4_T5_T6_T7_T9_mT8_P12ihipStream_tbDpT10_ENKUlT_T0_E_clISt17integral_constantIbLb0EES1D_EEDaS18_S19_EUlS18_E_NS1_11comp_targetILNS1_3genE5ELNS1_11target_archE942ELNS1_3gpuE9ELNS1_3repE0EEENS1_30default_config_static_selectorELNS0_4arch9wavefront6targetE0EEEvT1_.kd
    .uniform_work_group_size: 1
    .uses_dynamic_stack: false
    .vgpr_count:     0
    .vgpr_spill_count: 0
    .wavefront_size: 32
    .workgroup_processor_mode: 1
  - .args:
      - .offset:         0
        .size:           120
        .value_kind:     by_value
    .group_segment_fixed_size: 0
    .kernarg_segment_align: 8
    .kernarg_segment_size: 120
    .language:       OpenCL C
    .language_version:
      - 2
      - 0
    .max_flat_workgroup_size: 192
    .name:           _ZN7rocprim17ROCPRIM_400000_NS6detail17trampoline_kernelINS0_14default_configENS1_25partition_config_selectorILNS1_17partition_subalgoE5ElNS0_10empty_typeEbEEZZNS1_14partition_implILS5_5ELb0ES3_mN6hipcub16HIPCUB_304000_NS21CountingInputIteratorIllEEPS6_NSA_22TransformInputIteratorIbN2at6native12_GLOBAL__N_19NonZeroOpIN3c108BFloat16EEEPKSK_lEENS0_5tupleIJPlS6_EEENSP_IJSD_SD_EEES6_PiJS6_EEE10hipError_tPvRmT3_T4_T5_T6_T7_T9_mT8_P12ihipStream_tbDpT10_ENKUlT_T0_E_clISt17integral_constantIbLb0EES1D_EEDaS18_S19_EUlS18_E_NS1_11comp_targetILNS1_3genE4ELNS1_11target_archE910ELNS1_3gpuE8ELNS1_3repE0EEENS1_30default_config_static_selectorELNS0_4arch9wavefront6targetE0EEEvT1_
    .private_segment_fixed_size: 0
    .sgpr_count:     0
    .sgpr_spill_count: 0
    .symbol:         _ZN7rocprim17ROCPRIM_400000_NS6detail17trampoline_kernelINS0_14default_configENS1_25partition_config_selectorILNS1_17partition_subalgoE5ElNS0_10empty_typeEbEEZZNS1_14partition_implILS5_5ELb0ES3_mN6hipcub16HIPCUB_304000_NS21CountingInputIteratorIllEEPS6_NSA_22TransformInputIteratorIbN2at6native12_GLOBAL__N_19NonZeroOpIN3c108BFloat16EEEPKSK_lEENS0_5tupleIJPlS6_EEENSP_IJSD_SD_EEES6_PiJS6_EEE10hipError_tPvRmT3_T4_T5_T6_T7_T9_mT8_P12ihipStream_tbDpT10_ENKUlT_T0_E_clISt17integral_constantIbLb0EES1D_EEDaS18_S19_EUlS18_E_NS1_11comp_targetILNS1_3genE4ELNS1_11target_archE910ELNS1_3gpuE8ELNS1_3repE0EEENS1_30default_config_static_selectorELNS0_4arch9wavefront6targetE0EEEvT1_.kd
    .uniform_work_group_size: 1
    .uses_dynamic_stack: false
    .vgpr_count:     0
    .vgpr_spill_count: 0
    .wavefront_size: 32
    .workgroup_processor_mode: 1
  - .args:
      - .offset:         0
        .size:           120
        .value_kind:     by_value
    .group_segment_fixed_size: 0
    .kernarg_segment_align: 8
    .kernarg_segment_size: 120
    .language:       OpenCL C
    .language_version:
      - 2
      - 0
    .max_flat_workgroup_size: 128
    .name:           _ZN7rocprim17ROCPRIM_400000_NS6detail17trampoline_kernelINS0_14default_configENS1_25partition_config_selectorILNS1_17partition_subalgoE5ElNS0_10empty_typeEbEEZZNS1_14partition_implILS5_5ELb0ES3_mN6hipcub16HIPCUB_304000_NS21CountingInputIteratorIllEEPS6_NSA_22TransformInputIteratorIbN2at6native12_GLOBAL__N_19NonZeroOpIN3c108BFloat16EEEPKSK_lEENS0_5tupleIJPlS6_EEENSP_IJSD_SD_EEES6_PiJS6_EEE10hipError_tPvRmT3_T4_T5_T6_T7_T9_mT8_P12ihipStream_tbDpT10_ENKUlT_T0_E_clISt17integral_constantIbLb0EES1D_EEDaS18_S19_EUlS18_E_NS1_11comp_targetILNS1_3genE3ELNS1_11target_archE908ELNS1_3gpuE7ELNS1_3repE0EEENS1_30default_config_static_selectorELNS0_4arch9wavefront6targetE0EEEvT1_
    .private_segment_fixed_size: 0
    .sgpr_count:     0
    .sgpr_spill_count: 0
    .symbol:         _ZN7rocprim17ROCPRIM_400000_NS6detail17trampoline_kernelINS0_14default_configENS1_25partition_config_selectorILNS1_17partition_subalgoE5ElNS0_10empty_typeEbEEZZNS1_14partition_implILS5_5ELb0ES3_mN6hipcub16HIPCUB_304000_NS21CountingInputIteratorIllEEPS6_NSA_22TransformInputIteratorIbN2at6native12_GLOBAL__N_19NonZeroOpIN3c108BFloat16EEEPKSK_lEENS0_5tupleIJPlS6_EEENSP_IJSD_SD_EEES6_PiJS6_EEE10hipError_tPvRmT3_T4_T5_T6_T7_T9_mT8_P12ihipStream_tbDpT10_ENKUlT_T0_E_clISt17integral_constantIbLb0EES1D_EEDaS18_S19_EUlS18_E_NS1_11comp_targetILNS1_3genE3ELNS1_11target_archE908ELNS1_3gpuE7ELNS1_3repE0EEENS1_30default_config_static_selectorELNS0_4arch9wavefront6targetE0EEEvT1_.kd
    .uniform_work_group_size: 1
    .uses_dynamic_stack: false
    .vgpr_count:     0
    .vgpr_spill_count: 0
    .wavefront_size: 32
    .workgroup_processor_mode: 1
  - .args:
      - .offset:         0
        .size:           120
        .value_kind:     by_value
    .group_segment_fixed_size: 0
    .kernarg_segment_align: 8
    .kernarg_segment_size: 120
    .language:       OpenCL C
    .language_version:
      - 2
      - 0
    .max_flat_workgroup_size: 256
    .name:           _ZN7rocprim17ROCPRIM_400000_NS6detail17trampoline_kernelINS0_14default_configENS1_25partition_config_selectorILNS1_17partition_subalgoE5ElNS0_10empty_typeEbEEZZNS1_14partition_implILS5_5ELb0ES3_mN6hipcub16HIPCUB_304000_NS21CountingInputIteratorIllEEPS6_NSA_22TransformInputIteratorIbN2at6native12_GLOBAL__N_19NonZeroOpIN3c108BFloat16EEEPKSK_lEENS0_5tupleIJPlS6_EEENSP_IJSD_SD_EEES6_PiJS6_EEE10hipError_tPvRmT3_T4_T5_T6_T7_T9_mT8_P12ihipStream_tbDpT10_ENKUlT_T0_E_clISt17integral_constantIbLb0EES1D_EEDaS18_S19_EUlS18_E_NS1_11comp_targetILNS1_3genE2ELNS1_11target_archE906ELNS1_3gpuE6ELNS1_3repE0EEENS1_30default_config_static_selectorELNS0_4arch9wavefront6targetE0EEEvT1_
    .private_segment_fixed_size: 0
    .sgpr_count:     0
    .sgpr_spill_count: 0
    .symbol:         _ZN7rocprim17ROCPRIM_400000_NS6detail17trampoline_kernelINS0_14default_configENS1_25partition_config_selectorILNS1_17partition_subalgoE5ElNS0_10empty_typeEbEEZZNS1_14partition_implILS5_5ELb0ES3_mN6hipcub16HIPCUB_304000_NS21CountingInputIteratorIllEEPS6_NSA_22TransformInputIteratorIbN2at6native12_GLOBAL__N_19NonZeroOpIN3c108BFloat16EEEPKSK_lEENS0_5tupleIJPlS6_EEENSP_IJSD_SD_EEES6_PiJS6_EEE10hipError_tPvRmT3_T4_T5_T6_T7_T9_mT8_P12ihipStream_tbDpT10_ENKUlT_T0_E_clISt17integral_constantIbLb0EES1D_EEDaS18_S19_EUlS18_E_NS1_11comp_targetILNS1_3genE2ELNS1_11target_archE906ELNS1_3gpuE6ELNS1_3repE0EEENS1_30default_config_static_selectorELNS0_4arch9wavefront6targetE0EEEvT1_.kd
    .uniform_work_group_size: 1
    .uses_dynamic_stack: false
    .vgpr_count:     0
    .vgpr_spill_count: 0
    .wavefront_size: 32
    .workgroup_processor_mode: 1
  - .args:
      - .offset:         0
        .size:           120
        .value_kind:     by_value
    .group_segment_fixed_size: 8464
    .kernarg_segment_align: 8
    .kernarg_segment_size: 120
    .language:       OpenCL C
    .language_version:
      - 2
      - 0
    .max_flat_workgroup_size: 256
    .name:           _ZN7rocprim17ROCPRIM_400000_NS6detail17trampoline_kernelINS0_14default_configENS1_25partition_config_selectorILNS1_17partition_subalgoE5ElNS0_10empty_typeEbEEZZNS1_14partition_implILS5_5ELb0ES3_mN6hipcub16HIPCUB_304000_NS21CountingInputIteratorIllEEPS6_NSA_22TransformInputIteratorIbN2at6native12_GLOBAL__N_19NonZeroOpIN3c108BFloat16EEEPKSK_lEENS0_5tupleIJPlS6_EEENSP_IJSD_SD_EEES6_PiJS6_EEE10hipError_tPvRmT3_T4_T5_T6_T7_T9_mT8_P12ihipStream_tbDpT10_ENKUlT_T0_E_clISt17integral_constantIbLb0EES1D_EEDaS18_S19_EUlS18_E_NS1_11comp_targetILNS1_3genE10ELNS1_11target_archE1200ELNS1_3gpuE4ELNS1_3repE0EEENS1_30default_config_static_selectorELNS0_4arch9wavefront6targetE0EEEvT1_
    .private_segment_fixed_size: 0
    .sgpr_count:     22
    .sgpr_spill_count: 0
    .symbol:         _ZN7rocprim17ROCPRIM_400000_NS6detail17trampoline_kernelINS0_14default_configENS1_25partition_config_selectorILNS1_17partition_subalgoE5ElNS0_10empty_typeEbEEZZNS1_14partition_implILS5_5ELb0ES3_mN6hipcub16HIPCUB_304000_NS21CountingInputIteratorIllEEPS6_NSA_22TransformInputIteratorIbN2at6native12_GLOBAL__N_19NonZeroOpIN3c108BFloat16EEEPKSK_lEENS0_5tupleIJPlS6_EEENSP_IJSD_SD_EEES6_PiJS6_EEE10hipError_tPvRmT3_T4_T5_T6_T7_T9_mT8_P12ihipStream_tbDpT10_ENKUlT_T0_E_clISt17integral_constantIbLb0EES1D_EEDaS18_S19_EUlS18_E_NS1_11comp_targetILNS1_3genE10ELNS1_11target_archE1200ELNS1_3gpuE4ELNS1_3repE0EEENS1_30default_config_static_selectorELNS0_4arch9wavefront6targetE0EEEvT1_.kd
    .uniform_work_group_size: 1
    .uses_dynamic_stack: false
    .vgpr_count:     46
    .vgpr_spill_count: 0
    .wavefront_size: 32
    .workgroup_processor_mode: 1
  - .args:
      - .offset:         0
        .size:           120
        .value_kind:     by_value
    .group_segment_fixed_size: 0
    .kernarg_segment_align: 8
    .kernarg_segment_size: 120
    .language:       OpenCL C
    .language_version:
      - 2
      - 0
    .max_flat_workgroup_size: 128
    .name:           _ZN7rocprim17ROCPRIM_400000_NS6detail17trampoline_kernelINS0_14default_configENS1_25partition_config_selectorILNS1_17partition_subalgoE5ElNS0_10empty_typeEbEEZZNS1_14partition_implILS5_5ELb0ES3_mN6hipcub16HIPCUB_304000_NS21CountingInputIteratorIllEEPS6_NSA_22TransformInputIteratorIbN2at6native12_GLOBAL__N_19NonZeroOpIN3c108BFloat16EEEPKSK_lEENS0_5tupleIJPlS6_EEENSP_IJSD_SD_EEES6_PiJS6_EEE10hipError_tPvRmT3_T4_T5_T6_T7_T9_mT8_P12ihipStream_tbDpT10_ENKUlT_T0_E_clISt17integral_constantIbLb0EES1D_EEDaS18_S19_EUlS18_E_NS1_11comp_targetILNS1_3genE9ELNS1_11target_archE1100ELNS1_3gpuE3ELNS1_3repE0EEENS1_30default_config_static_selectorELNS0_4arch9wavefront6targetE0EEEvT1_
    .private_segment_fixed_size: 0
    .sgpr_count:     0
    .sgpr_spill_count: 0
    .symbol:         _ZN7rocprim17ROCPRIM_400000_NS6detail17trampoline_kernelINS0_14default_configENS1_25partition_config_selectorILNS1_17partition_subalgoE5ElNS0_10empty_typeEbEEZZNS1_14partition_implILS5_5ELb0ES3_mN6hipcub16HIPCUB_304000_NS21CountingInputIteratorIllEEPS6_NSA_22TransformInputIteratorIbN2at6native12_GLOBAL__N_19NonZeroOpIN3c108BFloat16EEEPKSK_lEENS0_5tupleIJPlS6_EEENSP_IJSD_SD_EEES6_PiJS6_EEE10hipError_tPvRmT3_T4_T5_T6_T7_T9_mT8_P12ihipStream_tbDpT10_ENKUlT_T0_E_clISt17integral_constantIbLb0EES1D_EEDaS18_S19_EUlS18_E_NS1_11comp_targetILNS1_3genE9ELNS1_11target_archE1100ELNS1_3gpuE3ELNS1_3repE0EEENS1_30default_config_static_selectorELNS0_4arch9wavefront6targetE0EEEvT1_.kd
    .uniform_work_group_size: 1
    .uses_dynamic_stack: false
    .vgpr_count:     0
    .vgpr_spill_count: 0
    .wavefront_size: 32
    .workgroup_processor_mode: 1
  - .args:
      - .offset:         0
        .size:           120
        .value_kind:     by_value
    .group_segment_fixed_size: 0
    .kernarg_segment_align: 8
    .kernarg_segment_size: 120
    .language:       OpenCL C
    .language_version:
      - 2
      - 0
    .max_flat_workgroup_size: 512
    .name:           _ZN7rocprim17ROCPRIM_400000_NS6detail17trampoline_kernelINS0_14default_configENS1_25partition_config_selectorILNS1_17partition_subalgoE5ElNS0_10empty_typeEbEEZZNS1_14partition_implILS5_5ELb0ES3_mN6hipcub16HIPCUB_304000_NS21CountingInputIteratorIllEEPS6_NSA_22TransformInputIteratorIbN2at6native12_GLOBAL__N_19NonZeroOpIN3c108BFloat16EEEPKSK_lEENS0_5tupleIJPlS6_EEENSP_IJSD_SD_EEES6_PiJS6_EEE10hipError_tPvRmT3_T4_T5_T6_T7_T9_mT8_P12ihipStream_tbDpT10_ENKUlT_T0_E_clISt17integral_constantIbLb0EES1D_EEDaS18_S19_EUlS18_E_NS1_11comp_targetILNS1_3genE8ELNS1_11target_archE1030ELNS1_3gpuE2ELNS1_3repE0EEENS1_30default_config_static_selectorELNS0_4arch9wavefront6targetE0EEEvT1_
    .private_segment_fixed_size: 0
    .sgpr_count:     0
    .sgpr_spill_count: 0
    .symbol:         _ZN7rocprim17ROCPRIM_400000_NS6detail17trampoline_kernelINS0_14default_configENS1_25partition_config_selectorILNS1_17partition_subalgoE5ElNS0_10empty_typeEbEEZZNS1_14partition_implILS5_5ELb0ES3_mN6hipcub16HIPCUB_304000_NS21CountingInputIteratorIllEEPS6_NSA_22TransformInputIteratorIbN2at6native12_GLOBAL__N_19NonZeroOpIN3c108BFloat16EEEPKSK_lEENS0_5tupleIJPlS6_EEENSP_IJSD_SD_EEES6_PiJS6_EEE10hipError_tPvRmT3_T4_T5_T6_T7_T9_mT8_P12ihipStream_tbDpT10_ENKUlT_T0_E_clISt17integral_constantIbLb0EES1D_EEDaS18_S19_EUlS18_E_NS1_11comp_targetILNS1_3genE8ELNS1_11target_archE1030ELNS1_3gpuE2ELNS1_3repE0EEENS1_30default_config_static_selectorELNS0_4arch9wavefront6targetE0EEEvT1_.kd
    .uniform_work_group_size: 1
    .uses_dynamic_stack: false
    .vgpr_count:     0
    .vgpr_spill_count: 0
    .wavefront_size: 32
    .workgroup_processor_mode: 1
  - .args:
      - .offset:         0
        .size:           136
        .value_kind:     by_value
    .group_segment_fixed_size: 0
    .kernarg_segment_align: 8
    .kernarg_segment_size: 136
    .language:       OpenCL C
    .language_version:
      - 2
      - 0
    .max_flat_workgroup_size: 128
    .name:           _ZN7rocprim17ROCPRIM_400000_NS6detail17trampoline_kernelINS0_14default_configENS1_25partition_config_selectorILNS1_17partition_subalgoE5ElNS0_10empty_typeEbEEZZNS1_14partition_implILS5_5ELb0ES3_mN6hipcub16HIPCUB_304000_NS21CountingInputIteratorIllEEPS6_NSA_22TransformInputIteratorIbN2at6native12_GLOBAL__N_19NonZeroOpIN3c108BFloat16EEEPKSK_lEENS0_5tupleIJPlS6_EEENSP_IJSD_SD_EEES6_PiJS6_EEE10hipError_tPvRmT3_T4_T5_T6_T7_T9_mT8_P12ihipStream_tbDpT10_ENKUlT_T0_E_clISt17integral_constantIbLb1EES1D_EEDaS18_S19_EUlS18_E_NS1_11comp_targetILNS1_3genE0ELNS1_11target_archE4294967295ELNS1_3gpuE0ELNS1_3repE0EEENS1_30default_config_static_selectorELNS0_4arch9wavefront6targetE0EEEvT1_
    .private_segment_fixed_size: 0
    .sgpr_count:     0
    .sgpr_spill_count: 0
    .symbol:         _ZN7rocprim17ROCPRIM_400000_NS6detail17trampoline_kernelINS0_14default_configENS1_25partition_config_selectorILNS1_17partition_subalgoE5ElNS0_10empty_typeEbEEZZNS1_14partition_implILS5_5ELb0ES3_mN6hipcub16HIPCUB_304000_NS21CountingInputIteratorIllEEPS6_NSA_22TransformInputIteratorIbN2at6native12_GLOBAL__N_19NonZeroOpIN3c108BFloat16EEEPKSK_lEENS0_5tupleIJPlS6_EEENSP_IJSD_SD_EEES6_PiJS6_EEE10hipError_tPvRmT3_T4_T5_T6_T7_T9_mT8_P12ihipStream_tbDpT10_ENKUlT_T0_E_clISt17integral_constantIbLb1EES1D_EEDaS18_S19_EUlS18_E_NS1_11comp_targetILNS1_3genE0ELNS1_11target_archE4294967295ELNS1_3gpuE0ELNS1_3repE0EEENS1_30default_config_static_selectorELNS0_4arch9wavefront6targetE0EEEvT1_.kd
    .uniform_work_group_size: 1
    .uses_dynamic_stack: false
    .vgpr_count:     0
    .vgpr_spill_count: 0
    .wavefront_size: 32
    .workgroup_processor_mode: 1
  - .args:
      - .offset:         0
        .size:           136
        .value_kind:     by_value
    .group_segment_fixed_size: 0
    .kernarg_segment_align: 8
    .kernarg_segment_size: 136
    .language:       OpenCL C
    .language_version:
      - 2
      - 0
    .max_flat_workgroup_size: 512
    .name:           _ZN7rocprim17ROCPRIM_400000_NS6detail17trampoline_kernelINS0_14default_configENS1_25partition_config_selectorILNS1_17partition_subalgoE5ElNS0_10empty_typeEbEEZZNS1_14partition_implILS5_5ELb0ES3_mN6hipcub16HIPCUB_304000_NS21CountingInputIteratorIllEEPS6_NSA_22TransformInputIteratorIbN2at6native12_GLOBAL__N_19NonZeroOpIN3c108BFloat16EEEPKSK_lEENS0_5tupleIJPlS6_EEENSP_IJSD_SD_EEES6_PiJS6_EEE10hipError_tPvRmT3_T4_T5_T6_T7_T9_mT8_P12ihipStream_tbDpT10_ENKUlT_T0_E_clISt17integral_constantIbLb1EES1D_EEDaS18_S19_EUlS18_E_NS1_11comp_targetILNS1_3genE5ELNS1_11target_archE942ELNS1_3gpuE9ELNS1_3repE0EEENS1_30default_config_static_selectorELNS0_4arch9wavefront6targetE0EEEvT1_
    .private_segment_fixed_size: 0
    .sgpr_count:     0
    .sgpr_spill_count: 0
    .symbol:         _ZN7rocprim17ROCPRIM_400000_NS6detail17trampoline_kernelINS0_14default_configENS1_25partition_config_selectorILNS1_17partition_subalgoE5ElNS0_10empty_typeEbEEZZNS1_14partition_implILS5_5ELb0ES3_mN6hipcub16HIPCUB_304000_NS21CountingInputIteratorIllEEPS6_NSA_22TransformInputIteratorIbN2at6native12_GLOBAL__N_19NonZeroOpIN3c108BFloat16EEEPKSK_lEENS0_5tupleIJPlS6_EEENSP_IJSD_SD_EEES6_PiJS6_EEE10hipError_tPvRmT3_T4_T5_T6_T7_T9_mT8_P12ihipStream_tbDpT10_ENKUlT_T0_E_clISt17integral_constantIbLb1EES1D_EEDaS18_S19_EUlS18_E_NS1_11comp_targetILNS1_3genE5ELNS1_11target_archE942ELNS1_3gpuE9ELNS1_3repE0EEENS1_30default_config_static_selectorELNS0_4arch9wavefront6targetE0EEEvT1_.kd
    .uniform_work_group_size: 1
    .uses_dynamic_stack: false
    .vgpr_count:     0
    .vgpr_spill_count: 0
    .wavefront_size: 32
    .workgroup_processor_mode: 1
  - .args:
      - .offset:         0
        .size:           136
        .value_kind:     by_value
    .group_segment_fixed_size: 0
    .kernarg_segment_align: 8
    .kernarg_segment_size: 136
    .language:       OpenCL C
    .language_version:
      - 2
      - 0
    .max_flat_workgroup_size: 192
    .name:           _ZN7rocprim17ROCPRIM_400000_NS6detail17trampoline_kernelINS0_14default_configENS1_25partition_config_selectorILNS1_17partition_subalgoE5ElNS0_10empty_typeEbEEZZNS1_14partition_implILS5_5ELb0ES3_mN6hipcub16HIPCUB_304000_NS21CountingInputIteratorIllEEPS6_NSA_22TransformInputIteratorIbN2at6native12_GLOBAL__N_19NonZeroOpIN3c108BFloat16EEEPKSK_lEENS0_5tupleIJPlS6_EEENSP_IJSD_SD_EEES6_PiJS6_EEE10hipError_tPvRmT3_T4_T5_T6_T7_T9_mT8_P12ihipStream_tbDpT10_ENKUlT_T0_E_clISt17integral_constantIbLb1EES1D_EEDaS18_S19_EUlS18_E_NS1_11comp_targetILNS1_3genE4ELNS1_11target_archE910ELNS1_3gpuE8ELNS1_3repE0EEENS1_30default_config_static_selectorELNS0_4arch9wavefront6targetE0EEEvT1_
    .private_segment_fixed_size: 0
    .sgpr_count:     0
    .sgpr_spill_count: 0
    .symbol:         _ZN7rocprim17ROCPRIM_400000_NS6detail17trampoline_kernelINS0_14default_configENS1_25partition_config_selectorILNS1_17partition_subalgoE5ElNS0_10empty_typeEbEEZZNS1_14partition_implILS5_5ELb0ES3_mN6hipcub16HIPCUB_304000_NS21CountingInputIteratorIllEEPS6_NSA_22TransformInputIteratorIbN2at6native12_GLOBAL__N_19NonZeroOpIN3c108BFloat16EEEPKSK_lEENS0_5tupleIJPlS6_EEENSP_IJSD_SD_EEES6_PiJS6_EEE10hipError_tPvRmT3_T4_T5_T6_T7_T9_mT8_P12ihipStream_tbDpT10_ENKUlT_T0_E_clISt17integral_constantIbLb1EES1D_EEDaS18_S19_EUlS18_E_NS1_11comp_targetILNS1_3genE4ELNS1_11target_archE910ELNS1_3gpuE8ELNS1_3repE0EEENS1_30default_config_static_selectorELNS0_4arch9wavefront6targetE0EEEvT1_.kd
    .uniform_work_group_size: 1
    .uses_dynamic_stack: false
    .vgpr_count:     0
    .vgpr_spill_count: 0
    .wavefront_size: 32
    .workgroup_processor_mode: 1
  - .args:
      - .offset:         0
        .size:           136
        .value_kind:     by_value
    .group_segment_fixed_size: 0
    .kernarg_segment_align: 8
    .kernarg_segment_size: 136
    .language:       OpenCL C
    .language_version:
      - 2
      - 0
    .max_flat_workgroup_size: 128
    .name:           _ZN7rocprim17ROCPRIM_400000_NS6detail17trampoline_kernelINS0_14default_configENS1_25partition_config_selectorILNS1_17partition_subalgoE5ElNS0_10empty_typeEbEEZZNS1_14partition_implILS5_5ELb0ES3_mN6hipcub16HIPCUB_304000_NS21CountingInputIteratorIllEEPS6_NSA_22TransformInputIteratorIbN2at6native12_GLOBAL__N_19NonZeroOpIN3c108BFloat16EEEPKSK_lEENS0_5tupleIJPlS6_EEENSP_IJSD_SD_EEES6_PiJS6_EEE10hipError_tPvRmT3_T4_T5_T6_T7_T9_mT8_P12ihipStream_tbDpT10_ENKUlT_T0_E_clISt17integral_constantIbLb1EES1D_EEDaS18_S19_EUlS18_E_NS1_11comp_targetILNS1_3genE3ELNS1_11target_archE908ELNS1_3gpuE7ELNS1_3repE0EEENS1_30default_config_static_selectorELNS0_4arch9wavefront6targetE0EEEvT1_
    .private_segment_fixed_size: 0
    .sgpr_count:     0
    .sgpr_spill_count: 0
    .symbol:         _ZN7rocprim17ROCPRIM_400000_NS6detail17trampoline_kernelINS0_14default_configENS1_25partition_config_selectorILNS1_17partition_subalgoE5ElNS0_10empty_typeEbEEZZNS1_14partition_implILS5_5ELb0ES3_mN6hipcub16HIPCUB_304000_NS21CountingInputIteratorIllEEPS6_NSA_22TransformInputIteratorIbN2at6native12_GLOBAL__N_19NonZeroOpIN3c108BFloat16EEEPKSK_lEENS0_5tupleIJPlS6_EEENSP_IJSD_SD_EEES6_PiJS6_EEE10hipError_tPvRmT3_T4_T5_T6_T7_T9_mT8_P12ihipStream_tbDpT10_ENKUlT_T0_E_clISt17integral_constantIbLb1EES1D_EEDaS18_S19_EUlS18_E_NS1_11comp_targetILNS1_3genE3ELNS1_11target_archE908ELNS1_3gpuE7ELNS1_3repE0EEENS1_30default_config_static_selectorELNS0_4arch9wavefront6targetE0EEEvT1_.kd
    .uniform_work_group_size: 1
    .uses_dynamic_stack: false
    .vgpr_count:     0
    .vgpr_spill_count: 0
    .wavefront_size: 32
    .workgroup_processor_mode: 1
  - .args:
      - .offset:         0
        .size:           136
        .value_kind:     by_value
    .group_segment_fixed_size: 0
    .kernarg_segment_align: 8
    .kernarg_segment_size: 136
    .language:       OpenCL C
    .language_version:
      - 2
      - 0
    .max_flat_workgroup_size: 256
    .name:           _ZN7rocprim17ROCPRIM_400000_NS6detail17trampoline_kernelINS0_14default_configENS1_25partition_config_selectorILNS1_17partition_subalgoE5ElNS0_10empty_typeEbEEZZNS1_14partition_implILS5_5ELb0ES3_mN6hipcub16HIPCUB_304000_NS21CountingInputIteratorIllEEPS6_NSA_22TransformInputIteratorIbN2at6native12_GLOBAL__N_19NonZeroOpIN3c108BFloat16EEEPKSK_lEENS0_5tupleIJPlS6_EEENSP_IJSD_SD_EEES6_PiJS6_EEE10hipError_tPvRmT3_T4_T5_T6_T7_T9_mT8_P12ihipStream_tbDpT10_ENKUlT_T0_E_clISt17integral_constantIbLb1EES1D_EEDaS18_S19_EUlS18_E_NS1_11comp_targetILNS1_3genE2ELNS1_11target_archE906ELNS1_3gpuE6ELNS1_3repE0EEENS1_30default_config_static_selectorELNS0_4arch9wavefront6targetE0EEEvT1_
    .private_segment_fixed_size: 0
    .sgpr_count:     0
    .sgpr_spill_count: 0
    .symbol:         _ZN7rocprim17ROCPRIM_400000_NS6detail17trampoline_kernelINS0_14default_configENS1_25partition_config_selectorILNS1_17partition_subalgoE5ElNS0_10empty_typeEbEEZZNS1_14partition_implILS5_5ELb0ES3_mN6hipcub16HIPCUB_304000_NS21CountingInputIteratorIllEEPS6_NSA_22TransformInputIteratorIbN2at6native12_GLOBAL__N_19NonZeroOpIN3c108BFloat16EEEPKSK_lEENS0_5tupleIJPlS6_EEENSP_IJSD_SD_EEES6_PiJS6_EEE10hipError_tPvRmT3_T4_T5_T6_T7_T9_mT8_P12ihipStream_tbDpT10_ENKUlT_T0_E_clISt17integral_constantIbLb1EES1D_EEDaS18_S19_EUlS18_E_NS1_11comp_targetILNS1_3genE2ELNS1_11target_archE906ELNS1_3gpuE6ELNS1_3repE0EEENS1_30default_config_static_selectorELNS0_4arch9wavefront6targetE0EEEvT1_.kd
    .uniform_work_group_size: 1
    .uses_dynamic_stack: false
    .vgpr_count:     0
    .vgpr_spill_count: 0
    .wavefront_size: 32
    .workgroup_processor_mode: 1
  - .args:
      - .offset:         0
        .size:           136
        .value_kind:     by_value
    .group_segment_fixed_size: 0
    .kernarg_segment_align: 8
    .kernarg_segment_size: 136
    .language:       OpenCL C
    .language_version:
      - 2
      - 0
    .max_flat_workgroup_size: 256
    .name:           _ZN7rocprim17ROCPRIM_400000_NS6detail17trampoline_kernelINS0_14default_configENS1_25partition_config_selectorILNS1_17partition_subalgoE5ElNS0_10empty_typeEbEEZZNS1_14partition_implILS5_5ELb0ES3_mN6hipcub16HIPCUB_304000_NS21CountingInputIteratorIllEEPS6_NSA_22TransformInputIteratorIbN2at6native12_GLOBAL__N_19NonZeroOpIN3c108BFloat16EEEPKSK_lEENS0_5tupleIJPlS6_EEENSP_IJSD_SD_EEES6_PiJS6_EEE10hipError_tPvRmT3_T4_T5_T6_T7_T9_mT8_P12ihipStream_tbDpT10_ENKUlT_T0_E_clISt17integral_constantIbLb1EES1D_EEDaS18_S19_EUlS18_E_NS1_11comp_targetILNS1_3genE10ELNS1_11target_archE1200ELNS1_3gpuE4ELNS1_3repE0EEENS1_30default_config_static_selectorELNS0_4arch9wavefront6targetE0EEEvT1_
    .private_segment_fixed_size: 0
    .sgpr_count:     0
    .sgpr_spill_count: 0
    .symbol:         _ZN7rocprim17ROCPRIM_400000_NS6detail17trampoline_kernelINS0_14default_configENS1_25partition_config_selectorILNS1_17partition_subalgoE5ElNS0_10empty_typeEbEEZZNS1_14partition_implILS5_5ELb0ES3_mN6hipcub16HIPCUB_304000_NS21CountingInputIteratorIllEEPS6_NSA_22TransformInputIteratorIbN2at6native12_GLOBAL__N_19NonZeroOpIN3c108BFloat16EEEPKSK_lEENS0_5tupleIJPlS6_EEENSP_IJSD_SD_EEES6_PiJS6_EEE10hipError_tPvRmT3_T4_T5_T6_T7_T9_mT8_P12ihipStream_tbDpT10_ENKUlT_T0_E_clISt17integral_constantIbLb1EES1D_EEDaS18_S19_EUlS18_E_NS1_11comp_targetILNS1_3genE10ELNS1_11target_archE1200ELNS1_3gpuE4ELNS1_3repE0EEENS1_30default_config_static_selectorELNS0_4arch9wavefront6targetE0EEEvT1_.kd
    .uniform_work_group_size: 1
    .uses_dynamic_stack: false
    .vgpr_count:     0
    .vgpr_spill_count: 0
    .wavefront_size: 32
    .workgroup_processor_mode: 1
  - .args:
      - .offset:         0
        .size:           136
        .value_kind:     by_value
    .group_segment_fixed_size: 0
    .kernarg_segment_align: 8
    .kernarg_segment_size: 136
    .language:       OpenCL C
    .language_version:
      - 2
      - 0
    .max_flat_workgroup_size: 128
    .name:           _ZN7rocprim17ROCPRIM_400000_NS6detail17trampoline_kernelINS0_14default_configENS1_25partition_config_selectorILNS1_17partition_subalgoE5ElNS0_10empty_typeEbEEZZNS1_14partition_implILS5_5ELb0ES3_mN6hipcub16HIPCUB_304000_NS21CountingInputIteratorIllEEPS6_NSA_22TransformInputIteratorIbN2at6native12_GLOBAL__N_19NonZeroOpIN3c108BFloat16EEEPKSK_lEENS0_5tupleIJPlS6_EEENSP_IJSD_SD_EEES6_PiJS6_EEE10hipError_tPvRmT3_T4_T5_T6_T7_T9_mT8_P12ihipStream_tbDpT10_ENKUlT_T0_E_clISt17integral_constantIbLb1EES1D_EEDaS18_S19_EUlS18_E_NS1_11comp_targetILNS1_3genE9ELNS1_11target_archE1100ELNS1_3gpuE3ELNS1_3repE0EEENS1_30default_config_static_selectorELNS0_4arch9wavefront6targetE0EEEvT1_
    .private_segment_fixed_size: 0
    .sgpr_count:     0
    .sgpr_spill_count: 0
    .symbol:         _ZN7rocprim17ROCPRIM_400000_NS6detail17trampoline_kernelINS0_14default_configENS1_25partition_config_selectorILNS1_17partition_subalgoE5ElNS0_10empty_typeEbEEZZNS1_14partition_implILS5_5ELb0ES3_mN6hipcub16HIPCUB_304000_NS21CountingInputIteratorIllEEPS6_NSA_22TransformInputIteratorIbN2at6native12_GLOBAL__N_19NonZeroOpIN3c108BFloat16EEEPKSK_lEENS0_5tupleIJPlS6_EEENSP_IJSD_SD_EEES6_PiJS6_EEE10hipError_tPvRmT3_T4_T5_T6_T7_T9_mT8_P12ihipStream_tbDpT10_ENKUlT_T0_E_clISt17integral_constantIbLb1EES1D_EEDaS18_S19_EUlS18_E_NS1_11comp_targetILNS1_3genE9ELNS1_11target_archE1100ELNS1_3gpuE3ELNS1_3repE0EEENS1_30default_config_static_selectorELNS0_4arch9wavefront6targetE0EEEvT1_.kd
    .uniform_work_group_size: 1
    .uses_dynamic_stack: false
    .vgpr_count:     0
    .vgpr_spill_count: 0
    .wavefront_size: 32
    .workgroup_processor_mode: 1
  - .args:
      - .offset:         0
        .size:           136
        .value_kind:     by_value
    .group_segment_fixed_size: 0
    .kernarg_segment_align: 8
    .kernarg_segment_size: 136
    .language:       OpenCL C
    .language_version:
      - 2
      - 0
    .max_flat_workgroup_size: 512
    .name:           _ZN7rocprim17ROCPRIM_400000_NS6detail17trampoline_kernelINS0_14default_configENS1_25partition_config_selectorILNS1_17partition_subalgoE5ElNS0_10empty_typeEbEEZZNS1_14partition_implILS5_5ELb0ES3_mN6hipcub16HIPCUB_304000_NS21CountingInputIteratorIllEEPS6_NSA_22TransformInputIteratorIbN2at6native12_GLOBAL__N_19NonZeroOpIN3c108BFloat16EEEPKSK_lEENS0_5tupleIJPlS6_EEENSP_IJSD_SD_EEES6_PiJS6_EEE10hipError_tPvRmT3_T4_T5_T6_T7_T9_mT8_P12ihipStream_tbDpT10_ENKUlT_T0_E_clISt17integral_constantIbLb1EES1D_EEDaS18_S19_EUlS18_E_NS1_11comp_targetILNS1_3genE8ELNS1_11target_archE1030ELNS1_3gpuE2ELNS1_3repE0EEENS1_30default_config_static_selectorELNS0_4arch9wavefront6targetE0EEEvT1_
    .private_segment_fixed_size: 0
    .sgpr_count:     0
    .sgpr_spill_count: 0
    .symbol:         _ZN7rocprim17ROCPRIM_400000_NS6detail17trampoline_kernelINS0_14default_configENS1_25partition_config_selectorILNS1_17partition_subalgoE5ElNS0_10empty_typeEbEEZZNS1_14partition_implILS5_5ELb0ES3_mN6hipcub16HIPCUB_304000_NS21CountingInputIteratorIllEEPS6_NSA_22TransformInputIteratorIbN2at6native12_GLOBAL__N_19NonZeroOpIN3c108BFloat16EEEPKSK_lEENS0_5tupleIJPlS6_EEENSP_IJSD_SD_EEES6_PiJS6_EEE10hipError_tPvRmT3_T4_T5_T6_T7_T9_mT8_P12ihipStream_tbDpT10_ENKUlT_T0_E_clISt17integral_constantIbLb1EES1D_EEDaS18_S19_EUlS18_E_NS1_11comp_targetILNS1_3genE8ELNS1_11target_archE1030ELNS1_3gpuE2ELNS1_3repE0EEENS1_30default_config_static_selectorELNS0_4arch9wavefront6targetE0EEEvT1_.kd
    .uniform_work_group_size: 1
    .uses_dynamic_stack: false
    .vgpr_count:     0
    .vgpr_spill_count: 0
    .wavefront_size: 32
    .workgroup_processor_mode: 1
  - .args:
      - .offset:         0
        .size:           120
        .value_kind:     by_value
    .group_segment_fixed_size: 0
    .kernarg_segment_align: 8
    .kernarg_segment_size: 120
    .language:       OpenCL C
    .language_version:
      - 2
      - 0
    .max_flat_workgroup_size: 128
    .name:           _ZN7rocprim17ROCPRIM_400000_NS6detail17trampoline_kernelINS0_14default_configENS1_25partition_config_selectorILNS1_17partition_subalgoE5ElNS0_10empty_typeEbEEZZNS1_14partition_implILS5_5ELb0ES3_mN6hipcub16HIPCUB_304000_NS21CountingInputIteratorIllEEPS6_NSA_22TransformInputIteratorIbN2at6native12_GLOBAL__N_19NonZeroOpIN3c108BFloat16EEEPKSK_lEENS0_5tupleIJPlS6_EEENSP_IJSD_SD_EEES6_PiJS6_EEE10hipError_tPvRmT3_T4_T5_T6_T7_T9_mT8_P12ihipStream_tbDpT10_ENKUlT_T0_E_clISt17integral_constantIbLb1EES1C_IbLb0EEEEDaS18_S19_EUlS18_E_NS1_11comp_targetILNS1_3genE0ELNS1_11target_archE4294967295ELNS1_3gpuE0ELNS1_3repE0EEENS1_30default_config_static_selectorELNS0_4arch9wavefront6targetE0EEEvT1_
    .private_segment_fixed_size: 0
    .sgpr_count:     0
    .sgpr_spill_count: 0
    .symbol:         _ZN7rocprim17ROCPRIM_400000_NS6detail17trampoline_kernelINS0_14default_configENS1_25partition_config_selectorILNS1_17partition_subalgoE5ElNS0_10empty_typeEbEEZZNS1_14partition_implILS5_5ELb0ES3_mN6hipcub16HIPCUB_304000_NS21CountingInputIteratorIllEEPS6_NSA_22TransformInputIteratorIbN2at6native12_GLOBAL__N_19NonZeroOpIN3c108BFloat16EEEPKSK_lEENS0_5tupleIJPlS6_EEENSP_IJSD_SD_EEES6_PiJS6_EEE10hipError_tPvRmT3_T4_T5_T6_T7_T9_mT8_P12ihipStream_tbDpT10_ENKUlT_T0_E_clISt17integral_constantIbLb1EES1C_IbLb0EEEEDaS18_S19_EUlS18_E_NS1_11comp_targetILNS1_3genE0ELNS1_11target_archE4294967295ELNS1_3gpuE0ELNS1_3repE0EEENS1_30default_config_static_selectorELNS0_4arch9wavefront6targetE0EEEvT1_.kd
    .uniform_work_group_size: 1
    .uses_dynamic_stack: false
    .vgpr_count:     0
    .vgpr_spill_count: 0
    .wavefront_size: 32
    .workgroup_processor_mode: 1
  - .args:
      - .offset:         0
        .size:           120
        .value_kind:     by_value
    .group_segment_fixed_size: 0
    .kernarg_segment_align: 8
    .kernarg_segment_size: 120
    .language:       OpenCL C
    .language_version:
      - 2
      - 0
    .max_flat_workgroup_size: 512
    .name:           _ZN7rocprim17ROCPRIM_400000_NS6detail17trampoline_kernelINS0_14default_configENS1_25partition_config_selectorILNS1_17partition_subalgoE5ElNS0_10empty_typeEbEEZZNS1_14partition_implILS5_5ELb0ES3_mN6hipcub16HIPCUB_304000_NS21CountingInputIteratorIllEEPS6_NSA_22TransformInputIteratorIbN2at6native12_GLOBAL__N_19NonZeroOpIN3c108BFloat16EEEPKSK_lEENS0_5tupleIJPlS6_EEENSP_IJSD_SD_EEES6_PiJS6_EEE10hipError_tPvRmT3_T4_T5_T6_T7_T9_mT8_P12ihipStream_tbDpT10_ENKUlT_T0_E_clISt17integral_constantIbLb1EES1C_IbLb0EEEEDaS18_S19_EUlS18_E_NS1_11comp_targetILNS1_3genE5ELNS1_11target_archE942ELNS1_3gpuE9ELNS1_3repE0EEENS1_30default_config_static_selectorELNS0_4arch9wavefront6targetE0EEEvT1_
    .private_segment_fixed_size: 0
    .sgpr_count:     0
    .sgpr_spill_count: 0
    .symbol:         _ZN7rocprim17ROCPRIM_400000_NS6detail17trampoline_kernelINS0_14default_configENS1_25partition_config_selectorILNS1_17partition_subalgoE5ElNS0_10empty_typeEbEEZZNS1_14partition_implILS5_5ELb0ES3_mN6hipcub16HIPCUB_304000_NS21CountingInputIteratorIllEEPS6_NSA_22TransformInputIteratorIbN2at6native12_GLOBAL__N_19NonZeroOpIN3c108BFloat16EEEPKSK_lEENS0_5tupleIJPlS6_EEENSP_IJSD_SD_EEES6_PiJS6_EEE10hipError_tPvRmT3_T4_T5_T6_T7_T9_mT8_P12ihipStream_tbDpT10_ENKUlT_T0_E_clISt17integral_constantIbLb1EES1C_IbLb0EEEEDaS18_S19_EUlS18_E_NS1_11comp_targetILNS1_3genE5ELNS1_11target_archE942ELNS1_3gpuE9ELNS1_3repE0EEENS1_30default_config_static_selectorELNS0_4arch9wavefront6targetE0EEEvT1_.kd
    .uniform_work_group_size: 1
    .uses_dynamic_stack: false
    .vgpr_count:     0
    .vgpr_spill_count: 0
    .wavefront_size: 32
    .workgroup_processor_mode: 1
  - .args:
      - .offset:         0
        .size:           120
        .value_kind:     by_value
    .group_segment_fixed_size: 0
    .kernarg_segment_align: 8
    .kernarg_segment_size: 120
    .language:       OpenCL C
    .language_version:
      - 2
      - 0
    .max_flat_workgroup_size: 192
    .name:           _ZN7rocprim17ROCPRIM_400000_NS6detail17trampoline_kernelINS0_14default_configENS1_25partition_config_selectorILNS1_17partition_subalgoE5ElNS0_10empty_typeEbEEZZNS1_14partition_implILS5_5ELb0ES3_mN6hipcub16HIPCUB_304000_NS21CountingInputIteratorIllEEPS6_NSA_22TransformInputIteratorIbN2at6native12_GLOBAL__N_19NonZeroOpIN3c108BFloat16EEEPKSK_lEENS0_5tupleIJPlS6_EEENSP_IJSD_SD_EEES6_PiJS6_EEE10hipError_tPvRmT3_T4_T5_T6_T7_T9_mT8_P12ihipStream_tbDpT10_ENKUlT_T0_E_clISt17integral_constantIbLb1EES1C_IbLb0EEEEDaS18_S19_EUlS18_E_NS1_11comp_targetILNS1_3genE4ELNS1_11target_archE910ELNS1_3gpuE8ELNS1_3repE0EEENS1_30default_config_static_selectorELNS0_4arch9wavefront6targetE0EEEvT1_
    .private_segment_fixed_size: 0
    .sgpr_count:     0
    .sgpr_spill_count: 0
    .symbol:         _ZN7rocprim17ROCPRIM_400000_NS6detail17trampoline_kernelINS0_14default_configENS1_25partition_config_selectorILNS1_17partition_subalgoE5ElNS0_10empty_typeEbEEZZNS1_14partition_implILS5_5ELb0ES3_mN6hipcub16HIPCUB_304000_NS21CountingInputIteratorIllEEPS6_NSA_22TransformInputIteratorIbN2at6native12_GLOBAL__N_19NonZeroOpIN3c108BFloat16EEEPKSK_lEENS0_5tupleIJPlS6_EEENSP_IJSD_SD_EEES6_PiJS6_EEE10hipError_tPvRmT3_T4_T5_T6_T7_T9_mT8_P12ihipStream_tbDpT10_ENKUlT_T0_E_clISt17integral_constantIbLb1EES1C_IbLb0EEEEDaS18_S19_EUlS18_E_NS1_11comp_targetILNS1_3genE4ELNS1_11target_archE910ELNS1_3gpuE8ELNS1_3repE0EEENS1_30default_config_static_selectorELNS0_4arch9wavefront6targetE0EEEvT1_.kd
    .uniform_work_group_size: 1
    .uses_dynamic_stack: false
    .vgpr_count:     0
    .vgpr_spill_count: 0
    .wavefront_size: 32
    .workgroup_processor_mode: 1
  - .args:
      - .offset:         0
        .size:           120
        .value_kind:     by_value
    .group_segment_fixed_size: 0
    .kernarg_segment_align: 8
    .kernarg_segment_size: 120
    .language:       OpenCL C
    .language_version:
      - 2
      - 0
    .max_flat_workgroup_size: 128
    .name:           _ZN7rocprim17ROCPRIM_400000_NS6detail17trampoline_kernelINS0_14default_configENS1_25partition_config_selectorILNS1_17partition_subalgoE5ElNS0_10empty_typeEbEEZZNS1_14partition_implILS5_5ELb0ES3_mN6hipcub16HIPCUB_304000_NS21CountingInputIteratorIllEEPS6_NSA_22TransformInputIteratorIbN2at6native12_GLOBAL__N_19NonZeroOpIN3c108BFloat16EEEPKSK_lEENS0_5tupleIJPlS6_EEENSP_IJSD_SD_EEES6_PiJS6_EEE10hipError_tPvRmT3_T4_T5_T6_T7_T9_mT8_P12ihipStream_tbDpT10_ENKUlT_T0_E_clISt17integral_constantIbLb1EES1C_IbLb0EEEEDaS18_S19_EUlS18_E_NS1_11comp_targetILNS1_3genE3ELNS1_11target_archE908ELNS1_3gpuE7ELNS1_3repE0EEENS1_30default_config_static_selectorELNS0_4arch9wavefront6targetE0EEEvT1_
    .private_segment_fixed_size: 0
    .sgpr_count:     0
    .sgpr_spill_count: 0
    .symbol:         _ZN7rocprim17ROCPRIM_400000_NS6detail17trampoline_kernelINS0_14default_configENS1_25partition_config_selectorILNS1_17partition_subalgoE5ElNS0_10empty_typeEbEEZZNS1_14partition_implILS5_5ELb0ES3_mN6hipcub16HIPCUB_304000_NS21CountingInputIteratorIllEEPS6_NSA_22TransformInputIteratorIbN2at6native12_GLOBAL__N_19NonZeroOpIN3c108BFloat16EEEPKSK_lEENS0_5tupleIJPlS6_EEENSP_IJSD_SD_EEES6_PiJS6_EEE10hipError_tPvRmT3_T4_T5_T6_T7_T9_mT8_P12ihipStream_tbDpT10_ENKUlT_T0_E_clISt17integral_constantIbLb1EES1C_IbLb0EEEEDaS18_S19_EUlS18_E_NS1_11comp_targetILNS1_3genE3ELNS1_11target_archE908ELNS1_3gpuE7ELNS1_3repE0EEENS1_30default_config_static_selectorELNS0_4arch9wavefront6targetE0EEEvT1_.kd
    .uniform_work_group_size: 1
    .uses_dynamic_stack: false
    .vgpr_count:     0
    .vgpr_spill_count: 0
    .wavefront_size: 32
    .workgroup_processor_mode: 1
  - .args:
      - .offset:         0
        .size:           120
        .value_kind:     by_value
    .group_segment_fixed_size: 0
    .kernarg_segment_align: 8
    .kernarg_segment_size: 120
    .language:       OpenCL C
    .language_version:
      - 2
      - 0
    .max_flat_workgroup_size: 256
    .name:           _ZN7rocprim17ROCPRIM_400000_NS6detail17trampoline_kernelINS0_14default_configENS1_25partition_config_selectorILNS1_17partition_subalgoE5ElNS0_10empty_typeEbEEZZNS1_14partition_implILS5_5ELb0ES3_mN6hipcub16HIPCUB_304000_NS21CountingInputIteratorIllEEPS6_NSA_22TransformInputIteratorIbN2at6native12_GLOBAL__N_19NonZeroOpIN3c108BFloat16EEEPKSK_lEENS0_5tupleIJPlS6_EEENSP_IJSD_SD_EEES6_PiJS6_EEE10hipError_tPvRmT3_T4_T5_T6_T7_T9_mT8_P12ihipStream_tbDpT10_ENKUlT_T0_E_clISt17integral_constantIbLb1EES1C_IbLb0EEEEDaS18_S19_EUlS18_E_NS1_11comp_targetILNS1_3genE2ELNS1_11target_archE906ELNS1_3gpuE6ELNS1_3repE0EEENS1_30default_config_static_selectorELNS0_4arch9wavefront6targetE0EEEvT1_
    .private_segment_fixed_size: 0
    .sgpr_count:     0
    .sgpr_spill_count: 0
    .symbol:         _ZN7rocprim17ROCPRIM_400000_NS6detail17trampoline_kernelINS0_14default_configENS1_25partition_config_selectorILNS1_17partition_subalgoE5ElNS0_10empty_typeEbEEZZNS1_14partition_implILS5_5ELb0ES3_mN6hipcub16HIPCUB_304000_NS21CountingInputIteratorIllEEPS6_NSA_22TransformInputIteratorIbN2at6native12_GLOBAL__N_19NonZeroOpIN3c108BFloat16EEEPKSK_lEENS0_5tupleIJPlS6_EEENSP_IJSD_SD_EEES6_PiJS6_EEE10hipError_tPvRmT3_T4_T5_T6_T7_T9_mT8_P12ihipStream_tbDpT10_ENKUlT_T0_E_clISt17integral_constantIbLb1EES1C_IbLb0EEEEDaS18_S19_EUlS18_E_NS1_11comp_targetILNS1_3genE2ELNS1_11target_archE906ELNS1_3gpuE6ELNS1_3repE0EEENS1_30default_config_static_selectorELNS0_4arch9wavefront6targetE0EEEvT1_.kd
    .uniform_work_group_size: 1
    .uses_dynamic_stack: false
    .vgpr_count:     0
    .vgpr_spill_count: 0
    .wavefront_size: 32
    .workgroup_processor_mode: 1
  - .args:
      - .offset:         0
        .size:           120
        .value_kind:     by_value
    .group_segment_fixed_size: 0
    .kernarg_segment_align: 8
    .kernarg_segment_size: 120
    .language:       OpenCL C
    .language_version:
      - 2
      - 0
    .max_flat_workgroup_size: 256
    .name:           _ZN7rocprim17ROCPRIM_400000_NS6detail17trampoline_kernelINS0_14default_configENS1_25partition_config_selectorILNS1_17partition_subalgoE5ElNS0_10empty_typeEbEEZZNS1_14partition_implILS5_5ELb0ES3_mN6hipcub16HIPCUB_304000_NS21CountingInputIteratorIllEEPS6_NSA_22TransformInputIteratorIbN2at6native12_GLOBAL__N_19NonZeroOpIN3c108BFloat16EEEPKSK_lEENS0_5tupleIJPlS6_EEENSP_IJSD_SD_EEES6_PiJS6_EEE10hipError_tPvRmT3_T4_T5_T6_T7_T9_mT8_P12ihipStream_tbDpT10_ENKUlT_T0_E_clISt17integral_constantIbLb1EES1C_IbLb0EEEEDaS18_S19_EUlS18_E_NS1_11comp_targetILNS1_3genE10ELNS1_11target_archE1200ELNS1_3gpuE4ELNS1_3repE0EEENS1_30default_config_static_selectorELNS0_4arch9wavefront6targetE0EEEvT1_
    .private_segment_fixed_size: 0
    .sgpr_count:     0
    .sgpr_spill_count: 0
    .symbol:         _ZN7rocprim17ROCPRIM_400000_NS6detail17trampoline_kernelINS0_14default_configENS1_25partition_config_selectorILNS1_17partition_subalgoE5ElNS0_10empty_typeEbEEZZNS1_14partition_implILS5_5ELb0ES3_mN6hipcub16HIPCUB_304000_NS21CountingInputIteratorIllEEPS6_NSA_22TransformInputIteratorIbN2at6native12_GLOBAL__N_19NonZeroOpIN3c108BFloat16EEEPKSK_lEENS0_5tupleIJPlS6_EEENSP_IJSD_SD_EEES6_PiJS6_EEE10hipError_tPvRmT3_T4_T5_T6_T7_T9_mT8_P12ihipStream_tbDpT10_ENKUlT_T0_E_clISt17integral_constantIbLb1EES1C_IbLb0EEEEDaS18_S19_EUlS18_E_NS1_11comp_targetILNS1_3genE10ELNS1_11target_archE1200ELNS1_3gpuE4ELNS1_3repE0EEENS1_30default_config_static_selectorELNS0_4arch9wavefront6targetE0EEEvT1_.kd
    .uniform_work_group_size: 1
    .uses_dynamic_stack: false
    .vgpr_count:     0
    .vgpr_spill_count: 0
    .wavefront_size: 32
    .workgroup_processor_mode: 1
  - .args:
      - .offset:         0
        .size:           120
        .value_kind:     by_value
    .group_segment_fixed_size: 0
    .kernarg_segment_align: 8
    .kernarg_segment_size: 120
    .language:       OpenCL C
    .language_version:
      - 2
      - 0
    .max_flat_workgroup_size: 128
    .name:           _ZN7rocprim17ROCPRIM_400000_NS6detail17trampoline_kernelINS0_14default_configENS1_25partition_config_selectorILNS1_17partition_subalgoE5ElNS0_10empty_typeEbEEZZNS1_14partition_implILS5_5ELb0ES3_mN6hipcub16HIPCUB_304000_NS21CountingInputIteratorIllEEPS6_NSA_22TransformInputIteratorIbN2at6native12_GLOBAL__N_19NonZeroOpIN3c108BFloat16EEEPKSK_lEENS0_5tupleIJPlS6_EEENSP_IJSD_SD_EEES6_PiJS6_EEE10hipError_tPvRmT3_T4_T5_T6_T7_T9_mT8_P12ihipStream_tbDpT10_ENKUlT_T0_E_clISt17integral_constantIbLb1EES1C_IbLb0EEEEDaS18_S19_EUlS18_E_NS1_11comp_targetILNS1_3genE9ELNS1_11target_archE1100ELNS1_3gpuE3ELNS1_3repE0EEENS1_30default_config_static_selectorELNS0_4arch9wavefront6targetE0EEEvT1_
    .private_segment_fixed_size: 0
    .sgpr_count:     0
    .sgpr_spill_count: 0
    .symbol:         _ZN7rocprim17ROCPRIM_400000_NS6detail17trampoline_kernelINS0_14default_configENS1_25partition_config_selectorILNS1_17partition_subalgoE5ElNS0_10empty_typeEbEEZZNS1_14partition_implILS5_5ELb0ES3_mN6hipcub16HIPCUB_304000_NS21CountingInputIteratorIllEEPS6_NSA_22TransformInputIteratorIbN2at6native12_GLOBAL__N_19NonZeroOpIN3c108BFloat16EEEPKSK_lEENS0_5tupleIJPlS6_EEENSP_IJSD_SD_EEES6_PiJS6_EEE10hipError_tPvRmT3_T4_T5_T6_T7_T9_mT8_P12ihipStream_tbDpT10_ENKUlT_T0_E_clISt17integral_constantIbLb1EES1C_IbLb0EEEEDaS18_S19_EUlS18_E_NS1_11comp_targetILNS1_3genE9ELNS1_11target_archE1100ELNS1_3gpuE3ELNS1_3repE0EEENS1_30default_config_static_selectorELNS0_4arch9wavefront6targetE0EEEvT1_.kd
    .uniform_work_group_size: 1
    .uses_dynamic_stack: false
    .vgpr_count:     0
    .vgpr_spill_count: 0
    .wavefront_size: 32
    .workgroup_processor_mode: 1
  - .args:
      - .offset:         0
        .size:           120
        .value_kind:     by_value
    .group_segment_fixed_size: 0
    .kernarg_segment_align: 8
    .kernarg_segment_size: 120
    .language:       OpenCL C
    .language_version:
      - 2
      - 0
    .max_flat_workgroup_size: 512
    .name:           _ZN7rocprim17ROCPRIM_400000_NS6detail17trampoline_kernelINS0_14default_configENS1_25partition_config_selectorILNS1_17partition_subalgoE5ElNS0_10empty_typeEbEEZZNS1_14partition_implILS5_5ELb0ES3_mN6hipcub16HIPCUB_304000_NS21CountingInputIteratorIllEEPS6_NSA_22TransformInputIteratorIbN2at6native12_GLOBAL__N_19NonZeroOpIN3c108BFloat16EEEPKSK_lEENS0_5tupleIJPlS6_EEENSP_IJSD_SD_EEES6_PiJS6_EEE10hipError_tPvRmT3_T4_T5_T6_T7_T9_mT8_P12ihipStream_tbDpT10_ENKUlT_T0_E_clISt17integral_constantIbLb1EES1C_IbLb0EEEEDaS18_S19_EUlS18_E_NS1_11comp_targetILNS1_3genE8ELNS1_11target_archE1030ELNS1_3gpuE2ELNS1_3repE0EEENS1_30default_config_static_selectorELNS0_4arch9wavefront6targetE0EEEvT1_
    .private_segment_fixed_size: 0
    .sgpr_count:     0
    .sgpr_spill_count: 0
    .symbol:         _ZN7rocprim17ROCPRIM_400000_NS6detail17trampoline_kernelINS0_14default_configENS1_25partition_config_selectorILNS1_17partition_subalgoE5ElNS0_10empty_typeEbEEZZNS1_14partition_implILS5_5ELb0ES3_mN6hipcub16HIPCUB_304000_NS21CountingInputIteratorIllEEPS6_NSA_22TransformInputIteratorIbN2at6native12_GLOBAL__N_19NonZeroOpIN3c108BFloat16EEEPKSK_lEENS0_5tupleIJPlS6_EEENSP_IJSD_SD_EEES6_PiJS6_EEE10hipError_tPvRmT3_T4_T5_T6_T7_T9_mT8_P12ihipStream_tbDpT10_ENKUlT_T0_E_clISt17integral_constantIbLb1EES1C_IbLb0EEEEDaS18_S19_EUlS18_E_NS1_11comp_targetILNS1_3genE8ELNS1_11target_archE1030ELNS1_3gpuE2ELNS1_3repE0EEENS1_30default_config_static_selectorELNS0_4arch9wavefront6targetE0EEEvT1_.kd
    .uniform_work_group_size: 1
    .uses_dynamic_stack: false
    .vgpr_count:     0
    .vgpr_spill_count: 0
    .wavefront_size: 32
    .workgroup_processor_mode: 1
  - .args:
      - .offset:         0
        .size:           136
        .value_kind:     by_value
    .group_segment_fixed_size: 0
    .kernarg_segment_align: 8
    .kernarg_segment_size: 136
    .language:       OpenCL C
    .language_version:
      - 2
      - 0
    .max_flat_workgroup_size: 128
    .name:           _ZN7rocprim17ROCPRIM_400000_NS6detail17trampoline_kernelINS0_14default_configENS1_25partition_config_selectorILNS1_17partition_subalgoE5ElNS0_10empty_typeEbEEZZNS1_14partition_implILS5_5ELb0ES3_mN6hipcub16HIPCUB_304000_NS21CountingInputIteratorIllEEPS6_NSA_22TransformInputIteratorIbN2at6native12_GLOBAL__N_19NonZeroOpIN3c108BFloat16EEEPKSK_lEENS0_5tupleIJPlS6_EEENSP_IJSD_SD_EEES6_PiJS6_EEE10hipError_tPvRmT3_T4_T5_T6_T7_T9_mT8_P12ihipStream_tbDpT10_ENKUlT_T0_E_clISt17integral_constantIbLb0EES1C_IbLb1EEEEDaS18_S19_EUlS18_E_NS1_11comp_targetILNS1_3genE0ELNS1_11target_archE4294967295ELNS1_3gpuE0ELNS1_3repE0EEENS1_30default_config_static_selectorELNS0_4arch9wavefront6targetE0EEEvT1_
    .private_segment_fixed_size: 0
    .sgpr_count:     0
    .sgpr_spill_count: 0
    .symbol:         _ZN7rocprim17ROCPRIM_400000_NS6detail17trampoline_kernelINS0_14default_configENS1_25partition_config_selectorILNS1_17partition_subalgoE5ElNS0_10empty_typeEbEEZZNS1_14partition_implILS5_5ELb0ES3_mN6hipcub16HIPCUB_304000_NS21CountingInputIteratorIllEEPS6_NSA_22TransformInputIteratorIbN2at6native12_GLOBAL__N_19NonZeroOpIN3c108BFloat16EEEPKSK_lEENS0_5tupleIJPlS6_EEENSP_IJSD_SD_EEES6_PiJS6_EEE10hipError_tPvRmT3_T4_T5_T6_T7_T9_mT8_P12ihipStream_tbDpT10_ENKUlT_T0_E_clISt17integral_constantIbLb0EES1C_IbLb1EEEEDaS18_S19_EUlS18_E_NS1_11comp_targetILNS1_3genE0ELNS1_11target_archE4294967295ELNS1_3gpuE0ELNS1_3repE0EEENS1_30default_config_static_selectorELNS0_4arch9wavefront6targetE0EEEvT1_.kd
    .uniform_work_group_size: 1
    .uses_dynamic_stack: false
    .vgpr_count:     0
    .vgpr_spill_count: 0
    .wavefront_size: 32
    .workgroup_processor_mode: 1
  - .args:
      - .offset:         0
        .size:           136
        .value_kind:     by_value
    .group_segment_fixed_size: 0
    .kernarg_segment_align: 8
    .kernarg_segment_size: 136
    .language:       OpenCL C
    .language_version:
      - 2
      - 0
    .max_flat_workgroup_size: 512
    .name:           _ZN7rocprim17ROCPRIM_400000_NS6detail17trampoline_kernelINS0_14default_configENS1_25partition_config_selectorILNS1_17partition_subalgoE5ElNS0_10empty_typeEbEEZZNS1_14partition_implILS5_5ELb0ES3_mN6hipcub16HIPCUB_304000_NS21CountingInputIteratorIllEEPS6_NSA_22TransformInputIteratorIbN2at6native12_GLOBAL__N_19NonZeroOpIN3c108BFloat16EEEPKSK_lEENS0_5tupleIJPlS6_EEENSP_IJSD_SD_EEES6_PiJS6_EEE10hipError_tPvRmT3_T4_T5_T6_T7_T9_mT8_P12ihipStream_tbDpT10_ENKUlT_T0_E_clISt17integral_constantIbLb0EES1C_IbLb1EEEEDaS18_S19_EUlS18_E_NS1_11comp_targetILNS1_3genE5ELNS1_11target_archE942ELNS1_3gpuE9ELNS1_3repE0EEENS1_30default_config_static_selectorELNS0_4arch9wavefront6targetE0EEEvT1_
    .private_segment_fixed_size: 0
    .sgpr_count:     0
    .sgpr_spill_count: 0
    .symbol:         _ZN7rocprim17ROCPRIM_400000_NS6detail17trampoline_kernelINS0_14default_configENS1_25partition_config_selectorILNS1_17partition_subalgoE5ElNS0_10empty_typeEbEEZZNS1_14partition_implILS5_5ELb0ES3_mN6hipcub16HIPCUB_304000_NS21CountingInputIteratorIllEEPS6_NSA_22TransformInputIteratorIbN2at6native12_GLOBAL__N_19NonZeroOpIN3c108BFloat16EEEPKSK_lEENS0_5tupleIJPlS6_EEENSP_IJSD_SD_EEES6_PiJS6_EEE10hipError_tPvRmT3_T4_T5_T6_T7_T9_mT8_P12ihipStream_tbDpT10_ENKUlT_T0_E_clISt17integral_constantIbLb0EES1C_IbLb1EEEEDaS18_S19_EUlS18_E_NS1_11comp_targetILNS1_3genE5ELNS1_11target_archE942ELNS1_3gpuE9ELNS1_3repE0EEENS1_30default_config_static_selectorELNS0_4arch9wavefront6targetE0EEEvT1_.kd
    .uniform_work_group_size: 1
    .uses_dynamic_stack: false
    .vgpr_count:     0
    .vgpr_spill_count: 0
    .wavefront_size: 32
    .workgroup_processor_mode: 1
  - .args:
      - .offset:         0
        .size:           136
        .value_kind:     by_value
    .group_segment_fixed_size: 0
    .kernarg_segment_align: 8
    .kernarg_segment_size: 136
    .language:       OpenCL C
    .language_version:
      - 2
      - 0
    .max_flat_workgroup_size: 192
    .name:           _ZN7rocprim17ROCPRIM_400000_NS6detail17trampoline_kernelINS0_14default_configENS1_25partition_config_selectorILNS1_17partition_subalgoE5ElNS0_10empty_typeEbEEZZNS1_14partition_implILS5_5ELb0ES3_mN6hipcub16HIPCUB_304000_NS21CountingInputIteratorIllEEPS6_NSA_22TransformInputIteratorIbN2at6native12_GLOBAL__N_19NonZeroOpIN3c108BFloat16EEEPKSK_lEENS0_5tupleIJPlS6_EEENSP_IJSD_SD_EEES6_PiJS6_EEE10hipError_tPvRmT3_T4_T5_T6_T7_T9_mT8_P12ihipStream_tbDpT10_ENKUlT_T0_E_clISt17integral_constantIbLb0EES1C_IbLb1EEEEDaS18_S19_EUlS18_E_NS1_11comp_targetILNS1_3genE4ELNS1_11target_archE910ELNS1_3gpuE8ELNS1_3repE0EEENS1_30default_config_static_selectorELNS0_4arch9wavefront6targetE0EEEvT1_
    .private_segment_fixed_size: 0
    .sgpr_count:     0
    .sgpr_spill_count: 0
    .symbol:         _ZN7rocprim17ROCPRIM_400000_NS6detail17trampoline_kernelINS0_14default_configENS1_25partition_config_selectorILNS1_17partition_subalgoE5ElNS0_10empty_typeEbEEZZNS1_14partition_implILS5_5ELb0ES3_mN6hipcub16HIPCUB_304000_NS21CountingInputIteratorIllEEPS6_NSA_22TransformInputIteratorIbN2at6native12_GLOBAL__N_19NonZeroOpIN3c108BFloat16EEEPKSK_lEENS0_5tupleIJPlS6_EEENSP_IJSD_SD_EEES6_PiJS6_EEE10hipError_tPvRmT3_T4_T5_T6_T7_T9_mT8_P12ihipStream_tbDpT10_ENKUlT_T0_E_clISt17integral_constantIbLb0EES1C_IbLb1EEEEDaS18_S19_EUlS18_E_NS1_11comp_targetILNS1_3genE4ELNS1_11target_archE910ELNS1_3gpuE8ELNS1_3repE0EEENS1_30default_config_static_selectorELNS0_4arch9wavefront6targetE0EEEvT1_.kd
    .uniform_work_group_size: 1
    .uses_dynamic_stack: false
    .vgpr_count:     0
    .vgpr_spill_count: 0
    .wavefront_size: 32
    .workgroup_processor_mode: 1
  - .args:
      - .offset:         0
        .size:           136
        .value_kind:     by_value
    .group_segment_fixed_size: 0
    .kernarg_segment_align: 8
    .kernarg_segment_size: 136
    .language:       OpenCL C
    .language_version:
      - 2
      - 0
    .max_flat_workgroup_size: 128
    .name:           _ZN7rocprim17ROCPRIM_400000_NS6detail17trampoline_kernelINS0_14default_configENS1_25partition_config_selectorILNS1_17partition_subalgoE5ElNS0_10empty_typeEbEEZZNS1_14partition_implILS5_5ELb0ES3_mN6hipcub16HIPCUB_304000_NS21CountingInputIteratorIllEEPS6_NSA_22TransformInputIteratorIbN2at6native12_GLOBAL__N_19NonZeroOpIN3c108BFloat16EEEPKSK_lEENS0_5tupleIJPlS6_EEENSP_IJSD_SD_EEES6_PiJS6_EEE10hipError_tPvRmT3_T4_T5_T6_T7_T9_mT8_P12ihipStream_tbDpT10_ENKUlT_T0_E_clISt17integral_constantIbLb0EES1C_IbLb1EEEEDaS18_S19_EUlS18_E_NS1_11comp_targetILNS1_3genE3ELNS1_11target_archE908ELNS1_3gpuE7ELNS1_3repE0EEENS1_30default_config_static_selectorELNS0_4arch9wavefront6targetE0EEEvT1_
    .private_segment_fixed_size: 0
    .sgpr_count:     0
    .sgpr_spill_count: 0
    .symbol:         _ZN7rocprim17ROCPRIM_400000_NS6detail17trampoline_kernelINS0_14default_configENS1_25partition_config_selectorILNS1_17partition_subalgoE5ElNS0_10empty_typeEbEEZZNS1_14partition_implILS5_5ELb0ES3_mN6hipcub16HIPCUB_304000_NS21CountingInputIteratorIllEEPS6_NSA_22TransformInputIteratorIbN2at6native12_GLOBAL__N_19NonZeroOpIN3c108BFloat16EEEPKSK_lEENS0_5tupleIJPlS6_EEENSP_IJSD_SD_EEES6_PiJS6_EEE10hipError_tPvRmT3_T4_T5_T6_T7_T9_mT8_P12ihipStream_tbDpT10_ENKUlT_T0_E_clISt17integral_constantIbLb0EES1C_IbLb1EEEEDaS18_S19_EUlS18_E_NS1_11comp_targetILNS1_3genE3ELNS1_11target_archE908ELNS1_3gpuE7ELNS1_3repE0EEENS1_30default_config_static_selectorELNS0_4arch9wavefront6targetE0EEEvT1_.kd
    .uniform_work_group_size: 1
    .uses_dynamic_stack: false
    .vgpr_count:     0
    .vgpr_spill_count: 0
    .wavefront_size: 32
    .workgroup_processor_mode: 1
  - .args:
      - .offset:         0
        .size:           136
        .value_kind:     by_value
    .group_segment_fixed_size: 0
    .kernarg_segment_align: 8
    .kernarg_segment_size: 136
    .language:       OpenCL C
    .language_version:
      - 2
      - 0
    .max_flat_workgroup_size: 256
    .name:           _ZN7rocprim17ROCPRIM_400000_NS6detail17trampoline_kernelINS0_14default_configENS1_25partition_config_selectorILNS1_17partition_subalgoE5ElNS0_10empty_typeEbEEZZNS1_14partition_implILS5_5ELb0ES3_mN6hipcub16HIPCUB_304000_NS21CountingInputIteratorIllEEPS6_NSA_22TransformInputIteratorIbN2at6native12_GLOBAL__N_19NonZeroOpIN3c108BFloat16EEEPKSK_lEENS0_5tupleIJPlS6_EEENSP_IJSD_SD_EEES6_PiJS6_EEE10hipError_tPvRmT3_T4_T5_T6_T7_T9_mT8_P12ihipStream_tbDpT10_ENKUlT_T0_E_clISt17integral_constantIbLb0EES1C_IbLb1EEEEDaS18_S19_EUlS18_E_NS1_11comp_targetILNS1_3genE2ELNS1_11target_archE906ELNS1_3gpuE6ELNS1_3repE0EEENS1_30default_config_static_selectorELNS0_4arch9wavefront6targetE0EEEvT1_
    .private_segment_fixed_size: 0
    .sgpr_count:     0
    .sgpr_spill_count: 0
    .symbol:         _ZN7rocprim17ROCPRIM_400000_NS6detail17trampoline_kernelINS0_14default_configENS1_25partition_config_selectorILNS1_17partition_subalgoE5ElNS0_10empty_typeEbEEZZNS1_14partition_implILS5_5ELb0ES3_mN6hipcub16HIPCUB_304000_NS21CountingInputIteratorIllEEPS6_NSA_22TransformInputIteratorIbN2at6native12_GLOBAL__N_19NonZeroOpIN3c108BFloat16EEEPKSK_lEENS0_5tupleIJPlS6_EEENSP_IJSD_SD_EEES6_PiJS6_EEE10hipError_tPvRmT3_T4_T5_T6_T7_T9_mT8_P12ihipStream_tbDpT10_ENKUlT_T0_E_clISt17integral_constantIbLb0EES1C_IbLb1EEEEDaS18_S19_EUlS18_E_NS1_11comp_targetILNS1_3genE2ELNS1_11target_archE906ELNS1_3gpuE6ELNS1_3repE0EEENS1_30default_config_static_selectorELNS0_4arch9wavefront6targetE0EEEvT1_.kd
    .uniform_work_group_size: 1
    .uses_dynamic_stack: false
    .vgpr_count:     0
    .vgpr_spill_count: 0
    .wavefront_size: 32
    .workgroup_processor_mode: 1
  - .args:
      - .offset:         0
        .size:           136
        .value_kind:     by_value
    .group_segment_fixed_size: 8464
    .kernarg_segment_align: 8
    .kernarg_segment_size: 136
    .language:       OpenCL C
    .language_version:
      - 2
      - 0
    .max_flat_workgroup_size: 256
    .name:           _ZN7rocprim17ROCPRIM_400000_NS6detail17trampoline_kernelINS0_14default_configENS1_25partition_config_selectorILNS1_17partition_subalgoE5ElNS0_10empty_typeEbEEZZNS1_14partition_implILS5_5ELb0ES3_mN6hipcub16HIPCUB_304000_NS21CountingInputIteratorIllEEPS6_NSA_22TransformInputIteratorIbN2at6native12_GLOBAL__N_19NonZeroOpIN3c108BFloat16EEEPKSK_lEENS0_5tupleIJPlS6_EEENSP_IJSD_SD_EEES6_PiJS6_EEE10hipError_tPvRmT3_T4_T5_T6_T7_T9_mT8_P12ihipStream_tbDpT10_ENKUlT_T0_E_clISt17integral_constantIbLb0EES1C_IbLb1EEEEDaS18_S19_EUlS18_E_NS1_11comp_targetILNS1_3genE10ELNS1_11target_archE1200ELNS1_3gpuE4ELNS1_3repE0EEENS1_30default_config_static_selectorELNS0_4arch9wavefront6targetE0EEEvT1_
    .private_segment_fixed_size: 0
    .sgpr_count:     26
    .sgpr_spill_count: 0
    .symbol:         _ZN7rocprim17ROCPRIM_400000_NS6detail17trampoline_kernelINS0_14default_configENS1_25partition_config_selectorILNS1_17partition_subalgoE5ElNS0_10empty_typeEbEEZZNS1_14partition_implILS5_5ELb0ES3_mN6hipcub16HIPCUB_304000_NS21CountingInputIteratorIllEEPS6_NSA_22TransformInputIteratorIbN2at6native12_GLOBAL__N_19NonZeroOpIN3c108BFloat16EEEPKSK_lEENS0_5tupleIJPlS6_EEENSP_IJSD_SD_EEES6_PiJS6_EEE10hipError_tPvRmT3_T4_T5_T6_T7_T9_mT8_P12ihipStream_tbDpT10_ENKUlT_T0_E_clISt17integral_constantIbLb0EES1C_IbLb1EEEEDaS18_S19_EUlS18_E_NS1_11comp_targetILNS1_3genE10ELNS1_11target_archE1200ELNS1_3gpuE4ELNS1_3repE0EEENS1_30default_config_static_selectorELNS0_4arch9wavefront6targetE0EEEvT1_.kd
    .uniform_work_group_size: 1
    .uses_dynamic_stack: false
    .vgpr_count:     48
    .vgpr_spill_count: 0
    .wavefront_size: 32
    .workgroup_processor_mode: 1
  - .args:
      - .offset:         0
        .size:           136
        .value_kind:     by_value
    .group_segment_fixed_size: 0
    .kernarg_segment_align: 8
    .kernarg_segment_size: 136
    .language:       OpenCL C
    .language_version:
      - 2
      - 0
    .max_flat_workgroup_size: 128
    .name:           _ZN7rocprim17ROCPRIM_400000_NS6detail17trampoline_kernelINS0_14default_configENS1_25partition_config_selectorILNS1_17partition_subalgoE5ElNS0_10empty_typeEbEEZZNS1_14partition_implILS5_5ELb0ES3_mN6hipcub16HIPCUB_304000_NS21CountingInputIteratorIllEEPS6_NSA_22TransformInputIteratorIbN2at6native12_GLOBAL__N_19NonZeroOpIN3c108BFloat16EEEPKSK_lEENS0_5tupleIJPlS6_EEENSP_IJSD_SD_EEES6_PiJS6_EEE10hipError_tPvRmT3_T4_T5_T6_T7_T9_mT8_P12ihipStream_tbDpT10_ENKUlT_T0_E_clISt17integral_constantIbLb0EES1C_IbLb1EEEEDaS18_S19_EUlS18_E_NS1_11comp_targetILNS1_3genE9ELNS1_11target_archE1100ELNS1_3gpuE3ELNS1_3repE0EEENS1_30default_config_static_selectorELNS0_4arch9wavefront6targetE0EEEvT1_
    .private_segment_fixed_size: 0
    .sgpr_count:     0
    .sgpr_spill_count: 0
    .symbol:         _ZN7rocprim17ROCPRIM_400000_NS6detail17trampoline_kernelINS0_14default_configENS1_25partition_config_selectorILNS1_17partition_subalgoE5ElNS0_10empty_typeEbEEZZNS1_14partition_implILS5_5ELb0ES3_mN6hipcub16HIPCUB_304000_NS21CountingInputIteratorIllEEPS6_NSA_22TransformInputIteratorIbN2at6native12_GLOBAL__N_19NonZeroOpIN3c108BFloat16EEEPKSK_lEENS0_5tupleIJPlS6_EEENSP_IJSD_SD_EEES6_PiJS6_EEE10hipError_tPvRmT3_T4_T5_T6_T7_T9_mT8_P12ihipStream_tbDpT10_ENKUlT_T0_E_clISt17integral_constantIbLb0EES1C_IbLb1EEEEDaS18_S19_EUlS18_E_NS1_11comp_targetILNS1_3genE9ELNS1_11target_archE1100ELNS1_3gpuE3ELNS1_3repE0EEENS1_30default_config_static_selectorELNS0_4arch9wavefront6targetE0EEEvT1_.kd
    .uniform_work_group_size: 1
    .uses_dynamic_stack: false
    .vgpr_count:     0
    .vgpr_spill_count: 0
    .wavefront_size: 32
    .workgroup_processor_mode: 1
  - .args:
      - .offset:         0
        .size:           136
        .value_kind:     by_value
    .group_segment_fixed_size: 0
    .kernarg_segment_align: 8
    .kernarg_segment_size: 136
    .language:       OpenCL C
    .language_version:
      - 2
      - 0
    .max_flat_workgroup_size: 512
    .name:           _ZN7rocprim17ROCPRIM_400000_NS6detail17trampoline_kernelINS0_14default_configENS1_25partition_config_selectorILNS1_17partition_subalgoE5ElNS0_10empty_typeEbEEZZNS1_14partition_implILS5_5ELb0ES3_mN6hipcub16HIPCUB_304000_NS21CountingInputIteratorIllEEPS6_NSA_22TransformInputIteratorIbN2at6native12_GLOBAL__N_19NonZeroOpIN3c108BFloat16EEEPKSK_lEENS0_5tupleIJPlS6_EEENSP_IJSD_SD_EEES6_PiJS6_EEE10hipError_tPvRmT3_T4_T5_T6_T7_T9_mT8_P12ihipStream_tbDpT10_ENKUlT_T0_E_clISt17integral_constantIbLb0EES1C_IbLb1EEEEDaS18_S19_EUlS18_E_NS1_11comp_targetILNS1_3genE8ELNS1_11target_archE1030ELNS1_3gpuE2ELNS1_3repE0EEENS1_30default_config_static_selectorELNS0_4arch9wavefront6targetE0EEEvT1_
    .private_segment_fixed_size: 0
    .sgpr_count:     0
    .sgpr_spill_count: 0
    .symbol:         _ZN7rocprim17ROCPRIM_400000_NS6detail17trampoline_kernelINS0_14default_configENS1_25partition_config_selectorILNS1_17partition_subalgoE5ElNS0_10empty_typeEbEEZZNS1_14partition_implILS5_5ELb0ES3_mN6hipcub16HIPCUB_304000_NS21CountingInputIteratorIllEEPS6_NSA_22TransformInputIteratorIbN2at6native12_GLOBAL__N_19NonZeroOpIN3c108BFloat16EEEPKSK_lEENS0_5tupleIJPlS6_EEENSP_IJSD_SD_EEES6_PiJS6_EEE10hipError_tPvRmT3_T4_T5_T6_T7_T9_mT8_P12ihipStream_tbDpT10_ENKUlT_T0_E_clISt17integral_constantIbLb0EES1C_IbLb1EEEEDaS18_S19_EUlS18_E_NS1_11comp_targetILNS1_3genE8ELNS1_11target_archE1030ELNS1_3gpuE2ELNS1_3repE0EEENS1_30default_config_static_selectorELNS0_4arch9wavefront6targetE0EEEvT1_.kd
    .uniform_work_group_size: 1
    .uses_dynamic_stack: false
    .vgpr_count:     0
    .vgpr_spill_count: 0
    .wavefront_size: 32
    .workgroup_processor_mode: 1
  - .args:
      - .offset:         0
        .size:           56
        .value_kind:     by_value
    .group_segment_fixed_size: 0
    .kernarg_segment_align: 8
    .kernarg_segment_size: 56
    .language:       OpenCL C
    .language_version:
      - 2
      - 0
    .max_flat_workgroup_size: 256
    .name:           _ZN7rocprim17ROCPRIM_400000_NS6detail17trampoline_kernelINS0_14default_configENS1_22reduce_config_selectorIiEEZNS1_11reduce_implILb1ES3_PiS7_iN6hipcub16HIPCUB_304000_NS6detail34convert_binary_result_type_wrapperINS9_3SumENS9_22TransformInputIteratorIbN2at6native12_GLOBAL__N_19NonZeroOpIN3c104HalfEEEPKSJ_lEEiEEEE10hipError_tPvRmT1_T2_T3_mT4_P12ihipStream_tbEUlT_E0_NS1_11comp_targetILNS1_3genE0ELNS1_11target_archE4294967295ELNS1_3gpuE0ELNS1_3repE0EEENS1_30default_config_static_selectorELNS0_4arch9wavefront6targetE0EEEvSS_
    .private_segment_fixed_size: 0
    .sgpr_count:     0
    .sgpr_spill_count: 0
    .symbol:         _ZN7rocprim17ROCPRIM_400000_NS6detail17trampoline_kernelINS0_14default_configENS1_22reduce_config_selectorIiEEZNS1_11reduce_implILb1ES3_PiS7_iN6hipcub16HIPCUB_304000_NS6detail34convert_binary_result_type_wrapperINS9_3SumENS9_22TransformInputIteratorIbN2at6native12_GLOBAL__N_19NonZeroOpIN3c104HalfEEEPKSJ_lEEiEEEE10hipError_tPvRmT1_T2_T3_mT4_P12ihipStream_tbEUlT_E0_NS1_11comp_targetILNS1_3genE0ELNS1_11target_archE4294967295ELNS1_3gpuE0ELNS1_3repE0EEENS1_30default_config_static_selectorELNS0_4arch9wavefront6targetE0EEEvSS_.kd
    .uniform_work_group_size: 1
    .uses_dynamic_stack: false
    .vgpr_count:     0
    .vgpr_spill_count: 0
    .wavefront_size: 32
    .workgroup_processor_mode: 1
  - .args:
      - .offset:         0
        .size:           56
        .value_kind:     by_value
    .group_segment_fixed_size: 0
    .kernarg_segment_align: 8
    .kernarg_segment_size: 56
    .language:       OpenCL C
    .language_version:
      - 2
      - 0
    .max_flat_workgroup_size: 256
    .name:           _ZN7rocprim17ROCPRIM_400000_NS6detail17trampoline_kernelINS0_14default_configENS1_22reduce_config_selectorIiEEZNS1_11reduce_implILb1ES3_PiS7_iN6hipcub16HIPCUB_304000_NS6detail34convert_binary_result_type_wrapperINS9_3SumENS9_22TransformInputIteratorIbN2at6native12_GLOBAL__N_19NonZeroOpIN3c104HalfEEEPKSJ_lEEiEEEE10hipError_tPvRmT1_T2_T3_mT4_P12ihipStream_tbEUlT_E0_NS1_11comp_targetILNS1_3genE5ELNS1_11target_archE942ELNS1_3gpuE9ELNS1_3repE0EEENS1_30default_config_static_selectorELNS0_4arch9wavefront6targetE0EEEvSS_
    .private_segment_fixed_size: 0
    .sgpr_count:     0
    .sgpr_spill_count: 0
    .symbol:         _ZN7rocprim17ROCPRIM_400000_NS6detail17trampoline_kernelINS0_14default_configENS1_22reduce_config_selectorIiEEZNS1_11reduce_implILb1ES3_PiS7_iN6hipcub16HIPCUB_304000_NS6detail34convert_binary_result_type_wrapperINS9_3SumENS9_22TransformInputIteratorIbN2at6native12_GLOBAL__N_19NonZeroOpIN3c104HalfEEEPKSJ_lEEiEEEE10hipError_tPvRmT1_T2_T3_mT4_P12ihipStream_tbEUlT_E0_NS1_11comp_targetILNS1_3genE5ELNS1_11target_archE942ELNS1_3gpuE9ELNS1_3repE0EEENS1_30default_config_static_selectorELNS0_4arch9wavefront6targetE0EEEvSS_.kd
    .uniform_work_group_size: 1
    .uses_dynamic_stack: false
    .vgpr_count:     0
    .vgpr_spill_count: 0
    .wavefront_size: 32
    .workgroup_processor_mode: 1
  - .args:
      - .offset:         0
        .size:           56
        .value_kind:     by_value
    .group_segment_fixed_size: 0
    .kernarg_segment_align: 8
    .kernarg_segment_size: 56
    .language:       OpenCL C
    .language_version:
      - 2
      - 0
    .max_flat_workgroup_size: 128
    .name:           _ZN7rocprim17ROCPRIM_400000_NS6detail17trampoline_kernelINS0_14default_configENS1_22reduce_config_selectorIiEEZNS1_11reduce_implILb1ES3_PiS7_iN6hipcub16HIPCUB_304000_NS6detail34convert_binary_result_type_wrapperINS9_3SumENS9_22TransformInputIteratorIbN2at6native12_GLOBAL__N_19NonZeroOpIN3c104HalfEEEPKSJ_lEEiEEEE10hipError_tPvRmT1_T2_T3_mT4_P12ihipStream_tbEUlT_E0_NS1_11comp_targetILNS1_3genE4ELNS1_11target_archE910ELNS1_3gpuE8ELNS1_3repE0EEENS1_30default_config_static_selectorELNS0_4arch9wavefront6targetE0EEEvSS_
    .private_segment_fixed_size: 0
    .sgpr_count:     0
    .sgpr_spill_count: 0
    .symbol:         _ZN7rocprim17ROCPRIM_400000_NS6detail17trampoline_kernelINS0_14default_configENS1_22reduce_config_selectorIiEEZNS1_11reduce_implILb1ES3_PiS7_iN6hipcub16HIPCUB_304000_NS6detail34convert_binary_result_type_wrapperINS9_3SumENS9_22TransformInputIteratorIbN2at6native12_GLOBAL__N_19NonZeroOpIN3c104HalfEEEPKSJ_lEEiEEEE10hipError_tPvRmT1_T2_T3_mT4_P12ihipStream_tbEUlT_E0_NS1_11comp_targetILNS1_3genE4ELNS1_11target_archE910ELNS1_3gpuE8ELNS1_3repE0EEENS1_30default_config_static_selectorELNS0_4arch9wavefront6targetE0EEEvSS_.kd
    .uniform_work_group_size: 1
    .uses_dynamic_stack: false
    .vgpr_count:     0
    .vgpr_spill_count: 0
    .wavefront_size: 32
    .workgroup_processor_mode: 1
  - .args:
      - .offset:         0
        .size:           56
        .value_kind:     by_value
    .group_segment_fixed_size: 0
    .kernarg_segment_align: 8
    .kernarg_segment_size: 56
    .language:       OpenCL C
    .language_version:
      - 2
      - 0
    .max_flat_workgroup_size: 256
    .name:           _ZN7rocprim17ROCPRIM_400000_NS6detail17trampoline_kernelINS0_14default_configENS1_22reduce_config_selectorIiEEZNS1_11reduce_implILb1ES3_PiS7_iN6hipcub16HIPCUB_304000_NS6detail34convert_binary_result_type_wrapperINS9_3SumENS9_22TransformInputIteratorIbN2at6native12_GLOBAL__N_19NonZeroOpIN3c104HalfEEEPKSJ_lEEiEEEE10hipError_tPvRmT1_T2_T3_mT4_P12ihipStream_tbEUlT_E0_NS1_11comp_targetILNS1_3genE3ELNS1_11target_archE908ELNS1_3gpuE7ELNS1_3repE0EEENS1_30default_config_static_selectorELNS0_4arch9wavefront6targetE0EEEvSS_
    .private_segment_fixed_size: 0
    .sgpr_count:     0
    .sgpr_spill_count: 0
    .symbol:         _ZN7rocprim17ROCPRIM_400000_NS6detail17trampoline_kernelINS0_14default_configENS1_22reduce_config_selectorIiEEZNS1_11reduce_implILb1ES3_PiS7_iN6hipcub16HIPCUB_304000_NS6detail34convert_binary_result_type_wrapperINS9_3SumENS9_22TransformInputIteratorIbN2at6native12_GLOBAL__N_19NonZeroOpIN3c104HalfEEEPKSJ_lEEiEEEE10hipError_tPvRmT1_T2_T3_mT4_P12ihipStream_tbEUlT_E0_NS1_11comp_targetILNS1_3genE3ELNS1_11target_archE908ELNS1_3gpuE7ELNS1_3repE0EEENS1_30default_config_static_selectorELNS0_4arch9wavefront6targetE0EEEvSS_.kd
    .uniform_work_group_size: 1
    .uses_dynamic_stack: false
    .vgpr_count:     0
    .vgpr_spill_count: 0
    .wavefront_size: 32
    .workgroup_processor_mode: 1
  - .args:
      - .offset:         0
        .size:           56
        .value_kind:     by_value
    .group_segment_fixed_size: 0
    .kernarg_segment_align: 8
    .kernarg_segment_size: 56
    .language:       OpenCL C
    .language_version:
      - 2
      - 0
    .max_flat_workgroup_size: 256
    .name:           _ZN7rocprim17ROCPRIM_400000_NS6detail17trampoline_kernelINS0_14default_configENS1_22reduce_config_selectorIiEEZNS1_11reduce_implILb1ES3_PiS7_iN6hipcub16HIPCUB_304000_NS6detail34convert_binary_result_type_wrapperINS9_3SumENS9_22TransformInputIteratorIbN2at6native12_GLOBAL__N_19NonZeroOpIN3c104HalfEEEPKSJ_lEEiEEEE10hipError_tPvRmT1_T2_T3_mT4_P12ihipStream_tbEUlT_E0_NS1_11comp_targetILNS1_3genE2ELNS1_11target_archE906ELNS1_3gpuE6ELNS1_3repE0EEENS1_30default_config_static_selectorELNS0_4arch9wavefront6targetE0EEEvSS_
    .private_segment_fixed_size: 0
    .sgpr_count:     0
    .sgpr_spill_count: 0
    .symbol:         _ZN7rocprim17ROCPRIM_400000_NS6detail17trampoline_kernelINS0_14default_configENS1_22reduce_config_selectorIiEEZNS1_11reduce_implILb1ES3_PiS7_iN6hipcub16HIPCUB_304000_NS6detail34convert_binary_result_type_wrapperINS9_3SumENS9_22TransformInputIteratorIbN2at6native12_GLOBAL__N_19NonZeroOpIN3c104HalfEEEPKSJ_lEEiEEEE10hipError_tPvRmT1_T2_T3_mT4_P12ihipStream_tbEUlT_E0_NS1_11comp_targetILNS1_3genE2ELNS1_11target_archE906ELNS1_3gpuE6ELNS1_3repE0EEENS1_30default_config_static_selectorELNS0_4arch9wavefront6targetE0EEEvSS_.kd
    .uniform_work_group_size: 1
    .uses_dynamic_stack: false
    .vgpr_count:     0
    .vgpr_spill_count: 0
    .wavefront_size: 32
    .workgroup_processor_mode: 1
  - .args:
      - .offset:         0
        .size:           56
        .value_kind:     by_value
    .group_segment_fixed_size: 64
    .kernarg_segment_align: 8
    .kernarg_segment_size: 56
    .language:       OpenCL C
    .language_version:
      - 2
      - 0
    .max_flat_workgroup_size: 256
    .name:           _ZN7rocprim17ROCPRIM_400000_NS6detail17trampoline_kernelINS0_14default_configENS1_22reduce_config_selectorIiEEZNS1_11reduce_implILb1ES3_PiS7_iN6hipcub16HIPCUB_304000_NS6detail34convert_binary_result_type_wrapperINS9_3SumENS9_22TransformInputIteratorIbN2at6native12_GLOBAL__N_19NonZeroOpIN3c104HalfEEEPKSJ_lEEiEEEE10hipError_tPvRmT1_T2_T3_mT4_P12ihipStream_tbEUlT_E0_NS1_11comp_targetILNS1_3genE10ELNS1_11target_archE1201ELNS1_3gpuE5ELNS1_3repE0EEENS1_30default_config_static_selectorELNS0_4arch9wavefront6targetE0EEEvSS_
    .private_segment_fixed_size: 0
    .sgpr_count:     32
    .sgpr_spill_count: 0
    .symbol:         _ZN7rocprim17ROCPRIM_400000_NS6detail17trampoline_kernelINS0_14default_configENS1_22reduce_config_selectorIiEEZNS1_11reduce_implILb1ES3_PiS7_iN6hipcub16HIPCUB_304000_NS6detail34convert_binary_result_type_wrapperINS9_3SumENS9_22TransformInputIteratorIbN2at6native12_GLOBAL__N_19NonZeroOpIN3c104HalfEEEPKSJ_lEEiEEEE10hipError_tPvRmT1_T2_T3_mT4_P12ihipStream_tbEUlT_E0_NS1_11comp_targetILNS1_3genE10ELNS1_11target_archE1201ELNS1_3gpuE5ELNS1_3repE0EEENS1_30default_config_static_selectorELNS0_4arch9wavefront6targetE0EEEvSS_.kd
    .uniform_work_group_size: 1
    .uses_dynamic_stack: false
    .vgpr_count:     20
    .vgpr_spill_count: 0
    .wavefront_size: 32
    .workgroup_processor_mode: 1
  - .args:
      - .offset:         0
        .size:           56
        .value_kind:     by_value
    .group_segment_fixed_size: 0
    .kernarg_segment_align: 8
    .kernarg_segment_size: 56
    .language:       OpenCL C
    .language_version:
      - 2
      - 0
    .max_flat_workgroup_size: 256
    .name:           _ZN7rocprim17ROCPRIM_400000_NS6detail17trampoline_kernelINS0_14default_configENS1_22reduce_config_selectorIiEEZNS1_11reduce_implILb1ES3_PiS7_iN6hipcub16HIPCUB_304000_NS6detail34convert_binary_result_type_wrapperINS9_3SumENS9_22TransformInputIteratorIbN2at6native12_GLOBAL__N_19NonZeroOpIN3c104HalfEEEPKSJ_lEEiEEEE10hipError_tPvRmT1_T2_T3_mT4_P12ihipStream_tbEUlT_E0_NS1_11comp_targetILNS1_3genE10ELNS1_11target_archE1200ELNS1_3gpuE4ELNS1_3repE0EEENS1_30default_config_static_selectorELNS0_4arch9wavefront6targetE0EEEvSS_
    .private_segment_fixed_size: 0
    .sgpr_count:     0
    .sgpr_spill_count: 0
    .symbol:         _ZN7rocprim17ROCPRIM_400000_NS6detail17trampoline_kernelINS0_14default_configENS1_22reduce_config_selectorIiEEZNS1_11reduce_implILb1ES3_PiS7_iN6hipcub16HIPCUB_304000_NS6detail34convert_binary_result_type_wrapperINS9_3SumENS9_22TransformInputIteratorIbN2at6native12_GLOBAL__N_19NonZeroOpIN3c104HalfEEEPKSJ_lEEiEEEE10hipError_tPvRmT1_T2_T3_mT4_P12ihipStream_tbEUlT_E0_NS1_11comp_targetILNS1_3genE10ELNS1_11target_archE1200ELNS1_3gpuE4ELNS1_3repE0EEENS1_30default_config_static_selectorELNS0_4arch9wavefront6targetE0EEEvSS_.kd
    .uniform_work_group_size: 1
    .uses_dynamic_stack: false
    .vgpr_count:     0
    .vgpr_spill_count: 0
    .wavefront_size: 32
    .workgroup_processor_mode: 1
  - .args:
      - .offset:         0
        .size:           56
        .value_kind:     by_value
    .group_segment_fixed_size: 0
    .kernarg_segment_align: 8
    .kernarg_segment_size: 56
    .language:       OpenCL C
    .language_version:
      - 2
      - 0
    .max_flat_workgroup_size: 256
    .name:           _ZN7rocprim17ROCPRIM_400000_NS6detail17trampoline_kernelINS0_14default_configENS1_22reduce_config_selectorIiEEZNS1_11reduce_implILb1ES3_PiS7_iN6hipcub16HIPCUB_304000_NS6detail34convert_binary_result_type_wrapperINS9_3SumENS9_22TransformInputIteratorIbN2at6native12_GLOBAL__N_19NonZeroOpIN3c104HalfEEEPKSJ_lEEiEEEE10hipError_tPvRmT1_T2_T3_mT4_P12ihipStream_tbEUlT_E0_NS1_11comp_targetILNS1_3genE9ELNS1_11target_archE1100ELNS1_3gpuE3ELNS1_3repE0EEENS1_30default_config_static_selectorELNS0_4arch9wavefront6targetE0EEEvSS_
    .private_segment_fixed_size: 0
    .sgpr_count:     0
    .sgpr_spill_count: 0
    .symbol:         _ZN7rocprim17ROCPRIM_400000_NS6detail17trampoline_kernelINS0_14default_configENS1_22reduce_config_selectorIiEEZNS1_11reduce_implILb1ES3_PiS7_iN6hipcub16HIPCUB_304000_NS6detail34convert_binary_result_type_wrapperINS9_3SumENS9_22TransformInputIteratorIbN2at6native12_GLOBAL__N_19NonZeroOpIN3c104HalfEEEPKSJ_lEEiEEEE10hipError_tPvRmT1_T2_T3_mT4_P12ihipStream_tbEUlT_E0_NS1_11comp_targetILNS1_3genE9ELNS1_11target_archE1100ELNS1_3gpuE3ELNS1_3repE0EEENS1_30default_config_static_selectorELNS0_4arch9wavefront6targetE0EEEvSS_.kd
    .uniform_work_group_size: 1
    .uses_dynamic_stack: false
    .vgpr_count:     0
    .vgpr_spill_count: 0
    .wavefront_size: 32
    .workgroup_processor_mode: 1
  - .args:
      - .offset:         0
        .size:           56
        .value_kind:     by_value
    .group_segment_fixed_size: 0
    .kernarg_segment_align: 8
    .kernarg_segment_size: 56
    .language:       OpenCL C
    .language_version:
      - 2
      - 0
    .max_flat_workgroup_size: 256
    .name:           _ZN7rocprim17ROCPRIM_400000_NS6detail17trampoline_kernelINS0_14default_configENS1_22reduce_config_selectorIiEEZNS1_11reduce_implILb1ES3_PiS7_iN6hipcub16HIPCUB_304000_NS6detail34convert_binary_result_type_wrapperINS9_3SumENS9_22TransformInputIteratorIbN2at6native12_GLOBAL__N_19NonZeroOpIN3c104HalfEEEPKSJ_lEEiEEEE10hipError_tPvRmT1_T2_T3_mT4_P12ihipStream_tbEUlT_E0_NS1_11comp_targetILNS1_3genE8ELNS1_11target_archE1030ELNS1_3gpuE2ELNS1_3repE0EEENS1_30default_config_static_selectorELNS0_4arch9wavefront6targetE0EEEvSS_
    .private_segment_fixed_size: 0
    .sgpr_count:     0
    .sgpr_spill_count: 0
    .symbol:         _ZN7rocprim17ROCPRIM_400000_NS6detail17trampoline_kernelINS0_14default_configENS1_22reduce_config_selectorIiEEZNS1_11reduce_implILb1ES3_PiS7_iN6hipcub16HIPCUB_304000_NS6detail34convert_binary_result_type_wrapperINS9_3SumENS9_22TransformInputIteratorIbN2at6native12_GLOBAL__N_19NonZeroOpIN3c104HalfEEEPKSJ_lEEiEEEE10hipError_tPvRmT1_T2_T3_mT4_P12ihipStream_tbEUlT_E0_NS1_11comp_targetILNS1_3genE8ELNS1_11target_archE1030ELNS1_3gpuE2ELNS1_3repE0EEENS1_30default_config_static_selectorELNS0_4arch9wavefront6targetE0EEEvSS_.kd
    .uniform_work_group_size: 1
    .uses_dynamic_stack: false
    .vgpr_count:     0
    .vgpr_spill_count: 0
    .wavefront_size: 32
    .workgroup_processor_mode: 1
  - .args:
      - .offset:         0
        .size:           40
        .value_kind:     by_value
    .group_segment_fixed_size: 0
    .kernarg_segment_align: 8
    .kernarg_segment_size: 40
    .language:       OpenCL C
    .language_version:
      - 2
      - 0
    .max_flat_workgroup_size: 256
    .name:           _ZN7rocprim17ROCPRIM_400000_NS6detail17trampoline_kernelINS0_14default_configENS1_22reduce_config_selectorIiEEZNS1_11reduce_implILb1ES3_PiS7_iN6hipcub16HIPCUB_304000_NS6detail34convert_binary_result_type_wrapperINS9_3SumENS9_22TransformInputIteratorIbN2at6native12_GLOBAL__N_19NonZeroOpIN3c104HalfEEEPKSJ_lEEiEEEE10hipError_tPvRmT1_T2_T3_mT4_P12ihipStream_tbEUlT_E1_NS1_11comp_targetILNS1_3genE0ELNS1_11target_archE4294967295ELNS1_3gpuE0ELNS1_3repE0EEENS1_30default_config_static_selectorELNS0_4arch9wavefront6targetE0EEEvSS_
    .private_segment_fixed_size: 0
    .sgpr_count:     0
    .sgpr_spill_count: 0
    .symbol:         _ZN7rocprim17ROCPRIM_400000_NS6detail17trampoline_kernelINS0_14default_configENS1_22reduce_config_selectorIiEEZNS1_11reduce_implILb1ES3_PiS7_iN6hipcub16HIPCUB_304000_NS6detail34convert_binary_result_type_wrapperINS9_3SumENS9_22TransformInputIteratorIbN2at6native12_GLOBAL__N_19NonZeroOpIN3c104HalfEEEPKSJ_lEEiEEEE10hipError_tPvRmT1_T2_T3_mT4_P12ihipStream_tbEUlT_E1_NS1_11comp_targetILNS1_3genE0ELNS1_11target_archE4294967295ELNS1_3gpuE0ELNS1_3repE0EEENS1_30default_config_static_selectorELNS0_4arch9wavefront6targetE0EEEvSS_.kd
    .uniform_work_group_size: 1
    .uses_dynamic_stack: false
    .vgpr_count:     0
    .vgpr_spill_count: 0
    .wavefront_size: 32
    .workgroup_processor_mode: 1
  - .args:
      - .offset:         0
        .size:           40
        .value_kind:     by_value
    .group_segment_fixed_size: 0
    .kernarg_segment_align: 8
    .kernarg_segment_size: 40
    .language:       OpenCL C
    .language_version:
      - 2
      - 0
    .max_flat_workgroup_size: 256
    .name:           _ZN7rocprim17ROCPRIM_400000_NS6detail17trampoline_kernelINS0_14default_configENS1_22reduce_config_selectorIiEEZNS1_11reduce_implILb1ES3_PiS7_iN6hipcub16HIPCUB_304000_NS6detail34convert_binary_result_type_wrapperINS9_3SumENS9_22TransformInputIteratorIbN2at6native12_GLOBAL__N_19NonZeroOpIN3c104HalfEEEPKSJ_lEEiEEEE10hipError_tPvRmT1_T2_T3_mT4_P12ihipStream_tbEUlT_E1_NS1_11comp_targetILNS1_3genE5ELNS1_11target_archE942ELNS1_3gpuE9ELNS1_3repE0EEENS1_30default_config_static_selectorELNS0_4arch9wavefront6targetE0EEEvSS_
    .private_segment_fixed_size: 0
    .sgpr_count:     0
    .sgpr_spill_count: 0
    .symbol:         _ZN7rocprim17ROCPRIM_400000_NS6detail17trampoline_kernelINS0_14default_configENS1_22reduce_config_selectorIiEEZNS1_11reduce_implILb1ES3_PiS7_iN6hipcub16HIPCUB_304000_NS6detail34convert_binary_result_type_wrapperINS9_3SumENS9_22TransformInputIteratorIbN2at6native12_GLOBAL__N_19NonZeroOpIN3c104HalfEEEPKSJ_lEEiEEEE10hipError_tPvRmT1_T2_T3_mT4_P12ihipStream_tbEUlT_E1_NS1_11comp_targetILNS1_3genE5ELNS1_11target_archE942ELNS1_3gpuE9ELNS1_3repE0EEENS1_30default_config_static_selectorELNS0_4arch9wavefront6targetE0EEEvSS_.kd
    .uniform_work_group_size: 1
    .uses_dynamic_stack: false
    .vgpr_count:     0
    .vgpr_spill_count: 0
    .wavefront_size: 32
    .workgroup_processor_mode: 1
  - .args:
      - .offset:         0
        .size:           40
        .value_kind:     by_value
    .group_segment_fixed_size: 0
    .kernarg_segment_align: 8
    .kernarg_segment_size: 40
    .language:       OpenCL C
    .language_version:
      - 2
      - 0
    .max_flat_workgroup_size: 128
    .name:           _ZN7rocprim17ROCPRIM_400000_NS6detail17trampoline_kernelINS0_14default_configENS1_22reduce_config_selectorIiEEZNS1_11reduce_implILb1ES3_PiS7_iN6hipcub16HIPCUB_304000_NS6detail34convert_binary_result_type_wrapperINS9_3SumENS9_22TransformInputIteratorIbN2at6native12_GLOBAL__N_19NonZeroOpIN3c104HalfEEEPKSJ_lEEiEEEE10hipError_tPvRmT1_T2_T3_mT4_P12ihipStream_tbEUlT_E1_NS1_11comp_targetILNS1_3genE4ELNS1_11target_archE910ELNS1_3gpuE8ELNS1_3repE0EEENS1_30default_config_static_selectorELNS0_4arch9wavefront6targetE0EEEvSS_
    .private_segment_fixed_size: 0
    .sgpr_count:     0
    .sgpr_spill_count: 0
    .symbol:         _ZN7rocprim17ROCPRIM_400000_NS6detail17trampoline_kernelINS0_14default_configENS1_22reduce_config_selectorIiEEZNS1_11reduce_implILb1ES3_PiS7_iN6hipcub16HIPCUB_304000_NS6detail34convert_binary_result_type_wrapperINS9_3SumENS9_22TransformInputIteratorIbN2at6native12_GLOBAL__N_19NonZeroOpIN3c104HalfEEEPKSJ_lEEiEEEE10hipError_tPvRmT1_T2_T3_mT4_P12ihipStream_tbEUlT_E1_NS1_11comp_targetILNS1_3genE4ELNS1_11target_archE910ELNS1_3gpuE8ELNS1_3repE0EEENS1_30default_config_static_selectorELNS0_4arch9wavefront6targetE0EEEvSS_.kd
    .uniform_work_group_size: 1
    .uses_dynamic_stack: false
    .vgpr_count:     0
    .vgpr_spill_count: 0
    .wavefront_size: 32
    .workgroup_processor_mode: 1
  - .args:
      - .offset:         0
        .size:           40
        .value_kind:     by_value
    .group_segment_fixed_size: 0
    .kernarg_segment_align: 8
    .kernarg_segment_size: 40
    .language:       OpenCL C
    .language_version:
      - 2
      - 0
    .max_flat_workgroup_size: 256
    .name:           _ZN7rocprim17ROCPRIM_400000_NS6detail17trampoline_kernelINS0_14default_configENS1_22reduce_config_selectorIiEEZNS1_11reduce_implILb1ES3_PiS7_iN6hipcub16HIPCUB_304000_NS6detail34convert_binary_result_type_wrapperINS9_3SumENS9_22TransformInputIteratorIbN2at6native12_GLOBAL__N_19NonZeroOpIN3c104HalfEEEPKSJ_lEEiEEEE10hipError_tPvRmT1_T2_T3_mT4_P12ihipStream_tbEUlT_E1_NS1_11comp_targetILNS1_3genE3ELNS1_11target_archE908ELNS1_3gpuE7ELNS1_3repE0EEENS1_30default_config_static_selectorELNS0_4arch9wavefront6targetE0EEEvSS_
    .private_segment_fixed_size: 0
    .sgpr_count:     0
    .sgpr_spill_count: 0
    .symbol:         _ZN7rocprim17ROCPRIM_400000_NS6detail17trampoline_kernelINS0_14default_configENS1_22reduce_config_selectorIiEEZNS1_11reduce_implILb1ES3_PiS7_iN6hipcub16HIPCUB_304000_NS6detail34convert_binary_result_type_wrapperINS9_3SumENS9_22TransformInputIteratorIbN2at6native12_GLOBAL__N_19NonZeroOpIN3c104HalfEEEPKSJ_lEEiEEEE10hipError_tPvRmT1_T2_T3_mT4_P12ihipStream_tbEUlT_E1_NS1_11comp_targetILNS1_3genE3ELNS1_11target_archE908ELNS1_3gpuE7ELNS1_3repE0EEENS1_30default_config_static_selectorELNS0_4arch9wavefront6targetE0EEEvSS_.kd
    .uniform_work_group_size: 1
    .uses_dynamic_stack: false
    .vgpr_count:     0
    .vgpr_spill_count: 0
    .wavefront_size: 32
    .workgroup_processor_mode: 1
  - .args:
      - .offset:         0
        .size:           40
        .value_kind:     by_value
    .group_segment_fixed_size: 0
    .kernarg_segment_align: 8
    .kernarg_segment_size: 40
    .language:       OpenCL C
    .language_version:
      - 2
      - 0
    .max_flat_workgroup_size: 256
    .name:           _ZN7rocprim17ROCPRIM_400000_NS6detail17trampoline_kernelINS0_14default_configENS1_22reduce_config_selectorIiEEZNS1_11reduce_implILb1ES3_PiS7_iN6hipcub16HIPCUB_304000_NS6detail34convert_binary_result_type_wrapperINS9_3SumENS9_22TransformInputIteratorIbN2at6native12_GLOBAL__N_19NonZeroOpIN3c104HalfEEEPKSJ_lEEiEEEE10hipError_tPvRmT1_T2_T3_mT4_P12ihipStream_tbEUlT_E1_NS1_11comp_targetILNS1_3genE2ELNS1_11target_archE906ELNS1_3gpuE6ELNS1_3repE0EEENS1_30default_config_static_selectorELNS0_4arch9wavefront6targetE0EEEvSS_
    .private_segment_fixed_size: 0
    .sgpr_count:     0
    .sgpr_spill_count: 0
    .symbol:         _ZN7rocprim17ROCPRIM_400000_NS6detail17trampoline_kernelINS0_14default_configENS1_22reduce_config_selectorIiEEZNS1_11reduce_implILb1ES3_PiS7_iN6hipcub16HIPCUB_304000_NS6detail34convert_binary_result_type_wrapperINS9_3SumENS9_22TransformInputIteratorIbN2at6native12_GLOBAL__N_19NonZeroOpIN3c104HalfEEEPKSJ_lEEiEEEE10hipError_tPvRmT1_T2_T3_mT4_P12ihipStream_tbEUlT_E1_NS1_11comp_targetILNS1_3genE2ELNS1_11target_archE906ELNS1_3gpuE6ELNS1_3repE0EEENS1_30default_config_static_selectorELNS0_4arch9wavefront6targetE0EEEvSS_.kd
    .uniform_work_group_size: 1
    .uses_dynamic_stack: false
    .vgpr_count:     0
    .vgpr_spill_count: 0
    .wavefront_size: 32
    .workgroup_processor_mode: 1
  - .args:
      - .offset:         0
        .size:           40
        .value_kind:     by_value
    .group_segment_fixed_size: 224
    .kernarg_segment_align: 8
    .kernarg_segment_size: 40
    .language:       OpenCL C
    .language_version:
      - 2
      - 0
    .max_flat_workgroup_size: 256
    .name:           _ZN7rocprim17ROCPRIM_400000_NS6detail17trampoline_kernelINS0_14default_configENS1_22reduce_config_selectorIiEEZNS1_11reduce_implILb1ES3_PiS7_iN6hipcub16HIPCUB_304000_NS6detail34convert_binary_result_type_wrapperINS9_3SumENS9_22TransformInputIteratorIbN2at6native12_GLOBAL__N_19NonZeroOpIN3c104HalfEEEPKSJ_lEEiEEEE10hipError_tPvRmT1_T2_T3_mT4_P12ihipStream_tbEUlT_E1_NS1_11comp_targetILNS1_3genE10ELNS1_11target_archE1201ELNS1_3gpuE5ELNS1_3repE0EEENS1_30default_config_static_selectorELNS0_4arch9wavefront6targetE0EEEvSS_
    .private_segment_fixed_size: 0
    .sgpr_count:     47
    .sgpr_spill_count: 0
    .symbol:         _ZN7rocprim17ROCPRIM_400000_NS6detail17trampoline_kernelINS0_14default_configENS1_22reduce_config_selectorIiEEZNS1_11reduce_implILb1ES3_PiS7_iN6hipcub16HIPCUB_304000_NS6detail34convert_binary_result_type_wrapperINS9_3SumENS9_22TransformInputIteratorIbN2at6native12_GLOBAL__N_19NonZeroOpIN3c104HalfEEEPKSJ_lEEiEEEE10hipError_tPvRmT1_T2_T3_mT4_P12ihipStream_tbEUlT_E1_NS1_11comp_targetILNS1_3genE10ELNS1_11target_archE1201ELNS1_3gpuE5ELNS1_3repE0EEENS1_30default_config_static_selectorELNS0_4arch9wavefront6targetE0EEEvSS_.kd
    .uniform_work_group_size: 1
    .uses_dynamic_stack: false
    .vgpr_count:     34
    .vgpr_spill_count: 0
    .wavefront_size: 32
    .workgroup_processor_mode: 1
  - .args:
      - .offset:         0
        .size:           40
        .value_kind:     by_value
    .group_segment_fixed_size: 0
    .kernarg_segment_align: 8
    .kernarg_segment_size: 40
    .language:       OpenCL C
    .language_version:
      - 2
      - 0
    .max_flat_workgroup_size: 256
    .name:           _ZN7rocprim17ROCPRIM_400000_NS6detail17trampoline_kernelINS0_14default_configENS1_22reduce_config_selectorIiEEZNS1_11reduce_implILb1ES3_PiS7_iN6hipcub16HIPCUB_304000_NS6detail34convert_binary_result_type_wrapperINS9_3SumENS9_22TransformInputIteratorIbN2at6native12_GLOBAL__N_19NonZeroOpIN3c104HalfEEEPKSJ_lEEiEEEE10hipError_tPvRmT1_T2_T3_mT4_P12ihipStream_tbEUlT_E1_NS1_11comp_targetILNS1_3genE10ELNS1_11target_archE1200ELNS1_3gpuE4ELNS1_3repE0EEENS1_30default_config_static_selectorELNS0_4arch9wavefront6targetE0EEEvSS_
    .private_segment_fixed_size: 0
    .sgpr_count:     0
    .sgpr_spill_count: 0
    .symbol:         _ZN7rocprim17ROCPRIM_400000_NS6detail17trampoline_kernelINS0_14default_configENS1_22reduce_config_selectorIiEEZNS1_11reduce_implILb1ES3_PiS7_iN6hipcub16HIPCUB_304000_NS6detail34convert_binary_result_type_wrapperINS9_3SumENS9_22TransformInputIteratorIbN2at6native12_GLOBAL__N_19NonZeroOpIN3c104HalfEEEPKSJ_lEEiEEEE10hipError_tPvRmT1_T2_T3_mT4_P12ihipStream_tbEUlT_E1_NS1_11comp_targetILNS1_3genE10ELNS1_11target_archE1200ELNS1_3gpuE4ELNS1_3repE0EEENS1_30default_config_static_selectorELNS0_4arch9wavefront6targetE0EEEvSS_.kd
    .uniform_work_group_size: 1
    .uses_dynamic_stack: false
    .vgpr_count:     0
    .vgpr_spill_count: 0
    .wavefront_size: 32
    .workgroup_processor_mode: 1
  - .args:
      - .offset:         0
        .size:           40
        .value_kind:     by_value
    .group_segment_fixed_size: 0
    .kernarg_segment_align: 8
    .kernarg_segment_size: 40
    .language:       OpenCL C
    .language_version:
      - 2
      - 0
    .max_flat_workgroup_size: 256
    .name:           _ZN7rocprim17ROCPRIM_400000_NS6detail17trampoline_kernelINS0_14default_configENS1_22reduce_config_selectorIiEEZNS1_11reduce_implILb1ES3_PiS7_iN6hipcub16HIPCUB_304000_NS6detail34convert_binary_result_type_wrapperINS9_3SumENS9_22TransformInputIteratorIbN2at6native12_GLOBAL__N_19NonZeroOpIN3c104HalfEEEPKSJ_lEEiEEEE10hipError_tPvRmT1_T2_T3_mT4_P12ihipStream_tbEUlT_E1_NS1_11comp_targetILNS1_3genE9ELNS1_11target_archE1100ELNS1_3gpuE3ELNS1_3repE0EEENS1_30default_config_static_selectorELNS0_4arch9wavefront6targetE0EEEvSS_
    .private_segment_fixed_size: 0
    .sgpr_count:     0
    .sgpr_spill_count: 0
    .symbol:         _ZN7rocprim17ROCPRIM_400000_NS6detail17trampoline_kernelINS0_14default_configENS1_22reduce_config_selectorIiEEZNS1_11reduce_implILb1ES3_PiS7_iN6hipcub16HIPCUB_304000_NS6detail34convert_binary_result_type_wrapperINS9_3SumENS9_22TransformInputIteratorIbN2at6native12_GLOBAL__N_19NonZeroOpIN3c104HalfEEEPKSJ_lEEiEEEE10hipError_tPvRmT1_T2_T3_mT4_P12ihipStream_tbEUlT_E1_NS1_11comp_targetILNS1_3genE9ELNS1_11target_archE1100ELNS1_3gpuE3ELNS1_3repE0EEENS1_30default_config_static_selectorELNS0_4arch9wavefront6targetE0EEEvSS_.kd
    .uniform_work_group_size: 1
    .uses_dynamic_stack: false
    .vgpr_count:     0
    .vgpr_spill_count: 0
    .wavefront_size: 32
    .workgroup_processor_mode: 1
  - .args:
      - .offset:         0
        .size:           40
        .value_kind:     by_value
    .group_segment_fixed_size: 0
    .kernarg_segment_align: 8
    .kernarg_segment_size: 40
    .language:       OpenCL C
    .language_version:
      - 2
      - 0
    .max_flat_workgroup_size: 256
    .name:           _ZN7rocprim17ROCPRIM_400000_NS6detail17trampoline_kernelINS0_14default_configENS1_22reduce_config_selectorIiEEZNS1_11reduce_implILb1ES3_PiS7_iN6hipcub16HIPCUB_304000_NS6detail34convert_binary_result_type_wrapperINS9_3SumENS9_22TransformInputIteratorIbN2at6native12_GLOBAL__N_19NonZeroOpIN3c104HalfEEEPKSJ_lEEiEEEE10hipError_tPvRmT1_T2_T3_mT4_P12ihipStream_tbEUlT_E1_NS1_11comp_targetILNS1_3genE8ELNS1_11target_archE1030ELNS1_3gpuE2ELNS1_3repE0EEENS1_30default_config_static_selectorELNS0_4arch9wavefront6targetE0EEEvSS_
    .private_segment_fixed_size: 0
    .sgpr_count:     0
    .sgpr_spill_count: 0
    .symbol:         _ZN7rocprim17ROCPRIM_400000_NS6detail17trampoline_kernelINS0_14default_configENS1_22reduce_config_selectorIiEEZNS1_11reduce_implILb1ES3_PiS7_iN6hipcub16HIPCUB_304000_NS6detail34convert_binary_result_type_wrapperINS9_3SumENS9_22TransformInputIteratorIbN2at6native12_GLOBAL__N_19NonZeroOpIN3c104HalfEEEPKSJ_lEEiEEEE10hipError_tPvRmT1_T2_T3_mT4_P12ihipStream_tbEUlT_E1_NS1_11comp_targetILNS1_3genE8ELNS1_11target_archE1030ELNS1_3gpuE2ELNS1_3repE0EEENS1_30default_config_static_selectorELNS0_4arch9wavefront6targetE0EEEvSS_.kd
    .uniform_work_group_size: 1
    .uses_dynamic_stack: false
    .vgpr_count:     0
    .vgpr_spill_count: 0
    .wavefront_size: 32
    .workgroup_processor_mode: 1
  - .args:
      - .offset:         0
        .size:           64
        .value_kind:     by_value
    .group_segment_fixed_size: 0
    .kernarg_segment_align: 8
    .kernarg_segment_size: 64
    .language:       OpenCL C
    .language_version:
      - 2
      - 0
    .max_flat_workgroup_size: 256
    .name:           _ZN7rocprim17ROCPRIM_400000_NS6detail17trampoline_kernelINS0_14default_configENS1_22reduce_config_selectorIbEEZNS1_11reduce_implILb1ES3_N6hipcub16HIPCUB_304000_NS22TransformInputIteratorIbN2at6native12_GLOBAL__N_19NonZeroOpIN3c104HalfEEEPKSF_lEEPiiNS8_6detail34convert_binary_result_type_wrapperINS8_3SumESJ_iEEEE10hipError_tPvRmT1_T2_T3_mT4_P12ihipStream_tbEUlT_E0_NS1_11comp_targetILNS1_3genE0ELNS1_11target_archE4294967295ELNS1_3gpuE0ELNS1_3repE0EEENS1_30default_config_static_selectorELNS0_4arch9wavefront6targetE0EEEvSS_
    .private_segment_fixed_size: 0
    .sgpr_count:     0
    .sgpr_spill_count: 0
    .symbol:         _ZN7rocprim17ROCPRIM_400000_NS6detail17trampoline_kernelINS0_14default_configENS1_22reduce_config_selectorIbEEZNS1_11reduce_implILb1ES3_N6hipcub16HIPCUB_304000_NS22TransformInputIteratorIbN2at6native12_GLOBAL__N_19NonZeroOpIN3c104HalfEEEPKSF_lEEPiiNS8_6detail34convert_binary_result_type_wrapperINS8_3SumESJ_iEEEE10hipError_tPvRmT1_T2_T3_mT4_P12ihipStream_tbEUlT_E0_NS1_11comp_targetILNS1_3genE0ELNS1_11target_archE4294967295ELNS1_3gpuE0ELNS1_3repE0EEENS1_30default_config_static_selectorELNS0_4arch9wavefront6targetE0EEEvSS_.kd
    .uniform_work_group_size: 1
    .uses_dynamic_stack: false
    .vgpr_count:     0
    .vgpr_spill_count: 0
    .wavefront_size: 32
    .workgroup_processor_mode: 1
  - .args:
      - .offset:         0
        .size:           64
        .value_kind:     by_value
    .group_segment_fixed_size: 0
    .kernarg_segment_align: 8
    .kernarg_segment_size: 64
    .language:       OpenCL C
    .language_version:
      - 2
      - 0
    .max_flat_workgroup_size: 256
    .name:           _ZN7rocprim17ROCPRIM_400000_NS6detail17trampoline_kernelINS0_14default_configENS1_22reduce_config_selectorIbEEZNS1_11reduce_implILb1ES3_N6hipcub16HIPCUB_304000_NS22TransformInputIteratorIbN2at6native12_GLOBAL__N_19NonZeroOpIN3c104HalfEEEPKSF_lEEPiiNS8_6detail34convert_binary_result_type_wrapperINS8_3SumESJ_iEEEE10hipError_tPvRmT1_T2_T3_mT4_P12ihipStream_tbEUlT_E0_NS1_11comp_targetILNS1_3genE5ELNS1_11target_archE942ELNS1_3gpuE9ELNS1_3repE0EEENS1_30default_config_static_selectorELNS0_4arch9wavefront6targetE0EEEvSS_
    .private_segment_fixed_size: 0
    .sgpr_count:     0
    .sgpr_spill_count: 0
    .symbol:         _ZN7rocprim17ROCPRIM_400000_NS6detail17trampoline_kernelINS0_14default_configENS1_22reduce_config_selectorIbEEZNS1_11reduce_implILb1ES3_N6hipcub16HIPCUB_304000_NS22TransformInputIteratorIbN2at6native12_GLOBAL__N_19NonZeroOpIN3c104HalfEEEPKSF_lEEPiiNS8_6detail34convert_binary_result_type_wrapperINS8_3SumESJ_iEEEE10hipError_tPvRmT1_T2_T3_mT4_P12ihipStream_tbEUlT_E0_NS1_11comp_targetILNS1_3genE5ELNS1_11target_archE942ELNS1_3gpuE9ELNS1_3repE0EEENS1_30default_config_static_selectorELNS0_4arch9wavefront6targetE0EEEvSS_.kd
    .uniform_work_group_size: 1
    .uses_dynamic_stack: false
    .vgpr_count:     0
    .vgpr_spill_count: 0
    .wavefront_size: 32
    .workgroup_processor_mode: 1
  - .args:
      - .offset:         0
        .size:           64
        .value_kind:     by_value
    .group_segment_fixed_size: 0
    .kernarg_segment_align: 8
    .kernarg_segment_size: 64
    .language:       OpenCL C
    .language_version:
      - 2
      - 0
    .max_flat_workgroup_size: 128
    .name:           _ZN7rocprim17ROCPRIM_400000_NS6detail17trampoline_kernelINS0_14default_configENS1_22reduce_config_selectorIbEEZNS1_11reduce_implILb1ES3_N6hipcub16HIPCUB_304000_NS22TransformInputIteratorIbN2at6native12_GLOBAL__N_19NonZeroOpIN3c104HalfEEEPKSF_lEEPiiNS8_6detail34convert_binary_result_type_wrapperINS8_3SumESJ_iEEEE10hipError_tPvRmT1_T2_T3_mT4_P12ihipStream_tbEUlT_E0_NS1_11comp_targetILNS1_3genE4ELNS1_11target_archE910ELNS1_3gpuE8ELNS1_3repE0EEENS1_30default_config_static_selectorELNS0_4arch9wavefront6targetE0EEEvSS_
    .private_segment_fixed_size: 0
    .sgpr_count:     0
    .sgpr_spill_count: 0
    .symbol:         _ZN7rocprim17ROCPRIM_400000_NS6detail17trampoline_kernelINS0_14default_configENS1_22reduce_config_selectorIbEEZNS1_11reduce_implILb1ES3_N6hipcub16HIPCUB_304000_NS22TransformInputIteratorIbN2at6native12_GLOBAL__N_19NonZeroOpIN3c104HalfEEEPKSF_lEEPiiNS8_6detail34convert_binary_result_type_wrapperINS8_3SumESJ_iEEEE10hipError_tPvRmT1_T2_T3_mT4_P12ihipStream_tbEUlT_E0_NS1_11comp_targetILNS1_3genE4ELNS1_11target_archE910ELNS1_3gpuE8ELNS1_3repE0EEENS1_30default_config_static_selectorELNS0_4arch9wavefront6targetE0EEEvSS_.kd
    .uniform_work_group_size: 1
    .uses_dynamic_stack: false
    .vgpr_count:     0
    .vgpr_spill_count: 0
    .wavefront_size: 32
    .workgroup_processor_mode: 1
  - .args:
      - .offset:         0
        .size:           64
        .value_kind:     by_value
    .group_segment_fixed_size: 0
    .kernarg_segment_align: 8
    .kernarg_segment_size: 64
    .language:       OpenCL C
    .language_version:
      - 2
      - 0
    .max_flat_workgroup_size: 256
    .name:           _ZN7rocprim17ROCPRIM_400000_NS6detail17trampoline_kernelINS0_14default_configENS1_22reduce_config_selectorIbEEZNS1_11reduce_implILb1ES3_N6hipcub16HIPCUB_304000_NS22TransformInputIteratorIbN2at6native12_GLOBAL__N_19NonZeroOpIN3c104HalfEEEPKSF_lEEPiiNS8_6detail34convert_binary_result_type_wrapperINS8_3SumESJ_iEEEE10hipError_tPvRmT1_T2_T3_mT4_P12ihipStream_tbEUlT_E0_NS1_11comp_targetILNS1_3genE3ELNS1_11target_archE908ELNS1_3gpuE7ELNS1_3repE0EEENS1_30default_config_static_selectorELNS0_4arch9wavefront6targetE0EEEvSS_
    .private_segment_fixed_size: 0
    .sgpr_count:     0
    .sgpr_spill_count: 0
    .symbol:         _ZN7rocprim17ROCPRIM_400000_NS6detail17trampoline_kernelINS0_14default_configENS1_22reduce_config_selectorIbEEZNS1_11reduce_implILb1ES3_N6hipcub16HIPCUB_304000_NS22TransformInputIteratorIbN2at6native12_GLOBAL__N_19NonZeroOpIN3c104HalfEEEPKSF_lEEPiiNS8_6detail34convert_binary_result_type_wrapperINS8_3SumESJ_iEEEE10hipError_tPvRmT1_T2_T3_mT4_P12ihipStream_tbEUlT_E0_NS1_11comp_targetILNS1_3genE3ELNS1_11target_archE908ELNS1_3gpuE7ELNS1_3repE0EEENS1_30default_config_static_selectorELNS0_4arch9wavefront6targetE0EEEvSS_.kd
    .uniform_work_group_size: 1
    .uses_dynamic_stack: false
    .vgpr_count:     0
    .vgpr_spill_count: 0
    .wavefront_size: 32
    .workgroup_processor_mode: 1
  - .args:
      - .offset:         0
        .size:           64
        .value_kind:     by_value
    .group_segment_fixed_size: 0
    .kernarg_segment_align: 8
    .kernarg_segment_size: 64
    .language:       OpenCL C
    .language_version:
      - 2
      - 0
    .max_flat_workgroup_size: 128
    .name:           _ZN7rocprim17ROCPRIM_400000_NS6detail17trampoline_kernelINS0_14default_configENS1_22reduce_config_selectorIbEEZNS1_11reduce_implILb1ES3_N6hipcub16HIPCUB_304000_NS22TransformInputIteratorIbN2at6native12_GLOBAL__N_19NonZeroOpIN3c104HalfEEEPKSF_lEEPiiNS8_6detail34convert_binary_result_type_wrapperINS8_3SumESJ_iEEEE10hipError_tPvRmT1_T2_T3_mT4_P12ihipStream_tbEUlT_E0_NS1_11comp_targetILNS1_3genE2ELNS1_11target_archE906ELNS1_3gpuE6ELNS1_3repE0EEENS1_30default_config_static_selectorELNS0_4arch9wavefront6targetE0EEEvSS_
    .private_segment_fixed_size: 0
    .sgpr_count:     0
    .sgpr_spill_count: 0
    .symbol:         _ZN7rocprim17ROCPRIM_400000_NS6detail17trampoline_kernelINS0_14default_configENS1_22reduce_config_selectorIbEEZNS1_11reduce_implILb1ES3_N6hipcub16HIPCUB_304000_NS22TransformInputIteratorIbN2at6native12_GLOBAL__N_19NonZeroOpIN3c104HalfEEEPKSF_lEEPiiNS8_6detail34convert_binary_result_type_wrapperINS8_3SumESJ_iEEEE10hipError_tPvRmT1_T2_T3_mT4_P12ihipStream_tbEUlT_E0_NS1_11comp_targetILNS1_3genE2ELNS1_11target_archE906ELNS1_3gpuE6ELNS1_3repE0EEENS1_30default_config_static_selectorELNS0_4arch9wavefront6targetE0EEEvSS_.kd
    .uniform_work_group_size: 1
    .uses_dynamic_stack: false
    .vgpr_count:     0
    .vgpr_spill_count: 0
    .wavefront_size: 32
    .workgroup_processor_mode: 1
  - .args:
      - .offset:         0
        .size:           64
        .value_kind:     by_value
    .group_segment_fixed_size: 64
    .kernarg_segment_align: 8
    .kernarg_segment_size: 64
    .language:       OpenCL C
    .language_version:
      - 2
      - 0
    .max_flat_workgroup_size: 256
    .name:           _ZN7rocprim17ROCPRIM_400000_NS6detail17trampoline_kernelINS0_14default_configENS1_22reduce_config_selectorIbEEZNS1_11reduce_implILb1ES3_N6hipcub16HIPCUB_304000_NS22TransformInputIteratorIbN2at6native12_GLOBAL__N_19NonZeroOpIN3c104HalfEEEPKSF_lEEPiiNS8_6detail34convert_binary_result_type_wrapperINS8_3SumESJ_iEEEE10hipError_tPvRmT1_T2_T3_mT4_P12ihipStream_tbEUlT_E0_NS1_11comp_targetILNS1_3genE10ELNS1_11target_archE1201ELNS1_3gpuE5ELNS1_3repE0EEENS1_30default_config_static_selectorELNS0_4arch9wavefront6targetE0EEEvSS_
    .private_segment_fixed_size: 0
    .sgpr_count:     32
    .sgpr_spill_count: 0
    .symbol:         _ZN7rocprim17ROCPRIM_400000_NS6detail17trampoline_kernelINS0_14default_configENS1_22reduce_config_selectorIbEEZNS1_11reduce_implILb1ES3_N6hipcub16HIPCUB_304000_NS22TransformInputIteratorIbN2at6native12_GLOBAL__N_19NonZeroOpIN3c104HalfEEEPKSF_lEEPiiNS8_6detail34convert_binary_result_type_wrapperINS8_3SumESJ_iEEEE10hipError_tPvRmT1_T2_T3_mT4_P12ihipStream_tbEUlT_E0_NS1_11comp_targetILNS1_3genE10ELNS1_11target_archE1201ELNS1_3gpuE5ELNS1_3repE0EEENS1_30default_config_static_selectorELNS0_4arch9wavefront6targetE0EEEvSS_.kd
    .uniform_work_group_size: 1
    .uses_dynamic_stack: false
    .vgpr_count:     20
    .vgpr_spill_count: 0
    .wavefront_size: 32
    .workgroup_processor_mode: 1
  - .args:
      - .offset:         0
        .size:           64
        .value_kind:     by_value
    .group_segment_fixed_size: 0
    .kernarg_segment_align: 8
    .kernarg_segment_size: 64
    .language:       OpenCL C
    .language_version:
      - 2
      - 0
    .max_flat_workgroup_size: 256
    .name:           _ZN7rocprim17ROCPRIM_400000_NS6detail17trampoline_kernelINS0_14default_configENS1_22reduce_config_selectorIbEEZNS1_11reduce_implILb1ES3_N6hipcub16HIPCUB_304000_NS22TransformInputIteratorIbN2at6native12_GLOBAL__N_19NonZeroOpIN3c104HalfEEEPKSF_lEEPiiNS8_6detail34convert_binary_result_type_wrapperINS8_3SumESJ_iEEEE10hipError_tPvRmT1_T2_T3_mT4_P12ihipStream_tbEUlT_E0_NS1_11comp_targetILNS1_3genE10ELNS1_11target_archE1200ELNS1_3gpuE4ELNS1_3repE0EEENS1_30default_config_static_selectorELNS0_4arch9wavefront6targetE0EEEvSS_
    .private_segment_fixed_size: 0
    .sgpr_count:     0
    .sgpr_spill_count: 0
    .symbol:         _ZN7rocprim17ROCPRIM_400000_NS6detail17trampoline_kernelINS0_14default_configENS1_22reduce_config_selectorIbEEZNS1_11reduce_implILb1ES3_N6hipcub16HIPCUB_304000_NS22TransformInputIteratorIbN2at6native12_GLOBAL__N_19NonZeroOpIN3c104HalfEEEPKSF_lEEPiiNS8_6detail34convert_binary_result_type_wrapperINS8_3SumESJ_iEEEE10hipError_tPvRmT1_T2_T3_mT4_P12ihipStream_tbEUlT_E0_NS1_11comp_targetILNS1_3genE10ELNS1_11target_archE1200ELNS1_3gpuE4ELNS1_3repE0EEENS1_30default_config_static_selectorELNS0_4arch9wavefront6targetE0EEEvSS_.kd
    .uniform_work_group_size: 1
    .uses_dynamic_stack: false
    .vgpr_count:     0
    .vgpr_spill_count: 0
    .wavefront_size: 32
    .workgroup_processor_mode: 1
  - .args:
      - .offset:         0
        .size:           64
        .value_kind:     by_value
    .group_segment_fixed_size: 0
    .kernarg_segment_align: 8
    .kernarg_segment_size: 64
    .language:       OpenCL C
    .language_version:
      - 2
      - 0
    .max_flat_workgroup_size: 128
    .name:           _ZN7rocprim17ROCPRIM_400000_NS6detail17trampoline_kernelINS0_14default_configENS1_22reduce_config_selectorIbEEZNS1_11reduce_implILb1ES3_N6hipcub16HIPCUB_304000_NS22TransformInputIteratorIbN2at6native12_GLOBAL__N_19NonZeroOpIN3c104HalfEEEPKSF_lEEPiiNS8_6detail34convert_binary_result_type_wrapperINS8_3SumESJ_iEEEE10hipError_tPvRmT1_T2_T3_mT4_P12ihipStream_tbEUlT_E0_NS1_11comp_targetILNS1_3genE9ELNS1_11target_archE1100ELNS1_3gpuE3ELNS1_3repE0EEENS1_30default_config_static_selectorELNS0_4arch9wavefront6targetE0EEEvSS_
    .private_segment_fixed_size: 0
    .sgpr_count:     0
    .sgpr_spill_count: 0
    .symbol:         _ZN7rocprim17ROCPRIM_400000_NS6detail17trampoline_kernelINS0_14default_configENS1_22reduce_config_selectorIbEEZNS1_11reduce_implILb1ES3_N6hipcub16HIPCUB_304000_NS22TransformInputIteratorIbN2at6native12_GLOBAL__N_19NonZeroOpIN3c104HalfEEEPKSF_lEEPiiNS8_6detail34convert_binary_result_type_wrapperINS8_3SumESJ_iEEEE10hipError_tPvRmT1_T2_T3_mT4_P12ihipStream_tbEUlT_E0_NS1_11comp_targetILNS1_3genE9ELNS1_11target_archE1100ELNS1_3gpuE3ELNS1_3repE0EEENS1_30default_config_static_selectorELNS0_4arch9wavefront6targetE0EEEvSS_.kd
    .uniform_work_group_size: 1
    .uses_dynamic_stack: false
    .vgpr_count:     0
    .vgpr_spill_count: 0
    .wavefront_size: 32
    .workgroup_processor_mode: 1
  - .args:
      - .offset:         0
        .size:           64
        .value_kind:     by_value
    .group_segment_fixed_size: 0
    .kernarg_segment_align: 8
    .kernarg_segment_size: 64
    .language:       OpenCL C
    .language_version:
      - 2
      - 0
    .max_flat_workgroup_size: 256
    .name:           _ZN7rocprim17ROCPRIM_400000_NS6detail17trampoline_kernelINS0_14default_configENS1_22reduce_config_selectorIbEEZNS1_11reduce_implILb1ES3_N6hipcub16HIPCUB_304000_NS22TransformInputIteratorIbN2at6native12_GLOBAL__N_19NonZeroOpIN3c104HalfEEEPKSF_lEEPiiNS8_6detail34convert_binary_result_type_wrapperINS8_3SumESJ_iEEEE10hipError_tPvRmT1_T2_T3_mT4_P12ihipStream_tbEUlT_E0_NS1_11comp_targetILNS1_3genE8ELNS1_11target_archE1030ELNS1_3gpuE2ELNS1_3repE0EEENS1_30default_config_static_selectorELNS0_4arch9wavefront6targetE0EEEvSS_
    .private_segment_fixed_size: 0
    .sgpr_count:     0
    .sgpr_spill_count: 0
    .symbol:         _ZN7rocprim17ROCPRIM_400000_NS6detail17trampoline_kernelINS0_14default_configENS1_22reduce_config_selectorIbEEZNS1_11reduce_implILb1ES3_N6hipcub16HIPCUB_304000_NS22TransformInputIteratorIbN2at6native12_GLOBAL__N_19NonZeroOpIN3c104HalfEEEPKSF_lEEPiiNS8_6detail34convert_binary_result_type_wrapperINS8_3SumESJ_iEEEE10hipError_tPvRmT1_T2_T3_mT4_P12ihipStream_tbEUlT_E0_NS1_11comp_targetILNS1_3genE8ELNS1_11target_archE1030ELNS1_3gpuE2ELNS1_3repE0EEENS1_30default_config_static_selectorELNS0_4arch9wavefront6targetE0EEEvSS_.kd
    .uniform_work_group_size: 1
    .uses_dynamic_stack: false
    .vgpr_count:     0
    .vgpr_spill_count: 0
    .wavefront_size: 32
    .workgroup_processor_mode: 1
  - .args:
      - .offset:         0
        .size:           48
        .value_kind:     by_value
    .group_segment_fixed_size: 0
    .kernarg_segment_align: 8
    .kernarg_segment_size: 48
    .language:       OpenCL C
    .language_version:
      - 2
      - 0
    .max_flat_workgroup_size: 256
    .name:           _ZN7rocprim17ROCPRIM_400000_NS6detail17trampoline_kernelINS0_14default_configENS1_22reduce_config_selectorIbEEZNS1_11reduce_implILb1ES3_N6hipcub16HIPCUB_304000_NS22TransformInputIteratorIbN2at6native12_GLOBAL__N_19NonZeroOpIN3c104HalfEEEPKSF_lEEPiiNS8_6detail34convert_binary_result_type_wrapperINS8_3SumESJ_iEEEE10hipError_tPvRmT1_T2_T3_mT4_P12ihipStream_tbEUlT_E1_NS1_11comp_targetILNS1_3genE0ELNS1_11target_archE4294967295ELNS1_3gpuE0ELNS1_3repE0EEENS1_30default_config_static_selectorELNS0_4arch9wavefront6targetE0EEEvSS_
    .private_segment_fixed_size: 0
    .sgpr_count:     0
    .sgpr_spill_count: 0
    .symbol:         _ZN7rocprim17ROCPRIM_400000_NS6detail17trampoline_kernelINS0_14default_configENS1_22reduce_config_selectorIbEEZNS1_11reduce_implILb1ES3_N6hipcub16HIPCUB_304000_NS22TransformInputIteratorIbN2at6native12_GLOBAL__N_19NonZeroOpIN3c104HalfEEEPKSF_lEEPiiNS8_6detail34convert_binary_result_type_wrapperINS8_3SumESJ_iEEEE10hipError_tPvRmT1_T2_T3_mT4_P12ihipStream_tbEUlT_E1_NS1_11comp_targetILNS1_3genE0ELNS1_11target_archE4294967295ELNS1_3gpuE0ELNS1_3repE0EEENS1_30default_config_static_selectorELNS0_4arch9wavefront6targetE0EEEvSS_.kd
    .uniform_work_group_size: 1
    .uses_dynamic_stack: false
    .vgpr_count:     0
    .vgpr_spill_count: 0
    .wavefront_size: 32
    .workgroup_processor_mode: 1
  - .args:
      - .offset:         0
        .size:           48
        .value_kind:     by_value
    .group_segment_fixed_size: 0
    .kernarg_segment_align: 8
    .kernarg_segment_size: 48
    .language:       OpenCL C
    .language_version:
      - 2
      - 0
    .max_flat_workgroup_size: 256
    .name:           _ZN7rocprim17ROCPRIM_400000_NS6detail17trampoline_kernelINS0_14default_configENS1_22reduce_config_selectorIbEEZNS1_11reduce_implILb1ES3_N6hipcub16HIPCUB_304000_NS22TransformInputIteratorIbN2at6native12_GLOBAL__N_19NonZeroOpIN3c104HalfEEEPKSF_lEEPiiNS8_6detail34convert_binary_result_type_wrapperINS8_3SumESJ_iEEEE10hipError_tPvRmT1_T2_T3_mT4_P12ihipStream_tbEUlT_E1_NS1_11comp_targetILNS1_3genE5ELNS1_11target_archE942ELNS1_3gpuE9ELNS1_3repE0EEENS1_30default_config_static_selectorELNS0_4arch9wavefront6targetE0EEEvSS_
    .private_segment_fixed_size: 0
    .sgpr_count:     0
    .sgpr_spill_count: 0
    .symbol:         _ZN7rocprim17ROCPRIM_400000_NS6detail17trampoline_kernelINS0_14default_configENS1_22reduce_config_selectorIbEEZNS1_11reduce_implILb1ES3_N6hipcub16HIPCUB_304000_NS22TransformInputIteratorIbN2at6native12_GLOBAL__N_19NonZeroOpIN3c104HalfEEEPKSF_lEEPiiNS8_6detail34convert_binary_result_type_wrapperINS8_3SumESJ_iEEEE10hipError_tPvRmT1_T2_T3_mT4_P12ihipStream_tbEUlT_E1_NS1_11comp_targetILNS1_3genE5ELNS1_11target_archE942ELNS1_3gpuE9ELNS1_3repE0EEENS1_30default_config_static_selectorELNS0_4arch9wavefront6targetE0EEEvSS_.kd
    .uniform_work_group_size: 1
    .uses_dynamic_stack: false
    .vgpr_count:     0
    .vgpr_spill_count: 0
    .wavefront_size: 32
    .workgroup_processor_mode: 1
  - .args:
      - .offset:         0
        .size:           48
        .value_kind:     by_value
    .group_segment_fixed_size: 0
    .kernarg_segment_align: 8
    .kernarg_segment_size: 48
    .language:       OpenCL C
    .language_version:
      - 2
      - 0
    .max_flat_workgroup_size: 128
    .name:           _ZN7rocprim17ROCPRIM_400000_NS6detail17trampoline_kernelINS0_14default_configENS1_22reduce_config_selectorIbEEZNS1_11reduce_implILb1ES3_N6hipcub16HIPCUB_304000_NS22TransformInputIteratorIbN2at6native12_GLOBAL__N_19NonZeroOpIN3c104HalfEEEPKSF_lEEPiiNS8_6detail34convert_binary_result_type_wrapperINS8_3SumESJ_iEEEE10hipError_tPvRmT1_T2_T3_mT4_P12ihipStream_tbEUlT_E1_NS1_11comp_targetILNS1_3genE4ELNS1_11target_archE910ELNS1_3gpuE8ELNS1_3repE0EEENS1_30default_config_static_selectorELNS0_4arch9wavefront6targetE0EEEvSS_
    .private_segment_fixed_size: 0
    .sgpr_count:     0
    .sgpr_spill_count: 0
    .symbol:         _ZN7rocprim17ROCPRIM_400000_NS6detail17trampoline_kernelINS0_14default_configENS1_22reduce_config_selectorIbEEZNS1_11reduce_implILb1ES3_N6hipcub16HIPCUB_304000_NS22TransformInputIteratorIbN2at6native12_GLOBAL__N_19NonZeroOpIN3c104HalfEEEPKSF_lEEPiiNS8_6detail34convert_binary_result_type_wrapperINS8_3SumESJ_iEEEE10hipError_tPvRmT1_T2_T3_mT4_P12ihipStream_tbEUlT_E1_NS1_11comp_targetILNS1_3genE4ELNS1_11target_archE910ELNS1_3gpuE8ELNS1_3repE0EEENS1_30default_config_static_selectorELNS0_4arch9wavefront6targetE0EEEvSS_.kd
    .uniform_work_group_size: 1
    .uses_dynamic_stack: false
    .vgpr_count:     0
    .vgpr_spill_count: 0
    .wavefront_size: 32
    .workgroup_processor_mode: 1
  - .args:
      - .offset:         0
        .size:           48
        .value_kind:     by_value
    .group_segment_fixed_size: 0
    .kernarg_segment_align: 8
    .kernarg_segment_size: 48
    .language:       OpenCL C
    .language_version:
      - 2
      - 0
    .max_flat_workgroup_size: 256
    .name:           _ZN7rocprim17ROCPRIM_400000_NS6detail17trampoline_kernelINS0_14default_configENS1_22reduce_config_selectorIbEEZNS1_11reduce_implILb1ES3_N6hipcub16HIPCUB_304000_NS22TransformInputIteratorIbN2at6native12_GLOBAL__N_19NonZeroOpIN3c104HalfEEEPKSF_lEEPiiNS8_6detail34convert_binary_result_type_wrapperINS8_3SumESJ_iEEEE10hipError_tPvRmT1_T2_T3_mT4_P12ihipStream_tbEUlT_E1_NS1_11comp_targetILNS1_3genE3ELNS1_11target_archE908ELNS1_3gpuE7ELNS1_3repE0EEENS1_30default_config_static_selectorELNS0_4arch9wavefront6targetE0EEEvSS_
    .private_segment_fixed_size: 0
    .sgpr_count:     0
    .sgpr_spill_count: 0
    .symbol:         _ZN7rocprim17ROCPRIM_400000_NS6detail17trampoline_kernelINS0_14default_configENS1_22reduce_config_selectorIbEEZNS1_11reduce_implILb1ES3_N6hipcub16HIPCUB_304000_NS22TransformInputIteratorIbN2at6native12_GLOBAL__N_19NonZeroOpIN3c104HalfEEEPKSF_lEEPiiNS8_6detail34convert_binary_result_type_wrapperINS8_3SumESJ_iEEEE10hipError_tPvRmT1_T2_T3_mT4_P12ihipStream_tbEUlT_E1_NS1_11comp_targetILNS1_3genE3ELNS1_11target_archE908ELNS1_3gpuE7ELNS1_3repE0EEENS1_30default_config_static_selectorELNS0_4arch9wavefront6targetE0EEEvSS_.kd
    .uniform_work_group_size: 1
    .uses_dynamic_stack: false
    .vgpr_count:     0
    .vgpr_spill_count: 0
    .wavefront_size: 32
    .workgroup_processor_mode: 1
  - .args:
      - .offset:         0
        .size:           48
        .value_kind:     by_value
    .group_segment_fixed_size: 0
    .kernarg_segment_align: 8
    .kernarg_segment_size: 48
    .language:       OpenCL C
    .language_version:
      - 2
      - 0
    .max_flat_workgroup_size: 128
    .name:           _ZN7rocprim17ROCPRIM_400000_NS6detail17trampoline_kernelINS0_14default_configENS1_22reduce_config_selectorIbEEZNS1_11reduce_implILb1ES3_N6hipcub16HIPCUB_304000_NS22TransformInputIteratorIbN2at6native12_GLOBAL__N_19NonZeroOpIN3c104HalfEEEPKSF_lEEPiiNS8_6detail34convert_binary_result_type_wrapperINS8_3SumESJ_iEEEE10hipError_tPvRmT1_T2_T3_mT4_P12ihipStream_tbEUlT_E1_NS1_11comp_targetILNS1_3genE2ELNS1_11target_archE906ELNS1_3gpuE6ELNS1_3repE0EEENS1_30default_config_static_selectorELNS0_4arch9wavefront6targetE0EEEvSS_
    .private_segment_fixed_size: 0
    .sgpr_count:     0
    .sgpr_spill_count: 0
    .symbol:         _ZN7rocprim17ROCPRIM_400000_NS6detail17trampoline_kernelINS0_14default_configENS1_22reduce_config_selectorIbEEZNS1_11reduce_implILb1ES3_N6hipcub16HIPCUB_304000_NS22TransformInputIteratorIbN2at6native12_GLOBAL__N_19NonZeroOpIN3c104HalfEEEPKSF_lEEPiiNS8_6detail34convert_binary_result_type_wrapperINS8_3SumESJ_iEEEE10hipError_tPvRmT1_T2_T3_mT4_P12ihipStream_tbEUlT_E1_NS1_11comp_targetILNS1_3genE2ELNS1_11target_archE906ELNS1_3gpuE6ELNS1_3repE0EEENS1_30default_config_static_selectorELNS0_4arch9wavefront6targetE0EEEvSS_.kd
    .uniform_work_group_size: 1
    .uses_dynamic_stack: false
    .vgpr_count:     0
    .vgpr_spill_count: 0
    .wavefront_size: 32
    .workgroup_processor_mode: 1
  - .args:
      - .offset:         0
        .size:           48
        .value_kind:     by_value
    .group_segment_fixed_size: 288
    .kernarg_segment_align: 8
    .kernarg_segment_size: 48
    .language:       OpenCL C
    .language_version:
      - 2
      - 0
    .max_flat_workgroup_size: 256
    .name:           _ZN7rocprim17ROCPRIM_400000_NS6detail17trampoline_kernelINS0_14default_configENS1_22reduce_config_selectorIbEEZNS1_11reduce_implILb1ES3_N6hipcub16HIPCUB_304000_NS22TransformInputIteratorIbN2at6native12_GLOBAL__N_19NonZeroOpIN3c104HalfEEEPKSF_lEEPiiNS8_6detail34convert_binary_result_type_wrapperINS8_3SumESJ_iEEEE10hipError_tPvRmT1_T2_T3_mT4_P12ihipStream_tbEUlT_E1_NS1_11comp_targetILNS1_3genE10ELNS1_11target_archE1201ELNS1_3gpuE5ELNS1_3repE0EEENS1_30default_config_static_selectorELNS0_4arch9wavefront6targetE0EEEvSS_
    .private_segment_fixed_size: 0
    .sgpr_count:     49
    .sgpr_spill_count: 0
    .symbol:         _ZN7rocprim17ROCPRIM_400000_NS6detail17trampoline_kernelINS0_14default_configENS1_22reduce_config_selectorIbEEZNS1_11reduce_implILb1ES3_N6hipcub16HIPCUB_304000_NS22TransformInputIteratorIbN2at6native12_GLOBAL__N_19NonZeroOpIN3c104HalfEEEPKSF_lEEPiiNS8_6detail34convert_binary_result_type_wrapperINS8_3SumESJ_iEEEE10hipError_tPvRmT1_T2_T3_mT4_P12ihipStream_tbEUlT_E1_NS1_11comp_targetILNS1_3genE10ELNS1_11target_archE1201ELNS1_3gpuE5ELNS1_3repE0EEENS1_30default_config_static_selectorELNS0_4arch9wavefront6targetE0EEEvSS_.kd
    .uniform_work_group_size: 1
    .uses_dynamic_stack: false
    .vgpr_count:     129
    .vgpr_spill_count: 0
    .wavefront_size: 32
    .workgroup_processor_mode: 1
  - .args:
      - .offset:         0
        .size:           48
        .value_kind:     by_value
    .group_segment_fixed_size: 0
    .kernarg_segment_align: 8
    .kernarg_segment_size: 48
    .language:       OpenCL C
    .language_version:
      - 2
      - 0
    .max_flat_workgroup_size: 256
    .name:           _ZN7rocprim17ROCPRIM_400000_NS6detail17trampoline_kernelINS0_14default_configENS1_22reduce_config_selectorIbEEZNS1_11reduce_implILb1ES3_N6hipcub16HIPCUB_304000_NS22TransformInputIteratorIbN2at6native12_GLOBAL__N_19NonZeroOpIN3c104HalfEEEPKSF_lEEPiiNS8_6detail34convert_binary_result_type_wrapperINS8_3SumESJ_iEEEE10hipError_tPvRmT1_T2_T3_mT4_P12ihipStream_tbEUlT_E1_NS1_11comp_targetILNS1_3genE10ELNS1_11target_archE1200ELNS1_3gpuE4ELNS1_3repE0EEENS1_30default_config_static_selectorELNS0_4arch9wavefront6targetE0EEEvSS_
    .private_segment_fixed_size: 0
    .sgpr_count:     0
    .sgpr_spill_count: 0
    .symbol:         _ZN7rocprim17ROCPRIM_400000_NS6detail17trampoline_kernelINS0_14default_configENS1_22reduce_config_selectorIbEEZNS1_11reduce_implILb1ES3_N6hipcub16HIPCUB_304000_NS22TransformInputIteratorIbN2at6native12_GLOBAL__N_19NonZeroOpIN3c104HalfEEEPKSF_lEEPiiNS8_6detail34convert_binary_result_type_wrapperINS8_3SumESJ_iEEEE10hipError_tPvRmT1_T2_T3_mT4_P12ihipStream_tbEUlT_E1_NS1_11comp_targetILNS1_3genE10ELNS1_11target_archE1200ELNS1_3gpuE4ELNS1_3repE0EEENS1_30default_config_static_selectorELNS0_4arch9wavefront6targetE0EEEvSS_.kd
    .uniform_work_group_size: 1
    .uses_dynamic_stack: false
    .vgpr_count:     0
    .vgpr_spill_count: 0
    .wavefront_size: 32
    .workgroup_processor_mode: 1
  - .args:
      - .offset:         0
        .size:           48
        .value_kind:     by_value
    .group_segment_fixed_size: 0
    .kernarg_segment_align: 8
    .kernarg_segment_size: 48
    .language:       OpenCL C
    .language_version:
      - 2
      - 0
    .max_flat_workgroup_size: 128
    .name:           _ZN7rocprim17ROCPRIM_400000_NS6detail17trampoline_kernelINS0_14default_configENS1_22reduce_config_selectorIbEEZNS1_11reduce_implILb1ES3_N6hipcub16HIPCUB_304000_NS22TransformInputIteratorIbN2at6native12_GLOBAL__N_19NonZeroOpIN3c104HalfEEEPKSF_lEEPiiNS8_6detail34convert_binary_result_type_wrapperINS8_3SumESJ_iEEEE10hipError_tPvRmT1_T2_T3_mT4_P12ihipStream_tbEUlT_E1_NS1_11comp_targetILNS1_3genE9ELNS1_11target_archE1100ELNS1_3gpuE3ELNS1_3repE0EEENS1_30default_config_static_selectorELNS0_4arch9wavefront6targetE0EEEvSS_
    .private_segment_fixed_size: 0
    .sgpr_count:     0
    .sgpr_spill_count: 0
    .symbol:         _ZN7rocprim17ROCPRIM_400000_NS6detail17trampoline_kernelINS0_14default_configENS1_22reduce_config_selectorIbEEZNS1_11reduce_implILb1ES3_N6hipcub16HIPCUB_304000_NS22TransformInputIteratorIbN2at6native12_GLOBAL__N_19NonZeroOpIN3c104HalfEEEPKSF_lEEPiiNS8_6detail34convert_binary_result_type_wrapperINS8_3SumESJ_iEEEE10hipError_tPvRmT1_T2_T3_mT4_P12ihipStream_tbEUlT_E1_NS1_11comp_targetILNS1_3genE9ELNS1_11target_archE1100ELNS1_3gpuE3ELNS1_3repE0EEENS1_30default_config_static_selectorELNS0_4arch9wavefront6targetE0EEEvSS_.kd
    .uniform_work_group_size: 1
    .uses_dynamic_stack: false
    .vgpr_count:     0
    .vgpr_spill_count: 0
    .wavefront_size: 32
    .workgroup_processor_mode: 1
  - .args:
      - .offset:         0
        .size:           48
        .value_kind:     by_value
    .group_segment_fixed_size: 0
    .kernarg_segment_align: 8
    .kernarg_segment_size: 48
    .language:       OpenCL C
    .language_version:
      - 2
      - 0
    .max_flat_workgroup_size: 256
    .name:           _ZN7rocprim17ROCPRIM_400000_NS6detail17trampoline_kernelINS0_14default_configENS1_22reduce_config_selectorIbEEZNS1_11reduce_implILb1ES3_N6hipcub16HIPCUB_304000_NS22TransformInputIteratorIbN2at6native12_GLOBAL__N_19NonZeroOpIN3c104HalfEEEPKSF_lEEPiiNS8_6detail34convert_binary_result_type_wrapperINS8_3SumESJ_iEEEE10hipError_tPvRmT1_T2_T3_mT4_P12ihipStream_tbEUlT_E1_NS1_11comp_targetILNS1_3genE8ELNS1_11target_archE1030ELNS1_3gpuE2ELNS1_3repE0EEENS1_30default_config_static_selectorELNS0_4arch9wavefront6targetE0EEEvSS_
    .private_segment_fixed_size: 0
    .sgpr_count:     0
    .sgpr_spill_count: 0
    .symbol:         _ZN7rocprim17ROCPRIM_400000_NS6detail17trampoline_kernelINS0_14default_configENS1_22reduce_config_selectorIbEEZNS1_11reduce_implILb1ES3_N6hipcub16HIPCUB_304000_NS22TransformInputIteratorIbN2at6native12_GLOBAL__N_19NonZeroOpIN3c104HalfEEEPKSF_lEEPiiNS8_6detail34convert_binary_result_type_wrapperINS8_3SumESJ_iEEEE10hipError_tPvRmT1_T2_T3_mT4_P12ihipStream_tbEUlT_E1_NS1_11comp_targetILNS1_3genE8ELNS1_11target_archE1030ELNS1_3gpuE2ELNS1_3repE0EEENS1_30default_config_static_selectorELNS0_4arch9wavefront6targetE0EEEvSS_.kd
    .uniform_work_group_size: 1
    .uses_dynamic_stack: false
    .vgpr_count:     0
    .vgpr_spill_count: 0
    .wavefront_size: 32
    .workgroup_processor_mode: 1
  - .args:
      - .offset:         0
        .size:           120
        .value_kind:     by_value
    .group_segment_fixed_size: 0
    .kernarg_segment_align: 8
    .kernarg_segment_size: 120
    .language:       OpenCL C
    .language_version:
      - 2
      - 0
    .max_flat_workgroup_size: 128
    .name:           _ZN7rocprim17ROCPRIM_400000_NS6detail17trampoline_kernelINS0_14default_configENS1_25partition_config_selectorILNS1_17partition_subalgoE5ElNS0_10empty_typeEbEEZZNS1_14partition_implILS5_5ELb0ES3_mN6hipcub16HIPCUB_304000_NS21CountingInputIteratorIllEEPS6_NSA_22TransformInputIteratorIbN2at6native12_GLOBAL__N_19NonZeroOpIN3c104HalfEEEPKSK_lEENS0_5tupleIJPlS6_EEENSP_IJSD_SD_EEES6_PiJS6_EEE10hipError_tPvRmT3_T4_T5_T6_T7_T9_mT8_P12ihipStream_tbDpT10_ENKUlT_T0_E_clISt17integral_constantIbLb0EES1D_EEDaS18_S19_EUlS18_E_NS1_11comp_targetILNS1_3genE0ELNS1_11target_archE4294967295ELNS1_3gpuE0ELNS1_3repE0EEENS1_30default_config_static_selectorELNS0_4arch9wavefront6targetE0EEEvT1_
    .private_segment_fixed_size: 0
    .sgpr_count:     0
    .sgpr_spill_count: 0
    .symbol:         _ZN7rocprim17ROCPRIM_400000_NS6detail17trampoline_kernelINS0_14default_configENS1_25partition_config_selectorILNS1_17partition_subalgoE5ElNS0_10empty_typeEbEEZZNS1_14partition_implILS5_5ELb0ES3_mN6hipcub16HIPCUB_304000_NS21CountingInputIteratorIllEEPS6_NSA_22TransformInputIteratorIbN2at6native12_GLOBAL__N_19NonZeroOpIN3c104HalfEEEPKSK_lEENS0_5tupleIJPlS6_EEENSP_IJSD_SD_EEES6_PiJS6_EEE10hipError_tPvRmT3_T4_T5_T6_T7_T9_mT8_P12ihipStream_tbDpT10_ENKUlT_T0_E_clISt17integral_constantIbLb0EES1D_EEDaS18_S19_EUlS18_E_NS1_11comp_targetILNS1_3genE0ELNS1_11target_archE4294967295ELNS1_3gpuE0ELNS1_3repE0EEENS1_30default_config_static_selectorELNS0_4arch9wavefront6targetE0EEEvT1_.kd
    .uniform_work_group_size: 1
    .uses_dynamic_stack: false
    .vgpr_count:     0
    .vgpr_spill_count: 0
    .wavefront_size: 32
    .workgroup_processor_mode: 1
  - .args:
      - .offset:         0
        .size:           120
        .value_kind:     by_value
    .group_segment_fixed_size: 0
    .kernarg_segment_align: 8
    .kernarg_segment_size: 120
    .language:       OpenCL C
    .language_version:
      - 2
      - 0
    .max_flat_workgroup_size: 512
    .name:           _ZN7rocprim17ROCPRIM_400000_NS6detail17trampoline_kernelINS0_14default_configENS1_25partition_config_selectorILNS1_17partition_subalgoE5ElNS0_10empty_typeEbEEZZNS1_14partition_implILS5_5ELb0ES3_mN6hipcub16HIPCUB_304000_NS21CountingInputIteratorIllEEPS6_NSA_22TransformInputIteratorIbN2at6native12_GLOBAL__N_19NonZeroOpIN3c104HalfEEEPKSK_lEENS0_5tupleIJPlS6_EEENSP_IJSD_SD_EEES6_PiJS6_EEE10hipError_tPvRmT3_T4_T5_T6_T7_T9_mT8_P12ihipStream_tbDpT10_ENKUlT_T0_E_clISt17integral_constantIbLb0EES1D_EEDaS18_S19_EUlS18_E_NS1_11comp_targetILNS1_3genE5ELNS1_11target_archE942ELNS1_3gpuE9ELNS1_3repE0EEENS1_30default_config_static_selectorELNS0_4arch9wavefront6targetE0EEEvT1_
    .private_segment_fixed_size: 0
    .sgpr_count:     0
    .sgpr_spill_count: 0
    .symbol:         _ZN7rocprim17ROCPRIM_400000_NS6detail17trampoline_kernelINS0_14default_configENS1_25partition_config_selectorILNS1_17partition_subalgoE5ElNS0_10empty_typeEbEEZZNS1_14partition_implILS5_5ELb0ES3_mN6hipcub16HIPCUB_304000_NS21CountingInputIteratorIllEEPS6_NSA_22TransformInputIteratorIbN2at6native12_GLOBAL__N_19NonZeroOpIN3c104HalfEEEPKSK_lEENS0_5tupleIJPlS6_EEENSP_IJSD_SD_EEES6_PiJS6_EEE10hipError_tPvRmT3_T4_T5_T6_T7_T9_mT8_P12ihipStream_tbDpT10_ENKUlT_T0_E_clISt17integral_constantIbLb0EES1D_EEDaS18_S19_EUlS18_E_NS1_11comp_targetILNS1_3genE5ELNS1_11target_archE942ELNS1_3gpuE9ELNS1_3repE0EEENS1_30default_config_static_selectorELNS0_4arch9wavefront6targetE0EEEvT1_.kd
    .uniform_work_group_size: 1
    .uses_dynamic_stack: false
    .vgpr_count:     0
    .vgpr_spill_count: 0
    .wavefront_size: 32
    .workgroup_processor_mode: 1
  - .args:
      - .offset:         0
        .size:           120
        .value_kind:     by_value
    .group_segment_fixed_size: 0
    .kernarg_segment_align: 8
    .kernarg_segment_size: 120
    .language:       OpenCL C
    .language_version:
      - 2
      - 0
    .max_flat_workgroup_size: 192
    .name:           _ZN7rocprim17ROCPRIM_400000_NS6detail17trampoline_kernelINS0_14default_configENS1_25partition_config_selectorILNS1_17partition_subalgoE5ElNS0_10empty_typeEbEEZZNS1_14partition_implILS5_5ELb0ES3_mN6hipcub16HIPCUB_304000_NS21CountingInputIteratorIllEEPS6_NSA_22TransformInputIteratorIbN2at6native12_GLOBAL__N_19NonZeroOpIN3c104HalfEEEPKSK_lEENS0_5tupleIJPlS6_EEENSP_IJSD_SD_EEES6_PiJS6_EEE10hipError_tPvRmT3_T4_T5_T6_T7_T9_mT8_P12ihipStream_tbDpT10_ENKUlT_T0_E_clISt17integral_constantIbLb0EES1D_EEDaS18_S19_EUlS18_E_NS1_11comp_targetILNS1_3genE4ELNS1_11target_archE910ELNS1_3gpuE8ELNS1_3repE0EEENS1_30default_config_static_selectorELNS0_4arch9wavefront6targetE0EEEvT1_
    .private_segment_fixed_size: 0
    .sgpr_count:     0
    .sgpr_spill_count: 0
    .symbol:         _ZN7rocprim17ROCPRIM_400000_NS6detail17trampoline_kernelINS0_14default_configENS1_25partition_config_selectorILNS1_17partition_subalgoE5ElNS0_10empty_typeEbEEZZNS1_14partition_implILS5_5ELb0ES3_mN6hipcub16HIPCUB_304000_NS21CountingInputIteratorIllEEPS6_NSA_22TransformInputIteratorIbN2at6native12_GLOBAL__N_19NonZeroOpIN3c104HalfEEEPKSK_lEENS0_5tupleIJPlS6_EEENSP_IJSD_SD_EEES6_PiJS6_EEE10hipError_tPvRmT3_T4_T5_T6_T7_T9_mT8_P12ihipStream_tbDpT10_ENKUlT_T0_E_clISt17integral_constantIbLb0EES1D_EEDaS18_S19_EUlS18_E_NS1_11comp_targetILNS1_3genE4ELNS1_11target_archE910ELNS1_3gpuE8ELNS1_3repE0EEENS1_30default_config_static_selectorELNS0_4arch9wavefront6targetE0EEEvT1_.kd
    .uniform_work_group_size: 1
    .uses_dynamic_stack: false
    .vgpr_count:     0
    .vgpr_spill_count: 0
    .wavefront_size: 32
    .workgroup_processor_mode: 1
  - .args:
      - .offset:         0
        .size:           120
        .value_kind:     by_value
    .group_segment_fixed_size: 0
    .kernarg_segment_align: 8
    .kernarg_segment_size: 120
    .language:       OpenCL C
    .language_version:
      - 2
      - 0
    .max_flat_workgroup_size: 128
    .name:           _ZN7rocprim17ROCPRIM_400000_NS6detail17trampoline_kernelINS0_14default_configENS1_25partition_config_selectorILNS1_17partition_subalgoE5ElNS0_10empty_typeEbEEZZNS1_14partition_implILS5_5ELb0ES3_mN6hipcub16HIPCUB_304000_NS21CountingInputIteratorIllEEPS6_NSA_22TransformInputIteratorIbN2at6native12_GLOBAL__N_19NonZeroOpIN3c104HalfEEEPKSK_lEENS0_5tupleIJPlS6_EEENSP_IJSD_SD_EEES6_PiJS6_EEE10hipError_tPvRmT3_T4_T5_T6_T7_T9_mT8_P12ihipStream_tbDpT10_ENKUlT_T0_E_clISt17integral_constantIbLb0EES1D_EEDaS18_S19_EUlS18_E_NS1_11comp_targetILNS1_3genE3ELNS1_11target_archE908ELNS1_3gpuE7ELNS1_3repE0EEENS1_30default_config_static_selectorELNS0_4arch9wavefront6targetE0EEEvT1_
    .private_segment_fixed_size: 0
    .sgpr_count:     0
    .sgpr_spill_count: 0
    .symbol:         _ZN7rocprim17ROCPRIM_400000_NS6detail17trampoline_kernelINS0_14default_configENS1_25partition_config_selectorILNS1_17partition_subalgoE5ElNS0_10empty_typeEbEEZZNS1_14partition_implILS5_5ELb0ES3_mN6hipcub16HIPCUB_304000_NS21CountingInputIteratorIllEEPS6_NSA_22TransformInputIteratorIbN2at6native12_GLOBAL__N_19NonZeroOpIN3c104HalfEEEPKSK_lEENS0_5tupleIJPlS6_EEENSP_IJSD_SD_EEES6_PiJS6_EEE10hipError_tPvRmT3_T4_T5_T6_T7_T9_mT8_P12ihipStream_tbDpT10_ENKUlT_T0_E_clISt17integral_constantIbLb0EES1D_EEDaS18_S19_EUlS18_E_NS1_11comp_targetILNS1_3genE3ELNS1_11target_archE908ELNS1_3gpuE7ELNS1_3repE0EEENS1_30default_config_static_selectorELNS0_4arch9wavefront6targetE0EEEvT1_.kd
    .uniform_work_group_size: 1
    .uses_dynamic_stack: false
    .vgpr_count:     0
    .vgpr_spill_count: 0
    .wavefront_size: 32
    .workgroup_processor_mode: 1
  - .args:
      - .offset:         0
        .size:           120
        .value_kind:     by_value
    .group_segment_fixed_size: 0
    .kernarg_segment_align: 8
    .kernarg_segment_size: 120
    .language:       OpenCL C
    .language_version:
      - 2
      - 0
    .max_flat_workgroup_size: 256
    .name:           _ZN7rocprim17ROCPRIM_400000_NS6detail17trampoline_kernelINS0_14default_configENS1_25partition_config_selectorILNS1_17partition_subalgoE5ElNS0_10empty_typeEbEEZZNS1_14partition_implILS5_5ELb0ES3_mN6hipcub16HIPCUB_304000_NS21CountingInputIteratorIllEEPS6_NSA_22TransformInputIteratorIbN2at6native12_GLOBAL__N_19NonZeroOpIN3c104HalfEEEPKSK_lEENS0_5tupleIJPlS6_EEENSP_IJSD_SD_EEES6_PiJS6_EEE10hipError_tPvRmT3_T4_T5_T6_T7_T9_mT8_P12ihipStream_tbDpT10_ENKUlT_T0_E_clISt17integral_constantIbLb0EES1D_EEDaS18_S19_EUlS18_E_NS1_11comp_targetILNS1_3genE2ELNS1_11target_archE906ELNS1_3gpuE6ELNS1_3repE0EEENS1_30default_config_static_selectorELNS0_4arch9wavefront6targetE0EEEvT1_
    .private_segment_fixed_size: 0
    .sgpr_count:     0
    .sgpr_spill_count: 0
    .symbol:         _ZN7rocprim17ROCPRIM_400000_NS6detail17trampoline_kernelINS0_14default_configENS1_25partition_config_selectorILNS1_17partition_subalgoE5ElNS0_10empty_typeEbEEZZNS1_14partition_implILS5_5ELb0ES3_mN6hipcub16HIPCUB_304000_NS21CountingInputIteratorIllEEPS6_NSA_22TransformInputIteratorIbN2at6native12_GLOBAL__N_19NonZeroOpIN3c104HalfEEEPKSK_lEENS0_5tupleIJPlS6_EEENSP_IJSD_SD_EEES6_PiJS6_EEE10hipError_tPvRmT3_T4_T5_T6_T7_T9_mT8_P12ihipStream_tbDpT10_ENKUlT_T0_E_clISt17integral_constantIbLb0EES1D_EEDaS18_S19_EUlS18_E_NS1_11comp_targetILNS1_3genE2ELNS1_11target_archE906ELNS1_3gpuE6ELNS1_3repE0EEENS1_30default_config_static_selectorELNS0_4arch9wavefront6targetE0EEEvT1_.kd
    .uniform_work_group_size: 1
    .uses_dynamic_stack: false
    .vgpr_count:     0
    .vgpr_spill_count: 0
    .wavefront_size: 32
    .workgroup_processor_mode: 1
  - .args:
      - .offset:         0
        .size:           120
        .value_kind:     by_value
    .group_segment_fixed_size: 8464
    .kernarg_segment_align: 8
    .kernarg_segment_size: 120
    .language:       OpenCL C
    .language_version:
      - 2
      - 0
    .max_flat_workgroup_size: 256
    .name:           _ZN7rocprim17ROCPRIM_400000_NS6detail17trampoline_kernelINS0_14default_configENS1_25partition_config_selectorILNS1_17partition_subalgoE5ElNS0_10empty_typeEbEEZZNS1_14partition_implILS5_5ELb0ES3_mN6hipcub16HIPCUB_304000_NS21CountingInputIteratorIllEEPS6_NSA_22TransformInputIteratorIbN2at6native12_GLOBAL__N_19NonZeroOpIN3c104HalfEEEPKSK_lEENS0_5tupleIJPlS6_EEENSP_IJSD_SD_EEES6_PiJS6_EEE10hipError_tPvRmT3_T4_T5_T6_T7_T9_mT8_P12ihipStream_tbDpT10_ENKUlT_T0_E_clISt17integral_constantIbLb0EES1D_EEDaS18_S19_EUlS18_E_NS1_11comp_targetILNS1_3genE10ELNS1_11target_archE1200ELNS1_3gpuE4ELNS1_3repE0EEENS1_30default_config_static_selectorELNS0_4arch9wavefront6targetE0EEEvT1_
    .private_segment_fixed_size: 0
    .sgpr_count:     22
    .sgpr_spill_count: 0
    .symbol:         _ZN7rocprim17ROCPRIM_400000_NS6detail17trampoline_kernelINS0_14default_configENS1_25partition_config_selectorILNS1_17partition_subalgoE5ElNS0_10empty_typeEbEEZZNS1_14partition_implILS5_5ELb0ES3_mN6hipcub16HIPCUB_304000_NS21CountingInputIteratorIllEEPS6_NSA_22TransformInputIteratorIbN2at6native12_GLOBAL__N_19NonZeroOpIN3c104HalfEEEPKSK_lEENS0_5tupleIJPlS6_EEENSP_IJSD_SD_EEES6_PiJS6_EEE10hipError_tPvRmT3_T4_T5_T6_T7_T9_mT8_P12ihipStream_tbDpT10_ENKUlT_T0_E_clISt17integral_constantIbLb0EES1D_EEDaS18_S19_EUlS18_E_NS1_11comp_targetILNS1_3genE10ELNS1_11target_archE1200ELNS1_3gpuE4ELNS1_3repE0EEENS1_30default_config_static_selectorELNS0_4arch9wavefront6targetE0EEEvT1_.kd
    .uniform_work_group_size: 1
    .uses_dynamic_stack: false
    .vgpr_count:     46
    .vgpr_spill_count: 0
    .wavefront_size: 32
    .workgroup_processor_mode: 1
  - .args:
      - .offset:         0
        .size:           120
        .value_kind:     by_value
    .group_segment_fixed_size: 0
    .kernarg_segment_align: 8
    .kernarg_segment_size: 120
    .language:       OpenCL C
    .language_version:
      - 2
      - 0
    .max_flat_workgroup_size: 128
    .name:           _ZN7rocprim17ROCPRIM_400000_NS6detail17trampoline_kernelINS0_14default_configENS1_25partition_config_selectorILNS1_17partition_subalgoE5ElNS0_10empty_typeEbEEZZNS1_14partition_implILS5_5ELb0ES3_mN6hipcub16HIPCUB_304000_NS21CountingInputIteratorIllEEPS6_NSA_22TransformInputIteratorIbN2at6native12_GLOBAL__N_19NonZeroOpIN3c104HalfEEEPKSK_lEENS0_5tupleIJPlS6_EEENSP_IJSD_SD_EEES6_PiJS6_EEE10hipError_tPvRmT3_T4_T5_T6_T7_T9_mT8_P12ihipStream_tbDpT10_ENKUlT_T0_E_clISt17integral_constantIbLb0EES1D_EEDaS18_S19_EUlS18_E_NS1_11comp_targetILNS1_3genE9ELNS1_11target_archE1100ELNS1_3gpuE3ELNS1_3repE0EEENS1_30default_config_static_selectorELNS0_4arch9wavefront6targetE0EEEvT1_
    .private_segment_fixed_size: 0
    .sgpr_count:     0
    .sgpr_spill_count: 0
    .symbol:         _ZN7rocprim17ROCPRIM_400000_NS6detail17trampoline_kernelINS0_14default_configENS1_25partition_config_selectorILNS1_17partition_subalgoE5ElNS0_10empty_typeEbEEZZNS1_14partition_implILS5_5ELb0ES3_mN6hipcub16HIPCUB_304000_NS21CountingInputIteratorIllEEPS6_NSA_22TransformInputIteratorIbN2at6native12_GLOBAL__N_19NonZeroOpIN3c104HalfEEEPKSK_lEENS0_5tupleIJPlS6_EEENSP_IJSD_SD_EEES6_PiJS6_EEE10hipError_tPvRmT3_T4_T5_T6_T7_T9_mT8_P12ihipStream_tbDpT10_ENKUlT_T0_E_clISt17integral_constantIbLb0EES1D_EEDaS18_S19_EUlS18_E_NS1_11comp_targetILNS1_3genE9ELNS1_11target_archE1100ELNS1_3gpuE3ELNS1_3repE0EEENS1_30default_config_static_selectorELNS0_4arch9wavefront6targetE0EEEvT1_.kd
    .uniform_work_group_size: 1
    .uses_dynamic_stack: false
    .vgpr_count:     0
    .vgpr_spill_count: 0
    .wavefront_size: 32
    .workgroup_processor_mode: 1
  - .args:
      - .offset:         0
        .size:           120
        .value_kind:     by_value
    .group_segment_fixed_size: 0
    .kernarg_segment_align: 8
    .kernarg_segment_size: 120
    .language:       OpenCL C
    .language_version:
      - 2
      - 0
    .max_flat_workgroup_size: 512
    .name:           _ZN7rocprim17ROCPRIM_400000_NS6detail17trampoline_kernelINS0_14default_configENS1_25partition_config_selectorILNS1_17partition_subalgoE5ElNS0_10empty_typeEbEEZZNS1_14partition_implILS5_5ELb0ES3_mN6hipcub16HIPCUB_304000_NS21CountingInputIteratorIllEEPS6_NSA_22TransformInputIteratorIbN2at6native12_GLOBAL__N_19NonZeroOpIN3c104HalfEEEPKSK_lEENS0_5tupleIJPlS6_EEENSP_IJSD_SD_EEES6_PiJS6_EEE10hipError_tPvRmT3_T4_T5_T6_T7_T9_mT8_P12ihipStream_tbDpT10_ENKUlT_T0_E_clISt17integral_constantIbLb0EES1D_EEDaS18_S19_EUlS18_E_NS1_11comp_targetILNS1_3genE8ELNS1_11target_archE1030ELNS1_3gpuE2ELNS1_3repE0EEENS1_30default_config_static_selectorELNS0_4arch9wavefront6targetE0EEEvT1_
    .private_segment_fixed_size: 0
    .sgpr_count:     0
    .sgpr_spill_count: 0
    .symbol:         _ZN7rocprim17ROCPRIM_400000_NS6detail17trampoline_kernelINS0_14default_configENS1_25partition_config_selectorILNS1_17partition_subalgoE5ElNS0_10empty_typeEbEEZZNS1_14partition_implILS5_5ELb0ES3_mN6hipcub16HIPCUB_304000_NS21CountingInputIteratorIllEEPS6_NSA_22TransformInputIteratorIbN2at6native12_GLOBAL__N_19NonZeroOpIN3c104HalfEEEPKSK_lEENS0_5tupleIJPlS6_EEENSP_IJSD_SD_EEES6_PiJS6_EEE10hipError_tPvRmT3_T4_T5_T6_T7_T9_mT8_P12ihipStream_tbDpT10_ENKUlT_T0_E_clISt17integral_constantIbLb0EES1D_EEDaS18_S19_EUlS18_E_NS1_11comp_targetILNS1_3genE8ELNS1_11target_archE1030ELNS1_3gpuE2ELNS1_3repE0EEENS1_30default_config_static_selectorELNS0_4arch9wavefront6targetE0EEEvT1_.kd
    .uniform_work_group_size: 1
    .uses_dynamic_stack: false
    .vgpr_count:     0
    .vgpr_spill_count: 0
    .wavefront_size: 32
    .workgroup_processor_mode: 1
  - .args:
      - .offset:         0
        .size:           136
        .value_kind:     by_value
    .group_segment_fixed_size: 0
    .kernarg_segment_align: 8
    .kernarg_segment_size: 136
    .language:       OpenCL C
    .language_version:
      - 2
      - 0
    .max_flat_workgroup_size: 128
    .name:           _ZN7rocprim17ROCPRIM_400000_NS6detail17trampoline_kernelINS0_14default_configENS1_25partition_config_selectorILNS1_17partition_subalgoE5ElNS0_10empty_typeEbEEZZNS1_14partition_implILS5_5ELb0ES3_mN6hipcub16HIPCUB_304000_NS21CountingInputIteratorIllEEPS6_NSA_22TransformInputIteratorIbN2at6native12_GLOBAL__N_19NonZeroOpIN3c104HalfEEEPKSK_lEENS0_5tupleIJPlS6_EEENSP_IJSD_SD_EEES6_PiJS6_EEE10hipError_tPvRmT3_T4_T5_T6_T7_T9_mT8_P12ihipStream_tbDpT10_ENKUlT_T0_E_clISt17integral_constantIbLb1EES1D_EEDaS18_S19_EUlS18_E_NS1_11comp_targetILNS1_3genE0ELNS1_11target_archE4294967295ELNS1_3gpuE0ELNS1_3repE0EEENS1_30default_config_static_selectorELNS0_4arch9wavefront6targetE0EEEvT1_
    .private_segment_fixed_size: 0
    .sgpr_count:     0
    .sgpr_spill_count: 0
    .symbol:         _ZN7rocprim17ROCPRIM_400000_NS6detail17trampoline_kernelINS0_14default_configENS1_25partition_config_selectorILNS1_17partition_subalgoE5ElNS0_10empty_typeEbEEZZNS1_14partition_implILS5_5ELb0ES3_mN6hipcub16HIPCUB_304000_NS21CountingInputIteratorIllEEPS6_NSA_22TransformInputIteratorIbN2at6native12_GLOBAL__N_19NonZeroOpIN3c104HalfEEEPKSK_lEENS0_5tupleIJPlS6_EEENSP_IJSD_SD_EEES6_PiJS6_EEE10hipError_tPvRmT3_T4_T5_T6_T7_T9_mT8_P12ihipStream_tbDpT10_ENKUlT_T0_E_clISt17integral_constantIbLb1EES1D_EEDaS18_S19_EUlS18_E_NS1_11comp_targetILNS1_3genE0ELNS1_11target_archE4294967295ELNS1_3gpuE0ELNS1_3repE0EEENS1_30default_config_static_selectorELNS0_4arch9wavefront6targetE0EEEvT1_.kd
    .uniform_work_group_size: 1
    .uses_dynamic_stack: false
    .vgpr_count:     0
    .vgpr_spill_count: 0
    .wavefront_size: 32
    .workgroup_processor_mode: 1
  - .args:
      - .offset:         0
        .size:           136
        .value_kind:     by_value
    .group_segment_fixed_size: 0
    .kernarg_segment_align: 8
    .kernarg_segment_size: 136
    .language:       OpenCL C
    .language_version:
      - 2
      - 0
    .max_flat_workgroup_size: 512
    .name:           _ZN7rocprim17ROCPRIM_400000_NS6detail17trampoline_kernelINS0_14default_configENS1_25partition_config_selectorILNS1_17partition_subalgoE5ElNS0_10empty_typeEbEEZZNS1_14partition_implILS5_5ELb0ES3_mN6hipcub16HIPCUB_304000_NS21CountingInputIteratorIllEEPS6_NSA_22TransformInputIteratorIbN2at6native12_GLOBAL__N_19NonZeroOpIN3c104HalfEEEPKSK_lEENS0_5tupleIJPlS6_EEENSP_IJSD_SD_EEES6_PiJS6_EEE10hipError_tPvRmT3_T4_T5_T6_T7_T9_mT8_P12ihipStream_tbDpT10_ENKUlT_T0_E_clISt17integral_constantIbLb1EES1D_EEDaS18_S19_EUlS18_E_NS1_11comp_targetILNS1_3genE5ELNS1_11target_archE942ELNS1_3gpuE9ELNS1_3repE0EEENS1_30default_config_static_selectorELNS0_4arch9wavefront6targetE0EEEvT1_
    .private_segment_fixed_size: 0
    .sgpr_count:     0
    .sgpr_spill_count: 0
    .symbol:         _ZN7rocprim17ROCPRIM_400000_NS6detail17trampoline_kernelINS0_14default_configENS1_25partition_config_selectorILNS1_17partition_subalgoE5ElNS0_10empty_typeEbEEZZNS1_14partition_implILS5_5ELb0ES3_mN6hipcub16HIPCUB_304000_NS21CountingInputIteratorIllEEPS6_NSA_22TransformInputIteratorIbN2at6native12_GLOBAL__N_19NonZeroOpIN3c104HalfEEEPKSK_lEENS0_5tupleIJPlS6_EEENSP_IJSD_SD_EEES6_PiJS6_EEE10hipError_tPvRmT3_T4_T5_T6_T7_T9_mT8_P12ihipStream_tbDpT10_ENKUlT_T0_E_clISt17integral_constantIbLb1EES1D_EEDaS18_S19_EUlS18_E_NS1_11comp_targetILNS1_3genE5ELNS1_11target_archE942ELNS1_3gpuE9ELNS1_3repE0EEENS1_30default_config_static_selectorELNS0_4arch9wavefront6targetE0EEEvT1_.kd
    .uniform_work_group_size: 1
    .uses_dynamic_stack: false
    .vgpr_count:     0
    .vgpr_spill_count: 0
    .wavefront_size: 32
    .workgroup_processor_mode: 1
  - .args:
      - .offset:         0
        .size:           136
        .value_kind:     by_value
    .group_segment_fixed_size: 0
    .kernarg_segment_align: 8
    .kernarg_segment_size: 136
    .language:       OpenCL C
    .language_version:
      - 2
      - 0
    .max_flat_workgroup_size: 192
    .name:           _ZN7rocprim17ROCPRIM_400000_NS6detail17trampoline_kernelINS0_14default_configENS1_25partition_config_selectorILNS1_17partition_subalgoE5ElNS0_10empty_typeEbEEZZNS1_14partition_implILS5_5ELb0ES3_mN6hipcub16HIPCUB_304000_NS21CountingInputIteratorIllEEPS6_NSA_22TransformInputIteratorIbN2at6native12_GLOBAL__N_19NonZeroOpIN3c104HalfEEEPKSK_lEENS0_5tupleIJPlS6_EEENSP_IJSD_SD_EEES6_PiJS6_EEE10hipError_tPvRmT3_T4_T5_T6_T7_T9_mT8_P12ihipStream_tbDpT10_ENKUlT_T0_E_clISt17integral_constantIbLb1EES1D_EEDaS18_S19_EUlS18_E_NS1_11comp_targetILNS1_3genE4ELNS1_11target_archE910ELNS1_3gpuE8ELNS1_3repE0EEENS1_30default_config_static_selectorELNS0_4arch9wavefront6targetE0EEEvT1_
    .private_segment_fixed_size: 0
    .sgpr_count:     0
    .sgpr_spill_count: 0
    .symbol:         _ZN7rocprim17ROCPRIM_400000_NS6detail17trampoline_kernelINS0_14default_configENS1_25partition_config_selectorILNS1_17partition_subalgoE5ElNS0_10empty_typeEbEEZZNS1_14partition_implILS5_5ELb0ES3_mN6hipcub16HIPCUB_304000_NS21CountingInputIteratorIllEEPS6_NSA_22TransformInputIteratorIbN2at6native12_GLOBAL__N_19NonZeroOpIN3c104HalfEEEPKSK_lEENS0_5tupleIJPlS6_EEENSP_IJSD_SD_EEES6_PiJS6_EEE10hipError_tPvRmT3_T4_T5_T6_T7_T9_mT8_P12ihipStream_tbDpT10_ENKUlT_T0_E_clISt17integral_constantIbLb1EES1D_EEDaS18_S19_EUlS18_E_NS1_11comp_targetILNS1_3genE4ELNS1_11target_archE910ELNS1_3gpuE8ELNS1_3repE0EEENS1_30default_config_static_selectorELNS0_4arch9wavefront6targetE0EEEvT1_.kd
    .uniform_work_group_size: 1
    .uses_dynamic_stack: false
    .vgpr_count:     0
    .vgpr_spill_count: 0
    .wavefront_size: 32
    .workgroup_processor_mode: 1
  - .args:
      - .offset:         0
        .size:           136
        .value_kind:     by_value
    .group_segment_fixed_size: 0
    .kernarg_segment_align: 8
    .kernarg_segment_size: 136
    .language:       OpenCL C
    .language_version:
      - 2
      - 0
    .max_flat_workgroup_size: 128
    .name:           _ZN7rocprim17ROCPRIM_400000_NS6detail17trampoline_kernelINS0_14default_configENS1_25partition_config_selectorILNS1_17partition_subalgoE5ElNS0_10empty_typeEbEEZZNS1_14partition_implILS5_5ELb0ES3_mN6hipcub16HIPCUB_304000_NS21CountingInputIteratorIllEEPS6_NSA_22TransformInputIteratorIbN2at6native12_GLOBAL__N_19NonZeroOpIN3c104HalfEEEPKSK_lEENS0_5tupleIJPlS6_EEENSP_IJSD_SD_EEES6_PiJS6_EEE10hipError_tPvRmT3_T4_T5_T6_T7_T9_mT8_P12ihipStream_tbDpT10_ENKUlT_T0_E_clISt17integral_constantIbLb1EES1D_EEDaS18_S19_EUlS18_E_NS1_11comp_targetILNS1_3genE3ELNS1_11target_archE908ELNS1_3gpuE7ELNS1_3repE0EEENS1_30default_config_static_selectorELNS0_4arch9wavefront6targetE0EEEvT1_
    .private_segment_fixed_size: 0
    .sgpr_count:     0
    .sgpr_spill_count: 0
    .symbol:         _ZN7rocprim17ROCPRIM_400000_NS6detail17trampoline_kernelINS0_14default_configENS1_25partition_config_selectorILNS1_17partition_subalgoE5ElNS0_10empty_typeEbEEZZNS1_14partition_implILS5_5ELb0ES3_mN6hipcub16HIPCUB_304000_NS21CountingInputIteratorIllEEPS6_NSA_22TransformInputIteratorIbN2at6native12_GLOBAL__N_19NonZeroOpIN3c104HalfEEEPKSK_lEENS0_5tupleIJPlS6_EEENSP_IJSD_SD_EEES6_PiJS6_EEE10hipError_tPvRmT3_T4_T5_T6_T7_T9_mT8_P12ihipStream_tbDpT10_ENKUlT_T0_E_clISt17integral_constantIbLb1EES1D_EEDaS18_S19_EUlS18_E_NS1_11comp_targetILNS1_3genE3ELNS1_11target_archE908ELNS1_3gpuE7ELNS1_3repE0EEENS1_30default_config_static_selectorELNS0_4arch9wavefront6targetE0EEEvT1_.kd
    .uniform_work_group_size: 1
    .uses_dynamic_stack: false
    .vgpr_count:     0
    .vgpr_spill_count: 0
    .wavefront_size: 32
    .workgroup_processor_mode: 1
  - .args:
      - .offset:         0
        .size:           136
        .value_kind:     by_value
    .group_segment_fixed_size: 0
    .kernarg_segment_align: 8
    .kernarg_segment_size: 136
    .language:       OpenCL C
    .language_version:
      - 2
      - 0
    .max_flat_workgroup_size: 256
    .name:           _ZN7rocprim17ROCPRIM_400000_NS6detail17trampoline_kernelINS0_14default_configENS1_25partition_config_selectorILNS1_17partition_subalgoE5ElNS0_10empty_typeEbEEZZNS1_14partition_implILS5_5ELb0ES3_mN6hipcub16HIPCUB_304000_NS21CountingInputIteratorIllEEPS6_NSA_22TransformInputIteratorIbN2at6native12_GLOBAL__N_19NonZeroOpIN3c104HalfEEEPKSK_lEENS0_5tupleIJPlS6_EEENSP_IJSD_SD_EEES6_PiJS6_EEE10hipError_tPvRmT3_T4_T5_T6_T7_T9_mT8_P12ihipStream_tbDpT10_ENKUlT_T0_E_clISt17integral_constantIbLb1EES1D_EEDaS18_S19_EUlS18_E_NS1_11comp_targetILNS1_3genE2ELNS1_11target_archE906ELNS1_3gpuE6ELNS1_3repE0EEENS1_30default_config_static_selectorELNS0_4arch9wavefront6targetE0EEEvT1_
    .private_segment_fixed_size: 0
    .sgpr_count:     0
    .sgpr_spill_count: 0
    .symbol:         _ZN7rocprim17ROCPRIM_400000_NS6detail17trampoline_kernelINS0_14default_configENS1_25partition_config_selectorILNS1_17partition_subalgoE5ElNS0_10empty_typeEbEEZZNS1_14partition_implILS5_5ELb0ES3_mN6hipcub16HIPCUB_304000_NS21CountingInputIteratorIllEEPS6_NSA_22TransformInputIteratorIbN2at6native12_GLOBAL__N_19NonZeroOpIN3c104HalfEEEPKSK_lEENS0_5tupleIJPlS6_EEENSP_IJSD_SD_EEES6_PiJS6_EEE10hipError_tPvRmT3_T4_T5_T6_T7_T9_mT8_P12ihipStream_tbDpT10_ENKUlT_T0_E_clISt17integral_constantIbLb1EES1D_EEDaS18_S19_EUlS18_E_NS1_11comp_targetILNS1_3genE2ELNS1_11target_archE906ELNS1_3gpuE6ELNS1_3repE0EEENS1_30default_config_static_selectorELNS0_4arch9wavefront6targetE0EEEvT1_.kd
    .uniform_work_group_size: 1
    .uses_dynamic_stack: false
    .vgpr_count:     0
    .vgpr_spill_count: 0
    .wavefront_size: 32
    .workgroup_processor_mode: 1
  - .args:
      - .offset:         0
        .size:           136
        .value_kind:     by_value
    .group_segment_fixed_size: 0
    .kernarg_segment_align: 8
    .kernarg_segment_size: 136
    .language:       OpenCL C
    .language_version:
      - 2
      - 0
    .max_flat_workgroup_size: 256
    .name:           _ZN7rocprim17ROCPRIM_400000_NS6detail17trampoline_kernelINS0_14default_configENS1_25partition_config_selectorILNS1_17partition_subalgoE5ElNS0_10empty_typeEbEEZZNS1_14partition_implILS5_5ELb0ES3_mN6hipcub16HIPCUB_304000_NS21CountingInputIteratorIllEEPS6_NSA_22TransformInputIteratorIbN2at6native12_GLOBAL__N_19NonZeroOpIN3c104HalfEEEPKSK_lEENS0_5tupleIJPlS6_EEENSP_IJSD_SD_EEES6_PiJS6_EEE10hipError_tPvRmT3_T4_T5_T6_T7_T9_mT8_P12ihipStream_tbDpT10_ENKUlT_T0_E_clISt17integral_constantIbLb1EES1D_EEDaS18_S19_EUlS18_E_NS1_11comp_targetILNS1_3genE10ELNS1_11target_archE1200ELNS1_3gpuE4ELNS1_3repE0EEENS1_30default_config_static_selectorELNS0_4arch9wavefront6targetE0EEEvT1_
    .private_segment_fixed_size: 0
    .sgpr_count:     0
    .sgpr_spill_count: 0
    .symbol:         _ZN7rocprim17ROCPRIM_400000_NS6detail17trampoline_kernelINS0_14default_configENS1_25partition_config_selectorILNS1_17partition_subalgoE5ElNS0_10empty_typeEbEEZZNS1_14partition_implILS5_5ELb0ES3_mN6hipcub16HIPCUB_304000_NS21CountingInputIteratorIllEEPS6_NSA_22TransformInputIteratorIbN2at6native12_GLOBAL__N_19NonZeroOpIN3c104HalfEEEPKSK_lEENS0_5tupleIJPlS6_EEENSP_IJSD_SD_EEES6_PiJS6_EEE10hipError_tPvRmT3_T4_T5_T6_T7_T9_mT8_P12ihipStream_tbDpT10_ENKUlT_T0_E_clISt17integral_constantIbLb1EES1D_EEDaS18_S19_EUlS18_E_NS1_11comp_targetILNS1_3genE10ELNS1_11target_archE1200ELNS1_3gpuE4ELNS1_3repE0EEENS1_30default_config_static_selectorELNS0_4arch9wavefront6targetE0EEEvT1_.kd
    .uniform_work_group_size: 1
    .uses_dynamic_stack: false
    .vgpr_count:     0
    .vgpr_spill_count: 0
    .wavefront_size: 32
    .workgroup_processor_mode: 1
  - .args:
      - .offset:         0
        .size:           136
        .value_kind:     by_value
    .group_segment_fixed_size: 0
    .kernarg_segment_align: 8
    .kernarg_segment_size: 136
    .language:       OpenCL C
    .language_version:
      - 2
      - 0
    .max_flat_workgroup_size: 128
    .name:           _ZN7rocprim17ROCPRIM_400000_NS6detail17trampoline_kernelINS0_14default_configENS1_25partition_config_selectorILNS1_17partition_subalgoE5ElNS0_10empty_typeEbEEZZNS1_14partition_implILS5_5ELb0ES3_mN6hipcub16HIPCUB_304000_NS21CountingInputIteratorIllEEPS6_NSA_22TransformInputIteratorIbN2at6native12_GLOBAL__N_19NonZeroOpIN3c104HalfEEEPKSK_lEENS0_5tupleIJPlS6_EEENSP_IJSD_SD_EEES6_PiJS6_EEE10hipError_tPvRmT3_T4_T5_T6_T7_T9_mT8_P12ihipStream_tbDpT10_ENKUlT_T0_E_clISt17integral_constantIbLb1EES1D_EEDaS18_S19_EUlS18_E_NS1_11comp_targetILNS1_3genE9ELNS1_11target_archE1100ELNS1_3gpuE3ELNS1_3repE0EEENS1_30default_config_static_selectorELNS0_4arch9wavefront6targetE0EEEvT1_
    .private_segment_fixed_size: 0
    .sgpr_count:     0
    .sgpr_spill_count: 0
    .symbol:         _ZN7rocprim17ROCPRIM_400000_NS6detail17trampoline_kernelINS0_14default_configENS1_25partition_config_selectorILNS1_17partition_subalgoE5ElNS0_10empty_typeEbEEZZNS1_14partition_implILS5_5ELb0ES3_mN6hipcub16HIPCUB_304000_NS21CountingInputIteratorIllEEPS6_NSA_22TransformInputIteratorIbN2at6native12_GLOBAL__N_19NonZeroOpIN3c104HalfEEEPKSK_lEENS0_5tupleIJPlS6_EEENSP_IJSD_SD_EEES6_PiJS6_EEE10hipError_tPvRmT3_T4_T5_T6_T7_T9_mT8_P12ihipStream_tbDpT10_ENKUlT_T0_E_clISt17integral_constantIbLb1EES1D_EEDaS18_S19_EUlS18_E_NS1_11comp_targetILNS1_3genE9ELNS1_11target_archE1100ELNS1_3gpuE3ELNS1_3repE0EEENS1_30default_config_static_selectorELNS0_4arch9wavefront6targetE0EEEvT1_.kd
    .uniform_work_group_size: 1
    .uses_dynamic_stack: false
    .vgpr_count:     0
    .vgpr_spill_count: 0
    .wavefront_size: 32
    .workgroup_processor_mode: 1
  - .args:
      - .offset:         0
        .size:           136
        .value_kind:     by_value
    .group_segment_fixed_size: 0
    .kernarg_segment_align: 8
    .kernarg_segment_size: 136
    .language:       OpenCL C
    .language_version:
      - 2
      - 0
    .max_flat_workgroup_size: 512
    .name:           _ZN7rocprim17ROCPRIM_400000_NS6detail17trampoline_kernelINS0_14default_configENS1_25partition_config_selectorILNS1_17partition_subalgoE5ElNS0_10empty_typeEbEEZZNS1_14partition_implILS5_5ELb0ES3_mN6hipcub16HIPCUB_304000_NS21CountingInputIteratorIllEEPS6_NSA_22TransformInputIteratorIbN2at6native12_GLOBAL__N_19NonZeroOpIN3c104HalfEEEPKSK_lEENS0_5tupleIJPlS6_EEENSP_IJSD_SD_EEES6_PiJS6_EEE10hipError_tPvRmT3_T4_T5_T6_T7_T9_mT8_P12ihipStream_tbDpT10_ENKUlT_T0_E_clISt17integral_constantIbLb1EES1D_EEDaS18_S19_EUlS18_E_NS1_11comp_targetILNS1_3genE8ELNS1_11target_archE1030ELNS1_3gpuE2ELNS1_3repE0EEENS1_30default_config_static_selectorELNS0_4arch9wavefront6targetE0EEEvT1_
    .private_segment_fixed_size: 0
    .sgpr_count:     0
    .sgpr_spill_count: 0
    .symbol:         _ZN7rocprim17ROCPRIM_400000_NS6detail17trampoline_kernelINS0_14default_configENS1_25partition_config_selectorILNS1_17partition_subalgoE5ElNS0_10empty_typeEbEEZZNS1_14partition_implILS5_5ELb0ES3_mN6hipcub16HIPCUB_304000_NS21CountingInputIteratorIllEEPS6_NSA_22TransformInputIteratorIbN2at6native12_GLOBAL__N_19NonZeroOpIN3c104HalfEEEPKSK_lEENS0_5tupleIJPlS6_EEENSP_IJSD_SD_EEES6_PiJS6_EEE10hipError_tPvRmT3_T4_T5_T6_T7_T9_mT8_P12ihipStream_tbDpT10_ENKUlT_T0_E_clISt17integral_constantIbLb1EES1D_EEDaS18_S19_EUlS18_E_NS1_11comp_targetILNS1_3genE8ELNS1_11target_archE1030ELNS1_3gpuE2ELNS1_3repE0EEENS1_30default_config_static_selectorELNS0_4arch9wavefront6targetE0EEEvT1_.kd
    .uniform_work_group_size: 1
    .uses_dynamic_stack: false
    .vgpr_count:     0
    .vgpr_spill_count: 0
    .wavefront_size: 32
    .workgroup_processor_mode: 1
  - .args:
      - .offset:         0
        .size:           120
        .value_kind:     by_value
    .group_segment_fixed_size: 0
    .kernarg_segment_align: 8
    .kernarg_segment_size: 120
    .language:       OpenCL C
    .language_version:
      - 2
      - 0
    .max_flat_workgroup_size: 128
    .name:           _ZN7rocprim17ROCPRIM_400000_NS6detail17trampoline_kernelINS0_14default_configENS1_25partition_config_selectorILNS1_17partition_subalgoE5ElNS0_10empty_typeEbEEZZNS1_14partition_implILS5_5ELb0ES3_mN6hipcub16HIPCUB_304000_NS21CountingInputIteratorIllEEPS6_NSA_22TransformInputIteratorIbN2at6native12_GLOBAL__N_19NonZeroOpIN3c104HalfEEEPKSK_lEENS0_5tupleIJPlS6_EEENSP_IJSD_SD_EEES6_PiJS6_EEE10hipError_tPvRmT3_T4_T5_T6_T7_T9_mT8_P12ihipStream_tbDpT10_ENKUlT_T0_E_clISt17integral_constantIbLb1EES1C_IbLb0EEEEDaS18_S19_EUlS18_E_NS1_11comp_targetILNS1_3genE0ELNS1_11target_archE4294967295ELNS1_3gpuE0ELNS1_3repE0EEENS1_30default_config_static_selectorELNS0_4arch9wavefront6targetE0EEEvT1_
    .private_segment_fixed_size: 0
    .sgpr_count:     0
    .sgpr_spill_count: 0
    .symbol:         _ZN7rocprim17ROCPRIM_400000_NS6detail17trampoline_kernelINS0_14default_configENS1_25partition_config_selectorILNS1_17partition_subalgoE5ElNS0_10empty_typeEbEEZZNS1_14partition_implILS5_5ELb0ES3_mN6hipcub16HIPCUB_304000_NS21CountingInputIteratorIllEEPS6_NSA_22TransformInputIteratorIbN2at6native12_GLOBAL__N_19NonZeroOpIN3c104HalfEEEPKSK_lEENS0_5tupleIJPlS6_EEENSP_IJSD_SD_EEES6_PiJS6_EEE10hipError_tPvRmT3_T4_T5_T6_T7_T9_mT8_P12ihipStream_tbDpT10_ENKUlT_T0_E_clISt17integral_constantIbLb1EES1C_IbLb0EEEEDaS18_S19_EUlS18_E_NS1_11comp_targetILNS1_3genE0ELNS1_11target_archE4294967295ELNS1_3gpuE0ELNS1_3repE0EEENS1_30default_config_static_selectorELNS0_4arch9wavefront6targetE0EEEvT1_.kd
    .uniform_work_group_size: 1
    .uses_dynamic_stack: false
    .vgpr_count:     0
    .vgpr_spill_count: 0
    .wavefront_size: 32
    .workgroup_processor_mode: 1
  - .args:
      - .offset:         0
        .size:           120
        .value_kind:     by_value
    .group_segment_fixed_size: 0
    .kernarg_segment_align: 8
    .kernarg_segment_size: 120
    .language:       OpenCL C
    .language_version:
      - 2
      - 0
    .max_flat_workgroup_size: 512
    .name:           _ZN7rocprim17ROCPRIM_400000_NS6detail17trampoline_kernelINS0_14default_configENS1_25partition_config_selectorILNS1_17partition_subalgoE5ElNS0_10empty_typeEbEEZZNS1_14partition_implILS5_5ELb0ES3_mN6hipcub16HIPCUB_304000_NS21CountingInputIteratorIllEEPS6_NSA_22TransformInputIteratorIbN2at6native12_GLOBAL__N_19NonZeroOpIN3c104HalfEEEPKSK_lEENS0_5tupleIJPlS6_EEENSP_IJSD_SD_EEES6_PiJS6_EEE10hipError_tPvRmT3_T4_T5_T6_T7_T9_mT8_P12ihipStream_tbDpT10_ENKUlT_T0_E_clISt17integral_constantIbLb1EES1C_IbLb0EEEEDaS18_S19_EUlS18_E_NS1_11comp_targetILNS1_3genE5ELNS1_11target_archE942ELNS1_3gpuE9ELNS1_3repE0EEENS1_30default_config_static_selectorELNS0_4arch9wavefront6targetE0EEEvT1_
    .private_segment_fixed_size: 0
    .sgpr_count:     0
    .sgpr_spill_count: 0
    .symbol:         _ZN7rocprim17ROCPRIM_400000_NS6detail17trampoline_kernelINS0_14default_configENS1_25partition_config_selectorILNS1_17partition_subalgoE5ElNS0_10empty_typeEbEEZZNS1_14partition_implILS5_5ELb0ES3_mN6hipcub16HIPCUB_304000_NS21CountingInputIteratorIllEEPS6_NSA_22TransformInputIteratorIbN2at6native12_GLOBAL__N_19NonZeroOpIN3c104HalfEEEPKSK_lEENS0_5tupleIJPlS6_EEENSP_IJSD_SD_EEES6_PiJS6_EEE10hipError_tPvRmT3_T4_T5_T6_T7_T9_mT8_P12ihipStream_tbDpT10_ENKUlT_T0_E_clISt17integral_constantIbLb1EES1C_IbLb0EEEEDaS18_S19_EUlS18_E_NS1_11comp_targetILNS1_3genE5ELNS1_11target_archE942ELNS1_3gpuE9ELNS1_3repE0EEENS1_30default_config_static_selectorELNS0_4arch9wavefront6targetE0EEEvT1_.kd
    .uniform_work_group_size: 1
    .uses_dynamic_stack: false
    .vgpr_count:     0
    .vgpr_spill_count: 0
    .wavefront_size: 32
    .workgroup_processor_mode: 1
  - .args:
      - .offset:         0
        .size:           120
        .value_kind:     by_value
    .group_segment_fixed_size: 0
    .kernarg_segment_align: 8
    .kernarg_segment_size: 120
    .language:       OpenCL C
    .language_version:
      - 2
      - 0
    .max_flat_workgroup_size: 192
    .name:           _ZN7rocprim17ROCPRIM_400000_NS6detail17trampoline_kernelINS0_14default_configENS1_25partition_config_selectorILNS1_17partition_subalgoE5ElNS0_10empty_typeEbEEZZNS1_14partition_implILS5_5ELb0ES3_mN6hipcub16HIPCUB_304000_NS21CountingInputIteratorIllEEPS6_NSA_22TransformInputIteratorIbN2at6native12_GLOBAL__N_19NonZeroOpIN3c104HalfEEEPKSK_lEENS0_5tupleIJPlS6_EEENSP_IJSD_SD_EEES6_PiJS6_EEE10hipError_tPvRmT3_T4_T5_T6_T7_T9_mT8_P12ihipStream_tbDpT10_ENKUlT_T0_E_clISt17integral_constantIbLb1EES1C_IbLb0EEEEDaS18_S19_EUlS18_E_NS1_11comp_targetILNS1_3genE4ELNS1_11target_archE910ELNS1_3gpuE8ELNS1_3repE0EEENS1_30default_config_static_selectorELNS0_4arch9wavefront6targetE0EEEvT1_
    .private_segment_fixed_size: 0
    .sgpr_count:     0
    .sgpr_spill_count: 0
    .symbol:         _ZN7rocprim17ROCPRIM_400000_NS6detail17trampoline_kernelINS0_14default_configENS1_25partition_config_selectorILNS1_17partition_subalgoE5ElNS0_10empty_typeEbEEZZNS1_14partition_implILS5_5ELb0ES3_mN6hipcub16HIPCUB_304000_NS21CountingInputIteratorIllEEPS6_NSA_22TransformInputIteratorIbN2at6native12_GLOBAL__N_19NonZeroOpIN3c104HalfEEEPKSK_lEENS0_5tupleIJPlS6_EEENSP_IJSD_SD_EEES6_PiJS6_EEE10hipError_tPvRmT3_T4_T5_T6_T7_T9_mT8_P12ihipStream_tbDpT10_ENKUlT_T0_E_clISt17integral_constantIbLb1EES1C_IbLb0EEEEDaS18_S19_EUlS18_E_NS1_11comp_targetILNS1_3genE4ELNS1_11target_archE910ELNS1_3gpuE8ELNS1_3repE0EEENS1_30default_config_static_selectorELNS0_4arch9wavefront6targetE0EEEvT1_.kd
    .uniform_work_group_size: 1
    .uses_dynamic_stack: false
    .vgpr_count:     0
    .vgpr_spill_count: 0
    .wavefront_size: 32
    .workgroup_processor_mode: 1
  - .args:
      - .offset:         0
        .size:           120
        .value_kind:     by_value
    .group_segment_fixed_size: 0
    .kernarg_segment_align: 8
    .kernarg_segment_size: 120
    .language:       OpenCL C
    .language_version:
      - 2
      - 0
    .max_flat_workgroup_size: 128
    .name:           _ZN7rocprim17ROCPRIM_400000_NS6detail17trampoline_kernelINS0_14default_configENS1_25partition_config_selectorILNS1_17partition_subalgoE5ElNS0_10empty_typeEbEEZZNS1_14partition_implILS5_5ELb0ES3_mN6hipcub16HIPCUB_304000_NS21CountingInputIteratorIllEEPS6_NSA_22TransformInputIteratorIbN2at6native12_GLOBAL__N_19NonZeroOpIN3c104HalfEEEPKSK_lEENS0_5tupleIJPlS6_EEENSP_IJSD_SD_EEES6_PiJS6_EEE10hipError_tPvRmT3_T4_T5_T6_T7_T9_mT8_P12ihipStream_tbDpT10_ENKUlT_T0_E_clISt17integral_constantIbLb1EES1C_IbLb0EEEEDaS18_S19_EUlS18_E_NS1_11comp_targetILNS1_3genE3ELNS1_11target_archE908ELNS1_3gpuE7ELNS1_3repE0EEENS1_30default_config_static_selectorELNS0_4arch9wavefront6targetE0EEEvT1_
    .private_segment_fixed_size: 0
    .sgpr_count:     0
    .sgpr_spill_count: 0
    .symbol:         _ZN7rocprim17ROCPRIM_400000_NS6detail17trampoline_kernelINS0_14default_configENS1_25partition_config_selectorILNS1_17partition_subalgoE5ElNS0_10empty_typeEbEEZZNS1_14partition_implILS5_5ELb0ES3_mN6hipcub16HIPCUB_304000_NS21CountingInputIteratorIllEEPS6_NSA_22TransformInputIteratorIbN2at6native12_GLOBAL__N_19NonZeroOpIN3c104HalfEEEPKSK_lEENS0_5tupleIJPlS6_EEENSP_IJSD_SD_EEES6_PiJS6_EEE10hipError_tPvRmT3_T4_T5_T6_T7_T9_mT8_P12ihipStream_tbDpT10_ENKUlT_T0_E_clISt17integral_constantIbLb1EES1C_IbLb0EEEEDaS18_S19_EUlS18_E_NS1_11comp_targetILNS1_3genE3ELNS1_11target_archE908ELNS1_3gpuE7ELNS1_3repE0EEENS1_30default_config_static_selectorELNS0_4arch9wavefront6targetE0EEEvT1_.kd
    .uniform_work_group_size: 1
    .uses_dynamic_stack: false
    .vgpr_count:     0
    .vgpr_spill_count: 0
    .wavefront_size: 32
    .workgroup_processor_mode: 1
  - .args:
      - .offset:         0
        .size:           120
        .value_kind:     by_value
    .group_segment_fixed_size: 0
    .kernarg_segment_align: 8
    .kernarg_segment_size: 120
    .language:       OpenCL C
    .language_version:
      - 2
      - 0
    .max_flat_workgroup_size: 256
    .name:           _ZN7rocprim17ROCPRIM_400000_NS6detail17trampoline_kernelINS0_14default_configENS1_25partition_config_selectorILNS1_17partition_subalgoE5ElNS0_10empty_typeEbEEZZNS1_14partition_implILS5_5ELb0ES3_mN6hipcub16HIPCUB_304000_NS21CountingInputIteratorIllEEPS6_NSA_22TransformInputIteratorIbN2at6native12_GLOBAL__N_19NonZeroOpIN3c104HalfEEEPKSK_lEENS0_5tupleIJPlS6_EEENSP_IJSD_SD_EEES6_PiJS6_EEE10hipError_tPvRmT3_T4_T5_T6_T7_T9_mT8_P12ihipStream_tbDpT10_ENKUlT_T0_E_clISt17integral_constantIbLb1EES1C_IbLb0EEEEDaS18_S19_EUlS18_E_NS1_11comp_targetILNS1_3genE2ELNS1_11target_archE906ELNS1_3gpuE6ELNS1_3repE0EEENS1_30default_config_static_selectorELNS0_4arch9wavefront6targetE0EEEvT1_
    .private_segment_fixed_size: 0
    .sgpr_count:     0
    .sgpr_spill_count: 0
    .symbol:         _ZN7rocprim17ROCPRIM_400000_NS6detail17trampoline_kernelINS0_14default_configENS1_25partition_config_selectorILNS1_17partition_subalgoE5ElNS0_10empty_typeEbEEZZNS1_14partition_implILS5_5ELb0ES3_mN6hipcub16HIPCUB_304000_NS21CountingInputIteratorIllEEPS6_NSA_22TransformInputIteratorIbN2at6native12_GLOBAL__N_19NonZeroOpIN3c104HalfEEEPKSK_lEENS0_5tupleIJPlS6_EEENSP_IJSD_SD_EEES6_PiJS6_EEE10hipError_tPvRmT3_T4_T5_T6_T7_T9_mT8_P12ihipStream_tbDpT10_ENKUlT_T0_E_clISt17integral_constantIbLb1EES1C_IbLb0EEEEDaS18_S19_EUlS18_E_NS1_11comp_targetILNS1_3genE2ELNS1_11target_archE906ELNS1_3gpuE6ELNS1_3repE0EEENS1_30default_config_static_selectorELNS0_4arch9wavefront6targetE0EEEvT1_.kd
    .uniform_work_group_size: 1
    .uses_dynamic_stack: false
    .vgpr_count:     0
    .vgpr_spill_count: 0
    .wavefront_size: 32
    .workgroup_processor_mode: 1
  - .args:
      - .offset:         0
        .size:           120
        .value_kind:     by_value
    .group_segment_fixed_size: 0
    .kernarg_segment_align: 8
    .kernarg_segment_size: 120
    .language:       OpenCL C
    .language_version:
      - 2
      - 0
    .max_flat_workgroup_size: 256
    .name:           _ZN7rocprim17ROCPRIM_400000_NS6detail17trampoline_kernelINS0_14default_configENS1_25partition_config_selectorILNS1_17partition_subalgoE5ElNS0_10empty_typeEbEEZZNS1_14partition_implILS5_5ELb0ES3_mN6hipcub16HIPCUB_304000_NS21CountingInputIteratorIllEEPS6_NSA_22TransformInputIteratorIbN2at6native12_GLOBAL__N_19NonZeroOpIN3c104HalfEEEPKSK_lEENS0_5tupleIJPlS6_EEENSP_IJSD_SD_EEES6_PiJS6_EEE10hipError_tPvRmT3_T4_T5_T6_T7_T9_mT8_P12ihipStream_tbDpT10_ENKUlT_T0_E_clISt17integral_constantIbLb1EES1C_IbLb0EEEEDaS18_S19_EUlS18_E_NS1_11comp_targetILNS1_3genE10ELNS1_11target_archE1200ELNS1_3gpuE4ELNS1_3repE0EEENS1_30default_config_static_selectorELNS0_4arch9wavefront6targetE0EEEvT1_
    .private_segment_fixed_size: 0
    .sgpr_count:     0
    .sgpr_spill_count: 0
    .symbol:         _ZN7rocprim17ROCPRIM_400000_NS6detail17trampoline_kernelINS0_14default_configENS1_25partition_config_selectorILNS1_17partition_subalgoE5ElNS0_10empty_typeEbEEZZNS1_14partition_implILS5_5ELb0ES3_mN6hipcub16HIPCUB_304000_NS21CountingInputIteratorIllEEPS6_NSA_22TransformInputIteratorIbN2at6native12_GLOBAL__N_19NonZeroOpIN3c104HalfEEEPKSK_lEENS0_5tupleIJPlS6_EEENSP_IJSD_SD_EEES6_PiJS6_EEE10hipError_tPvRmT3_T4_T5_T6_T7_T9_mT8_P12ihipStream_tbDpT10_ENKUlT_T0_E_clISt17integral_constantIbLb1EES1C_IbLb0EEEEDaS18_S19_EUlS18_E_NS1_11comp_targetILNS1_3genE10ELNS1_11target_archE1200ELNS1_3gpuE4ELNS1_3repE0EEENS1_30default_config_static_selectorELNS0_4arch9wavefront6targetE0EEEvT1_.kd
    .uniform_work_group_size: 1
    .uses_dynamic_stack: false
    .vgpr_count:     0
    .vgpr_spill_count: 0
    .wavefront_size: 32
    .workgroup_processor_mode: 1
  - .args:
      - .offset:         0
        .size:           120
        .value_kind:     by_value
    .group_segment_fixed_size: 0
    .kernarg_segment_align: 8
    .kernarg_segment_size: 120
    .language:       OpenCL C
    .language_version:
      - 2
      - 0
    .max_flat_workgroup_size: 128
    .name:           _ZN7rocprim17ROCPRIM_400000_NS6detail17trampoline_kernelINS0_14default_configENS1_25partition_config_selectorILNS1_17partition_subalgoE5ElNS0_10empty_typeEbEEZZNS1_14partition_implILS5_5ELb0ES3_mN6hipcub16HIPCUB_304000_NS21CountingInputIteratorIllEEPS6_NSA_22TransformInputIteratorIbN2at6native12_GLOBAL__N_19NonZeroOpIN3c104HalfEEEPKSK_lEENS0_5tupleIJPlS6_EEENSP_IJSD_SD_EEES6_PiJS6_EEE10hipError_tPvRmT3_T4_T5_T6_T7_T9_mT8_P12ihipStream_tbDpT10_ENKUlT_T0_E_clISt17integral_constantIbLb1EES1C_IbLb0EEEEDaS18_S19_EUlS18_E_NS1_11comp_targetILNS1_3genE9ELNS1_11target_archE1100ELNS1_3gpuE3ELNS1_3repE0EEENS1_30default_config_static_selectorELNS0_4arch9wavefront6targetE0EEEvT1_
    .private_segment_fixed_size: 0
    .sgpr_count:     0
    .sgpr_spill_count: 0
    .symbol:         _ZN7rocprim17ROCPRIM_400000_NS6detail17trampoline_kernelINS0_14default_configENS1_25partition_config_selectorILNS1_17partition_subalgoE5ElNS0_10empty_typeEbEEZZNS1_14partition_implILS5_5ELb0ES3_mN6hipcub16HIPCUB_304000_NS21CountingInputIteratorIllEEPS6_NSA_22TransformInputIteratorIbN2at6native12_GLOBAL__N_19NonZeroOpIN3c104HalfEEEPKSK_lEENS0_5tupleIJPlS6_EEENSP_IJSD_SD_EEES6_PiJS6_EEE10hipError_tPvRmT3_T4_T5_T6_T7_T9_mT8_P12ihipStream_tbDpT10_ENKUlT_T0_E_clISt17integral_constantIbLb1EES1C_IbLb0EEEEDaS18_S19_EUlS18_E_NS1_11comp_targetILNS1_3genE9ELNS1_11target_archE1100ELNS1_3gpuE3ELNS1_3repE0EEENS1_30default_config_static_selectorELNS0_4arch9wavefront6targetE0EEEvT1_.kd
    .uniform_work_group_size: 1
    .uses_dynamic_stack: false
    .vgpr_count:     0
    .vgpr_spill_count: 0
    .wavefront_size: 32
    .workgroup_processor_mode: 1
  - .args:
      - .offset:         0
        .size:           120
        .value_kind:     by_value
    .group_segment_fixed_size: 0
    .kernarg_segment_align: 8
    .kernarg_segment_size: 120
    .language:       OpenCL C
    .language_version:
      - 2
      - 0
    .max_flat_workgroup_size: 512
    .name:           _ZN7rocprim17ROCPRIM_400000_NS6detail17trampoline_kernelINS0_14default_configENS1_25partition_config_selectorILNS1_17partition_subalgoE5ElNS0_10empty_typeEbEEZZNS1_14partition_implILS5_5ELb0ES3_mN6hipcub16HIPCUB_304000_NS21CountingInputIteratorIllEEPS6_NSA_22TransformInputIteratorIbN2at6native12_GLOBAL__N_19NonZeroOpIN3c104HalfEEEPKSK_lEENS0_5tupleIJPlS6_EEENSP_IJSD_SD_EEES6_PiJS6_EEE10hipError_tPvRmT3_T4_T5_T6_T7_T9_mT8_P12ihipStream_tbDpT10_ENKUlT_T0_E_clISt17integral_constantIbLb1EES1C_IbLb0EEEEDaS18_S19_EUlS18_E_NS1_11comp_targetILNS1_3genE8ELNS1_11target_archE1030ELNS1_3gpuE2ELNS1_3repE0EEENS1_30default_config_static_selectorELNS0_4arch9wavefront6targetE0EEEvT1_
    .private_segment_fixed_size: 0
    .sgpr_count:     0
    .sgpr_spill_count: 0
    .symbol:         _ZN7rocprim17ROCPRIM_400000_NS6detail17trampoline_kernelINS0_14default_configENS1_25partition_config_selectorILNS1_17partition_subalgoE5ElNS0_10empty_typeEbEEZZNS1_14partition_implILS5_5ELb0ES3_mN6hipcub16HIPCUB_304000_NS21CountingInputIteratorIllEEPS6_NSA_22TransformInputIteratorIbN2at6native12_GLOBAL__N_19NonZeroOpIN3c104HalfEEEPKSK_lEENS0_5tupleIJPlS6_EEENSP_IJSD_SD_EEES6_PiJS6_EEE10hipError_tPvRmT3_T4_T5_T6_T7_T9_mT8_P12ihipStream_tbDpT10_ENKUlT_T0_E_clISt17integral_constantIbLb1EES1C_IbLb0EEEEDaS18_S19_EUlS18_E_NS1_11comp_targetILNS1_3genE8ELNS1_11target_archE1030ELNS1_3gpuE2ELNS1_3repE0EEENS1_30default_config_static_selectorELNS0_4arch9wavefront6targetE0EEEvT1_.kd
    .uniform_work_group_size: 1
    .uses_dynamic_stack: false
    .vgpr_count:     0
    .vgpr_spill_count: 0
    .wavefront_size: 32
    .workgroup_processor_mode: 1
  - .args:
      - .offset:         0
        .size:           136
        .value_kind:     by_value
    .group_segment_fixed_size: 0
    .kernarg_segment_align: 8
    .kernarg_segment_size: 136
    .language:       OpenCL C
    .language_version:
      - 2
      - 0
    .max_flat_workgroup_size: 128
    .name:           _ZN7rocprim17ROCPRIM_400000_NS6detail17trampoline_kernelINS0_14default_configENS1_25partition_config_selectorILNS1_17partition_subalgoE5ElNS0_10empty_typeEbEEZZNS1_14partition_implILS5_5ELb0ES3_mN6hipcub16HIPCUB_304000_NS21CountingInputIteratorIllEEPS6_NSA_22TransformInputIteratorIbN2at6native12_GLOBAL__N_19NonZeroOpIN3c104HalfEEEPKSK_lEENS0_5tupleIJPlS6_EEENSP_IJSD_SD_EEES6_PiJS6_EEE10hipError_tPvRmT3_T4_T5_T6_T7_T9_mT8_P12ihipStream_tbDpT10_ENKUlT_T0_E_clISt17integral_constantIbLb0EES1C_IbLb1EEEEDaS18_S19_EUlS18_E_NS1_11comp_targetILNS1_3genE0ELNS1_11target_archE4294967295ELNS1_3gpuE0ELNS1_3repE0EEENS1_30default_config_static_selectorELNS0_4arch9wavefront6targetE0EEEvT1_
    .private_segment_fixed_size: 0
    .sgpr_count:     0
    .sgpr_spill_count: 0
    .symbol:         _ZN7rocprim17ROCPRIM_400000_NS6detail17trampoline_kernelINS0_14default_configENS1_25partition_config_selectorILNS1_17partition_subalgoE5ElNS0_10empty_typeEbEEZZNS1_14partition_implILS5_5ELb0ES3_mN6hipcub16HIPCUB_304000_NS21CountingInputIteratorIllEEPS6_NSA_22TransformInputIteratorIbN2at6native12_GLOBAL__N_19NonZeroOpIN3c104HalfEEEPKSK_lEENS0_5tupleIJPlS6_EEENSP_IJSD_SD_EEES6_PiJS6_EEE10hipError_tPvRmT3_T4_T5_T6_T7_T9_mT8_P12ihipStream_tbDpT10_ENKUlT_T0_E_clISt17integral_constantIbLb0EES1C_IbLb1EEEEDaS18_S19_EUlS18_E_NS1_11comp_targetILNS1_3genE0ELNS1_11target_archE4294967295ELNS1_3gpuE0ELNS1_3repE0EEENS1_30default_config_static_selectorELNS0_4arch9wavefront6targetE0EEEvT1_.kd
    .uniform_work_group_size: 1
    .uses_dynamic_stack: false
    .vgpr_count:     0
    .vgpr_spill_count: 0
    .wavefront_size: 32
    .workgroup_processor_mode: 1
  - .args:
      - .offset:         0
        .size:           136
        .value_kind:     by_value
    .group_segment_fixed_size: 0
    .kernarg_segment_align: 8
    .kernarg_segment_size: 136
    .language:       OpenCL C
    .language_version:
      - 2
      - 0
    .max_flat_workgroup_size: 512
    .name:           _ZN7rocprim17ROCPRIM_400000_NS6detail17trampoline_kernelINS0_14default_configENS1_25partition_config_selectorILNS1_17partition_subalgoE5ElNS0_10empty_typeEbEEZZNS1_14partition_implILS5_5ELb0ES3_mN6hipcub16HIPCUB_304000_NS21CountingInputIteratorIllEEPS6_NSA_22TransformInputIteratorIbN2at6native12_GLOBAL__N_19NonZeroOpIN3c104HalfEEEPKSK_lEENS0_5tupleIJPlS6_EEENSP_IJSD_SD_EEES6_PiJS6_EEE10hipError_tPvRmT3_T4_T5_T6_T7_T9_mT8_P12ihipStream_tbDpT10_ENKUlT_T0_E_clISt17integral_constantIbLb0EES1C_IbLb1EEEEDaS18_S19_EUlS18_E_NS1_11comp_targetILNS1_3genE5ELNS1_11target_archE942ELNS1_3gpuE9ELNS1_3repE0EEENS1_30default_config_static_selectorELNS0_4arch9wavefront6targetE0EEEvT1_
    .private_segment_fixed_size: 0
    .sgpr_count:     0
    .sgpr_spill_count: 0
    .symbol:         _ZN7rocprim17ROCPRIM_400000_NS6detail17trampoline_kernelINS0_14default_configENS1_25partition_config_selectorILNS1_17partition_subalgoE5ElNS0_10empty_typeEbEEZZNS1_14partition_implILS5_5ELb0ES3_mN6hipcub16HIPCUB_304000_NS21CountingInputIteratorIllEEPS6_NSA_22TransformInputIteratorIbN2at6native12_GLOBAL__N_19NonZeroOpIN3c104HalfEEEPKSK_lEENS0_5tupleIJPlS6_EEENSP_IJSD_SD_EEES6_PiJS6_EEE10hipError_tPvRmT3_T4_T5_T6_T7_T9_mT8_P12ihipStream_tbDpT10_ENKUlT_T0_E_clISt17integral_constantIbLb0EES1C_IbLb1EEEEDaS18_S19_EUlS18_E_NS1_11comp_targetILNS1_3genE5ELNS1_11target_archE942ELNS1_3gpuE9ELNS1_3repE0EEENS1_30default_config_static_selectorELNS0_4arch9wavefront6targetE0EEEvT1_.kd
    .uniform_work_group_size: 1
    .uses_dynamic_stack: false
    .vgpr_count:     0
    .vgpr_spill_count: 0
    .wavefront_size: 32
    .workgroup_processor_mode: 1
  - .args:
      - .offset:         0
        .size:           136
        .value_kind:     by_value
    .group_segment_fixed_size: 0
    .kernarg_segment_align: 8
    .kernarg_segment_size: 136
    .language:       OpenCL C
    .language_version:
      - 2
      - 0
    .max_flat_workgroup_size: 192
    .name:           _ZN7rocprim17ROCPRIM_400000_NS6detail17trampoline_kernelINS0_14default_configENS1_25partition_config_selectorILNS1_17partition_subalgoE5ElNS0_10empty_typeEbEEZZNS1_14partition_implILS5_5ELb0ES3_mN6hipcub16HIPCUB_304000_NS21CountingInputIteratorIllEEPS6_NSA_22TransformInputIteratorIbN2at6native12_GLOBAL__N_19NonZeroOpIN3c104HalfEEEPKSK_lEENS0_5tupleIJPlS6_EEENSP_IJSD_SD_EEES6_PiJS6_EEE10hipError_tPvRmT3_T4_T5_T6_T7_T9_mT8_P12ihipStream_tbDpT10_ENKUlT_T0_E_clISt17integral_constantIbLb0EES1C_IbLb1EEEEDaS18_S19_EUlS18_E_NS1_11comp_targetILNS1_3genE4ELNS1_11target_archE910ELNS1_3gpuE8ELNS1_3repE0EEENS1_30default_config_static_selectorELNS0_4arch9wavefront6targetE0EEEvT1_
    .private_segment_fixed_size: 0
    .sgpr_count:     0
    .sgpr_spill_count: 0
    .symbol:         _ZN7rocprim17ROCPRIM_400000_NS6detail17trampoline_kernelINS0_14default_configENS1_25partition_config_selectorILNS1_17partition_subalgoE5ElNS0_10empty_typeEbEEZZNS1_14partition_implILS5_5ELb0ES3_mN6hipcub16HIPCUB_304000_NS21CountingInputIteratorIllEEPS6_NSA_22TransformInputIteratorIbN2at6native12_GLOBAL__N_19NonZeroOpIN3c104HalfEEEPKSK_lEENS0_5tupleIJPlS6_EEENSP_IJSD_SD_EEES6_PiJS6_EEE10hipError_tPvRmT3_T4_T5_T6_T7_T9_mT8_P12ihipStream_tbDpT10_ENKUlT_T0_E_clISt17integral_constantIbLb0EES1C_IbLb1EEEEDaS18_S19_EUlS18_E_NS1_11comp_targetILNS1_3genE4ELNS1_11target_archE910ELNS1_3gpuE8ELNS1_3repE0EEENS1_30default_config_static_selectorELNS0_4arch9wavefront6targetE0EEEvT1_.kd
    .uniform_work_group_size: 1
    .uses_dynamic_stack: false
    .vgpr_count:     0
    .vgpr_spill_count: 0
    .wavefront_size: 32
    .workgroup_processor_mode: 1
  - .args:
      - .offset:         0
        .size:           136
        .value_kind:     by_value
    .group_segment_fixed_size: 0
    .kernarg_segment_align: 8
    .kernarg_segment_size: 136
    .language:       OpenCL C
    .language_version:
      - 2
      - 0
    .max_flat_workgroup_size: 128
    .name:           _ZN7rocprim17ROCPRIM_400000_NS6detail17trampoline_kernelINS0_14default_configENS1_25partition_config_selectorILNS1_17partition_subalgoE5ElNS0_10empty_typeEbEEZZNS1_14partition_implILS5_5ELb0ES3_mN6hipcub16HIPCUB_304000_NS21CountingInputIteratorIllEEPS6_NSA_22TransformInputIteratorIbN2at6native12_GLOBAL__N_19NonZeroOpIN3c104HalfEEEPKSK_lEENS0_5tupleIJPlS6_EEENSP_IJSD_SD_EEES6_PiJS6_EEE10hipError_tPvRmT3_T4_T5_T6_T7_T9_mT8_P12ihipStream_tbDpT10_ENKUlT_T0_E_clISt17integral_constantIbLb0EES1C_IbLb1EEEEDaS18_S19_EUlS18_E_NS1_11comp_targetILNS1_3genE3ELNS1_11target_archE908ELNS1_3gpuE7ELNS1_3repE0EEENS1_30default_config_static_selectorELNS0_4arch9wavefront6targetE0EEEvT1_
    .private_segment_fixed_size: 0
    .sgpr_count:     0
    .sgpr_spill_count: 0
    .symbol:         _ZN7rocprim17ROCPRIM_400000_NS6detail17trampoline_kernelINS0_14default_configENS1_25partition_config_selectorILNS1_17partition_subalgoE5ElNS0_10empty_typeEbEEZZNS1_14partition_implILS5_5ELb0ES3_mN6hipcub16HIPCUB_304000_NS21CountingInputIteratorIllEEPS6_NSA_22TransformInputIteratorIbN2at6native12_GLOBAL__N_19NonZeroOpIN3c104HalfEEEPKSK_lEENS0_5tupleIJPlS6_EEENSP_IJSD_SD_EEES6_PiJS6_EEE10hipError_tPvRmT3_T4_T5_T6_T7_T9_mT8_P12ihipStream_tbDpT10_ENKUlT_T0_E_clISt17integral_constantIbLb0EES1C_IbLb1EEEEDaS18_S19_EUlS18_E_NS1_11comp_targetILNS1_3genE3ELNS1_11target_archE908ELNS1_3gpuE7ELNS1_3repE0EEENS1_30default_config_static_selectorELNS0_4arch9wavefront6targetE0EEEvT1_.kd
    .uniform_work_group_size: 1
    .uses_dynamic_stack: false
    .vgpr_count:     0
    .vgpr_spill_count: 0
    .wavefront_size: 32
    .workgroup_processor_mode: 1
  - .args:
      - .offset:         0
        .size:           136
        .value_kind:     by_value
    .group_segment_fixed_size: 0
    .kernarg_segment_align: 8
    .kernarg_segment_size: 136
    .language:       OpenCL C
    .language_version:
      - 2
      - 0
    .max_flat_workgroup_size: 256
    .name:           _ZN7rocprim17ROCPRIM_400000_NS6detail17trampoline_kernelINS0_14default_configENS1_25partition_config_selectorILNS1_17partition_subalgoE5ElNS0_10empty_typeEbEEZZNS1_14partition_implILS5_5ELb0ES3_mN6hipcub16HIPCUB_304000_NS21CountingInputIteratorIllEEPS6_NSA_22TransformInputIteratorIbN2at6native12_GLOBAL__N_19NonZeroOpIN3c104HalfEEEPKSK_lEENS0_5tupleIJPlS6_EEENSP_IJSD_SD_EEES6_PiJS6_EEE10hipError_tPvRmT3_T4_T5_T6_T7_T9_mT8_P12ihipStream_tbDpT10_ENKUlT_T0_E_clISt17integral_constantIbLb0EES1C_IbLb1EEEEDaS18_S19_EUlS18_E_NS1_11comp_targetILNS1_3genE2ELNS1_11target_archE906ELNS1_3gpuE6ELNS1_3repE0EEENS1_30default_config_static_selectorELNS0_4arch9wavefront6targetE0EEEvT1_
    .private_segment_fixed_size: 0
    .sgpr_count:     0
    .sgpr_spill_count: 0
    .symbol:         _ZN7rocprim17ROCPRIM_400000_NS6detail17trampoline_kernelINS0_14default_configENS1_25partition_config_selectorILNS1_17partition_subalgoE5ElNS0_10empty_typeEbEEZZNS1_14partition_implILS5_5ELb0ES3_mN6hipcub16HIPCUB_304000_NS21CountingInputIteratorIllEEPS6_NSA_22TransformInputIteratorIbN2at6native12_GLOBAL__N_19NonZeroOpIN3c104HalfEEEPKSK_lEENS0_5tupleIJPlS6_EEENSP_IJSD_SD_EEES6_PiJS6_EEE10hipError_tPvRmT3_T4_T5_T6_T7_T9_mT8_P12ihipStream_tbDpT10_ENKUlT_T0_E_clISt17integral_constantIbLb0EES1C_IbLb1EEEEDaS18_S19_EUlS18_E_NS1_11comp_targetILNS1_3genE2ELNS1_11target_archE906ELNS1_3gpuE6ELNS1_3repE0EEENS1_30default_config_static_selectorELNS0_4arch9wavefront6targetE0EEEvT1_.kd
    .uniform_work_group_size: 1
    .uses_dynamic_stack: false
    .vgpr_count:     0
    .vgpr_spill_count: 0
    .wavefront_size: 32
    .workgroup_processor_mode: 1
  - .args:
      - .offset:         0
        .size:           136
        .value_kind:     by_value
    .group_segment_fixed_size: 8464
    .kernarg_segment_align: 8
    .kernarg_segment_size: 136
    .language:       OpenCL C
    .language_version:
      - 2
      - 0
    .max_flat_workgroup_size: 256
    .name:           _ZN7rocprim17ROCPRIM_400000_NS6detail17trampoline_kernelINS0_14default_configENS1_25partition_config_selectorILNS1_17partition_subalgoE5ElNS0_10empty_typeEbEEZZNS1_14partition_implILS5_5ELb0ES3_mN6hipcub16HIPCUB_304000_NS21CountingInputIteratorIllEEPS6_NSA_22TransformInputIteratorIbN2at6native12_GLOBAL__N_19NonZeroOpIN3c104HalfEEEPKSK_lEENS0_5tupleIJPlS6_EEENSP_IJSD_SD_EEES6_PiJS6_EEE10hipError_tPvRmT3_T4_T5_T6_T7_T9_mT8_P12ihipStream_tbDpT10_ENKUlT_T0_E_clISt17integral_constantIbLb0EES1C_IbLb1EEEEDaS18_S19_EUlS18_E_NS1_11comp_targetILNS1_3genE10ELNS1_11target_archE1200ELNS1_3gpuE4ELNS1_3repE0EEENS1_30default_config_static_selectorELNS0_4arch9wavefront6targetE0EEEvT1_
    .private_segment_fixed_size: 0
    .sgpr_count:     26
    .sgpr_spill_count: 0
    .symbol:         _ZN7rocprim17ROCPRIM_400000_NS6detail17trampoline_kernelINS0_14default_configENS1_25partition_config_selectorILNS1_17partition_subalgoE5ElNS0_10empty_typeEbEEZZNS1_14partition_implILS5_5ELb0ES3_mN6hipcub16HIPCUB_304000_NS21CountingInputIteratorIllEEPS6_NSA_22TransformInputIteratorIbN2at6native12_GLOBAL__N_19NonZeroOpIN3c104HalfEEEPKSK_lEENS0_5tupleIJPlS6_EEENSP_IJSD_SD_EEES6_PiJS6_EEE10hipError_tPvRmT3_T4_T5_T6_T7_T9_mT8_P12ihipStream_tbDpT10_ENKUlT_T0_E_clISt17integral_constantIbLb0EES1C_IbLb1EEEEDaS18_S19_EUlS18_E_NS1_11comp_targetILNS1_3genE10ELNS1_11target_archE1200ELNS1_3gpuE4ELNS1_3repE0EEENS1_30default_config_static_selectorELNS0_4arch9wavefront6targetE0EEEvT1_.kd
    .uniform_work_group_size: 1
    .uses_dynamic_stack: false
    .vgpr_count:     48
    .vgpr_spill_count: 0
    .wavefront_size: 32
    .workgroup_processor_mode: 1
  - .args:
      - .offset:         0
        .size:           136
        .value_kind:     by_value
    .group_segment_fixed_size: 0
    .kernarg_segment_align: 8
    .kernarg_segment_size: 136
    .language:       OpenCL C
    .language_version:
      - 2
      - 0
    .max_flat_workgroup_size: 128
    .name:           _ZN7rocprim17ROCPRIM_400000_NS6detail17trampoline_kernelINS0_14default_configENS1_25partition_config_selectorILNS1_17partition_subalgoE5ElNS0_10empty_typeEbEEZZNS1_14partition_implILS5_5ELb0ES3_mN6hipcub16HIPCUB_304000_NS21CountingInputIteratorIllEEPS6_NSA_22TransformInputIteratorIbN2at6native12_GLOBAL__N_19NonZeroOpIN3c104HalfEEEPKSK_lEENS0_5tupleIJPlS6_EEENSP_IJSD_SD_EEES6_PiJS6_EEE10hipError_tPvRmT3_T4_T5_T6_T7_T9_mT8_P12ihipStream_tbDpT10_ENKUlT_T0_E_clISt17integral_constantIbLb0EES1C_IbLb1EEEEDaS18_S19_EUlS18_E_NS1_11comp_targetILNS1_3genE9ELNS1_11target_archE1100ELNS1_3gpuE3ELNS1_3repE0EEENS1_30default_config_static_selectorELNS0_4arch9wavefront6targetE0EEEvT1_
    .private_segment_fixed_size: 0
    .sgpr_count:     0
    .sgpr_spill_count: 0
    .symbol:         _ZN7rocprim17ROCPRIM_400000_NS6detail17trampoline_kernelINS0_14default_configENS1_25partition_config_selectorILNS1_17partition_subalgoE5ElNS0_10empty_typeEbEEZZNS1_14partition_implILS5_5ELb0ES3_mN6hipcub16HIPCUB_304000_NS21CountingInputIteratorIllEEPS6_NSA_22TransformInputIteratorIbN2at6native12_GLOBAL__N_19NonZeroOpIN3c104HalfEEEPKSK_lEENS0_5tupleIJPlS6_EEENSP_IJSD_SD_EEES6_PiJS6_EEE10hipError_tPvRmT3_T4_T5_T6_T7_T9_mT8_P12ihipStream_tbDpT10_ENKUlT_T0_E_clISt17integral_constantIbLb0EES1C_IbLb1EEEEDaS18_S19_EUlS18_E_NS1_11comp_targetILNS1_3genE9ELNS1_11target_archE1100ELNS1_3gpuE3ELNS1_3repE0EEENS1_30default_config_static_selectorELNS0_4arch9wavefront6targetE0EEEvT1_.kd
    .uniform_work_group_size: 1
    .uses_dynamic_stack: false
    .vgpr_count:     0
    .vgpr_spill_count: 0
    .wavefront_size: 32
    .workgroup_processor_mode: 1
  - .args:
      - .offset:         0
        .size:           136
        .value_kind:     by_value
    .group_segment_fixed_size: 0
    .kernarg_segment_align: 8
    .kernarg_segment_size: 136
    .language:       OpenCL C
    .language_version:
      - 2
      - 0
    .max_flat_workgroup_size: 512
    .name:           _ZN7rocprim17ROCPRIM_400000_NS6detail17trampoline_kernelINS0_14default_configENS1_25partition_config_selectorILNS1_17partition_subalgoE5ElNS0_10empty_typeEbEEZZNS1_14partition_implILS5_5ELb0ES3_mN6hipcub16HIPCUB_304000_NS21CountingInputIteratorIllEEPS6_NSA_22TransformInputIteratorIbN2at6native12_GLOBAL__N_19NonZeroOpIN3c104HalfEEEPKSK_lEENS0_5tupleIJPlS6_EEENSP_IJSD_SD_EEES6_PiJS6_EEE10hipError_tPvRmT3_T4_T5_T6_T7_T9_mT8_P12ihipStream_tbDpT10_ENKUlT_T0_E_clISt17integral_constantIbLb0EES1C_IbLb1EEEEDaS18_S19_EUlS18_E_NS1_11comp_targetILNS1_3genE8ELNS1_11target_archE1030ELNS1_3gpuE2ELNS1_3repE0EEENS1_30default_config_static_selectorELNS0_4arch9wavefront6targetE0EEEvT1_
    .private_segment_fixed_size: 0
    .sgpr_count:     0
    .sgpr_spill_count: 0
    .symbol:         _ZN7rocprim17ROCPRIM_400000_NS6detail17trampoline_kernelINS0_14default_configENS1_25partition_config_selectorILNS1_17partition_subalgoE5ElNS0_10empty_typeEbEEZZNS1_14partition_implILS5_5ELb0ES3_mN6hipcub16HIPCUB_304000_NS21CountingInputIteratorIllEEPS6_NSA_22TransformInputIteratorIbN2at6native12_GLOBAL__N_19NonZeroOpIN3c104HalfEEEPKSK_lEENS0_5tupleIJPlS6_EEENSP_IJSD_SD_EEES6_PiJS6_EEE10hipError_tPvRmT3_T4_T5_T6_T7_T9_mT8_P12ihipStream_tbDpT10_ENKUlT_T0_E_clISt17integral_constantIbLb0EES1C_IbLb1EEEEDaS18_S19_EUlS18_E_NS1_11comp_targetILNS1_3genE8ELNS1_11target_archE1030ELNS1_3gpuE2ELNS1_3repE0EEENS1_30default_config_static_selectorELNS0_4arch9wavefront6targetE0EEEvT1_.kd
    .uniform_work_group_size: 1
    .uses_dynamic_stack: false
    .vgpr_count:     0
    .vgpr_spill_count: 0
    .wavefront_size: 32
    .workgroup_processor_mode: 1
  - .args:
      - .address_space:  global
        .offset:         0
        .size:           8
        .value_kind:     global_buffer
      - .address_space:  global
        .offset:         8
        .size:           8
        .value_kind:     global_buffer
      - .offset:         16
        .size:           8
        .value_kind:     by_value
      - .offset:         24
        .size:           4
        .value_kind:     by_value
    .group_segment_fixed_size: 64
    .kernarg_segment_align: 8
    .kernarg_segment_size: 28
    .language:       OpenCL C
    .language_version:
      - 2
      - 0
    .max_flat_workgroup_size: 1024
    .name:           _ZN2at4cuda3cub15calc_block_sumsILi512ELi16ELb1EhiEEvPKT2_PT3_li
    .private_segment_fixed_size: 0
    .sgpr_count:     18
    .sgpr_spill_count: 0
    .symbol:         _ZN2at4cuda3cub15calc_block_sumsILi512ELi16ELb1EhiEEvPKT2_PT3_li.kd
    .uniform_work_group_size: 1
    .uses_dynamic_stack: false
    .vgpr_count:     38
    .vgpr_spill_count: 0
    .wavefront_size: 32
    .workgroup_processor_mode: 1
  - .args:
      - .address_space:  global
        .offset:         0
        .size:           8
        .value_kind:     global_buffer
      - .address_space:  global
        .offset:         8
        .size:           8
        .value_kind:     global_buffer
      - .offset:         16
        .size:           4
        .value_kind:     by_value
    .group_segment_fixed_size: 128
    .kernarg_segment_align: 8
    .kernarg_segment_size: 20
    .language:       OpenCL C
    .language_version:
      - 2
      - 0
    .max_flat_workgroup_size: 1024
    .name:           _ZN2at6native12_GLOBAL__N_111compute_aggILi512EEEvPiPlj
    .private_segment_fixed_size: 0
    .sgpr_count:     10
    .sgpr_spill_count: 0
    .symbol:         _ZN2at6native12_GLOBAL__N_111compute_aggILi512EEEvPiPlj.kd
    .uniform_work_group_size: 1
    .uses_dynamic_stack: false
    .vgpr_count:     10
    .vgpr_spill_count: 0
    .wavefront_size: 32
    .workgroup_processor_mode: 1
  - .args:
      - .address_space:  global
        .offset:         0
        .size:           8
        .value_kind:     global_buffer
      - .address_space:  global
        .offset:         8
        .size:           8
        .value_kind:     global_buffer
      - .address_space:  global
        .offset:         16
        .size:           8
        .value_kind:     global_buffer
      - .offset:         24
        .size:           8
        .value_kind:     by_value
      - .offset:         32
        .size:           8
        .value_kind:     by_value
      - .offset:         40
        .size:           4
        .value_kind:     by_value
      - .offset:         48
        .size:           4
        .value_kind:     hidden_block_count_x
      - .offset:         52
        .size:           4
        .value_kind:     hidden_block_count_y
      - .offset:         56
        .size:           4
        .value_kind:     hidden_block_count_z
      - .offset:         60
        .size:           2
        .value_kind:     hidden_group_size_x
      - .offset:         62
        .size:           2
        .value_kind:     hidden_group_size_y
      - .offset:         64
        .size:           2
        .value_kind:     hidden_group_size_z
      - .offset:         66
        .size:           2
        .value_kind:     hidden_remainder_x
      - .offset:         68
        .size:           2
        .value_kind:     hidden_remainder_y
      - .offset:         70
        .size:           2
        .value_kind:     hidden_remainder_z
      - .offset:         88
        .size:           8
        .value_kind:     hidden_global_offset_x
      - .offset:         96
        .size:           8
        .value_kind:     hidden_global_offset_y
      - .offset:         104
        .size:           8
        .value_kind:     hidden_global_offset_z
      - .offset:         112
        .size:           2
        .value_kind:     hidden_grid_dims
    .group_segment_fixed_size: 33796
    .kernarg_segment_align: 8
    .kernarg_segment_size: 304
    .language:       OpenCL C
    .language_version:
      - 2
      - 0
    .max_flat_workgroup_size: 1024
    .name:           _ZN2at6native12_GLOBAL__N_111flag_kernelILi512ELi16EhEEvPKT1_PlPKllli
    .private_segment_fixed_size: 0
    .sgpr_count:     29
    .sgpr_spill_count: 0
    .symbol:         _ZN2at6native12_GLOBAL__N_111flag_kernelILi512ELi16EhEEvPKT1_PlPKllli.kd
    .uniform_work_group_size: 1
    .uses_dynamic_stack: false
    .vgpr_count:     100
    .vgpr_spill_count: 0
    .wavefront_size: 32
    .workgroup_processor_mode: 1
  - .args:
      - .address_space:  global
        .offset:         0
        .size:           8
        .value_kind:     global_buffer
      - .address_space:  global
        .offset:         8
        .size:           8
        .value_kind:     global_buffer
      - .offset:         16
        .size:           8
        .value_kind:     by_value
      - .offset:         24
        .size:           4
        .value_kind:     by_value
    .group_segment_fixed_size: 64
    .kernarg_segment_align: 8
    .kernarg_segment_size: 28
    .language:       OpenCL C
    .language_version:
      - 2
      - 0
    .max_flat_workgroup_size: 1024
    .name:           _ZN2at4cuda3cub15calc_block_sumsILi512ELi16ELb1EaiEEvPKT2_PT3_li
    .private_segment_fixed_size: 0
    .sgpr_count:     18
    .sgpr_spill_count: 0
    .symbol:         _ZN2at4cuda3cub15calc_block_sumsILi512ELi16ELb1EaiEEvPKT2_PT3_li.kd
    .uniform_work_group_size: 1
    .uses_dynamic_stack: false
    .vgpr_count:     38
    .vgpr_spill_count: 0
    .wavefront_size: 32
    .workgroup_processor_mode: 1
  - .args:
      - .address_space:  global
        .offset:         0
        .size:           8
        .value_kind:     global_buffer
      - .address_space:  global
        .offset:         8
        .size:           8
        .value_kind:     global_buffer
      - .address_space:  global
        .offset:         16
        .size:           8
        .value_kind:     global_buffer
      - .offset:         24
        .size:           8
        .value_kind:     by_value
      - .offset:         32
        .size:           8
        .value_kind:     by_value
      - .offset:         40
        .size:           4
        .value_kind:     by_value
      - .offset:         48
        .size:           4
        .value_kind:     hidden_block_count_x
      - .offset:         52
        .size:           4
        .value_kind:     hidden_block_count_y
      - .offset:         56
        .size:           4
        .value_kind:     hidden_block_count_z
      - .offset:         60
        .size:           2
        .value_kind:     hidden_group_size_x
      - .offset:         62
        .size:           2
        .value_kind:     hidden_group_size_y
      - .offset:         64
        .size:           2
        .value_kind:     hidden_group_size_z
      - .offset:         66
        .size:           2
        .value_kind:     hidden_remainder_x
      - .offset:         68
        .size:           2
        .value_kind:     hidden_remainder_y
      - .offset:         70
        .size:           2
        .value_kind:     hidden_remainder_z
      - .offset:         88
        .size:           8
        .value_kind:     hidden_global_offset_x
      - .offset:         96
        .size:           8
        .value_kind:     hidden_global_offset_y
      - .offset:         104
        .size:           8
        .value_kind:     hidden_global_offset_z
      - .offset:         112
        .size:           2
        .value_kind:     hidden_grid_dims
    .group_segment_fixed_size: 33796
    .kernarg_segment_align: 8
    .kernarg_segment_size: 304
    .language:       OpenCL C
    .language_version:
      - 2
      - 0
    .max_flat_workgroup_size: 1024
    .name:           _ZN2at6native12_GLOBAL__N_111flag_kernelILi512ELi16EaEEvPKT1_PlPKllli
    .private_segment_fixed_size: 0
    .sgpr_count:     29
    .sgpr_spill_count: 0
    .symbol:         _ZN2at6native12_GLOBAL__N_111flag_kernelILi512ELi16EaEEvPKT1_PlPKllli.kd
    .uniform_work_group_size: 1
    .uses_dynamic_stack: false
    .vgpr_count:     100
    .vgpr_spill_count: 0
    .wavefront_size: 32
    .workgroup_processor_mode: 1
  - .args:
      - .address_space:  global
        .offset:         0
        .size:           8
        .value_kind:     global_buffer
      - .address_space:  global
        .offset:         8
        .size:           8
        .value_kind:     global_buffer
      - .offset:         16
        .size:           8
        .value_kind:     by_value
      - .offset:         24
        .size:           4
        .value_kind:     by_value
    .group_segment_fixed_size: 64
    .kernarg_segment_align: 8
    .kernarg_segment_size: 28
    .language:       OpenCL C
    .language_version:
      - 2
      - 0
    .max_flat_workgroup_size: 1024
    .name:           _ZN2at4cuda3cub15calc_block_sumsILi512ELi16ELb1EiiEEvPKT2_PT3_li
    .private_segment_fixed_size: 0
    .sgpr_count:     16
    .sgpr_spill_count: 0
    .symbol:         _ZN2at4cuda3cub15calc_block_sumsILi512ELi16ELb1EiiEEvPKT2_PT3_li.kd
    .uniform_work_group_size: 1
    .uses_dynamic_stack: false
    .vgpr_count:     38
    .vgpr_spill_count: 0
    .wavefront_size: 32
    .workgroup_processor_mode: 1
  - .args:
      - .address_space:  global
        .offset:         0
        .size:           8
        .value_kind:     global_buffer
      - .address_space:  global
        .offset:         8
        .size:           8
        .value_kind:     global_buffer
      - .address_space:  global
        .offset:         16
        .size:           8
        .value_kind:     global_buffer
      - .offset:         24
        .size:           8
        .value_kind:     by_value
      - .offset:         32
        .size:           8
        .value_kind:     by_value
      - .offset:         40
        .size:           4
        .value_kind:     by_value
      - .offset:         48
        .size:           4
        .value_kind:     hidden_block_count_x
      - .offset:         52
        .size:           4
        .value_kind:     hidden_block_count_y
      - .offset:         56
        .size:           4
        .value_kind:     hidden_block_count_z
      - .offset:         60
        .size:           2
        .value_kind:     hidden_group_size_x
      - .offset:         62
        .size:           2
        .value_kind:     hidden_group_size_y
      - .offset:         64
        .size:           2
        .value_kind:     hidden_group_size_z
      - .offset:         66
        .size:           2
        .value_kind:     hidden_remainder_x
      - .offset:         68
        .size:           2
        .value_kind:     hidden_remainder_y
      - .offset:         70
        .size:           2
        .value_kind:     hidden_remainder_z
      - .offset:         88
        .size:           8
        .value_kind:     hidden_global_offset_x
      - .offset:         96
        .size:           8
        .value_kind:     hidden_global_offset_y
      - .offset:         104
        .size:           8
        .value_kind:     hidden_global_offset_z
      - .offset:         112
        .size:           2
        .value_kind:     hidden_grid_dims
    .group_segment_fixed_size: 33796
    .kernarg_segment_align: 8
    .kernarg_segment_size: 304
    .language:       OpenCL C
    .language_version:
      - 2
      - 0
    .max_flat_workgroup_size: 1024
    .name:           _ZN2at6native12_GLOBAL__N_111flag_kernelILi512ELi16EiEEvPKT1_PlPKllli
    .private_segment_fixed_size: 0
    .sgpr_count:     29
    .sgpr_spill_count: 0
    .symbol:         _ZN2at6native12_GLOBAL__N_111flag_kernelILi512ELi16EiEEvPKT1_PlPKllli.kd
    .uniform_work_group_size: 1
    .uses_dynamic_stack: false
    .vgpr_count:     100
    .vgpr_spill_count: 0
    .wavefront_size: 32
    .workgroup_processor_mode: 1
  - .args:
      - .address_space:  global
        .offset:         0
        .size:           8
        .value_kind:     global_buffer
      - .address_space:  global
        .offset:         8
        .size:           8
        .value_kind:     global_buffer
      - .offset:         16
        .size:           8
        .value_kind:     by_value
      - .offset:         24
        .size:           4
        .value_kind:     by_value
    .group_segment_fixed_size: 64
    .kernarg_segment_align: 8
    .kernarg_segment_size: 28
    .language:       OpenCL C
    .language_version:
      - 2
      - 0
    .max_flat_workgroup_size: 1024
    .name:           _ZN2at4cuda3cub15calc_block_sumsILi512ELi16ELb1EliEEvPKT2_PT3_li
    .private_segment_fixed_size: 0
    .sgpr_count:     16
    .sgpr_spill_count: 0
    .symbol:         _ZN2at4cuda3cub15calc_block_sumsILi512ELi16ELb1EliEEvPKT2_PT3_li.kd
    .uniform_work_group_size: 1
    .uses_dynamic_stack: false
    .vgpr_count:     54
    .vgpr_spill_count: 0
    .wavefront_size: 32
    .workgroup_processor_mode: 1
  - .args:
      - .address_space:  global
        .offset:         0
        .size:           8
        .value_kind:     global_buffer
      - .address_space:  global
        .offset:         8
        .size:           8
        .value_kind:     global_buffer
      - .address_space:  global
        .offset:         16
        .size:           8
        .value_kind:     global_buffer
      - .offset:         24
        .size:           8
        .value_kind:     by_value
      - .offset:         32
        .size:           8
        .value_kind:     by_value
      - .offset:         40
        .size:           4
        .value_kind:     by_value
      - .offset:         48
        .size:           4
        .value_kind:     hidden_block_count_x
      - .offset:         52
        .size:           4
        .value_kind:     hidden_block_count_y
      - .offset:         56
        .size:           4
        .value_kind:     hidden_block_count_z
      - .offset:         60
        .size:           2
        .value_kind:     hidden_group_size_x
      - .offset:         62
        .size:           2
        .value_kind:     hidden_group_size_y
      - .offset:         64
        .size:           2
        .value_kind:     hidden_group_size_z
      - .offset:         66
        .size:           2
        .value_kind:     hidden_remainder_x
      - .offset:         68
        .size:           2
        .value_kind:     hidden_remainder_y
      - .offset:         70
        .size:           2
        .value_kind:     hidden_remainder_z
      - .offset:         88
        .size:           8
        .value_kind:     hidden_global_offset_x
      - .offset:         96
        .size:           8
        .value_kind:     hidden_global_offset_y
      - .offset:         104
        .size:           8
        .value_kind:     hidden_global_offset_z
      - .offset:         112
        .size:           2
        .value_kind:     hidden_grid_dims
    .group_segment_fixed_size: 33796
    .kernarg_segment_align: 8
    .kernarg_segment_size: 304
    .language:       OpenCL C
    .language_version:
      - 2
      - 0
    .max_flat_workgroup_size: 1024
    .name:           _ZN2at6native12_GLOBAL__N_111flag_kernelILi512ELi16ElEEvPKT1_PlPKllli
    .private_segment_fixed_size: 0
    .sgpr_count:     29
    .sgpr_spill_count: 0
    .symbol:         _ZN2at6native12_GLOBAL__N_111flag_kernelILi512ELi16ElEEvPKT1_PlPKllli.kd
    .uniform_work_group_size: 1
    .uses_dynamic_stack: false
    .vgpr_count:     100
    .vgpr_spill_count: 0
    .wavefront_size: 32
    .workgroup_processor_mode: 1
  - .args:
      - .address_space:  global
        .offset:         0
        .size:           8
        .value_kind:     global_buffer
      - .address_space:  global
        .offset:         8
        .size:           8
        .value_kind:     global_buffer
      - .offset:         16
        .size:           8
        .value_kind:     by_value
      - .offset:         24
        .size:           4
        .value_kind:     by_value
    .group_segment_fixed_size: 64
    .kernarg_segment_align: 8
    .kernarg_segment_size: 28
    .language:       OpenCL C
    .language_version:
      - 2
      - 0
    .max_flat_workgroup_size: 1024
    .name:           _ZN2at4cuda3cub15calc_block_sumsILi512ELi16ELb1EsiEEvPKT2_PT3_li
    .private_segment_fixed_size: 0
    .sgpr_count:     16
    .sgpr_spill_count: 0
    .symbol:         _ZN2at4cuda3cub15calc_block_sumsILi512ELi16ELb1EsiEEvPKT2_PT3_li.kd
    .uniform_work_group_size: 1
    .uses_dynamic_stack: false
    .vgpr_count:     38
    .vgpr_spill_count: 0
    .wavefront_size: 32
    .workgroup_processor_mode: 1
  - .args:
      - .address_space:  global
        .offset:         0
        .size:           8
        .value_kind:     global_buffer
      - .address_space:  global
        .offset:         8
        .size:           8
        .value_kind:     global_buffer
      - .address_space:  global
        .offset:         16
        .size:           8
        .value_kind:     global_buffer
      - .offset:         24
        .size:           8
        .value_kind:     by_value
      - .offset:         32
        .size:           8
        .value_kind:     by_value
      - .offset:         40
        .size:           4
        .value_kind:     by_value
      - .offset:         48
        .size:           4
        .value_kind:     hidden_block_count_x
      - .offset:         52
        .size:           4
        .value_kind:     hidden_block_count_y
      - .offset:         56
        .size:           4
        .value_kind:     hidden_block_count_z
      - .offset:         60
        .size:           2
        .value_kind:     hidden_group_size_x
      - .offset:         62
        .size:           2
        .value_kind:     hidden_group_size_y
      - .offset:         64
        .size:           2
        .value_kind:     hidden_group_size_z
      - .offset:         66
        .size:           2
        .value_kind:     hidden_remainder_x
      - .offset:         68
        .size:           2
        .value_kind:     hidden_remainder_y
      - .offset:         70
        .size:           2
        .value_kind:     hidden_remainder_z
      - .offset:         88
        .size:           8
        .value_kind:     hidden_global_offset_x
      - .offset:         96
        .size:           8
        .value_kind:     hidden_global_offset_y
      - .offset:         104
        .size:           8
        .value_kind:     hidden_global_offset_z
      - .offset:         112
        .size:           2
        .value_kind:     hidden_grid_dims
    .group_segment_fixed_size: 33796
    .kernarg_segment_align: 8
    .kernarg_segment_size: 304
    .language:       OpenCL C
    .language_version:
      - 2
      - 0
    .max_flat_workgroup_size: 1024
    .name:           _ZN2at6native12_GLOBAL__N_111flag_kernelILi512ELi16EsEEvPKT1_PlPKllli
    .private_segment_fixed_size: 0
    .sgpr_count:     29
    .sgpr_spill_count: 0
    .symbol:         _ZN2at6native12_GLOBAL__N_111flag_kernelILi512ELi16EsEEvPKT1_PlPKllli.kd
    .uniform_work_group_size: 1
    .uses_dynamic_stack: false
    .vgpr_count:     100
    .vgpr_spill_count: 0
    .wavefront_size: 32
    .workgroup_processor_mode: 1
  - .args:
      - .address_space:  global
        .offset:         0
        .size:           8
        .value_kind:     global_buffer
      - .address_space:  global
        .offset:         8
        .size:           8
        .value_kind:     global_buffer
      - .offset:         16
        .size:           8
        .value_kind:     by_value
      - .offset:         24
        .size:           4
        .value_kind:     by_value
    .group_segment_fixed_size: 64
    .kernarg_segment_align: 8
    .kernarg_segment_size: 28
    .language:       OpenCL C
    .language_version:
      - 2
      - 0
    .max_flat_workgroup_size: 1024
    .name:           _ZN2at4cuda3cub15calc_block_sumsILi512ELi16ELb1EdiEEvPKT2_PT3_li
    .private_segment_fixed_size: 0
    .sgpr_count:     16
    .sgpr_spill_count: 0
    .symbol:         _ZN2at4cuda3cub15calc_block_sumsILi512ELi16ELb1EdiEEvPKT2_PT3_li.kd
    .uniform_work_group_size: 1
    .uses_dynamic_stack: false
    .vgpr_count:     54
    .vgpr_spill_count: 0
    .wavefront_size: 32
    .workgroup_processor_mode: 1
  - .args:
      - .address_space:  global
        .offset:         0
        .size:           8
        .value_kind:     global_buffer
      - .address_space:  global
        .offset:         8
        .size:           8
        .value_kind:     global_buffer
      - .address_space:  global
        .offset:         16
        .size:           8
        .value_kind:     global_buffer
      - .offset:         24
        .size:           8
        .value_kind:     by_value
      - .offset:         32
        .size:           8
        .value_kind:     by_value
      - .offset:         40
        .size:           4
        .value_kind:     by_value
      - .offset:         48
        .size:           4
        .value_kind:     hidden_block_count_x
      - .offset:         52
        .size:           4
        .value_kind:     hidden_block_count_y
      - .offset:         56
        .size:           4
        .value_kind:     hidden_block_count_z
      - .offset:         60
        .size:           2
        .value_kind:     hidden_group_size_x
      - .offset:         62
        .size:           2
        .value_kind:     hidden_group_size_y
      - .offset:         64
        .size:           2
        .value_kind:     hidden_group_size_z
      - .offset:         66
        .size:           2
        .value_kind:     hidden_remainder_x
      - .offset:         68
        .size:           2
        .value_kind:     hidden_remainder_y
      - .offset:         70
        .size:           2
        .value_kind:     hidden_remainder_z
      - .offset:         88
        .size:           8
        .value_kind:     hidden_global_offset_x
      - .offset:         96
        .size:           8
        .value_kind:     hidden_global_offset_y
      - .offset:         104
        .size:           8
        .value_kind:     hidden_global_offset_z
      - .offset:         112
        .size:           2
        .value_kind:     hidden_grid_dims
    .group_segment_fixed_size: 33796
    .kernarg_segment_align: 8
    .kernarg_segment_size: 304
    .language:       OpenCL C
    .language_version:
      - 2
      - 0
    .max_flat_workgroup_size: 1024
    .name:           _ZN2at6native12_GLOBAL__N_111flag_kernelILi512ELi16EdEEvPKT1_PlPKllli
    .private_segment_fixed_size: 0
    .sgpr_count:     29
    .sgpr_spill_count: 0
    .symbol:         _ZN2at6native12_GLOBAL__N_111flag_kernelILi512ELi16EdEEvPKT1_PlPKllli.kd
    .uniform_work_group_size: 1
    .uses_dynamic_stack: false
    .vgpr_count:     100
    .vgpr_spill_count: 0
    .wavefront_size: 32
    .workgroup_processor_mode: 1
  - .args:
      - .address_space:  global
        .offset:         0
        .size:           8
        .value_kind:     global_buffer
      - .address_space:  global
        .offset:         8
        .size:           8
        .value_kind:     global_buffer
      - .offset:         16
        .size:           8
        .value_kind:     by_value
      - .offset:         24
        .size:           4
        .value_kind:     by_value
    .group_segment_fixed_size: 64
    .kernarg_segment_align: 8
    .kernarg_segment_size: 28
    .language:       OpenCL C
    .language_version:
      - 2
      - 0
    .max_flat_workgroup_size: 1024
    .name:           _ZN2at4cuda3cub15calc_block_sumsILi512ELi16ELb1EfiEEvPKT2_PT3_li
    .private_segment_fixed_size: 0
    .sgpr_count:     16
    .sgpr_spill_count: 0
    .symbol:         _ZN2at4cuda3cub15calc_block_sumsILi512ELi16ELb1EfiEEvPKT2_PT3_li.kd
    .uniform_work_group_size: 1
    .uses_dynamic_stack: false
    .vgpr_count:     38
    .vgpr_spill_count: 0
    .wavefront_size: 32
    .workgroup_processor_mode: 1
  - .args:
      - .address_space:  global
        .offset:         0
        .size:           8
        .value_kind:     global_buffer
      - .address_space:  global
        .offset:         8
        .size:           8
        .value_kind:     global_buffer
      - .address_space:  global
        .offset:         16
        .size:           8
        .value_kind:     global_buffer
      - .offset:         24
        .size:           8
        .value_kind:     by_value
      - .offset:         32
        .size:           8
        .value_kind:     by_value
      - .offset:         40
        .size:           4
        .value_kind:     by_value
      - .offset:         48
        .size:           4
        .value_kind:     hidden_block_count_x
      - .offset:         52
        .size:           4
        .value_kind:     hidden_block_count_y
      - .offset:         56
        .size:           4
        .value_kind:     hidden_block_count_z
      - .offset:         60
        .size:           2
        .value_kind:     hidden_group_size_x
      - .offset:         62
        .size:           2
        .value_kind:     hidden_group_size_y
      - .offset:         64
        .size:           2
        .value_kind:     hidden_group_size_z
      - .offset:         66
        .size:           2
        .value_kind:     hidden_remainder_x
      - .offset:         68
        .size:           2
        .value_kind:     hidden_remainder_y
      - .offset:         70
        .size:           2
        .value_kind:     hidden_remainder_z
      - .offset:         88
        .size:           8
        .value_kind:     hidden_global_offset_x
      - .offset:         96
        .size:           8
        .value_kind:     hidden_global_offset_y
      - .offset:         104
        .size:           8
        .value_kind:     hidden_global_offset_z
      - .offset:         112
        .size:           2
        .value_kind:     hidden_grid_dims
    .group_segment_fixed_size: 33796
    .kernarg_segment_align: 8
    .kernarg_segment_size: 304
    .language:       OpenCL C
    .language_version:
      - 2
      - 0
    .max_flat_workgroup_size: 1024
    .name:           _ZN2at6native12_GLOBAL__N_111flag_kernelILi512ELi16EfEEvPKT1_PlPKllli
    .private_segment_fixed_size: 0
    .sgpr_count:     29
    .sgpr_spill_count: 0
    .symbol:         _ZN2at6native12_GLOBAL__N_111flag_kernelILi512ELi16EfEEvPKT1_PlPKllli.kd
    .uniform_work_group_size: 1
    .uses_dynamic_stack: false
    .vgpr_count:     100
    .vgpr_spill_count: 0
    .wavefront_size: 32
    .workgroup_processor_mode: 1
  - .args:
      - .address_space:  global
        .offset:         0
        .size:           8
        .value_kind:     global_buffer
      - .address_space:  global
        .offset:         8
        .size:           8
        .value_kind:     global_buffer
      - .offset:         16
        .size:           8
        .value_kind:     by_value
      - .offset:         24
        .size:           4
        .value_kind:     by_value
    .group_segment_fixed_size: 64
    .kernarg_segment_align: 8
    .kernarg_segment_size: 28
    .language:       OpenCL C
    .language_version:
      - 2
      - 0
    .max_flat_workgroup_size: 1024
    .name:           _ZN2at4cuda3cub15calc_block_sumsILi512ELi16ELb1EN3c107complexIdEEiEEvPKT2_PT3_li
    .private_segment_fixed_size: 0
    .sgpr_count:     45
    .sgpr_spill_count: 0
    .symbol:         _ZN2at4cuda3cub15calc_block_sumsILi512ELi16ELb1EN3c107complexIdEEiEEvPKT2_PT3_li.kd
    .uniform_work_group_size: 1
    .uses_dynamic_stack: false
    .vgpr_count:     86
    .vgpr_spill_count: 0
    .wavefront_size: 32
    .workgroup_processor_mode: 1
  - .args:
      - .address_space:  global
        .offset:         0
        .size:           8
        .value_kind:     global_buffer
      - .address_space:  global
        .offset:         8
        .size:           8
        .value_kind:     global_buffer
      - .address_space:  global
        .offset:         16
        .size:           8
        .value_kind:     global_buffer
      - .offset:         24
        .size:           8
        .value_kind:     by_value
      - .offset:         32
        .size:           8
        .value_kind:     by_value
      - .offset:         40
        .size:           4
        .value_kind:     by_value
      - .offset:         48
        .size:           4
        .value_kind:     hidden_block_count_x
      - .offset:         52
        .size:           4
        .value_kind:     hidden_block_count_y
      - .offset:         56
        .size:           4
        .value_kind:     hidden_block_count_z
      - .offset:         60
        .size:           2
        .value_kind:     hidden_group_size_x
      - .offset:         62
        .size:           2
        .value_kind:     hidden_group_size_y
      - .offset:         64
        .size:           2
        .value_kind:     hidden_group_size_z
      - .offset:         66
        .size:           2
        .value_kind:     hidden_remainder_x
      - .offset:         68
        .size:           2
        .value_kind:     hidden_remainder_y
      - .offset:         70
        .size:           2
        .value_kind:     hidden_remainder_z
      - .offset:         88
        .size:           8
        .value_kind:     hidden_global_offset_x
      - .offset:         96
        .size:           8
        .value_kind:     hidden_global_offset_y
      - .offset:         104
        .size:           8
        .value_kind:     hidden_global_offset_z
      - .offset:         112
        .size:           2
        .value_kind:     hidden_grid_dims
    .group_segment_fixed_size: 33796
    .kernarg_segment_align: 8
    .kernarg_segment_size: 304
    .language:       OpenCL C
    .language_version:
      - 2
      - 0
    .max_flat_workgroup_size: 1024
    .name:           _ZN2at6native12_GLOBAL__N_111flag_kernelILi512ELi16EN3c107complexIdEEEEvPKT1_PlPKllli
    .private_segment_fixed_size: 0
    .sgpr_count:     55
    .sgpr_spill_count: 0
    .symbol:         _ZN2at6native12_GLOBAL__N_111flag_kernelILi512ELi16EN3c107complexIdEEEEvPKT1_PlPKllli.kd
    .uniform_work_group_size: 1
    .uses_dynamic_stack: false
    .vgpr_count:     126
    .vgpr_spill_count: 0
    .wavefront_size: 32
    .workgroup_processor_mode: 1
  - .args:
      - .address_space:  global
        .offset:         0
        .size:           8
        .value_kind:     global_buffer
      - .address_space:  global
        .offset:         8
        .size:           8
        .value_kind:     global_buffer
      - .offset:         16
        .size:           8
        .value_kind:     by_value
      - .offset:         24
        .size:           4
        .value_kind:     by_value
    .group_segment_fixed_size: 64
    .kernarg_segment_align: 8
    .kernarg_segment_size: 28
    .language:       OpenCL C
    .language_version:
      - 2
      - 0
    .max_flat_workgroup_size: 1024
    .name:           _ZN2at4cuda3cub15calc_block_sumsILi512ELi16ELb1EN3c107complexIfEEiEEvPKT2_PT3_li
    .private_segment_fixed_size: 0
    .sgpr_count:     16
    .sgpr_spill_count: 0
    .symbol:         _ZN2at4cuda3cub15calc_block_sumsILi512ELi16ELb1EN3c107complexIfEEiEEvPKT2_PT3_li.kd
    .uniform_work_group_size: 1
    .uses_dynamic_stack: false
    .vgpr_count:     54
    .vgpr_spill_count: 0
    .wavefront_size: 32
    .workgroup_processor_mode: 1
  - .args:
      - .address_space:  global
        .offset:         0
        .size:           8
        .value_kind:     global_buffer
      - .address_space:  global
        .offset:         8
        .size:           8
        .value_kind:     global_buffer
      - .address_space:  global
        .offset:         16
        .size:           8
        .value_kind:     global_buffer
      - .offset:         24
        .size:           8
        .value_kind:     by_value
      - .offset:         32
        .size:           8
        .value_kind:     by_value
      - .offset:         40
        .size:           4
        .value_kind:     by_value
      - .offset:         48
        .size:           4
        .value_kind:     hidden_block_count_x
      - .offset:         52
        .size:           4
        .value_kind:     hidden_block_count_y
      - .offset:         56
        .size:           4
        .value_kind:     hidden_block_count_z
      - .offset:         60
        .size:           2
        .value_kind:     hidden_group_size_x
      - .offset:         62
        .size:           2
        .value_kind:     hidden_group_size_y
      - .offset:         64
        .size:           2
        .value_kind:     hidden_group_size_z
      - .offset:         66
        .size:           2
        .value_kind:     hidden_remainder_x
      - .offset:         68
        .size:           2
        .value_kind:     hidden_remainder_y
      - .offset:         70
        .size:           2
        .value_kind:     hidden_remainder_z
      - .offset:         88
        .size:           8
        .value_kind:     hidden_global_offset_x
      - .offset:         96
        .size:           8
        .value_kind:     hidden_global_offset_y
      - .offset:         104
        .size:           8
        .value_kind:     hidden_global_offset_z
      - .offset:         112
        .size:           2
        .value_kind:     hidden_grid_dims
    .group_segment_fixed_size: 33796
    .kernarg_segment_align: 8
    .kernarg_segment_size: 304
    .language:       OpenCL C
    .language_version:
      - 2
      - 0
    .max_flat_workgroup_size: 1024
    .name:           _ZN2at6native12_GLOBAL__N_111flag_kernelILi512ELi16EN3c107complexIfEEEEvPKT1_PlPKllli
    .private_segment_fixed_size: 0
    .sgpr_count:     55
    .sgpr_spill_count: 0
    .symbol:         _ZN2at6native12_GLOBAL__N_111flag_kernelILi512ELi16EN3c107complexIfEEEEvPKT1_PlPKllli.kd
    .uniform_work_group_size: 1
    .uses_dynamic_stack: false
    .vgpr_count:     100
    .vgpr_spill_count: 0
    .wavefront_size: 32
    .workgroup_processor_mode: 1
  - .args:
      - .address_space:  global
        .offset:         0
        .size:           8
        .value_kind:     global_buffer
      - .address_space:  global
        .offset:         8
        .size:           8
        .value_kind:     global_buffer
      - .offset:         16
        .size:           8
        .value_kind:     by_value
      - .offset:         24
        .size:           4
        .value_kind:     by_value
    .group_segment_fixed_size: 64
    .kernarg_segment_align: 8
    .kernarg_segment_size: 28
    .language:       OpenCL C
    .language_version:
      - 2
      - 0
    .max_flat_workgroup_size: 1024
    .name:           _ZN2at4cuda3cub15calc_block_sumsILi512ELi16ELb1EN3c107complexINS3_4HalfEEEiEEvPKT2_PT3_li
    .private_segment_fixed_size: 0
    .sgpr_count:     16
    .sgpr_spill_count: 0
    .symbol:         _ZN2at4cuda3cub15calc_block_sumsILi512ELi16ELb1EN3c107complexINS3_4HalfEEEiEEvPKT2_PT3_li.kd
    .uniform_work_group_size: 1
    .uses_dynamic_stack: false
    .vgpr_count:     38
    .vgpr_spill_count: 0
    .wavefront_size: 32
    .workgroup_processor_mode: 1
  - .args:
      - .address_space:  global
        .offset:         0
        .size:           8
        .value_kind:     global_buffer
      - .address_space:  global
        .offset:         8
        .size:           8
        .value_kind:     global_buffer
      - .address_space:  global
        .offset:         16
        .size:           8
        .value_kind:     global_buffer
      - .offset:         24
        .size:           8
        .value_kind:     by_value
      - .offset:         32
        .size:           8
        .value_kind:     by_value
      - .offset:         40
        .size:           4
        .value_kind:     by_value
      - .offset:         48
        .size:           4
        .value_kind:     hidden_block_count_x
      - .offset:         52
        .size:           4
        .value_kind:     hidden_block_count_y
      - .offset:         56
        .size:           4
        .value_kind:     hidden_block_count_z
      - .offset:         60
        .size:           2
        .value_kind:     hidden_group_size_x
      - .offset:         62
        .size:           2
        .value_kind:     hidden_group_size_y
      - .offset:         64
        .size:           2
        .value_kind:     hidden_group_size_z
      - .offset:         66
        .size:           2
        .value_kind:     hidden_remainder_x
      - .offset:         68
        .size:           2
        .value_kind:     hidden_remainder_y
      - .offset:         70
        .size:           2
        .value_kind:     hidden_remainder_z
      - .offset:         88
        .size:           8
        .value_kind:     hidden_global_offset_x
      - .offset:         96
        .size:           8
        .value_kind:     hidden_global_offset_y
      - .offset:         104
        .size:           8
        .value_kind:     hidden_global_offset_z
      - .offset:         112
        .size:           2
        .value_kind:     hidden_grid_dims
    .group_segment_fixed_size: 33796
    .kernarg_segment_align: 8
    .kernarg_segment_size: 304
    .language:       OpenCL C
    .language_version:
      - 2
      - 0
    .max_flat_workgroup_size: 1024
    .name:           _ZN2at6native12_GLOBAL__N_111flag_kernelILi512ELi16EN3c107complexINS3_4HalfEEEEEvPKT1_PlPKllli
    .private_segment_fixed_size: 0
    .sgpr_count:     29
    .sgpr_spill_count: 0
    .symbol:         _ZN2at6native12_GLOBAL__N_111flag_kernelILi512ELi16EN3c107complexINS3_4HalfEEEEEvPKT1_PlPKllli.kd
    .uniform_work_group_size: 1
    .uses_dynamic_stack: false
    .vgpr_count:     100
    .vgpr_spill_count: 0
    .wavefront_size: 32
    .workgroup_processor_mode: 1
  - .args:
      - .address_space:  global
        .offset:         0
        .size:           8
        .value_kind:     global_buffer
      - .address_space:  global
        .offset:         8
        .size:           8
        .value_kind:     global_buffer
      - .offset:         16
        .size:           8
        .value_kind:     by_value
      - .offset:         24
        .size:           4
        .value_kind:     by_value
    .group_segment_fixed_size: 64
    .kernarg_segment_align: 8
    .kernarg_segment_size: 28
    .language:       OpenCL C
    .language_version:
      - 2
      - 0
    .max_flat_workgroup_size: 1024
    .name:           _ZN2at4cuda3cub15calc_block_sumsILi512ELi16ELb1EbiEEvPKT2_PT3_li
    .private_segment_fixed_size: 0
    .sgpr_count:     18
    .sgpr_spill_count: 0
    .symbol:         _ZN2at4cuda3cub15calc_block_sumsILi512ELi16ELb1EbiEEvPKT2_PT3_li.kd
    .uniform_work_group_size: 1
    .uses_dynamic_stack: false
    .vgpr_count:     38
    .vgpr_spill_count: 0
    .wavefront_size: 32
    .workgroup_processor_mode: 1
  - .args:
      - .address_space:  global
        .offset:         0
        .size:           8
        .value_kind:     global_buffer
      - .address_space:  global
        .offset:         8
        .size:           8
        .value_kind:     global_buffer
      - .address_space:  global
        .offset:         16
        .size:           8
        .value_kind:     global_buffer
      - .offset:         24
        .size:           8
        .value_kind:     by_value
      - .offset:         32
        .size:           8
        .value_kind:     by_value
      - .offset:         40
        .size:           4
        .value_kind:     by_value
      - .offset:         48
        .size:           4
        .value_kind:     hidden_block_count_x
      - .offset:         52
        .size:           4
        .value_kind:     hidden_block_count_y
      - .offset:         56
        .size:           4
        .value_kind:     hidden_block_count_z
      - .offset:         60
        .size:           2
        .value_kind:     hidden_group_size_x
      - .offset:         62
        .size:           2
        .value_kind:     hidden_group_size_y
      - .offset:         64
        .size:           2
        .value_kind:     hidden_group_size_z
      - .offset:         66
        .size:           2
        .value_kind:     hidden_remainder_x
      - .offset:         68
        .size:           2
        .value_kind:     hidden_remainder_y
      - .offset:         70
        .size:           2
        .value_kind:     hidden_remainder_z
      - .offset:         88
        .size:           8
        .value_kind:     hidden_global_offset_x
      - .offset:         96
        .size:           8
        .value_kind:     hidden_global_offset_y
      - .offset:         104
        .size:           8
        .value_kind:     hidden_global_offset_z
      - .offset:         112
        .size:           2
        .value_kind:     hidden_grid_dims
    .group_segment_fixed_size: 33796
    .kernarg_segment_align: 8
    .kernarg_segment_size: 304
    .language:       OpenCL C
    .language_version:
      - 2
      - 0
    .max_flat_workgroup_size: 1024
    .name:           _ZN2at6native12_GLOBAL__N_111flag_kernelILi512ELi16EbEEvPKT1_PlPKllli
    .private_segment_fixed_size: 0
    .sgpr_count:     29
    .sgpr_spill_count: 0
    .symbol:         _ZN2at6native12_GLOBAL__N_111flag_kernelILi512ELi16EbEEvPKT1_PlPKllli.kd
    .uniform_work_group_size: 1
    .uses_dynamic_stack: false
    .vgpr_count:     100
    .vgpr_spill_count: 0
    .wavefront_size: 32
    .workgroup_processor_mode: 1
  - .args:
      - .address_space:  global
        .offset:         0
        .size:           8
        .value_kind:     global_buffer
      - .address_space:  global
        .offset:         8
        .size:           8
        .value_kind:     global_buffer
      - .offset:         16
        .size:           8
        .value_kind:     by_value
      - .offset:         24
        .size:           4
        .value_kind:     by_value
    .group_segment_fixed_size: 64
    .kernarg_segment_align: 8
    .kernarg_segment_size: 28
    .language:       OpenCL C
    .language_version:
      - 2
      - 0
    .max_flat_workgroup_size: 1024
    .name:           _ZN2at4cuda3cub15calc_block_sumsILi512ELi16ELb1EN3c108BFloat16EiEEvPKT2_PT3_li
    .private_segment_fixed_size: 0
    .sgpr_count:     16
    .sgpr_spill_count: 0
    .symbol:         _ZN2at4cuda3cub15calc_block_sumsILi512ELi16ELb1EN3c108BFloat16EiEEvPKT2_PT3_li.kd
    .uniform_work_group_size: 1
    .uses_dynamic_stack: false
    .vgpr_count:     38
    .vgpr_spill_count: 0
    .wavefront_size: 32
    .workgroup_processor_mode: 1
  - .args:
      - .address_space:  global
        .offset:         0
        .size:           8
        .value_kind:     global_buffer
      - .address_space:  global
        .offset:         8
        .size:           8
        .value_kind:     global_buffer
      - .address_space:  global
        .offset:         16
        .size:           8
        .value_kind:     global_buffer
      - .offset:         24
        .size:           8
        .value_kind:     by_value
      - .offset:         32
        .size:           8
        .value_kind:     by_value
      - .offset:         40
        .size:           4
        .value_kind:     by_value
      - .offset:         48
        .size:           4
        .value_kind:     hidden_block_count_x
      - .offset:         52
        .size:           4
        .value_kind:     hidden_block_count_y
      - .offset:         56
        .size:           4
        .value_kind:     hidden_block_count_z
      - .offset:         60
        .size:           2
        .value_kind:     hidden_group_size_x
      - .offset:         62
        .size:           2
        .value_kind:     hidden_group_size_y
      - .offset:         64
        .size:           2
        .value_kind:     hidden_group_size_z
      - .offset:         66
        .size:           2
        .value_kind:     hidden_remainder_x
      - .offset:         68
        .size:           2
        .value_kind:     hidden_remainder_y
      - .offset:         70
        .size:           2
        .value_kind:     hidden_remainder_z
      - .offset:         88
        .size:           8
        .value_kind:     hidden_global_offset_x
      - .offset:         96
        .size:           8
        .value_kind:     hidden_global_offset_y
      - .offset:         104
        .size:           8
        .value_kind:     hidden_global_offset_z
      - .offset:         112
        .size:           2
        .value_kind:     hidden_grid_dims
    .group_segment_fixed_size: 33796
    .kernarg_segment_align: 8
    .kernarg_segment_size: 304
    .language:       OpenCL C
    .language_version:
      - 2
      - 0
    .max_flat_workgroup_size: 1024
    .name:           _ZN2at6native12_GLOBAL__N_111flag_kernelILi512ELi16EN3c108BFloat16EEEvPKT1_PlPKllli
    .private_segment_fixed_size: 0
    .sgpr_count:     29
    .sgpr_spill_count: 0
    .symbol:         _ZN2at6native12_GLOBAL__N_111flag_kernelILi512ELi16EN3c108BFloat16EEEvPKT1_PlPKllli.kd
    .uniform_work_group_size: 1
    .uses_dynamic_stack: false
    .vgpr_count:     100
    .vgpr_spill_count: 0
    .wavefront_size: 32
    .workgroup_processor_mode: 1
  - .args:
      - .address_space:  global
        .offset:         0
        .size:           8
        .value_kind:     global_buffer
      - .address_space:  global
        .offset:         8
        .size:           8
        .value_kind:     global_buffer
      - .offset:         16
        .size:           8
        .value_kind:     by_value
      - .offset:         24
        .size:           4
        .value_kind:     by_value
    .group_segment_fixed_size: 64
    .kernarg_segment_align: 8
    .kernarg_segment_size: 28
    .language:       OpenCL C
    .language_version:
      - 2
      - 0
    .max_flat_workgroup_size: 1024
    .name:           _ZN2at4cuda3cub15calc_block_sumsILi512ELi16ELb1EN3c104HalfEiEEvPKT2_PT3_li
    .private_segment_fixed_size: 0
    .sgpr_count:     16
    .sgpr_spill_count: 0
    .symbol:         _ZN2at4cuda3cub15calc_block_sumsILi512ELi16ELb1EN3c104HalfEiEEvPKT2_PT3_li.kd
    .uniform_work_group_size: 1
    .uses_dynamic_stack: false
    .vgpr_count:     38
    .vgpr_spill_count: 0
    .wavefront_size: 32
    .workgroup_processor_mode: 1
  - .args:
      - .address_space:  global
        .offset:         0
        .size:           8
        .value_kind:     global_buffer
      - .address_space:  global
        .offset:         8
        .size:           8
        .value_kind:     global_buffer
      - .address_space:  global
        .offset:         16
        .size:           8
        .value_kind:     global_buffer
      - .offset:         24
        .size:           8
        .value_kind:     by_value
      - .offset:         32
        .size:           8
        .value_kind:     by_value
      - .offset:         40
        .size:           4
        .value_kind:     by_value
      - .offset:         48
        .size:           4
        .value_kind:     hidden_block_count_x
      - .offset:         52
        .size:           4
        .value_kind:     hidden_block_count_y
      - .offset:         56
        .size:           4
        .value_kind:     hidden_block_count_z
      - .offset:         60
        .size:           2
        .value_kind:     hidden_group_size_x
      - .offset:         62
        .size:           2
        .value_kind:     hidden_group_size_y
      - .offset:         64
        .size:           2
        .value_kind:     hidden_group_size_z
      - .offset:         66
        .size:           2
        .value_kind:     hidden_remainder_x
      - .offset:         68
        .size:           2
        .value_kind:     hidden_remainder_y
      - .offset:         70
        .size:           2
        .value_kind:     hidden_remainder_z
      - .offset:         88
        .size:           8
        .value_kind:     hidden_global_offset_x
      - .offset:         96
        .size:           8
        .value_kind:     hidden_global_offset_y
      - .offset:         104
        .size:           8
        .value_kind:     hidden_global_offset_z
      - .offset:         112
        .size:           2
        .value_kind:     hidden_grid_dims
    .group_segment_fixed_size: 33796
    .kernarg_segment_align: 8
    .kernarg_segment_size: 304
    .language:       OpenCL C
    .language_version:
      - 2
      - 0
    .max_flat_workgroup_size: 1024
    .name:           _ZN2at6native12_GLOBAL__N_111flag_kernelILi512ELi16EN3c104HalfEEEvPKT1_PlPKllli
    .private_segment_fixed_size: 0
    .sgpr_count:     29
    .sgpr_spill_count: 0
    .symbol:         _ZN2at6native12_GLOBAL__N_111flag_kernelILi512ELi16EN3c104HalfEEEvPKT1_PlPKllli.kd
    .uniform_work_group_size: 1
    .uses_dynamic_stack: false
    .vgpr_count:     100
    .vgpr_spill_count: 0
    .wavefront_size: 32
    .workgroup_processor_mode: 1
amdhsa.target:   amdgcn-amd-amdhsa--gfx1201
amdhsa.version:
  - 1
  - 2
...

	.end_amdgpu_metadata
